;; amdgpu-corpus repo=ROCm/rocSOLVER kind=compiled arch=gfx950 opt=O3
	.amdgcn_target "amdgcn-amd-amdhsa--gfx950"
	.amdhsa_code_object_version 6
	.section	.text._ZN9rocsolver6v33100L18getri_kernel_smallILi1E19rocblas_complex_numIdEPS3_EEvT1_iilPiilS6_bb,"axG",@progbits,_ZN9rocsolver6v33100L18getri_kernel_smallILi1E19rocblas_complex_numIdEPS3_EEvT1_iilPiilS6_bb,comdat
	.globl	_ZN9rocsolver6v33100L18getri_kernel_smallILi1E19rocblas_complex_numIdEPS3_EEvT1_iilPiilS6_bb ; -- Begin function _ZN9rocsolver6v33100L18getri_kernel_smallILi1E19rocblas_complex_numIdEPS3_EEvT1_iilPiilS6_bb
	.p2align	8
	.type	_ZN9rocsolver6v33100L18getri_kernel_smallILi1E19rocblas_complex_numIdEPS3_EEvT1_iilPiilS6_bb,@function
_ZN9rocsolver6v33100L18getri_kernel_smallILi1E19rocblas_complex_numIdEPS3_EEvT1_iilPiilS6_bb: ; @_ZN9rocsolver6v33100L18getri_kernel_smallILi1E19rocblas_complex_numIdEPS3_EEvT1_iilPiilS6_bb
; %bb.0:
	v_cmp_eq_u32_e32 vcc, 0, v0
	s_and_saveexec_b64 s[4:5], vcc
	s_cbranch_execz .LBB0_13
; %bb.1:
	s_load_dword s4, s[0:1], 0x8
	s_load_dword s3, s[0:1], 0x38
	s_load_dwordx2 s[6:7], s[0:1], 0x0
	s_load_dwordx2 s[8:9], s[0:1], 0x10
	;; [unrolled: 1-line block ×3, first 2 shown]
	s_waitcnt lgkmcnt(0)
	s_ashr_i32 s5, s4, 31
	s_bitcmp1_b32 s3, 0
	s_cselect_b64 s[0:1], -1, 0
	s_ashr_i32 s3, s2, 31
	s_mul_hi_u32 s12, s8, s2
	s_mul_i32 s13, s8, s3
	s_add_i32 s12, s12, s13
	s_mul_i32 s9, s9, s2
	s_add_i32 s9, s12, s9
	s_mul_i32 s8, s8, s2
	s_lshl_b64 s[8:9], s[8:9], 4
	s_add_u32 s6, s6, s8
	s_addc_u32 s7, s7, s9
	s_lshl_b64 s[4:5], s[4:5], 4
	s_add_u32 s8, s6, s4
	s_addc_u32 s9, s7, s5
	s_load_dwordx4 s[4:7], s[8:9], 0x0
	s_and_b64 vcc, exec, s[0:1]
	s_cbranch_vccnz .LBB0_4
; %bb.2:
	s_lshl_b64 s[0:1], s[2:3], 2
	s_add_u32 s0, s10, s0
	s_addc_u32 s1, s11, s1
	s_load_dword s12, s[0:1], 0x0
	s_waitcnt lgkmcnt(0)
	s_cmp_eq_u32 s12, 0
	s_cselect_b64 s[12:13], -1, 0
	s_cbranch_execz .LBB0_5
; %bb.3:
	s_waitcnt lgkmcnt(0)
	v_mov_b64_e32 v[2:3], s[6:7]
	v_mov_b64_e32 v[0:1], s[4:5]
	s_and_b64 vcc, exec, s[12:13]
	s_cbranch_vccnz .LBB0_12
	s_branch .LBB0_13
.LBB0_4:
	s_mov_b64 s[12:13], 0
.LBB0_5:
	s_waitcnt lgkmcnt(0)
	v_cmp_eq_f64_e64 s[0:1], s[4:5], 0
	v_cmp_eq_f64_e64 s[14:15], s[6:7], 0
	s_and_b64 s[0:1], s[0:1], s[14:15]
	v_mov_b32_e32 v0, 0
	s_andn2_b64 vcc, exec, s[0:1]
	ds_write_b32 v0, v0
	s_waitcnt lgkmcnt(0)
	; wave barrier
	s_cbranch_vccnz .LBB0_10
; %bb.6:
	ds_read_b32 v1, v0
	s_waitcnt lgkmcnt(0)
	v_cmp_ne_u32_e32 vcc, 0, v1
	v_cmp_gt_i32_e64 s[0:1], 2, v1
	s_and_b64 s[0:1], vcc, s[0:1]
	s_and_b64 vcc, exec, s[0:1]
	s_cbranch_vccnz .LBB0_10
; %bb.7:
	s_mov_b64 s[14:15], 0
	v_mov_b32_e32 v2, 1
	v_mov_b32_e32 v3, 0
.LBB0_8:                                ; =>This Inner Loop Header: Depth=1
	ds_cmpst_rtn_b32 v1, v3, v1, v2
	s_waitcnt lgkmcnt(0)
	v_cmp_ne_u32_e32 vcc, 0, v1
	v_cmp_gt_i32_e64 s[0:1], 2, v1
	s_and_b64 s[0:1], vcc, s[0:1]
	s_and_b64 s[0:1], exec, s[0:1]
	s_or_b64 s[14:15], s[0:1], s[14:15]
	s_andn2_b64 exec, exec, s[14:15]
	s_cbranch_execnz .LBB0_8
; %bb.9:
	s_or_b64 exec, exec, s[14:15]
.LBB0_10:
	; wave barrier
	ds_read_b32 v1, v0
	s_lshl_b64 s[0:1], s[2:3], 2
	s_add_u32 s0, s10, s0
	s_addc_u32 s1, s11, s1
	s_waitcnt lgkmcnt(0)
	v_cmp_ne_u32_e32 vcc, 0, v1
	global_store_dword v0, v1, s[0:1]
	s_cbranch_vccz .LBB0_14
; %bb.11:
                                        ; implicit-def: $vgpr0_vgpr1
	s_and_b64 vcc, exec, s[12:13]
	s_cbranch_vccz .LBB0_13
.LBB0_12:
	v_mov_b32_e32 v4, 0
	global_store_dwordx4 v4, v[0:3], s[8:9]
.LBB0_13:
	s_endpgm
.LBB0_14:
	v_mov_b64_e32 v[0:1], s[6:7]
	v_cmp_ngt_f64_e64 s[0:1], |s[4:5]|, |v[0:1]|
	s_and_b64 vcc, exec, s[0:1]
	s_cbranch_vccz .LBB0_16
; %bb.15:
	v_mov_b64_e32 v[0:1], s[4:5]
	v_div_scale_f64 v[2:3], s[0:1], s[6:7], s[6:7], v[0:1]
	v_rcp_f64_e32 v[4:5], v[2:3]
	v_mov_b64_e32 v[6:7], s[6:7]
	v_fma_f64 v[8:9], -v[2:3], v[4:5], 1.0
	v_fmac_f64_e32 v[4:5], v[4:5], v[8:9]
	v_fma_f64 v[8:9], -v[2:3], v[4:5], 1.0
	v_fmac_f64_e32 v[4:5], v[4:5], v[8:9]
	v_div_scale_f64 v[8:9], vcc, s[4:5], v[6:7], s[4:5]
	v_mul_f64 v[10:11], v[8:9], v[4:5]
	v_fma_f64 v[2:3], -v[2:3], v[10:11], v[8:9]
	s_nop 1
	v_div_fmas_f64 v[2:3], v[2:3], v[4:5], v[10:11]
	v_div_fixup_f64 v[0:1], v[2:3], s[6:7], v[0:1]
	v_fma_f64 v[2:3], s[4:5], v[0:1], v[6:7]
	v_div_scale_f64 v[4:5], s[0:1], v[2:3], v[2:3], 1.0
	v_rcp_f64_e32 v[6:7], v[4:5]
	s_nop 0
	v_fma_f64 v[8:9], -v[4:5], v[6:7], 1.0
	v_fmac_f64_e32 v[6:7], v[6:7], v[8:9]
	v_fma_f64 v[8:9], -v[4:5], v[6:7], 1.0
	v_fmac_f64_e32 v[6:7], v[6:7], v[8:9]
	v_div_scale_f64 v[8:9], vcc, 1.0, v[2:3], 1.0
	v_mul_f64 v[10:11], v[8:9], v[6:7]
	v_fma_f64 v[4:5], -v[4:5], v[10:11], v[8:9]
	s_nop 1
	v_div_fmas_f64 v[4:5], v[4:5], v[6:7], v[10:11]
	v_div_fixup_f64 v[2:3], v[4:5], v[2:3], 1.0
	v_mul_f64 v[0:1], v[0:1], v[2:3]
	v_xor_b32_e32 v3, 0x80000000, v3
	s_cbranch_execz .LBB0_17
	s_branch .LBB0_18
.LBB0_16:
                                        ; implicit-def: $vgpr0_vgpr1
.LBB0_17:
	v_mov_b64_e32 v[0:1], s[6:7]
	v_div_scale_f64 v[2:3], s[0:1], s[4:5], s[4:5], v[0:1]
	v_rcp_f64_e32 v[4:5], v[2:3]
	v_mov_b64_e32 v[6:7], s[4:5]
	v_fma_f64 v[8:9], -v[2:3], v[4:5], 1.0
	v_fmac_f64_e32 v[4:5], v[4:5], v[8:9]
	v_fma_f64 v[8:9], -v[2:3], v[4:5], 1.0
	v_fmac_f64_e32 v[4:5], v[4:5], v[8:9]
	v_div_scale_f64 v[8:9], vcc, s[6:7], v[6:7], s[6:7]
	v_mul_f64 v[10:11], v[8:9], v[4:5]
	v_fma_f64 v[2:3], -v[2:3], v[10:11], v[8:9]
	s_nop 1
	v_div_fmas_f64 v[2:3], v[2:3], v[4:5], v[10:11]
	v_div_fixup_f64 v[2:3], v[2:3], s[4:5], v[0:1]
	v_fma_f64 v[0:1], s[6:7], v[2:3], v[6:7]
	v_div_scale_f64 v[4:5], s[0:1], v[0:1], v[0:1], 1.0
	v_rcp_f64_e32 v[6:7], v[4:5]
	s_nop 0
	v_fma_f64 v[8:9], -v[4:5], v[6:7], 1.0
	v_fmac_f64_e32 v[6:7], v[6:7], v[8:9]
	v_fma_f64 v[8:9], -v[4:5], v[6:7], 1.0
	v_fmac_f64_e32 v[6:7], v[6:7], v[8:9]
	v_div_scale_f64 v[8:9], vcc, 1.0, v[0:1], 1.0
	v_mul_f64 v[10:11], v[8:9], v[6:7]
	v_fma_f64 v[4:5], -v[4:5], v[10:11], v[8:9]
	s_nop 1
	v_div_fmas_f64 v[4:5], v[4:5], v[6:7], v[10:11]
	v_div_fixup_f64 v[0:1], v[4:5], v[0:1], 1.0
	v_mul_f64 v[2:3], v[2:3], -v[0:1]
.LBB0_18:
	s_cbranch_execnz .LBB0_12
	s_branch .LBB0_13
	.section	.rodata,"a",@progbits
	.p2align	6, 0x0
	.amdhsa_kernel _ZN9rocsolver6v33100L18getri_kernel_smallILi1E19rocblas_complex_numIdEPS3_EEvT1_iilPiilS6_bb
		.amdhsa_group_segment_fixed_size 4
		.amdhsa_private_segment_fixed_size 0
		.amdhsa_kernarg_size 60
		.amdhsa_user_sgpr_count 2
		.amdhsa_user_sgpr_dispatch_ptr 0
		.amdhsa_user_sgpr_queue_ptr 0
		.amdhsa_user_sgpr_kernarg_segment_ptr 1
		.amdhsa_user_sgpr_dispatch_id 0
		.amdhsa_user_sgpr_kernarg_preload_length 0
		.amdhsa_user_sgpr_kernarg_preload_offset 0
		.amdhsa_user_sgpr_private_segment_size 0
		.amdhsa_uses_dynamic_stack 0
		.amdhsa_enable_private_segment 0
		.amdhsa_system_sgpr_workgroup_id_x 1
		.amdhsa_system_sgpr_workgroup_id_y 0
		.amdhsa_system_sgpr_workgroup_id_z 0
		.amdhsa_system_sgpr_workgroup_info 0
		.amdhsa_system_vgpr_workitem_id 0
		.amdhsa_next_free_vgpr 12
		.amdhsa_next_free_sgpr 16
		.amdhsa_accum_offset 12
		.amdhsa_reserve_vcc 1
		.amdhsa_float_round_mode_32 0
		.amdhsa_float_round_mode_16_64 0
		.amdhsa_float_denorm_mode_32 3
		.amdhsa_float_denorm_mode_16_64 3
		.amdhsa_dx10_clamp 1
		.amdhsa_ieee_mode 1
		.amdhsa_fp16_overflow 0
		.amdhsa_tg_split 0
		.amdhsa_exception_fp_ieee_invalid_op 0
		.amdhsa_exception_fp_denorm_src 0
		.amdhsa_exception_fp_ieee_div_zero 0
		.amdhsa_exception_fp_ieee_overflow 0
		.amdhsa_exception_fp_ieee_underflow 0
		.amdhsa_exception_fp_ieee_inexact 0
		.amdhsa_exception_int_div_zero 0
	.end_amdhsa_kernel
	.section	.text._ZN9rocsolver6v33100L18getri_kernel_smallILi1E19rocblas_complex_numIdEPS3_EEvT1_iilPiilS6_bb,"axG",@progbits,_ZN9rocsolver6v33100L18getri_kernel_smallILi1E19rocblas_complex_numIdEPS3_EEvT1_iilPiilS6_bb,comdat
.Lfunc_end0:
	.size	_ZN9rocsolver6v33100L18getri_kernel_smallILi1E19rocblas_complex_numIdEPS3_EEvT1_iilPiilS6_bb, .Lfunc_end0-_ZN9rocsolver6v33100L18getri_kernel_smallILi1E19rocblas_complex_numIdEPS3_EEvT1_iilPiilS6_bb
                                        ; -- End function
	.set _ZN9rocsolver6v33100L18getri_kernel_smallILi1E19rocblas_complex_numIdEPS3_EEvT1_iilPiilS6_bb.num_vgpr, 12
	.set _ZN9rocsolver6v33100L18getri_kernel_smallILi1E19rocblas_complex_numIdEPS3_EEvT1_iilPiilS6_bb.num_agpr, 0
	.set _ZN9rocsolver6v33100L18getri_kernel_smallILi1E19rocblas_complex_numIdEPS3_EEvT1_iilPiilS6_bb.numbered_sgpr, 16
	.set _ZN9rocsolver6v33100L18getri_kernel_smallILi1E19rocblas_complex_numIdEPS3_EEvT1_iilPiilS6_bb.num_named_barrier, 0
	.set _ZN9rocsolver6v33100L18getri_kernel_smallILi1E19rocblas_complex_numIdEPS3_EEvT1_iilPiilS6_bb.private_seg_size, 0
	.set _ZN9rocsolver6v33100L18getri_kernel_smallILi1E19rocblas_complex_numIdEPS3_EEvT1_iilPiilS6_bb.uses_vcc, 1
	.set _ZN9rocsolver6v33100L18getri_kernel_smallILi1E19rocblas_complex_numIdEPS3_EEvT1_iilPiilS6_bb.uses_flat_scratch, 0
	.set _ZN9rocsolver6v33100L18getri_kernel_smallILi1E19rocblas_complex_numIdEPS3_EEvT1_iilPiilS6_bb.has_dyn_sized_stack, 0
	.set _ZN9rocsolver6v33100L18getri_kernel_smallILi1E19rocblas_complex_numIdEPS3_EEvT1_iilPiilS6_bb.has_recursion, 0
	.set _ZN9rocsolver6v33100L18getri_kernel_smallILi1E19rocblas_complex_numIdEPS3_EEvT1_iilPiilS6_bb.has_indirect_call, 0
	.section	.AMDGPU.csdata,"",@progbits
; Kernel info:
; codeLenInByte = 828
; TotalNumSgprs: 22
; NumVgprs: 12
; NumAgprs: 0
; TotalNumVgprs: 12
; ScratchSize: 0
; MemoryBound: 0
; FloatMode: 240
; IeeeMode: 1
; LDSByteSize: 4 bytes/workgroup (compile time only)
; SGPRBlocks: 2
; VGPRBlocks: 1
; NumSGPRsForWavesPerEU: 22
; NumVGPRsForWavesPerEU: 12
; AccumOffset: 12
; Occupancy: 8
; WaveLimiterHint : 0
; COMPUTE_PGM_RSRC2:SCRATCH_EN: 0
; COMPUTE_PGM_RSRC2:USER_SGPR: 2
; COMPUTE_PGM_RSRC2:TRAP_HANDLER: 0
; COMPUTE_PGM_RSRC2:TGID_X_EN: 1
; COMPUTE_PGM_RSRC2:TGID_Y_EN: 0
; COMPUTE_PGM_RSRC2:TGID_Z_EN: 0
; COMPUTE_PGM_RSRC2:TIDIG_COMP_CNT: 0
; COMPUTE_PGM_RSRC3_GFX90A:ACCUM_OFFSET: 2
; COMPUTE_PGM_RSRC3_GFX90A:TG_SPLIT: 0
	.section	.text._ZN9rocsolver6v33100L18getri_kernel_smallILi2E19rocblas_complex_numIdEPS3_EEvT1_iilPiilS6_bb,"axG",@progbits,_ZN9rocsolver6v33100L18getri_kernel_smallILi2E19rocblas_complex_numIdEPS3_EEvT1_iilPiilS6_bb,comdat
	.globl	_ZN9rocsolver6v33100L18getri_kernel_smallILi2E19rocblas_complex_numIdEPS3_EEvT1_iilPiilS6_bb ; -- Begin function _ZN9rocsolver6v33100L18getri_kernel_smallILi2E19rocblas_complex_numIdEPS3_EEvT1_iilPiilS6_bb
	.p2align	8
	.type	_ZN9rocsolver6v33100L18getri_kernel_smallILi2E19rocblas_complex_numIdEPS3_EEvT1_iilPiilS6_bb,@function
_ZN9rocsolver6v33100L18getri_kernel_smallILi2E19rocblas_complex_numIdEPS3_EEvT1_iilPiilS6_bb: ; @_ZN9rocsolver6v33100L18getri_kernel_smallILi2E19rocblas_complex_numIdEPS3_EEvT1_iilPiilS6_bb
; %bb.0:
	v_and_b32_e32 v1, 0x3ff, v0
	v_cmp_gt_u32_e32 vcc, 2, v1
	s_and_saveexec_b64 s[6:7], vcc
	s_cbranch_execz .LBB1_22
; %bb.1:
	s_load_dword s6, s[2:3], 0x38
	s_load_dwordx4 s[12:15], s[2:3], 0x10
	s_load_dwordx4 s[8:11], s[2:3], 0x28
                                        ; implicit-def: $sgpr18_sgpr19
	s_waitcnt lgkmcnt(0)
	s_bitcmp1_b32 s6, 8
	s_cselect_b64 s[16:17], -1, 0
	s_ashr_i32 s5, s4, 31
	s_bfe_u32 s6, s6, 0x10008
	s_cmp_eq_u32 s6, 0
	s_cbranch_scc1 .LBB1_3
; %bb.2:
	s_load_dword s6, s[2:3], 0x20
	s_mul_i32 s7, s8, s5
	s_mul_hi_u32 s18, s8, s4
	s_mul_i32 s9, s9, s4
	s_add_i32 s18, s18, s7
	s_add_i32 s9, s18, s9
	s_mul_i32 s8, s8, s4
	s_waitcnt lgkmcnt(0)
	s_ashr_i32 s7, s6, 31
	s_lshl_b64 s[8:9], s[8:9], 2
	s_add_u32 s8, s14, s8
	s_addc_u32 s9, s15, s9
	s_lshl_b64 s[6:7], s[6:7], 2
	s_add_u32 s18, s8, s6
	s_addc_u32 s19, s9, s7
.LBB1_3:
	s_load_dwordx4 s[20:23], s[2:3], 0x0
	s_load_dword s8, s[2:3], 0x38
	s_mul_i32 s6, s12, s5
	s_mul_hi_u32 s7, s12, s4
	s_add_i32 s6, s7, s6
	s_mul_i32 s7, s13, s4
	s_add_i32 s7, s6, s7
	s_mul_i32 s6, s12, s4
	s_waitcnt lgkmcnt(0)
	s_ashr_i32 s3, s22, 31
	s_lshl_b64 s[6:7], s[6:7], 4
	s_mov_b32 s2, s22
	s_add_u32 s6, s20, s6
	s_addc_u32 s7, s21, s7
	s_lshl_b64 s[2:3], s[2:3], 4
	s_add_u32 s2, s6, s2
	s_addc_u32 s3, s7, s3
	v_lshlrev_b32_e32 v18, 4, v1
	v_mov_b32_e32 v19, 0
	v_lshl_add_u64 v[14:15], s[2:3], 0, v[18:19]
	global_load_dwordx4 v[2:5], v18, s[2:3]
	s_ashr_i32 s3, s23, 31
	s_mov_b32 s2, s23
	v_lshl_add_u64 v[16:17], s[2:3], 4, v[14:15]
	global_load_dwordx4 v[6:9], v[16:17], off
	s_mov_b32 s14, 16
	s_bitcmp0_b32 s8, 0
	s_mov_b64 s[6:7], -1
	s_waitcnt vmcnt(1)
	scratch_store_dwordx4 off, v[2:5], off
	s_waitcnt vmcnt(1)
	scratch_store_dwordx4 off, v[6:9], off offset:16
	s_cbranch_scc1 .LBB1_20
; %bb.4:
	v_cmp_eq_u32_e64 s[2:3], 0, v1
	s_and_saveexec_b64 s[6:7], s[2:3]
; %bb.5:
	v_mov_b32_e32 v2, 0
	ds_write_b32 v2, v2 offset:64
; %bb.6:
	s_or_b64 exec, exec, s[6:7]
	s_waitcnt lgkmcnt(0)
	; wave barrier
	scratch_load_dwordx4 v[2:5], v18, off
	s_waitcnt vmcnt(0)
	v_cmp_eq_f64_e32 vcc, 0, v[2:3]
	v_cmp_eq_f64_e64 s[6:7], 0, v[4:5]
	s_and_b64 s[6:7], vcc, s[6:7]
	s_and_saveexec_b64 s[8:9], s[6:7]
	s_cbranch_execz .LBB1_10
; %bb.7:
	v_mov_b32_e32 v2, 0
	ds_read_b32 v4, v2 offset:64
	v_add_u32_e32 v3, 1, v1
	s_waitcnt lgkmcnt(0)
	v_readfirstlane_b32 s6, v4
	s_cmp_eq_u32 s6, 0
	s_cselect_b64 s[12:13], -1, 0
	v_cmp_gt_i32_e32 vcc, s6, v3
	s_or_b64 s[12:13], s[12:13], vcc
	s_and_b64 exec, exec, s[12:13]
	s_cbranch_execz .LBB1_10
; %bb.8:
	s_mov_b64 s[12:13], 0
	v_mov_b32_e32 v4, s6
.LBB1_9:                                ; =>This Inner Loop Header: Depth=1
	ds_cmpst_rtn_b32 v4, v2, v4, v3 offset:64
	s_waitcnt lgkmcnt(0)
	v_cmp_ne_u32_e32 vcc, 0, v4
	v_cmp_le_i32_e64 s[6:7], v4, v3
	s_and_b64 s[6:7], vcc, s[6:7]
	s_and_b64 s[6:7], exec, s[6:7]
	s_or_b64 s[12:13], s[6:7], s[12:13]
	s_andn2_b64 exec, exec, s[12:13]
	s_cbranch_execnz .LBB1_9
.LBB1_10:
	s_or_b64 exec, exec, s[8:9]
	v_mov_b32_e32 v3, 0
	; wave barrier
	ds_read_b32 v2, v3 offset:64
	s_and_saveexec_b64 s[6:7], s[2:3]
	s_cbranch_execz .LBB1_12
; %bb.11:
	s_lshl_b64 s[8:9], s[4:5], 2
	s_add_u32 s8, s10, s8
	s_addc_u32 s9, s11, s9
	s_waitcnt lgkmcnt(0)
	global_store_dword v3, v2, s[8:9]
.LBB1_12:
	s_or_b64 exec, exec, s[6:7]
	s_waitcnt lgkmcnt(0)
	v_cmp_ne_u32_e32 vcc, 0, v2
	s_mov_b64 s[6:7], 0
	s_cbranch_vccnz .LBB1_20
; %bb.13:
	v_mov_b32_e32 v12, v18
	scratch_load_dwordx4 v[2:5], v12, off
                                        ; implicit-def: $vgpr6_vgpr7
                                        ; implicit-def: $vgpr10_vgpr11
	s_waitcnt vmcnt(0)
	v_cmp_ngt_f64_e64 s[6:7], |v[2:3]|, |v[4:5]|
	s_and_saveexec_b64 s[8:9], s[6:7]
	s_xor_b64 s[6:7], exec, s[8:9]
	s_cbranch_execz .LBB1_15
; %bb.14:
	v_div_scale_f64 v[6:7], s[8:9], v[4:5], v[4:5], v[2:3]
	v_rcp_f64_e32 v[8:9], v[6:7]
	v_div_scale_f64 v[10:11], vcc, v[2:3], v[4:5], v[2:3]
	v_fma_f64 v[20:21], -v[6:7], v[8:9], 1.0
	v_fmac_f64_e32 v[8:9], v[8:9], v[20:21]
	v_fma_f64 v[20:21], -v[6:7], v[8:9], 1.0
	v_fmac_f64_e32 v[8:9], v[8:9], v[20:21]
	v_mul_f64 v[20:21], v[10:11], v[8:9]
	v_fma_f64 v[6:7], -v[6:7], v[20:21], v[10:11]
	v_div_fmas_f64 v[6:7], v[6:7], v[8:9], v[20:21]
	v_div_fixup_f64 v[6:7], v[6:7], v[4:5], v[2:3]
	v_fmac_f64_e32 v[4:5], v[2:3], v[6:7]
	v_div_scale_f64 v[2:3], s[8:9], v[4:5], v[4:5], 1.0
	v_rcp_f64_e32 v[8:9], v[2:3]
	s_nop 0
	v_fma_f64 v[10:11], -v[2:3], v[8:9], 1.0
	v_fmac_f64_e32 v[8:9], v[8:9], v[10:11]
	v_fma_f64 v[10:11], -v[2:3], v[8:9], 1.0
	v_fmac_f64_e32 v[8:9], v[8:9], v[10:11]
	v_div_scale_f64 v[10:11], vcc, 1.0, v[4:5], 1.0
	v_mul_f64 v[20:21], v[10:11], v[8:9]
	v_fma_f64 v[2:3], -v[2:3], v[20:21], v[10:11]
	s_nop 1
	v_div_fmas_f64 v[2:3], v[2:3], v[8:9], v[20:21]
	v_div_fixup_f64 v[8:9], v[2:3], v[4:5], 1.0
	v_mul_f64 v[6:7], v[6:7], v[8:9]
	v_xor_b32_e32 v9, 0x80000000, v9
	v_xor_b32_e32 v11, 0x80000000, v7
	v_mov_b32_e32 v10, v6
                                        ; implicit-def: $vgpr2_vgpr3
.LBB1_15:
	s_andn2_saveexec_b64 s[6:7], s[6:7]
	s_cbranch_execz .LBB1_17
; %bb.16:
	v_div_scale_f64 v[6:7], s[8:9], v[2:3], v[2:3], v[4:5]
	v_rcp_f64_e32 v[8:9], v[6:7]
	v_div_scale_f64 v[10:11], vcc, v[4:5], v[2:3], v[4:5]
	v_fma_f64 v[20:21], -v[6:7], v[8:9], 1.0
	v_fmac_f64_e32 v[8:9], v[8:9], v[20:21]
	v_fma_f64 v[20:21], -v[6:7], v[8:9], 1.0
	v_fmac_f64_e32 v[8:9], v[8:9], v[20:21]
	v_mul_f64 v[20:21], v[10:11], v[8:9]
	v_fma_f64 v[6:7], -v[6:7], v[20:21], v[10:11]
	v_div_fmas_f64 v[6:7], v[6:7], v[8:9], v[20:21]
	v_div_fixup_f64 v[8:9], v[6:7], v[2:3], v[4:5]
	v_fmac_f64_e32 v[2:3], v[4:5], v[8:9]
	v_div_scale_f64 v[4:5], s[8:9], v[2:3], v[2:3], 1.0
	v_rcp_f64_e32 v[6:7], v[4:5]
	s_nop 0
	v_fma_f64 v[10:11], -v[4:5], v[6:7], 1.0
	v_fmac_f64_e32 v[6:7], v[6:7], v[10:11]
	v_fma_f64 v[10:11], -v[4:5], v[6:7], 1.0
	v_fmac_f64_e32 v[6:7], v[6:7], v[10:11]
	v_div_scale_f64 v[10:11], vcc, 1.0, v[2:3], 1.0
	v_mul_f64 v[20:21], v[10:11], v[6:7]
	v_fma_f64 v[4:5], -v[4:5], v[20:21], v[10:11]
	s_nop 1
	v_div_fmas_f64 v[4:5], v[4:5], v[6:7], v[20:21]
	v_div_fixup_f64 v[6:7], v[4:5], v[2:3], 1.0
	v_xor_b32_e32 v11, 0x80000000, v7
	v_mov_b32_e32 v10, v6
	v_mul_f64 v[8:9], v[8:9], -v[6:7]
.LBB1_17:
	s_or_b64 exec, exec, s[6:7]
	scratch_store_dwordx4 v12, v[6:9], off
	scratch_load_dwordx4 v[2:5], off, s14
	v_xor_b32_e32 v13, 0x80000000, v9
	v_mov_b32_e32 v12, v8
	ds_write_b128 v18, v[10:13]
	s_waitcnt vmcnt(0)
	ds_write_b128 v18, v[2:5] offset:32
	s_waitcnt lgkmcnt(0)
	; wave barrier
	s_and_saveexec_b64 s[6:7], s[2:3]
	s_cbranch_execz .LBB1_19
; %bb.18:
	scratch_load_dwordx4 v[2:5], off, off
	v_mov_b32_e32 v10, 0
	ds_read_b128 v[6:9], v10 offset:32
	ds_read_b128 v[10:13], v10 offset:16
	s_waitcnt vmcnt(0) lgkmcnt(1)
	v_mul_f64 v[18:19], v[8:9], v[4:5]
	v_mul_f64 v[4:5], v[6:7], v[4:5]
	v_fma_f64 v[6:7], v[6:7], v[2:3], -v[18:19]
	v_fmac_f64_e32 v[4:5], v[8:9], v[2:3]
	v_add_f64 v[2:3], v[6:7], 0
	v_add_f64 v[6:7], v[4:5], 0
	s_waitcnt lgkmcnt(0)
	v_mul_f64 v[8:9], v[6:7], v[12:13]
	v_mul_f64 v[4:5], v[2:3], v[12:13]
	v_fma_f64 v[2:3], v[2:3], v[10:11], -v[8:9]
	v_fmac_f64_e32 v[4:5], v[6:7], v[10:11]
	scratch_store_dwordx4 off, v[2:5], off offset:16
.LBB1_19:
	s_or_b64 exec, exec, s[6:7]
	s_mov_b64 s[6:7], -1
	; wave barrier
.LBB1_20:
	s_and_b64 vcc, exec, s[6:7]
	s_cbranch_vccz .LBB1_22
; %bb.21:
	s_lshl_b64 s[2:3], s[4:5], 2
	s_add_u32 s2, s10, s2
	s_addc_u32 s3, s11, s3
	v_mov_b32_e32 v2, 0
	global_load_dword v2, v2, s[2:3]
	s_waitcnt vmcnt(0)
	v_cmp_ne_u32_e32 vcc, 0, v2
	s_cbranch_vccz .LBB1_23
.LBB1_22:
	s_endpgm
.LBB1_23:
	v_cmp_eq_u32_e32 vcc, 1, v1
	s_and_saveexec_b64 s[2:3], vcc
	s_cbranch_execz .LBB1_25
; %bb.24:
	scratch_load_dwordx4 v[2:5], off, off
	v_mov_b32_e32 v6, 0
	v_mov_b32_e32 v7, v6
	;; [unrolled: 1-line block ×4, first 2 shown]
	scratch_store_dwordx4 off, v[6:9], off
	s_waitcnt vmcnt(1)
	ds_write_b128 v6, v[2:5] offset:48
.LBB1_25:
	s_or_b64 exec, exec, s[2:3]
	s_waitcnt lgkmcnt(0)
	; wave barrier
	scratch_load_dwordx4 v[4:7], off, off offset:16
	scratch_load_dwordx4 v[8:11], off, off
	v_mov_b32_e32 v2, 0
	ds_read_b128 v[18:21], v2 offset:48
	s_and_b64 vcc, exec, s[16:17]
	s_waitcnt vmcnt(1) lgkmcnt(0)
	v_mul_f64 v[12:13], v[20:21], v[6:7]
	v_mul_f64 v[6:7], v[18:19], v[6:7]
	v_fma_f64 v[12:13], v[18:19], v[4:5], -v[12:13]
	v_fmac_f64_e32 v[6:7], v[20:21], v[4:5]
	v_add_f64 v[4:5], v[12:13], 0
	v_add_f64 v[6:7], v[6:7], 0
	s_waitcnt vmcnt(0)
	v_add_f64 v[4:5], v[8:9], -v[4:5]
	v_add_f64 v[6:7], v[10:11], -v[6:7]
	scratch_store_dwordx4 off, v[4:7], off
	s_cbranch_vccz .LBB1_28
; %bb.26:
	global_load_dword v2, v2, s[18:19]
	s_waitcnt vmcnt(0)
	v_readfirstlane_b32 s2, v2
	s_add_i32 s2, s2, -1
	s_cmp_lg_u32 s2, 0
	s_cbranch_scc0 .LBB1_28
; %bb.27:
	s_lshl_b32 s4, s2, 4
	scratch_load_dwordx4 v[2:5], off, off
	scratch_load_dwordx4 v[6:9], off, s4
	s_load_dwordx2 s[2:3], s[0:1], 0x4
	v_bfe_u32 v10, v0, 10, 10
	v_bfe_u32 v0, v0, 20, 10
	s_waitcnt lgkmcnt(0)
	s_lshr_b32 s0, s2, 16
	v_mul_u32_u24_e32 v10, s3, v10
	s_mul_i32 s0, s0, s3
	v_mad_u32_u24 v1, s0, v1, v10
	v_add_lshl_u32 v0, v1, v0, 4
	s_waitcnt vmcnt(1)
	ds_write2_b64 v0, v[2:3], v[4:5] offset0:9 offset1:10
	s_waitcnt vmcnt(0)
	scratch_store_dwordx4 off, v[6:9], off
	scratch_store_dwordx4 off, v[2:5], s4
.LBB1_28:
	scratch_load_dwordx4 v[0:3], off, off
	s_nop 0
	scratch_load_dwordx4 v[4:7], off, s14
	s_waitcnt vmcnt(1)
	global_store_dwordx4 v[14:15], v[0:3], off
	s_waitcnt vmcnt(1)
	global_store_dwordx4 v[16:17], v[4:7], off
	s_endpgm
	.section	.rodata,"a",@progbits
	.p2align	6, 0x0
	.amdhsa_kernel _ZN9rocsolver6v33100L18getri_kernel_smallILi2E19rocblas_complex_numIdEPS3_EEvT1_iilPiilS6_bb
		.amdhsa_group_segment_fixed_size 1096
		.amdhsa_private_segment_fixed_size 48
		.amdhsa_kernarg_size 60
		.amdhsa_user_sgpr_count 4
		.amdhsa_user_sgpr_dispatch_ptr 1
		.amdhsa_user_sgpr_queue_ptr 0
		.amdhsa_user_sgpr_kernarg_segment_ptr 1
		.amdhsa_user_sgpr_dispatch_id 0
		.amdhsa_user_sgpr_kernarg_preload_length 0
		.amdhsa_user_sgpr_kernarg_preload_offset 0
		.amdhsa_user_sgpr_private_segment_size 0
		.amdhsa_uses_dynamic_stack 0
		.amdhsa_enable_private_segment 1
		.amdhsa_system_sgpr_workgroup_id_x 1
		.amdhsa_system_sgpr_workgroup_id_y 0
		.amdhsa_system_sgpr_workgroup_id_z 0
		.amdhsa_system_sgpr_workgroup_info 0
		.amdhsa_system_vgpr_workitem_id 2
		.amdhsa_next_free_vgpr 22
		.amdhsa_next_free_sgpr 24
		.amdhsa_accum_offset 24
		.amdhsa_reserve_vcc 1
		.amdhsa_float_round_mode_32 0
		.amdhsa_float_round_mode_16_64 0
		.amdhsa_float_denorm_mode_32 3
		.amdhsa_float_denorm_mode_16_64 3
		.amdhsa_dx10_clamp 1
		.amdhsa_ieee_mode 1
		.amdhsa_fp16_overflow 0
		.amdhsa_tg_split 0
		.amdhsa_exception_fp_ieee_invalid_op 0
		.amdhsa_exception_fp_denorm_src 0
		.amdhsa_exception_fp_ieee_div_zero 0
		.amdhsa_exception_fp_ieee_overflow 0
		.amdhsa_exception_fp_ieee_underflow 0
		.amdhsa_exception_fp_ieee_inexact 0
		.amdhsa_exception_int_div_zero 0
	.end_amdhsa_kernel
	.section	.text._ZN9rocsolver6v33100L18getri_kernel_smallILi2E19rocblas_complex_numIdEPS3_EEvT1_iilPiilS6_bb,"axG",@progbits,_ZN9rocsolver6v33100L18getri_kernel_smallILi2E19rocblas_complex_numIdEPS3_EEvT1_iilPiilS6_bb,comdat
.Lfunc_end1:
	.size	_ZN9rocsolver6v33100L18getri_kernel_smallILi2E19rocblas_complex_numIdEPS3_EEvT1_iilPiilS6_bb, .Lfunc_end1-_ZN9rocsolver6v33100L18getri_kernel_smallILi2E19rocblas_complex_numIdEPS3_EEvT1_iilPiilS6_bb
                                        ; -- End function
	.set _ZN9rocsolver6v33100L18getri_kernel_smallILi2E19rocblas_complex_numIdEPS3_EEvT1_iilPiilS6_bb.num_vgpr, 22
	.set _ZN9rocsolver6v33100L18getri_kernel_smallILi2E19rocblas_complex_numIdEPS3_EEvT1_iilPiilS6_bb.num_agpr, 0
	.set _ZN9rocsolver6v33100L18getri_kernel_smallILi2E19rocblas_complex_numIdEPS3_EEvT1_iilPiilS6_bb.numbered_sgpr, 24
	.set _ZN9rocsolver6v33100L18getri_kernel_smallILi2E19rocblas_complex_numIdEPS3_EEvT1_iilPiilS6_bb.num_named_barrier, 0
	.set _ZN9rocsolver6v33100L18getri_kernel_smallILi2E19rocblas_complex_numIdEPS3_EEvT1_iilPiilS6_bb.private_seg_size, 48
	.set _ZN9rocsolver6v33100L18getri_kernel_smallILi2E19rocblas_complex_numIdEPS3_EEvT1_iilPiilS6_bb.uses_vcc, 1
	.set _ZN9rocsolver6v33100L18getri_kernel_smallILi2E19rocblas_complex_numIdEPS3_EEvT1_iilPiilS6_bb.uses_flat_scratch, 0
	.set _ZN9rocsolver6v33100L18getri_kernel_smallILi2E19rocblas_complex_numIdEPS3_EEvT1_iilPiilS6_bb.has_dyn_sized_stack, 0
	.set _ZN9rocsolver6v33100L18getri_kernel_smallILi2E19rocblas_complex_numIdEPS3_EEvT1_iilPiilS6_bb.has_recursion, 0
	.set _ZN9rocsolver6v33100L18getri_kernel_smallILi2E19rocblas_complex_numIdEPS3_EEvT1_iilPiilS6_bb.has_indirect_call, 0
	.section	.AMDGPU.csdata,"",@progbits
; Kernel info:
; codeLenInByte = 1556
; TotalNumSgprs: 30
; NumVgprs: 22
; NumAgprs: 0
; TotalNumVgprs: 22
; ScratchSize: 48
; MemoryBound: 0
; FloatMode: 240
; IeeeMode: 1
; LDSByteSize: 1096 bytes/workgroup (compile time only)
; SGPRBlocks: 3
; VGPRBlocks: 2
; NumSGPRsForWavesPerEU: 30
; NumVGPRsForWavesPerEU: 22
; AccumOffset: 24
; Occupancy: 8
; WaveLimiterHint : 0
; COMPUTE_PGM_RSRC2:SCRATCH_EN: 1
; COMPUTE_PGM_RSRC2:USER_SGPR: 4
; COMPUTE_PGM_RSRC2:TRAP_HANDLER: 0
; COMPUTE_PGM_RSRC2:TGID_X_EN: 1
; COMPUTE_PGM_RSRC2:TGID_Y_EN: 0
; COMPUTE_PGM_RSRC2:TGID_Z_EN: 0
; COMPUTE_PGM_RSRC2:TIDIG_COMP_CNT: 2
; COMPUTE_PGM_RSRC3_GFX90A:ACCUM_OFFSET: 5
; COMPUTE_PGM_RSRC3_GFX90A:TG_SPLIT: 0
	.section	.text._ZN9rocsolver6v33100L18getri_kernel_smallILi3E19rocblas_complex_numIdEPS3_EEvT1_iilPiilS6_bb,"axG",@progbits,_ZN9rocsolver6v33100L18getri_kernel_smallILi3E19rocblas_complex_numIdEPS3_EEvT1_iilPiilS6_bb,comdat
	.globl	_ZN9rocsolver6v33100L18getri_kernel_smallILi3E19rocblas_complex_numIdEPS3_EEvT1_iilPiilS6_bb ; -- Begin function _ZN9rocsolver6v33100L18getri_kernel_smallILi3E19rocblas_complex_numIdEPS3_EEvT1_iilPiilS6_bb
	.p2align	8
	.type	_ZN9rocsolver6v33100L18getri_kernel_smallILi3E19rocblas_complex_numIdEPS3_EEvT1_iilPiilS6_bb,@function
_ZN9rocsolver6v33100L18getri_kernel_smallILi3E19rocblas_complex_numIdEPS3_EEvT1_iilPiilS6_bb: ; @_ZN9rocsolver6v33100L18getri_kernel_smallILi3E19rocblas_complex_numIdEPS3_EEvT1_iilPiilS6_bb
; %bb.0:
	v_and_b32_e32 v1, 0x3ff, v0
	v_cmp_gt_u32_e32 vcc, 3, v1
	s_and_saveexec_b64 s[6:7], vcc
	s_cbranch_execz .LBB2_26
; %bb.1:
	s_load_dword s6, s[2:3], 0x38
	s_load_dwordx4 s[12:15], s[2:3], 0x10
	s_load_dwordx4 s[8:11], s[2:3], 0x28
                                        ; implicit-def: $sgpr16_sgpr17
	s_waitcnt lgkmcnt(0)
	s_bitcmp1_b32 s6, 8
	s_cselect_b64 s[18:19], -1, 0
	s_ashr_i32 s5, s4, 31
	s_bfe_u32 s6, s6, 0x10008
	s_cmp_eq_u32 s6, 0
	s_cbranch_scc1 .LBB2_3
; %bb.2:
	s_load_dword s6, s[2:3], 0x20
	s_mul_i32 s7, s8, s5
	s_mul_hi_u32 s16, s8, s4
	s_mul_i32 s9, s9, s4
	s_add_i32 s16, s16, s7
	s_add_i32 s9, s16, s9
	s_mul_i32 s8, s8, s4
	s_waitcnt lgkmcnt(0)
	s_ashr_i32 s7, s6, 31
	s_lshl_b64 s[8:9], s[8:9], 2
	s_add_u32 s8, s14, s8
	s_addc_u32 s9, s15, s9
	s_lshl_b64 s[6:7], s[6:7], 2
	s_add_u32 s16, s8, s6
	s_addc_u32 s17, s9, s7
.LBB2_3:
	s_load_dwordx4 s[20:23], s[2:3], 0x0
	s_load_dword s8, s[2:3], 0x38
	s_mul_i32 s6, s12, s5
	s_mul_hi_u32 s7, s12, s4
	s_add_i32 s6, s7, s6
	s_mul_i32 s7, s13, s4
	s_add_i32 s7, s6, s7
	s_mul_i32 s6, s12, s4
	s_waitcnt lgkmcnt(0)
	s_ashr_i32 s3, s22, 31
	s_lshl_b64 s[6:7], s[6:7], 4
	s_mov_b32 s2, s22
	s_add_u32 s6, s20, s6
	s_addc_u32 s7, s21, s7
	s_lshl_b64 s[2:3], s[2:3], 4
	s_add_u32 s2, s6, s2
	s_addc_u32 s3, s7, s3
	v_lshlrev_b32_e32 v20, 4, v1
	v_mov_b32_e32 v21, 0
	v_lshl_add_u64 v[14:15], s[2:3], 0, v[20:21]
	s_ashr_i32 s7, s23, 31
	s_mov_b32 s6, s23
	v_lshl_add_u64 v[16:17], s[6:7], 4, v[14:15]
	s_add_i32 s6, s23, s23
	v_add_u32_e32 v6, s6, v1
	v_ashrrev_i32_e32 v7, 31, v6
	global_load_dwordx4 v[2:5], v20, s[2:3]
	v_lshl_add_u64 v[18:19], v[6:7], 4, s[2:3]
	global_load_dwordx4 v[6:9], v[16:17], off
	global_load_dwordx4 v[10:13], v[18:19], off
	s_mov_b32 s14, 16
	s_mov_b32 s15, 32
	s_bitcmp0_b32 s8, 0
	s_mov_b64 s[6:7], -1
	s_waitcnt vmcnt(2)
	scratch_store_dwordx4 off, v[2:5], off
	s_waitcnt vmcnt(2)
	scratch_store_dwordx4 off, v[6:9], off offset:16
	s_waitcnt vmcnt(2)
	scratch_store_dwordx4 off, v[10:13], off offset:32
	s_cbranch_scc1 .LBB2_24
; %bb.4:
	v_cmp_eq_u32_e64 s[2:3], 0, v1
	s_and_saveexec_b64 s[6:7], s[2:3]
; %bb.5:
	v_mov_b32_e32 v2, 0
	ds_write_b32 v2, v2 offset:96
; %bb.6:
	s_or_b64 exec, exec, s[6:7]
	s_waitcnt lgkmcnt(0)
	; wave barrier
	scratch_load_dwordx4 v[2:5], v20, off
	s_waitcnt vmcnt(0)
	v_cmp_eq_f64_e32 vcc, 0, v[2:3]
	v_cmp_eq_f64_e64 s[6:7], 0, v[4:5]
	s_and_b64 s[6:7], vcc, s[6:7]
	s_and_saveexec_b64 s[8:9], s[6:7]
	s_cbranch_execz .LBB2_10
; %bb.7:
	v_mov_b32_e32 v2, 0
	ds_read_b32 v4, v2 offset:96
	v_add_u32_e32 v3, 1, v1
	s_waitcnt lgkmcnt(0)
	v_readfirstlane_b32 s6, v4
	s_cmp_eq_u32 s6, 0
	s_cselect_b64 s[12:13], -1, 0
	v_cmp_gt_i32_e32 vcc, s6, v3
	s_or_b64 s[12:13], s[12:13], vcc
	s_and_b64 exec, exec, s[12:13]
	s_cbranch_execz .LBB2_10
; %bb.8:
	s_mov_b64 s[12:13], 0
	v_mov_b32_e32 v4, s6
.LBB2_9:                                ; =>This Inner Loop Header: Depth=1
	ds_cmpst_rtn_b32 v4, v2, v4, v3 offset:96
	s_waitcnt lgkmcnt(0)
	v_cmp_ne_u32_e32 vcc, 0, v4
	v_cmp_le_i32_e64 s[6:7], v4, v3
	s_and_b64 s[6:7], vcc, s[6:7]
	s_and_b64 s[6:7], exec, s[6:7]
	s_or_b64 s[12:13], s[6:7], s[12:13]
	s_andn2_b64 exec, exec, s[12:13]
	s_cbranch_execnz .LBB2_9
.LBB2_10:
	s_or_b64 exec, exec, s[8:9]
	v_mov_b32_e32 v3, 0
	; wave barrier
	ds_read_b32 v2, v3 offset:96
	s_and_saveexec_b64 s[6:7], s[2:3]
	s_cbranch_execz .LBB2_12
; %bb.11:
	s_lshl_b64 s[8:9], s[4:5], 2
	s_add_u32 s8, s10, s8
	s_addc_u32 s9, s11, s9
	s_waitcnt lgkmcnt(0)
	global_store_dword v3, v2, s[8:9]
.LBB2_12:
	s_or_b64 exec, exec, s[6:7]
	s_waitcnt lgkmcnt(0)
	v_cmp_ne_u32_e32 vcc, 0, v2
	s_mov_b64 s[6:7], 0
	s_cbranch_vccnz .LBB2_24
; %bb.13:
	v_mov_b32_e32 v21, v20
	scratch_load_dwordx4 v[2:5], v21, off
                                        ; implicit-def: $vgpr6_vgpr7
                                        ; implicit-def: $vgpr10_vgpr11
	s_waitcnt vmcnt(0)
	v_cmp_ngt_f64_e64 s[6:7], |v[2:3]|, |v[4:5]|
	s_and_saveexec_b64 s[8:9], s[6:7]
	s_xor_b64 s[6:7], exec, s[8:9]
	s_cbranch_execz .LBB2_15
; %bb.14:
	v_div_scale_f64 v[6:7], s[8:9], v[4:5], v[4:5], v[2:3]
	v_rcp_f64_e32 v[8:9], v[6:7]
	v_div_scale_f64 v[10:11], vcc, v[2:3], v[4:5], v[2:3]
	v_fma_f64 v[12:13], -v[6:7], v[8:9], 1.0
	v_fmac_f64_e32 v[8:9], v[8:9], v[12:13]
	v_fma_f64 v[12:13], -v[6:7], v[8:9], 1.0
	v_fmac_f64_e32 v[8:9], v[8:9], v[12:13]
	v_mul_f64 v[12:13], v[10:11], v[8:9]
	v_fma_f64 v[6:7], -v[6:7], v[12:13], v[10:11]
	v_div_fmas_f64 v[6:7], v[6:7], v[8:9], v[12:13]
	v_div_fixup_f64 v[6:7], v[6:7], v[4:5], v[2:3]
	v_fmac_f64_e32 v[4:5], v[2:3], v[6:7]
	v_div_scale_f64 v[2:3], s[8:9], v[4:5], v[4:5], 1.0
	v_rcp_f64_e32 v[8:9], v[2:3]
	s_nop 0
	v_fma_f64 v[10:11], -v[2:3], v[8:9], 1.0
	v_fmac_f64_e32 v[8:9], v[8:9], v[10:11]
	v_fma_f64 v[10:11], -v[2:3], v[8:9], 1.0
	v_fmac_f64_e32 v[8:9], v[8:9], v[10:11]
	v_div_scale_f64 v[10:11], vcc, 1.0, v[4:5], 1.0
	v_mul_f64 v[12:13], v[10:11], v[8:9]
	v_fma_f64 v[2:3], -v[2:3], v[12:13], v[10:11]
	s_nop 1
	v_div_fmas_f64 v[2:3], v[2:3], v[8:9], v[12:13]
	v_div_fixup_f64 v[8:9], v[2:3], v[4:5], 1.0
	v_mul_f64 v[6:7], v[6:7], v[8:9]
	v_xor_b32_e32 v9, 0x80000000, v9
	v_xor_b32_e32 v11, 0x80000000, v7
	v_mov_b32_e32 v10, v6
                                        ; implicit-def: $vgpr2_vgpr3
.LBB2_15:
	s_andn2_saveexec_b64 s[6:7], s[6:7]
	s_cbranch_execz .LBB2_17
; %bb.16:
	v_div_scale_f64 v[6:7], s[8:9], v[2:3], v[2:3], v[4:5]
	v_rcp_f64_e32 v[8:9], v[6:7]
	v_div_scale_f64 v[10:11], vcc, v[4:5], v[2:3], v[4:5]
	v_fma_f64 v[12:13], -v[6:7], v[8:9], 1.0
	v_fmac_f64_e32 v[8:9], v[8:9], v[12:13]
	v_fma_f64 v[12:13], -v[6:7], v[8:9], 1.0
	v_fmac_f64_e32 v[8:9], v[8:9], v[12:13]
	v_mul_f64 v[12:13], v[10:11], v[8:9]
	v_fma_f64 v[6:7], -v[6:7], v[12:13], v[10:11]
	v_div_fmas_f64 v[6:7], v[6:7], v[8:9], v[12:13]
	v_div_fixup_f64 v[8:9], v[6:7], v[2:3], v[4:5]
	v_fmac_f64_e32 v[2:3], v[4:5], v[8:9]
	v_div_scale_f64 v[4:5], s[8:9], v[2:3], v[2:3], 1.0
	v_rcp_f64_e32 v[6:7], v[4:5]
	s_nop 0
	v_fma_f64 v[10:11], -v[4:5], v[6:7], 1.0
	v_fmac_f64_e32 v[6:7], v[6:7], v[10:11]
	v_fma_f64 v[10:11], -v[4:5], v[6:7], 1.0
	v_fmac_f64_e32 v[6:7], v[6:7], v[10:11]
	v_div_scale_f64 v[10:11], vcc, 1.0, v[2:3], 1.0
	v_mul_f64 v[12:13], v[10:11], v[6:7]
	v_fma_f64 v[4:5], -v[4:5], v[12:13], v[10:11]
	s_nop 1
	v_div_fmas_f64 v[4:5], v[4:5], v[6:7], v[12:13]
	v_div_fixup_f64 v[6:7], v[4:5], v[2:3], 1.0
	v_xor_b32_e32 v11, 0x80000000, v7
	v_mov_b32_e32 v10, v6
	v_mul_f64 v[8:9], v[8:9], -v[6:7]
.LBB2_17:
	s_or_b64 exec, exec, s[6:7]
	scratch_store_dwordx4 v21, v[6:9], off
	scratch_load_dwordx4 v[4:7], off, s14
	v_xor_b32_e32 v13, 0x80000000, v9
	v_mov_b32_e32 v12, v8
	v_add_u32_e32 v2, 48, v20
	ds_write_b128 v20, v[10:13]
	s_waitcnt vmcnt(0)
	ds_write_b128 v20, v[4:7] offset:48
	s_waitcnt lgkmcnt(0)
	; wave barrier
	s_and_saveexec_b64 s[6:7], s[2:3]
	s_cbranch_execz .LBB2_19
; %bb.18:
	scratch_load_dwordx4 v[4:7], v21, off
	ds_read_b128 v[8:11], v2
	v_mov_b32_e32 v3, 0
	ds_read_b128 v[22:25], v3 offset:16
	s_waitcnt vmcnt(0) lgkmcnt(1)
	v_mul_f64 v[12:13], v[10:11], v[6:7]
	v_mul_f64 v[6:7], v[8:9], v[6:7]
	v_fma_f64 v[8:9], v[8:9], v[4:5], -v[12:13]
	v_fmac_f64_e32 v[6:7], v[10:11], v[4:5]
	v_add_f64 v[4:5], v[8:9], 0
	v_add_f64 v[8:9], v[6:7], 0
	s_waitcnt lgkmcnt(0)
	v_mul_f64 v[10:11], v[8:9], v[24:25]
	v_mul_f64 v[6:7], v[4:5], v[24:25]
	v_fma_f64 v[4:5], v[4:5], v[22:23], -v[10:11]
	v_fmac_f64_e32 v[6:7], v[8:9], v[22:23]
	scratch_store_dwordx4 off, v[4:7], off offset:16
.LBB2_19:
	s_or_b64 exec, exec, s[6:7]
	; wave barrier
	scratch_load_dwordx4 v[4:7], off, s15
	v_cmp_ne_u32_e32 vcc, 2, v1
	s_waitcnt vmcnt(0)
	ds_write_b128 v2, v[4:7]
	s_waitcnt lgkmcnt(0)
	; wave barrier
	s_and_saveexec_b64 s[6:7], vcc
	s_cbranch_execz .LBB2_23
; %bb.20:
	scratch_load_dwordx4 v[4:7], v21, off
	ds_read_b128 v[8:11], v2
	s_waitcnt vmcnt(0) lgkmcnt(0)
	v_mul_f64 v[2:3], v[10:11], v[6:7]
	v_mul_f64 v[6:7], v[8:9], v[6:7]
	v_fma_f64 v[2:3], v[8:9], v[4:5], -v[2:3]
	v_fmac_f64_e32 v[6:7], v[10:11], v[4:5]
	v_add_f64 v[4:5], v[2:3], 0
	v_add_f64 v[2:3], v[6:7], 0
	s_and_saveexec_b64 s[8:9], s[2:3]
	s_cbranch_execz .LBB2_22
; %bb.21:
	scratch_load_dwordx4 v[6:9], off, off offset:16
	v_mov_b32_e32 v10, 0
	ds_read_b128 v[10:13], v10 offset:64
	s_waitcnt vmcnt(0) lgkmcnt(0)
	v_mul_f64 v[20:21], v[10:11], v[8:9]
	v_mul_f64 v[8:9], v[12:13], v[8:9]
	v_fmac_f64_e32 v[20:21], v[12:13], v[6:7]
	v_fma_f64 v[6:7], v[10:11], v[6:7], -v[8:9]
	v_add_f64 v[2:3], v[2:3], v[20:21]
	v_add_f64 v[4:5], v[4:5], v[6:7]
.LBB2_22:
	s_or_b64 exec, exec, s[8:9]
	v_mov_b32_e32 v6, 0
	ds_read_b128 v[6:9], v6 offset:32
	s_waitcnt lgkmcnt(0)
	v_mul_f64 v[12:13], v[2:3], v[8:9]
	v_mul_f64 v[10:11], v[4:5], v[8:9]
	v_fma_f64 v[8:9], v[4:5], v[6:7], -v[12:13]
	v_fmac_f64_e32 v[10:11], v[2:3], v[6:7]
	scratch_store_dwordx4 off, v[8:11], off offset:32
.LBB2_23:
	s_or_b64 exec, exec, s[6:7]
	s_mov_b64 s[6:7], -1
	; wave barrier
.LBB2_24:
	s_and_b64 vcc, exec, s[6:7]
	s_cbranch_vccz .LBB2_26
; %bb.25:
	s_lshl_b64 s[2:3], s[4:5], 2
	s_add_u32 s2, s10, s2
	s_addc_u32 s3, s11, s3
	v_mov_b32_e32 v2, 0
	global_load_dword v2, v2, s[2:3]
	s_waitcnt vmcnt(0)
	v_cmp_ne_u32_e32 vcc, 0, v2
	s_cbranch_vccz .LBB2_27
.LBB2_26:
	s_endpgm
.LBB2_27:
	v_lshl_add_u32 v6, v1, 4, 48
	v_cmp_eq_u32_e32 vcc, 2, v1
	s_and_saveexec_b64 s[2:3], vcc
	s_cbranch_execz .LBB2_29
; %bb.28:
	scratch_load_dwordx4 v[2:5], off, s14
	v_mov_b32_e32 v8, 0
	v_mov_b32_e32 v9, v8
	;; [unrolled: 1-line block ×4, first 2 shown]
	scratch_store_dwordx4 off, v[8:11], off offset:16
	s_waitcnt vmcnt(1)
	ds_write_b128 v6, v[2:5]
.LBB2_29:
	s_or_b64 exec, exec, s[2:3]
	s_waitcnt lgkmcnt(0)
	; wave barrier
	scratch_load_dwordx4 v[8:11], off, off offset:32
	scratch_load_dwordx4 v[20:23], off, off offset:16
	v_mov_b32_e32 v2, 0
	ds_read_b128 v[24:27], v2 offset:80
	v_cmp_ne_u32_e32 vcc, 0, v1
	s_waitcnt vmcnt(1) lgkmcnt(0)
	v_mul_f64 v[4:5], v[24:25], v[10:11]
	v_mul_f64 v[10:11], v[26:27], v[10:11]
	v_fmac_f64_e32 v[4:5], v[26:27], v[8:9]
	v_fma_f64 v[8:9], v[24:25], v[8:9], -v[10:11]
	v_add_f64 v[4:5], v[4:5], 0
	v_add_f64 v[8:9], v[8:9], 0
	s_waitcnt vmcnt(0)
	v_add_f64 v[8:9], v[20:21], -v[8:9]
	v_add_f64 v[10:11], v[22:23], -v[4:5]
	scratch_store_dwordx4 off, v[8:11], off offset:16
	s_and_saveexec_b64 s[2:3], vcc
	s_cbranch_execz .LBB2_31
; %bb.30:
	scratch_load_dwordx4 v[8:11], off, off
	v_mov_b32_e32 v3, v2
	v_mov_b32_e32 v4, v2
	;; [unrolled: 1-line block ×3, first 2 shown]
	scratch_store_dwordx4 off, v[2:5], off
	s_waitcnt vmcnt(1)
	ds_write_b128 v6, v[8:11]
.LBB2_31:
	s_or_b64 exec, exec, s[2:3]
	s_waitcnt lgkmcnt(0)
	; wave barrier
	scratch_load_dwordx4 v[4:7], off, off offset:16
	scratch_load_dwordx4 v[8:11], off, off offset:32
	scratch_load_dwordx4 v[20:23], off, off
	ds_read_b128 v[24:27], v2 offset:64
	ds_read_b128 v[28:31], v2 offset:80
	s_and_b64 vcc, exec, s[18:19]
	s_waitcnt vmcnt(2) lgkmcnt(1)
	v_mul_f64 v[2:3], v[24:25], v[6:7]
	v_mul_f64 v[6:7], v[26:27], v[6:7]
	s_waitcnt vmcnt(1) lgkmcnt(0)
	v_mul_f64 v[12:13], v[28:29], v[10:11]
	v_mul_f64 v[10:11], v[30:31], v[10:11]
	v_fmac_f64_e32 v[2:3], v[26:27], v[4:5]
	v_fma_f64 v[4:5], v[24:25], v[4:5], -v[6:7]
	v_fmac_f64_e32 v[12:13], v[30:31], v[8:9]
	v_fma_f64 v[6:7], v[28:29], v[8:9], -v[10:11]
	v_add_f64 v[2:3], v[2:3], 0
	v_add_f64 v[4:5], v[4:5], 0
	;; [unrolled: 1-line block ×4, first 2 shown]
	s_waitcnt vmcnt(0)
	v_add_f64 v[2:3], v[20:21], -v[2:3]
	v_add_f64 v[4:5], v[22:23], -v[8:9]
	scratch_store_dwordx4 off, v[2:5], off
	s_cbranch_vccz .LBB2_36
; %bb.32:
	s_nop 0
	v_mov_b32_e32 v2, 0
	global_load_dword v3, v2, s[16:17] offset:4
	s_load_dwordx2 s[2:3], s[0:1], 0x4
	v_bfe_u32 v4, v0, 10, 10
	v_bfe_u32 v0, v0, 20, 10
	s_waitcnt lgkmcnt(0)
	s_lshr_b32 s0, s2, 16
	s_mul_i32 s0, s0, s3
	v_mul_u32_u24_e32 v1, s0, v1
	v_mul_u32_u24_e32 v4, s3, v4
	v_add3_u32 v0, v1, v4, v0
	v_mov_b32_e32 v1, 0x68
	v_lshl_add_u32 v0, v0, 4, v1
	s_waitcnt vmcnt(0)
	v_readfirstlane_b32 s0, v3
	s_add_i32 s0, s0, -1
	s_cmp_lg_u32 s0, 1
	s_cbranch_scc0 .LBB2_34
; %bb.33:
	s_lshl_b32 s0, s0, 4
	scratch_load_dwordx4 v[4:7], off, s14
	scratch_load_dwordx4 v[8:11], off, s0
	s_waitcnt vmcnt(1)
	ds_write2_b64 v0, v[4:5], v[6:7] offset1:1
	s_waitcnt vmcnt(0)
	scratch_store_dwordx4 off, v[8:11], s14
	scratch_store_dwordx4 off, v[4:7], s0
.LBB2_34:
	global_load_dword v1, v2, s[16:17]
	s_waitcnt vmcnt(0)
	v_readfirstlane_b32 s0, v1
	s_add_i32 s0, s0, -1
	s_cmp_eq_u32 s0, 0
	s_cbranch_scc1 .LBB2_36
; %bb.35:
	s_lshl_b32 s0, s0, 4
	scratch_load_dwordx4 v[2:5], off, off
	scratch_load_dwordx4 v[6:9], off, s0
	s_waitcnt vmcnt(1)
	ds_write2_b64 v0, v[2:3], v[4:5] offset1:1
	s_waitcnt vmcnt(0)
	scratch_store_dwordx4 off, v[6:9], off
	scratch_store_dwordx4 off, v[2:5], s0
.LBB2_36:
	scratch_load_dwordx4 v[0:3], off, off
	s_nop 0
	scratch_load_dwordx4 v[4:7], off, s14
	scratch_load_dwordx4 v[8:11], off, s15
	s_waitcnt vmcnt(2)
	global_store_dwordx4 v[14:15], v[0:3], off
	s_waitcnt vmcnt(2)
	global_store_dwordx4 v[16:17], v[4:7], off
	;; [unrolled: 2-line block ×3, first 2 shown]
	s_endpgm
	.section	.rodata,"a",@progbits
	.p2align	6, 0x0
	.amdhsa_kernel _ZN9rocsolver6v33100L18getri_kernel_smallILi3E19rocblas_complex_numIdEPS3_EEvT1_iilPiilS6_bb
		.amdhsa_group_segment_fixed_size 1128
		.amdhsa_private_segment_fixed_size 64
		.amdhsa_kernarg_size 60
		.amdhsa_user_sgpr_count 4
		.amdhsa_user_sgpr_dispatch_ptr 1
		.amdhsa_user_sgpr_queue_ptr 0
		.amdhsa_user_sgpr_kernarg_segment_ptr 1
		.amdhsa_user_sgpr_dispatch_id 0
		.amdhsa_user_sgpr_kernarg_preload_length 0
		.amdhsa_user_sgpr_kernarg_preload_offset 0
		.amdhsa_user_sgpr_private_segment_size 0
		.amdhsa_uses_dynamic_stack 0
		.amdhsa_enable_private_segment 1
		.amdhsa_system_sgpr_workgroup_id_x 1
		.amdhsa_system_sgpr_workgroup_id_y 0
		.amdhsa_system_sgpr_workgroup_id_z 0
		.amdhsa_system_sgpr_workgroup_info 0
		.amdhsa_system_vgpr_workitem_id 2
		.amdhsa_next_free_vgpr 32
		.amdhsa_next_free_sgpr 24
		.amdhsa_accum_offset 32
		.amdhsa_reserve_vcc 1
		.amdhsa_float_round_mode_32 0
		.amdhsa_float_round_mode_16_64 0
		.amdhsa_float_denorm_mode_32 3
		.amdhsa_float_denorm_mode_16_64 3
		.amdhsa_dx10_clamp 1
		.amdhsa_ieee_mode 1
		.amdhsa_fp16_overflow 0
		.amdhsa_tg_split 0
		.amdhsa_exception_fp_ieee_invalid_op 0
		.amdhsa_exception_fp_denorm_src 0
		.amdhsa_exception_fp_ieee_div_zero 0
		.amdhsa_exception_fp_ieee_overflow 0
		.amdhsa_exception_fp_ieee_underflow 0
		.amdhsa_exception_fp_ieee_inexact 0
		.amdhsa_exception_int_div_zero 0
	.end_amdhsa_kernel
	.section	.text._ZN9rocsolver6v33100L18getri_kernel_smallILi3E19rocblas_complex_numIdEPS3_EEvT1_iilPiilS6_bb,"axG",@progbits,_ZN9rocsolver6v33100L18getri_kernel_smallILi3E19rocblas_complex_numIdEPS3_EEvT1_iilPiilS6_bb,comdat
.Lfunc_end2:
	.size	_ZN9rocsolver6v33100L18getri_kernel_smallILi3E19rocblas_complex_numIdEPS3_EEvT1_iilPiilS6_bb, .Lfunc_end2-_ZN9rocsolver6v33100L18getri_kernel_smallILi3E19rocblas_complex_numIdEPS3_EEvT1_iilPiilS6_bb
                                        ; -- End function
	.set _ZN9rocsolver6v33100L18getri_kernel_smallILi3E19rocblas_complex_numIdEPS3_EEvT1_iilPiilS6_bb.num_vgpr, 32
	.set _ZN9rocsolver6v33100L18getri_kernel_smallILi3E19rocblas_complex_numIdEPS3_EEvT1_iilPiilS6_bb.num_agpr, 0
	.set _ZN9rocsolver6v33100L18getri_kernel_smallILi3E19rocblas_complex_numIdEPS3_EEvT1_iilPiilS6_bb.numbered_sgpr, 24
	.set _ZN9rocsolver6v33100L18getri_kernel_smallILi3E19rocblas_complex_numIdEPS3_EEvT1_iilPiilS6_bb.num_named_barrier, 0
	.set _ZN9rocsolver6v33100L18getri_kernel_smallILi3E19rocblas_complex_numIdEPS3_EEvT1_iilPiilS6_bb.private_seg_size, 64
	.set _ZN9rocsolver6v33100L18getri_kernel_smallILi3E19rocblas_complex_numIdEPS3_EEvT1_iilPiilS6_bb.uses_vcc, 1
	.set _ZN9rocsolver6v33100L18getri_kernel_smallILi3E19rocblas_complex_numIdEPS3_EEvT1_iilPiilS6_bb.uses_flat_scratch, 0
	.set _ZN9rocsolver6v33100L18getri_kernel_smallILi3E19rocblas_complex_numIdEPS3_EEvT1_iilPiilS6_bb.has_dyn_sized_stack, 0
	.set _ZN9rocsolver6v33100L18getri_kernel_smallILi3E19rocblas_complex_numIdEPS3_EEvT1_iilPiilS6_bb.has_recursion, 0
	.set _ZN9rocsolver6v33100L18getri_kernel_smallILi3E19rocblas_complex_numIdEPS3_EEvT1_iilPiilS6_bb.has_indirect_call, 0
	.section	.AMDGPU.csdata,"",@progbits
; Kernel info:
; codeLenInByte = 2192
; TotalNumSgprs: 30
; NumVgprs: 32
; NumAgprs: 0
; TotalNumVgprs: 32
; ScratchSize: 64
; MemoryBound: 0
; FloatMode: 240
; IeeeMode: 1
; LDSByteSize: 1128 bytes/workgroup (compile time only)
; SGPRBlocks: 3
; VGPRBlocks: 3
; NumSGPRsForWavesPerEU: 30
; NumVGPRsForWavesPerEU: 32
; AccumOffset: 32
; Occupancy: 8
; WaveLimiterHint : 0
; COMPUTE_PGM_RSRC2:SCRATCH_EN: 1
; COMPUTE_PGM_RSRC2:USER_SGPR: 4
; COMPUTE_PGM_RSRC2:TRAP_HANDLER: 0
; COMPUTE_PGM_RSRC2:TGID_X_EN: 1
; COMPUTE_PGM_RSRC2:TGID_Y_EN: 0
; COMPUTE_PGM_RSRC2:TGID_Z_EN: 0
; COMPUTE_PGM_RSRC2:TIDIG_COMP_CNT: 2
; COMPUTE_PGM_RSRC3_GFX90A:ACCUM_OFFSET: 7
; COMPUTE_PGM_RSRC3_GFX90A:TG_SPLIT: 0
	.section	.text._ZN9rocsolver6v33100L18getri_kernel_smallILi4E19rocblas_complex_numIdEPS3_EEvT1_iilPiilS6_bb,"axG",@progbits,_ZN9rocsolver6v33100L18getri_kernel_smallILi4E19rocblas_complex_numIdEPS3_EEvT1_iilPiilS6_bb,comdat
	.globl	_ZN9rocsolver6v33100L18getri_kernel_smallILi4E19rocblas_complex_numIdEPS3_EEvT1_iilPiilS6_bb ; -- Begin function _ZN9rocsolver6v33100L18getri_kernel_smallILi4E19rocblas_complex_numIdEPS3_EEvT1_iilPiilS6_bb
	.p2align	8
	.type	_ZN9rocsolver6v33100L18getri_kernel_smallILi4E19rocblas_complex_numIdEPS3_EEvT1_iilPiilS6_bb,@function
_ZN9rocsolver6v33100L18getri_kernel_smallILi4E19rocblas_complex_numIdEPS3_EEvT1_iilPiilS6_bb: ; @_ZN9rocsolver6v33100L18getri_kernel_smallILi4E19rocblas_complex_numIdEPS3_EEvT1_iilPiilS6_bb
; %bb.0:
	v_cmp_gt_u32_e32 vcc, 4, v0
	s_and_saveexec_b64 s[4:5], vcc
	s_cbranch_execz .LBB3_30
; %bb.1:
	s_load_dword s12, s[0:1], 0x38
	s_load_dwordx4 s[8:11], s[0:1], 0x10
	s_load_dwordx4 s[4:7], s[0:1], 0x28
                                        ; implicit-def: $sgpr16_sgpr17
	s_waitcnt lgkmcnt(0)
	s_bitcmp1_b32 s12, 8
	s_cselect_b64 s[18:19], -1, 0
	s_ashr_i32 s3, s2, 31
	s_bfe_u32 s12, s12, 0x10008
	s_cmp_eq_u32 s12, 0
	s_cbranch_scc1 .LBB3_3
; %bb.2:
	s_load_dword s12, s[0:1], 0x20
	s_mul_i32 s13, s4, s3
	s_mul_hi_u32 s14, s4, s2
	s_mul_i32 s5, s5, s2
	s_add_i32 s14, s14, s13
	s_add_i32 s5, s14, s5
	s_mul_i32 s4, s4, s2
	s_waitcnt lgkmcnt(0)
	s_ashr_i32 s13, s12, 31
	s_lshl_b64 s[4:5], s[4:5], 2
	s_add_u32 s10, s10, s4
	s_addc_u32 s11, s11, s5
	s_lshl_b64 s[4:5], s[12:13], 2
	s_add_u32 s16, s10, s4
	s_addc_u32 s17, s11, s5
.LBB3_3:
	s_load_dwordx4 s[12:15], s[0:1], 0x0
	s_load_dword s10, s[0:1], 0x38
	s_mul_i32 s4, s8, s3
	s_mul_hi_u32 s5, s8, s2
	s_add_i32 s4, s5, s4
	s_mul_i32 s5, s9, s2
	s_add_i32 s5, s4, s5
	s_mul_i32 s4, s8, s2
	s_waitcnt lgkmcnt(0)
	s_ashr_i32 s1, s14, 31
	s_lshl_b64 s[4:5], s[4:5], 4
	s_mov_b32 s0, s14
	s_add_u32 s4, s12, s4
	s_addc_u32 s5, s13, s5
	s_lshl_b64 s[0:1], s[0:1], 4
	s_add_u32 s0, s4, s0
	s_addc_u32 s1, s5, s1
	v_lshlrev_b32_e32 v22, 4, v0
	v_mov_b32_e32 v23, 0
	v_lshl_add_u64 v[14:15], s[0:1], 0, v[22:23]
	s_ashr_i32 s5, s15, 31
	s_mov_b32 s4, s15
	v_lshl_add_u64 v[16:17], s[4:5], 4, v[14:15]
	s_add_i32 s4, s15, s15
	v_add_u32_e32 v20, s4, v0
	v_ashrrev_i32_e32 v21, 31, v20
	global_load_dwordx4 v[2:5], v22, s[0:1]
	v_lshl_add_u64 v[18:19], v[20:21], 4, s[0:1]
	global_load_dwordx4 v[6:9], v[16:17], off
	global_load_dwordx4 v[10:13], v[18:19], off
	v_add_u32_e32 v20, s15, v20
	v_ashrrev_i32_e32 v21, 31, v20
	v_lshl_add_u64 v[20:21], v[20:21], 4, s[0:1]
	global_load_dwordx4 v[24:27], v[20:21], off
	s_mov_b32 s13, 32
	s_mov_b32 s12, 48
	;; [unrolled: 1-line block ×3, first 2 shown]
	s_bitcmp0_b32 s10, 0
	s_mov_b64 s[4:5], -1
	s_waitcnt vmcnt(3)
	scratch_store_dwordx4 off, v[2:5], off offset:16
	s_waitcnt vmcnt(3)
	scratch_store_dwordx4 off, v[6:9], off offset:32
	;; [unrolled: 2-line block ×4, first 2 shown]
	s_cbranch_scc1 .LBB3_28
; %bb.4:
	v_cmp_eq_u32_e64 s[0:1], 0, v0
	s_and_saveexec_b64 s[4:5], s[0:1]
; %bb.5:
	v_mov_b32_e32 v1, 0
	ds_write_b32 v1, v1 offset:128
; %bb.6:
	s_or_b64 exec, exec, s[4:5]
	s_waitcnt lgkmcnt(0)
	; wave barrier
	scratch_load_dwordx4 v[2:5], v22, off offset:16
	s_waitcnt vmcnt(0)
	v_cmp_eq_f64_e32 vcc, 0, v[2:3]
	v_cmp_eq_f64_e64 s[4:5], 0, v[4:5]
	s_and_b64 s[4:5], vcc, s[4:5]
	s_and_saveexec_b64 s[8:9], s[4:5]
	s_cbranch_execz .LBB3_10
; %bb.7:
	v_mov_b32_e32 v1, 0
	ds_read_b32 v3, v1 offset:128
	v_add_u32_e32 v2, 1, v0
	s_waitcnt lgkmcnt(0)
	v_readfirstlane_b32 s4, v3
	s_cmp_eq_u32 s4, 0
	s_cselect_b64 s[10:11], -1, 0
	v_cmp_gt_i32_e32 vcc, s4, v2
	s_or_b64 s[10:11], s[10:11], vcc
	s_and_b64 exec, exec, s[10:11]
	s_cbranch_execz .LBB3_10
; %bb.8:
	s_mov_b64 s[10:11], 0
	v_mov_b32_e32 v3, s4
.LBB3_9:                                ; =>This Inner Loop Header: Depth=1
	ds_cmpst_rtn_b32 v3, v1, v3, v2 offset:128
	s_waitcnt lgkmcnt(0)
	v_cmp_ne_u32_e32 vcc, 0, v3
	v_cmp_le_i32_e64 s[4:5], v3, v2
	s_and_b64 s[4:5], vcc, s[4:5]
	s_and_b64 s[4:5], exec, s[4:5]
	s_or_b64 s[10:11], s[4:5], s[10:11]
	s_andn2_b64 exec, exec, s[10:11]
	s_cbranch_execnz .LBB3_9
.LBB3_10:
	s_or_b64 exec, exec, s[8:9]
	v_mov_b32_e32 v2, 0
	; wave barrier
	ds_read_b32 v1, v2 offset:128
	s_and_saveexec_b64 s[4:5], s[0:1]
	s_cbranch_execz .LBB3_12
; %bb.11:
	s_lshl_b64 s[8:9], s[2:3], 2
	s_add_u32 s8, s6, s8
	s_addc_u32 s9, s7, s9
	s_waitcnt lgkmcnt(0)
	global_store_dword v2, v1, s[8:9]
.LBB3_12:
	s_or_b64 exec, exec, s[4:5]
	s_waitcnt lgkmcnt(0)
	v_cmp_ne_u32_e32 vcc, 0, v1
	s_mov_b64 s[4:5], 0
	s_cbranch_vccnz .LBB3_28
; %bb.13:
	v_add_u32_e32 v1, 16, v22
	scratch_load_dwordx4 v[2:5], v1, off
                                        ; implicit-def: $vgpr6_vgpr7
                                        ; implicit-def: $vgpr10_vgpr11
	s_waitcnt vmcnt(0)
	v_cmp_ngt_f64_e64 s[4:5], |v[2:3]|, |v[4:5]|
	s_and_saveexec_b64 s[8:9], s[4:5]
	s_xor_b64 s[4:5], exec, s[8:9]
	s_cbranch_execz .LBB3_15
; %bb.14:
	v_div_scale_f64 v[6:7], s[8:9], v[4:5], v[4:5], v[2:3]
	v_rcp_f64_e32 v[8:9], v[6:7]
	v_div_scale_f64 v[10:11], vcc, v[2:3], v[4:5], v[2:3]
	v_fma_f64 v[12:13], -v[6:7], v[8:9], 1.0
	v_fmac_f64_e32 v[8:9], v[8:9], v[12:13]
	v_fma_f64 v[12:13], -v[6:7], v[8:9], 1.0
	v_fmac_f64_e32 v[8:9], v[8:9], v[12:13]
	v_mul_f64 v[12:13], v[10:11], v[8:9]
	v_fma_f64 v[6:7], -v[6:7], v[12:13], v[10:11]
	v_div_fmas_f64 v[6:7], v[6:7], v[8:9], v[12:13]
	v_div_fixup_f64 v[6:7], v[6:7], v[4:5], v[2:3]
	v_fmac_f64_e32 v[4:5], v[2:3], v[6:7]
	v_div_scale_f64 v[2:3], s[8:9], v[4:5], v[4:5], 1.0
	v_rcp_f64_e32 v[8:9], v[2:3]
	s_nop 0
	v_fma_f64 v[10:11], -v[2:3], v[8:9], 1.0
	v_fmac_f64_e32 v[8:9], v[8:9], v[10:11]
	v_fma_f64 v[10:11], -v[2:3], v[8:9], 1.0
	v_fmac_f64_e32 v[8:9], v[8:9], v[10:11]
	v_div_scale_f64 v[10:11], vcc, 1.0, v[4:5], 1.0
	v_mul_f64 v[12:13], v[10:11], v[8:9]
	v_fma_f64 v[2:3], -v[2:3], v[12:13], v[10:11]
	s_nop 1
	v_div_fmas_f64 v[2:3], v[2:3], v[8:9], v[12:13]
	v_div_fixup_f64 v[8:9], v[2:3], v[4:5], 1.0
	v_mul_f64 v[6:7], v[6:7], v[8:9]
	v_xor_b32_e32 v9, 0x80000000, v9
	v_xor_b32_e32 v11, 0x80000000, v7
	v_mov_b32_e32 v10, v6
                                        ; implicit-def: $vgpr2_vgpr3
.LBB3_15:
	s_andn2_saveexec_b64 s[4:5], s[4:5]
	s_cbranch_execz .LBB3_17
; %bb.16:
	v_div_scale_f64 v[6:7], s[8:9], v[2:3], v[2:3], v[4:5]
	v_rcp_f64_e32 v[8:9], v[6:7]
	v_div_scale_f64 v[10:11], vcc, v[4:5], v[2:3], v[4:5]
	v_fma_f64 v[12:13], -v[6:7], v[8:9], 1.0
	v_fmac_f64_e32 v[8:9], v[8:9], v[12:13]
	v_fma_f64 v[12:13], -v[6:7], v[8:9], 1.0
	v_fmac_f64_e32 v[8:9], v[8:9], v[12:13]
	v_mul_f64 v[12:13], v[10:11], v[8:9]
	v_fma_f64 v[6:7], -v[6:7], v[12:13], v[10:11]
	v_div_fmas_f64 v[6:7], v[6:7], v[8:9], v[12:13]
	v_div_fixup_f64 v[8:9], v[6:7], v[2:3], v[4:5]
	v_fmac_f64_e32 v[2:3], v[4:5], v[8:9]
	v_div_scale_f64 v[4:5], s[8:9], v[2:3], v[2:3], 1.0
	v_rcp_f64_e32 v[6:7], v[4:5]
	s_nop 0
	v_fma_f64 v[10:11], -v[4:5], v[6:7], 1.0
	v_fmac_f64_e32 v[6:7], v[6:7], v[10:11]
	v_fma_f64 v[10:11], -v[4:5], v[6:7], 1.0
	v_fmac_f64_e32 v[6:7], v[6:7], v[10:11]
	v_div_scale_f64 v[10:11], vcc, 1.0, v[2:3], 1.0
	v_mul_f64 v[12:13], v[10:11], v[6:7]
	v_fma_f64 v[4:5], -v[4:5], v[12:13], v[10:11]
	s_nop 1
	v_div_fmas_f64 v[4:5], v[4:5], v[6:7], v[12:13]
	v_div_fixup_f64 v[6:7], v[4:5], v[2:3], 1.0
	v_xor_b32_e32 v11, 0x80000000, v7
	v_mov_b32_e32 v10, v6
	v_mul_f64 v[8:9], v[8:9], -v[6:7]
.LBB3_17:
	s_or_b64 exec, exec, s[4:5]
	scratch_store_dwordx4 v1, v[6:9], off
	scratch_load_dwordx4 v[2:5], off, s13
	v_xor_b32_e32 v13, 0x80000000, v9
	v_mov_b32_e32 v12, v8
	v_add_u32_e32 v6, 64, v22
	ds_write_b128 v22, v[10:13]
	s_waitcnt vmcnt(0)
	ds_write_b128 v22, v[2:5] offset:64
	s_waitcnt lgkmcnt(0)
	; wave barrier
	s_and_saveexec_b64 s[4:5], s[0:1]
	s_cbranch_execz .LBB3_19
; %bb.18:
	scratch_load_dwordx4 v[2:5], v1, off
	ds_read_b128 v[8:11], v6
	v_mov_b32_e32 v7, 0
	ds_read_b128 v[24:27], v7 offset:16
	s_waitcnt vmcnt(0) lgkmcnt(1)
	v_mul_f64 v[12:13], v[10:11], v[4:5]
	v_mul_f64 v[4:5], v[8:9], v[4:5]
	v_fma_f64 v[8:9], v[8:9], v[2:3], -v[12:13]
	v_fmac_f64_e32 v[4:5], v[10:11], v[2:3]
	v_add_f64 v[2:3], v[8:9], 0
	v_add_f64 v[8:9], v[4:5], 0
	s_waitcnt lgkmcnt(0)
	v_mul_f64 v[10:11], v[8:9], v[26:27]
	v_mul_f64 v[4:5], v[2:3], v[26:27]
	v_fma_f64 v[2:3], v[2:3], v[24:25], -v[10:11]
	v_fmac_f64_e32 v[4:5], v[8:9], v[24:25]
	scratch_store_dwordx4 off, v[2:5], off offset:32
.LBB3_19:
	s_or_b64 exec, exec, s[4:5]
	; wave barrier
	scratch_load_dwordx4 v[2:5], off, s12
	v_cmp_gt_u32_e32 vcc, 2, v0
	s_waitcnt vmcnt(0)
	ds_write_b128 v6, v[2:5]
	s_waitcnt lgkmcnt(0)
	; wave barrier
	s_and_saveexec_b64 s[4:5], vcc
	s_cbranch_execz .LBB3_23
; %bb.20:
	scratch_load_dwordx4 v[2:5], v1, off
	ds_read_b128 v[8:11], v6
	s_waitcnt vmcnt(0) lgkmcnt(0)
	v_mul_f64 v[12:13], v[10:11], v[4:5]
	v_mul_f64 v[24:25], v[8:9], v[4:5]
	v_fma_f64 v[4:5], v[8:9], v[2:3], -v[12:13]
	v_fmac_f64_e32 v[24:25], v[10:11], v[2:3]
	v_add_f64 v[4:5], v[4:5], 0
	v_add_f64 v[2:3], v[24:25], 0
	s_and_saveexec_b64 s[8:9], s[0:1]
	s_cbranch_execz .LBB3_22
; %bb.21:
	scratch_load_dwordx4 v[8:11], off, off offset:32
	v_mov_b32_e32 v1, 0
	ds_read_b128 v[24:27], v1 offset:80
	s_waitcnt vmcnt(0) lgkmcnt(0)
	v_mul_f64 v[12:13], v[24:25], v[10:11]
	v_mul_f64 v[10:11], v[26:27], v[10:11]
	v_fmac_f64_e32 v[12:13], v[26:27], v[8:9]
	v_fma_f64 v[8:9], v[24:25], v[8:9], -v[10:11]
	v_add_f64 v[2:3], v[2:3], v[12:13]
	v_add_f64 v[4:5], v[4:5], v[8:9]
.LBB3_22:
	s_or_b64 exec, exec, s[8:9]
	v_mov_b32_e32 v1, 0
	ds_read_b128 v[8:11], v1 offset:32
	s_waitcnt lgkmcnt(0)
	v_mul_f64 v[24:25], v[2:3], v[10:11]
	v_mul_f64 v[12:13], v[4:5], v[10:11]
	v_fma_f64 v[10:11], v[4:5], v[8:9], -v[24:25]
	v_fmac_f64_e32 v[12:13], v[2:3], v[8:9]
	scratch_store_dwordx4 off, v[10:13], off offset:48
.LBB3_23:
	s_or_b64 exec, exec, s[4:5]
	; wave barrier
	scratch_load_dwordx4 v[2:5], off, s14
	v_cmp_ne_u32_e32 vcc, 3, v0
	s_waitcnt vmcnt(0)
	ds_write_b128 v6, v[2:5]
	s_waitcnt lgkmcnt(0)
	; wave barrier
	s_and_saveexec_b64 s[0:1], vcc
	s_cbranch_execz .LBB3_27
; %bb.24:
	v_add_u32_e32 v1, -1, v0
	v_add_u32_e32 v7, 16, v22
	v_mov_b64_e32 v[2:3], 0
	s_mov_b64 s[4:5], 0
	v_mov_b64_e32 v[4:5], 0
.LBB3_25:                               ; =>This Inner Loop Header: Depth=1
	scratch_load_dwordx4 v[8:11], v7, off
	ds_read_b128 v[22:25], v6
	v_add_u32_e32 v1, 1, v1
	v_cmp_lt_u32_e32 vcc, 1, v1
	v_add_u32_e32 v6, 16, v6
	v_add_u32_e32 v7, 16, v7
	s_or_b64 s[4:5], vcc, s[4:5]
	s_waitcnt vmcnt(0) lgkmcnt(0)
	v_mul_f64 v[12:13], v[24:25], v[10:11]
	v_mul_f64 v[10:11], v[22:23], v[10:11]
	v_fma_f64 v[12:13], v[22:23], v[8:9], -v[12:13]
	v_fmac_f64_e32 v[10:11], v[24:25], v[8:9]
	v_add_f64 v[4:5], v[4:5], v[12:13]
	v_add_f64 v[2:3], v[2:3], v[10:11]
	s_andn2_b64 exec, exec, s[4:5]
	s_cbranch_execnz .LBB3_25
; %bb.26:
	s_or_b64 exec, exec, s[4:5]
	v_mov_b32_e32 v1, 0
	ds_read_b128 v[6:9], v1 offset:48
	s_waitcnt lgkmcnt(0)
	v_mul_f64 v[12:13], v[2:3], v[8:9]
	v_mul_f64 v[10:11], v[4:5], v[8:9]
	v_fma_f64 v[8:9], v[4:5], v[6:7], -v[12:13]
	v_fmac_f64_e32 v[10:11], v[2:3], v[6:7]
	scratch_store_dwordx4 off, v[8:11], off offset:64
.LBB3_27:
	s_or_b64 exec, exec, s[0:1]
	s_mov_b64 s[4:5], -1
	; wave barrier
.LBB3_28:
	s_and_b64 vcc, exec, s[4:5]
	s_cbranch_vccz .LBB3_30
; %bb.29:
	s_lshl_b64 s[0:1], s[2:3], 2
	s_add_u32 s0, s6, s0
	s_addc_u32 s1, s7, s1
	v_mov_b32_e32 v1, 0
	global_load_dword v1, v1, s[0:1]
	s_waitcnt vmcnt(0)
	v_cmp_ne_u32_e32 vcc, 0, v1
	s_cbranch_vccz .LBB3_31
.LBB3_30:
	s_endpgm
.LBB3_31:
	v_lshl_add_u32 v1, v0, 4, 64
	v_cmp_eq_u32_e32 vcc, 3, v0
	s_and_saveexec_b64 s[0:1], vcc
	s_cbranch_execz .LBB3_33
; %bb.32:
	scratch_load_dwordx4 v[2:5], off, s12
	v_mov_b32_e32 v6, 0
	v_mov_b32_e32 v7, v6
	;; [unrolled: 1-line block ×4, first 2 shown]
	scratch_store_dwordx4 off, v[6:9], off offset:48
	s_waitcnt vmcnt(1)
	ds_write_b128 v1, v[2:5]
.LBB3_33:
	s_or_b64 exec, exec, s[0:1]
	s_waitcnt lgkmcnt(0)
	; wave barrier
	scratch_load_dwordx4 v[4:7], off, off offset:64
	scratch_load_dwordx4 v[8:11], off, off offset:48
	v_mov_b32_e32 v2, 0
	ds_read_b128 v[22:25], v2 offset:112
	v_cmp_lt_u32_e32 vcc, 1, v0
	s_waitcnt vmcnt(1) lgkmcnt(0)
	v_mul_f64 v[12:13], v[22:23], v[6:7]
	v_mul_f64 v[6:7], v[24:25], v[6:7]
	v_fmac_f64_e32 v[12:13], v[24:25], v[4:5]
	v_fma_f64 v[4:5], v[22:23], v[4:5], -v[6:7]
	v_add_f64 v[6:7], v[12:13], 0
	v_add_f64 v[4:5], v[4:5], 0
	s_waitcnt vmcnt(0)
	v_add_f64 v[4:5], v[8:9], -v[4:5]
	v_add_f64 v[6:7], v[10:11], -v[6:7]
	scratch_store_dwordx4 off, v[4:7], off offset:48
	s_and_saveexec_b64 s[0:1], vcc
	s_cbranch_execz .LBB3_35
; %bb.34:
	scratch_load_dwordx4 v[6:9], off, s13
	v_mov_b32_e32 v3, v2
	v_mov_b32_e32 v4, v2
	;; [unrolled: 1-line block ×3, first 2 shown]
	scratch_store_dwordx4 off, v[2:5], off offset:32
	s_waitcnt vmcnt(1)
	ds_write_b128 v1, v[6:9]
.LBB3_35:
	s_or_b64 exec, exec, s[0:1]
	s_waitcnt lgkmcnt(0)
	; wave barrier
	scratch_load_dwordx4 v[4:7], off, off offset:48
	scratch_load_dwordx4 v[8:11], off, off offset:64
	;; [unrolled: 1-line block ×3, first 2 shown]
	ds_read_b128 v[26:29], v2 offset:96
	ds_read_b128 v[30:33], v2 offset:112
	v_cmp_ne_u32_e32 vcc, 0, v0
	s_waitcnt vmcnt(2) lgkmcnt(1)
	v_mul_f64 v[2:3], v[26:27], v[6:7]
	v_mul_f64 v[6:7], v[28:29], v[6:7]
	s_waitcnt vmcnt(1) lgkmcnt(0)
	v_mul_f64 v[12:13], v[30:31], v[10:11]
	v_mul_f64 v[10:11], v[32:33], v[10:11]
	v_fmac_f64_e32 v[2:3], v[28:29], v[4:5]
	v_fma_f64 v[4:5], v[26:27], v[4:5], -v[6:7]
	v_fmac_f64_e32 v[12:13], v[32:33], v[8:9]
	v_fma_f64 v[6:7], v[30:31], v[8:9], -v[10:11]
	v_add_f64 v[2:3], v[2:3], 0
	v_add_f64 v[4:5], v[4:5], 0
	;; [unrolled: 1-line block ×4, first 2 shown]
	s_waitcnt vmcnt(0)
	v_add_f64 v[2:3], v[22:23], -v[2:3]
	v_add_f64 v[4:5], v[24:25], -v[8:9]
	scratch_store_dwordx4 off, v[2:5], off offset:32
	s_and_saveexec_b64 s[0:1], vcc
	s_cbranch_execz .LBB3_37
; %bb.36:
	scratch_load_dwordx4 v[2:5], off, off offset:16
	v_mov_b32_e32 v6, 0
	v_mov_b32_e32 v7, v6
	;; [unrolled: 1-line block ×4, first 2 shown]
	scratch_store_dwordx4 off, v[6:9], off offset:16
	s_waitcnt vmcnt(1)
	ds_write_b128 v1, v[2:5]
.LBB3_37:
	s_or_b64 exec, exec, s[0:1]
	s_waitcnt lgkmcnt(0)
	; wave barrier
	scratch_load_dwordx4 v[2:5], off, off offset:32
	scratch_load_dwordx4 v[6:9], off, off offset:48
	;; [unrolled: 1-line block ×4, first 2 shown]
	v_mov_b32_e32 v0, 0
	ds_read_b128 v[26:29], v0 offset:80
	ds_read_b128 v[30:33], v0 offset:96
	;; [unrolled: 1-line block ×3, first 2 shown]
	s_and_b64 vcc, exec, s[18:19]
	s_waitcnt vmcnt(3) lgkmcnt(2)
	v_mul_f64 v[38:39], v[26:27], v[4:5]
	v_mul_f64 v[4:5], v[28:29], v[4:5]
	s_waitcnt vmcnt(2) lgkmcnt(1)
	v_mul_f64 v[40:41], v[30:31], v[8:9]
	v_mul_f64 v[8:9], v[32:33], v[8:9]
	v_fmac_f64_e32 v[38:39], v[28:29], v[2:3]
	v_fma_f64 v[2:3], v[26:27], v[2:3], -v[4:5]
	s_waitcnt vmcnt(1) lgkmcnt(0)
	v_mul_f64 v[42:43], v[34:35], v[12:13]
	v_mul_f64 v[12:13], v[36:37], v[12:13]
	v_fmac_f64_e32 v[40:41], v[32:33], v[6:7]
	v_fma_f64 v[4:5], v[30:31], v[6:7], -v[8:9]
	v_add_f64 v[8:9], v[38:39], 0
	v_add_f64 v[2:3], v[2:3], 0
	v_fmac_f64_e32 v[42:43], v[36:37], v[10:11]
	v_fma_f64 v[6:7], v[34:35], v[10:11], -v[12:13]
	v_add_f64 v[8:9], v[8:9], v[40:41]
	v_add_f64 v[2:3], v[2:3], v[4:5]
	;; [unrolled: 1-line block ×4, first 2 shown]
	s_waitcnt vmcnt(0)
	v_add_f64 v[2:3], v[22:23], -v[2:3]
	v_add_f64 v[4:5], v[24:25], -v[4:5]
	scratch_store_dwordx4 off, v[2:5], off offset:16
	s_cbranch_vccz .LBB3_44
; %bb.38:
	global_load_dword v0, v0, s[16:17] offset:8
	s_waitcnt vmcnt(0)
	v_readfirstlane_b32 s0, v0
	s_add_i32 s0, s0, -1
	s_cmp_lg_u32 s0, 2
	s_cbranch_scc0 .LBB3_40
; %bb.39:
	s_lshl_b32 s0, s0, 4
	s_add_i32 s0, s0, 16
	scratch_load_dwordx4 v[0:3], off, s0
	scratch_load_dwordx4 v[4:7], off, s12
	s_waitcnt vmcnt(1)
	scratch_store_dwordx4 off, v[0:3], s12
	s_waitcnt vmcnt(1)
	scratch_store_dwordx4 off, v[4:7], s0
.LBB3_40:
	v_mov_b32_e32 v0, 0
	global_load_dword v1, v0, s[16:17] offset:4
	s_waitcnt vmcnt(0)
	v_readfirstlane_b32 s0, v1
	s_add_i32 s0, s0, -1
	s_cmp_eq_u32 s0, 1
	s_cbranch_scc1 .LBB3_42
; %bb.41:
	s_lshl_b32 s0, s0, 4
	s_add_i32 s0, s0, 16
	scratch_load_dwordx4 v[2:5], off, s0
	scratch_load_dwordx4 v[6:9], off, s13
	s_waitcnt vmcnt(1)
	scratch_store_dwordx4 off, v[2:5], s13
	s_waitcnt vmcnt(1)
	scratch_store_dwordx4 off, v[6:9], s0
.LBB3_42:
	global_load_dword v0, v0, s[16:17]
	s_waitcnt vmcnt(0)
	v_readfirstlane_b32 s0, v0
	s_add_i32 s0, s0, -1
	s_cmp_eq_u32 s0, 0
	s_cbranch_scc1 .LBB3_44
; %bb.43:
	s_lshl_b32 s0, s0, 4
	s_add_i32 s0, s0, 16
	scratch_load_dwordx4 v[0:3], off, s0
	scratch_load_dwordx4 v[4:7], off, off offset:16
	s_waitcnt vmcnt(1)
	scratch_store_dwordx4 off, v[0:3], off offset:16
	s_waitcnt vmcnt(1)
	scratch_store_dwordx4 off, v[4:7], s0
.LBB3_44:
	scratch_load_dwordx4 v[0:3], off, off offset:16
	s_nop 0
	scratch_load_dwordx4 v[4:7], off, s13
	scratch_load_dwordx4 v[8:11], off, s12
	;; [unrolled: 1-line block ×3, first 2 shown]
	s_waitcnt vmcnt(3)
	global_store_dwordx4 v[14:15], v[0:3], off
	s_waitcnt vmcnt(3)
	global_store_dwordx4 v[16:17], v[4:7], off
	;; [unrolled: 2-line block ×4, first 2 shown]
	s_endpgm
	.section	.rodata,"a",@progbits
	.p2align	6, 0x0
	.amdhsa_kernel _ZN9rocsolver6v33100L18getri_kernel_smallILi4E19rocblas_complex_numIdEPS3_EEvT1_iilPiilS6_bb
		.amdhsa_group_segment_fixed_size 136
		.amdhsa_private_segment_fixed_size 96
		.amdhsa_kernarg_size 60
		.amdhsa_user_sgpr_count 2
		.amdhsa_user_sgpr_dispatch_ptr 0
		.amdhsa_user_sgpr_queue_ptr 0
		.amdhsa_user_sgpr_kernarg_segment_ptr 1
		.amdhsa_user_sgpr_dispatch_id 0
		.amdhsa_user_sgpr_kernarg_preload_length 0
		.amdhsa_user_sgpr_kernarg_preload_offset 0
		.amdhsa_user_sgpr_private_segment_size 0
		.amdhsa_uses_dynamic_stack 0
		.amdhsa_enable_private_segment 1
		.amdhsa_system_sgpr_workgroup_id_x 1
		.amdhsa_system_sgpr_workgroup_id_y 0
		.amdhsa_system_sgpr_workgroup_id_z 0
		.amdhsa_system_sgpr_workgroup_info 0
		.amdhsa_system_vgpr_workitem_id 0
		.amdhsa_next_free_vgpr 44
		.amdhsa_next_free_sgpr 20
		.amdhsa_accum_offset 44
		.amdhsa_reserve_vcc 1
		.amdhsa_float_round_mode_32 0
		.amdhsa_float_round_mode_16_64 0
		.amdhsa_float_denorm_mode_32 3
		.amdhsa_float_denorm_mode_16_64 3
		.amdhsa_dx10_clamp 1
		.amdhsa_ieee_mode 1
		.amdhsa_fp16_overflow 0
		.amdhsa_tg_split 0
		.amdhsa_exception_fp_ieee_invalid_op 0
		.amdhsa_exception_fp_denorm_src 0
		.amdhsa_exception_fp_ieee_div_zero 0
		.amdhsa_exception_fp_ieee_overflow 0
		.amdhsa_exception_fp_ieee_underflow 0
		.amdhsa_exception_fp_ieee_inexact 0
		.amdhsa_exception_int_div_zero 0
	.end_amdhsa_kernel
	.section	.text._ZN9rocsolver6v33100L18getri_kernel_smallILi4E19rocblas_complex_numIdEPS3_EEvT1_iilPiilS6_bb,"axG",@progbits,_ZN9rocsolver6v33100L18getri_kernel_smallILi4E19rocblas_complex_numIdEPS3_EEvT1_iilPiilS6_bb,comdat
.Lfunc_end3:
	.size	_ZN9rocsolver6v33100L18getri_kernel_smallILi4E19rocblas_complex_numIdEPS3_EEvT1_iilPiilS6_bb, .Lfunc_end3-_ZN9rocsolver6v33100L18getri_kernel_smallILi4E19rocblas_complex_numIdEPS3_EEvT1_iilPiilS6_bb
                                        ; -- End function
	.set _ZN9rocsolver6v33100L18getri_kernel_smallILi4E19rocblas_complex_numIdEPS3_EEvT1_iilPiilS6_bb.num_vgpr, 44
	.set _ZN9rocsolver6v33100L18getri_kernel_smallILi4E19rocblas_complex_numIdEPS3_EEvT1_iilPiilS6_bb.num_agpr, 0
	.set _ZN9rocsolver6v33100L18getri_kernel_smallILi4E19rocblas_complex_numIdEPS3_EEvT1_iilPiilS6_bb.numbered_sgpr, 20
	.set _ZN9rocsolver6v33100L18getri_kernel_smallILi4E19rocblas_complex_numIdEPS3_EEvT1_iilPiilS6_bb.num_named_barrier, 0
	.set _ZN9rocsolver6v33100L18getri_kernel_smallILi4E19rocblas_complex_numIdEPS3_EEvT1_iilPiilS6_bb.private_seg_size, 96
	.set _ZN9rocsolver6v33100L18getri_kernel_smallILi4E19rocblas_complex_numIdEPS3_EEvT1_iilPiilS6_bb.uses_vcc, 1
	.set _ZN9rocsolver6v33100L18getri_kernel_smallILi4E19rocblas_complex_numIdEPS3_EEvT1_iilPiilS6_bb.uses_flat_scratch, 0
	.set _ZN9rocsolver6v33100L18getri_kernel_smallILi4E19rocblas_complex_numIdEPS3_EEvT1_iilPiilS6_bb.has_dyn_sized_stack, 0
	.set _ZN9rocsolver6v33100L18getri_kernel_smallILi4E19rocblas_complex_numIdEPS3_EEvT1_iilPiilS6_bb.has_recursion, 0
	.set _ZN9rocsolver6v33100L18getri_kernel_smallILi4E19rocblas_complex_numIdEPS3_EEvT1_iilPiilS6_bb.has_indirect_call, 0
	.section	.AMDGPU.csdata,"",@progbits
; Kernel info:
; codeLenInByte = 2744
; TotalNumSgprs: 26
; NumVgprs: 44
; NumAgprs: 0
; TotalNumVgprs: 44
; ScratchSize: 96
; MemoryBound: 0
; FloatMode: 240
; IeeeMode: 1
; LDSByteSize: 136 bytes/workgroup (compile time only)
; SGPRBlocks: 3
; VGPRBlocks: 5
; NumSGPRsForWavesPerEU: 26
; NumVGPRsForWavesPerEU: 44
; AccumOffset: 44
; Occupancy: 8
; WaveLimiterHint : 0
; COMPUTE_PGM_RSRC2:SCRATCH_EN: 1
; COMPUTE_PGM_RSRC2:USER_SGPR: 2
; COMPUTE_PGM_RSRC2:TRAP_HANDLER: 0
; COMPUTE_PGM_RSRC2:TGID_X_EN: 1
; COMPUTE_PGM_RSRC2:TGID_Y_EN: 0
; COMPUTE_PGM_RSRC2:TGID_Z_EN: 0
; COMPUTE_PGM_RSRC2:TIDIG_COMP_CNT: 0
; COMPUTE_PGM_RSRC3_GFX90A:ACCUM_OFFSET: 10
; COMPUTE_PGM_RSRC3_GFX90A:TG_SPLIT: 0
	.section	.text._ZN9rocsolver6v33100L18getri_kernel_smallILi5E19rocblas_complex_numIdEPS3_EEvT1_iilPiilS6_bb,"axG",@progbits,_ZN9rocsolver6v33100L18getri_kernel_smallILi5E19rocblas_complex_numIdEPS3_EEvT1_iilPiilS6_bb,comdat
	.globl	_ZN9rocsolver6v33100L18getri_kernel_smallILi5E19rocblas_complex_numIdEPS3_EEvT1_iilPiilS6_bb ; -- Begin function _ZN9rocsolver6v33100L18getri_kernel_smallILi5E19rocblas_complex_numIdEPS3_EEvT1_iilPiilS6_bb
	.p2align	8
	.type	_ZN9rocsolver6v33100L18getri_kernel_smallILi5E19rocblas_complex_numIdEPS3_EEvT1_iilPiilS6_bb,@function
_ZN9rocsolver6v33100L18getri_kernel_smallILi5E19rocblas_complex_numIdEPS3_EEvT1_iilPiilS6_bb: ; @_ZN9rocsolver6v33100L18getri_kernel_smallILi5E19rocblas_complex_numIdEPS3_EEvT1_iilPiilS6_bb
; %bb.0:
	v_and_b32_e32 v1, 0x3ff, v0
	v_cmp_gt_u32_e32 vcc, 5, v1
	s_and_saveexec_b64 s[6:7], vcc
	s_cbranch_execz .LBB4_34
; %bb.1:
	s_load_dword s6, s[2:3], 0x38
	s_load_dwordx4 s[16:19], s[2:3], 0x10
	s_load_dwordx4 s[8:11], s[2:3], 0x28
                                        ; implicit-def: $sgpr20_sgpr21
	s_waitcnt lgkmcnt(0)
	s_bitcmp1_b32 s6, 8
	s_cselect_b64 s[22:23], -1, 0
	s_ashr_i32 s5, s4, 31
	s_bfe_u32 s6, s6, 0x10008
	s_cmp_eq_u32 s6, 0
	s_cbranch_scc1 .LBB4_3
; %bb.2:
	s_load_dword s6, s[2:3], 0x20
	s_mul_i32 s7, s8, s5
	s_mul_hi_u32 s12, s8, s4
	s_mul_i32 s9, s9, s4
	s_add_i32 s12, s12, s7
	s_add_i32 s9, s12, s9
	s_mul_i32 s8, s8, s4
	s_waitcnt lgkmcnt(0)
	s_ashr_i32 s7, s6, 31
	s_lshl_b64 s[8:9], s[8:9], 2
	s_add_u32 s8, s18, s8
	s_addc_u32 s9, s19, s9
	s_lshl_b64 s[6:7], s[6:7], 2
	s_add_u32 s20, s8, s6
	s_addc_u32 s21, s9, s7
.LBB4_3:
	s_load_dwordx4 s[12:15], s[2:3], 0x0
	s_load_dword s8, s[2:3], 0x38
	s_mul_i32 s6, s16, s5
	s_mul_hi_u32 s7, s16, s4
	s_add_i32 s6, s7, s6
	s_mul_i32 s7, s17, s4
	s_add_i32 s7, s6, s7
	s_mul_i32 s6, s16, s4
	s_waitcnt lgkmcnt(0)
	s_ashr_i32 s3, s14, 31
	s_lshl_b64 s[6:7], s[6:7], 4
	s_mov_b32 s2, s14
	s_add_u32 s6, s12, s6
	s_addc_u32 s7, s13, s7
	s_lshl_b64 s[2:3], s[2:3], 4
	s_add_u32 s2, s6, s2
	s_addc_u32 s3, s7, s3
	v_lshlrev_b32_e32 v24, 4, v1
	v_mov_b32_e32 v25, 0
	v_lshl_add_u64 v[14:15], s[2:3], 0, v[24:25]
	s_ashr_i32 s7, s15, 31
	s_mov_b32 s6, s15
	v_lshl_add_u64 v[16:17], s[6:7], 4, v[14:15]
	s_add_i32 s6, s15, s15
	v_add_u32_e32 v20, s6, v1
	v_add_u32_e32 v22, s15, v20
	v_ashrrev_i32_e32 v21, 31, v20
	v_ashrrev_i32_e32 v23, 31, v22
	v_lshl_add_u64 v[18:19], v[20:21], 4, s[2:3]
	v_lshl_add_u64 v[20:21], v[22:23], 4, s[2:3]
	v_add_u32_e32 v22, s15, v22
	v_ashrrev_i32_e32 v23, 31, v22
	global_load_dwordx4 v[2:5], v24, s[2:3]
	global_load_dwordx4 v[6:9], v[16:17], off
	global_load_dwordx4 v[10:13], v[18:19], off
	v_lshl_add_u64 v[22:23], v[22:23], 4, s[2:3]
	global_load_dwordx4 v[26:29], v[20:21], off
	global_load_dwordx4 v[30:33], v[22:23], off
	s_mov_b32 s15, 16
	s_mov_b32 s14, 32
	;; [unrolled: 1-line block ×4, first 2 shown]
	s_bitcmp0_b32 s8, 0
	s_mov_b64 s[6:7], -1
	s_waitcnt vmcnt(4)
	scratch_store_dwordx4 off, v[2:5], off
	s_waitcnt vmcnt(4)
	scratch_store_dwordx4 off, v[6:9], off offset:16
	s_waitcnt vmcnt(4)
	scratch_store_dwordx4 off, v[10:13], off offset:32
	;; [unrolled: 2-line block ×4, first 2 shown]
	s_cbranch_scc1 .LBB4_32
; %bb.4:
	v_cmp_eq_u32_e64 s[2:3], 0, v1
	s_and_saveexec_b64 s[6:7], s[2:3]
; %bb.5:
	v_mov_b32_e32 v2, 0
	ds_write_b32 v2, v2 offset:160
; %bb.6:
	s_or_b64 exec, exec, s[6:7]
	s_waitcnt lgkmcnt(0)
	; wave barrier
	scratch_load_dwordx4 v[2:5], v24, off
	s_waitcnt vmcnt(0)
	v_cmp_eq_f64_e32 vcc, 0, v[2:3]
	v_cmp_eq_f64_e64 s[6:7], 0, v[4:5]
	s_and_b64 s[6:7], vcc, s[6:7]
	s_and_saveexec_b64 s[8:9], s[6:7]
	s_cbranch_execz .LBB4_10
; %bb.7:
	v_mov_b32_e32 v2, 0
	ds_read_b32 v4, v2 offset:160
	v_add_u32_e32 v3, 1, v1
	s_waitcnt lgkmcnt(0)
	v_readfirstlane_b32 s6, v4
	s_cmp_eq_u32 s6, 0
	s_cselect_b64 s[12:13], -1, 0
	v_cmp_gt_i32_e32 vcc, s6, v3
	s_or_b64 s[12:13], s[12:13], vcc
	s_and_b64 exec, exec, s[12:13]
	s_cbranch_execz .LBB4_10
; %bb.8:
	s_mov_b64 s[12:13], 0
	v_mov_b32_e32 v4, s6
.LBB4_9:                                ; =>This Inner Loop Header: Depth=1
	ds_cmpst_rtn_b32 v4, v2, v4, v3 offset:160
	s_waitcnt lgkmcnt(0)
	v_cmp_ne_u32_e32 vcc, 0, v4
	v_cmp_le_i32_e64 s[6:7], v4, v3
	s_and_b64 s[6:7], vcc, s[6:7]
	s_and_b64 s[6:7], exec, s[6:7]
	s_or_b64 s[12:13], s[6:7], s[12:13]
	s_andn2_b64 exec, exec, s[12:13]
	s_cbranch_execnz .LBB4_9
.LBB4_10:
	s_or_b64 exec, exec, s[8:9]
	v_mov_b32_e32 v3, 0
	; wave barrier
	ds_read_b32 v2, v3 offset:160
	s_and_saveexec_b64 s[6:7], s[2:3]
	s_cbranch_execz .LBB4_12
; %bb.11:
	s_lshl_b64 s[8:9], s[4:5], 2
	s_add_u32 s8, s10, s8
	s_addc_u32 s9, s11, s9
	s_waitcnt lgkmcnt(0)
	global_store_dword v3, v2, s[8:9]
.LBB4_12:
	s_or_b64 exec, exec, s[6:7]
	s_waitcnt lgkmcnt(0)
	v_cmp_ne_u32_e32 vcc, 0, v2
	s_mov_b64 s[6:7], 0
	s_cbranch_vccnz .LBB4_32
; %bb.13:
	v_mov_b32_e32 v25, v24
	scratch_load_dwordx4 v[2:5], v25, off
                                        ; implicit-def: $vgpr6_vgpr7
                                        ; implicit-def: $vgpr10_vgpr11
	s_waitcnt vmcnt(0)
	v_cmp_ngt_f64_e64 s[6:7], |v[2:3]|, |v[4:5]|
	s_and_saveexec_b64 s[8:9], s[6:7]
	s_xor_b64 s[6:7], exec, s[8:9]
	s_cbranch_execz .LBB4_15
; %bb.14:
	v_div_scale_f64 v[6:7], s[8:9], v[4:5], v[4:5], v[2:3]
	v_rcp_f64_e32 v[8:9], v[6:7]
	v_div_scale_f64 v[10:11], vcc, v[2:3], v[4:5], v[2:3]
	v_fma_f64 v[12:13], -v[6:7], v[8:9], 1.0
	v_fmac_f64_e32 v[8:9], v[8:9], v[12:13]
	v_fma_f64 v[12:13], -v[6:7], v[8:9], 1.0
	v_fmac_f64_e32 v[8:9], v[8:9], v[12:13]
	v_mul_f64 v[12:13], v[10:11], v[8:9]
	v_fma_f64 v[6:7], -v[6:7], v[12:13], v[10:11]
	v_div_fmas_f64 v[6:7], v[6:7], v[8:9], v[12:13]
	v_div_fixup_f64 v[6:7], v[6:7], v[4:5], v[2:3]
	v_fmac_f64_e32 v[4:5], v[2:3], v[6:7]
	v_div_scale_f64 v[2:3], s[8:9], v[4:5], v[4:5], 1.0
	v_rcp_f64_e32 v[8:9], v[2:3]
	s_nop 0
	v_fma_f64 v[10:11], -v[2:3], v[8:9], 1.0
	v_fmac_f64_e32 v[8:9], v[8:9], v[10:11]
	v_fma_f64 v[10:11], -v[2:3], v[8:9], 1.0
	v_fmac_f64_e32 v[8:9], v[8:9], v[10:11]
	v_div_scale_f64 v[10:11], vcc, 1.0, v[4:5], 1.0
	v_mul_f64 v[12:13], v[10:11], v[8:9]
	v_fma_f64 v[2:3], -v[2:3], v[12:13], v[10:11]
	s_nop 1
	v_div_fmas_f64 v[2:3], v[2:3], v[8:9], v[12:13]
	v_div_fixup_f64 v[8:9], v[2:3], v[4:5], 1.0
	v_mul_f64 v[6:7], v[6:7], v[8:9]
	v_xor_b32_e32 v9, 0x80000000, v9
	v_xor_b32_e32 v11, 0x80000000, v7
	v_mov_b32_e32 v10, v6
                                        ; implicit-def: $vgpr2_vgpr3
.LBB4_15:
	s_andn2_saveexec_b64 s[6:7], s[6:7]
	s_cbranch_execz .LBB4_17
; %bb.16:
	v_div_scale_f64 v[6:7], s[8:9], v[2:3], v[2:3], v[4:5]
	v_rcp_f64_e32 v[8:9], v[6:7]
	v_div_scale_f64 v[10:11], vcc, v[4:5], v[2:3], v[4:5]
	v_fma_f64 v[12:13], -v[6:7], v[8:9], 1.0
	v_fmac_f64_e32 v[8:9], v[8:9], v[12:13]
	v_fma_f64 v[12:13], -v[6:7], v[8:9], 1.0
	v_fmac_f64_e32 v[8:9], v[8:9], v[12:13]
	v_mul_f64 v[12:13], v[10:11], v[8:9]
	v_fma_f64 v[6:7], -v[6:7], v[12:13], v[10:11]
	v_div_fmas_f64 v[6:7], v[6:7], v[8:9], v[12:13]
	v_div_fixup_f64 v[8:9], v[6:7], v[2:3], v[4:5]
	v_fmac_f64_e32 v[2:3], v[4:5], v[8:9]
	v_div_scale_f64 v[4:5], s[8:9], v[2:3], v[2:3], 1.0
	v_rcp_f64_e32 v[6:7], v[4:5]
	s_nop 0
	v_fma_f64 v[10:11], -v[4:5], v[6:7], 1.0
	v_fmac_f64_e32 v[6:7], v[6:7], v[10:11]
	v_fma_f64 v[10:11], -v[4:5], v[6:7], 1.0
	v_fmac_f64_e32 v[6:7], v[6:7], v[10:11]
	v_div_scale_f64 v[10:11], vcc, 1.0, v[2:3], 1.0
	v_mul_f64 v[12:13], v[10:11], v[6:7]
	v_fma_f64 v[4:5], -v[4:5], v[12:13], v[10:11]
	s_nop 1
	v_div_fmas_f64 v[4:5], v[4:5], v[6:7], v[12:13]
	v_div_fixup_f64 v[6:7], v[4:5], v[2:3], 1.0
	v_xor_b32_e32 v11, 0x80000000, v7
	v_mov_b32_e32 v10, v6
	v_mul_f64 v[8:9], v[8:9], -v[6:7]
.LBB4_17:
	s_or_b64 exec, exec, s[6:7]
	scratch_store_dwordx4 v25, v[6:9], off
	scratch_load_dwordx4 v[2:5], off, s15
	v_xor_b32_e32 v13, 0x80000000, v9
	v_mov_b32_e32 v12, v8
	v_add_u32_e32 v6, 0x50, v24
	ds_write_b128 v24, v[10:13]
	s_waitcnt vmcnt(0)
	ds_write_b128 v24, v[2:5] offset:80
	s_waitcnt lgkmcnt(0)
	; wave barrier
	s_and_saveexec_b64 s[6:7], s[2:3]
	s_cbranch_execz .LBB4_19
; %bb.18:
	scratch_load_dwordx4 v[2:5], v25, off
	ds_read_b128 v[8:11], v6
	v_mov_b32_e32 v7, 0
	ds_read_b128 v[26:29], v7 offset:16
	s_waitcnt vmcnt(0) lgkmcnt(1)
	v_mul_f64 v[12:13], v[10:11], v[4:5]
	v_mul_f64 v[4:5], v[8:9], v[4:5]
	v_fma_f64 v[8:9], v[8:9], v[2:3], -v[12:13]
	v_fmac_f64_e32 v[4:5], v[10:11], v[2:3]
	v_add_f64 v[2:3], v[8:9], 0
	v_add_f64 v[8:9], v[4:5], 0
	s_waitcnt lgkmcnt(0)
	v_mul_f64 v[10:11], v[8:9], v[28:29]
	v_mul_f64 v[4:5], v[2:3], v[28:29]
	v_fma_f64 v[2:3], v[2:3], v[26:27], -v[10:11]
	v_fmac_f64_e32 v[4:5], v[8:9], v[26:27]
	scratch_store_dwordx4 off, v[2:5], off offset:16
.LBB4_19:
	s_or_b64 exec, exec, s[6:7]
	; wave barrier
	scratch_load_dwordx4 v[2:5], off, s14
	v_cmp_gt_u32_e32 vcc, 2, v1
	s_waitcnt vmcnt(0)
	ds_write_b128 v6, v[2:5]
	s_waitcnt lgkmcnt(0)
	; wave barrier
	s_and_saveexec_b64 s[6:7], vcc
	s_cbranch_execz .LBB4_23
; %bb.20:
	scratch_load_dwordx4 v[2:5], v25, off
	ds_read_b128 v[8:11], v6
	s_waitcnt vmcnt(0) lgkmcnt(0)
	v_mul_f64 v[12:13], v[10:11], v[4:5]
	v_mul_f64 v[26:27], v[8:9], v[4:5]
	v_fma_f64 v[4:5], v[8:9], v[2:3], -v[12:13]
	v_fmac_f64_e32 v[26:27], v[10:11], v[2:3]
	v_add_f64 v[4:5], v[4:5], 0
	v_add_f64 v[2:3], v[26:27], 0
	s_and_saveexec_b64 s[8:9], s[2:3]
	s_cbranch_execz .LBB4_22
; %bb.21:
	scratch_load_dwordx4 v[8:11], off, off offset:16
	v_mov_b32_e32 v7, 0
	ds_read_b128 v[26:29], v7 offset:96
	s_waitcnt vmcnt(0) lgkmcnt(0)
	v_mul_f64 v[12:13], v[26:27], v[10:11]
	v_mul_f64 v[10:11], v[28:29], v[10:11]
	v_fmac_f64_e32 v[12:13], v[28:29], v[8:9]
	v_fma_f64 v[8:9], v[26:27], v[8:9], -v[10:11]
	v_add_f64 v[2:3], v[2:3], v[12:13]
	v_add_f64 v[4:5], v[4:5], v[8:9]
.LBB4_22:
	s_or_b64 exec, exec, s[8:9]
	v_mov_b32_e32 v7, 0
	ds_read_b128 v[8:11], v7 offset:32
	s_waitcnt lgkmcnt(0)
	v_mul_f64 v[26:27], v[2:3], v[10:11]
	v_mul_f64 v[12:13], v[4:5], v[10:11]
	v_fma_f64 v[10:11], v[4:5], v[8:9], -v[26:27]
	v_fmac_f64_e32 v[12:13], v[2:3], v[8:9]
	scratch_store_dwordx4 off, v[10:13], off offset:32
.LBB4_23:
	s_or_b64 exec, exec, s[6:7]
	; wave barrier
	scratch_load_dwordx4 v[2:5], off, s16
	v_cmp_gt_u32_e32 vcc, 3, v1
	v_add_u32_e32 v7, -1, v1
	s_waitcnt vmcnt(0)
	ds_write_b128 v6, v[2:5]
	s_waitcnt lgkmcnt(0)
	; wave barrier
	s_and_saveexec_b64 s[2:3], vcc
	s_cbranch_execz .LBB4_27
; %bb.24:
	v_add_u32_e32 v8, -1, v1
	v_add_u32_e32 v9, 0x50, v24
	v_mov_b32_e32 v10, v24
	v_mov_b64_e32 v[2:3], 0
	s_mov_b64 s[6:7], 0
	v_mov_b64_e32 v[4:5], 0
.LBB4_25:                               ; =>This Inner Loop Header: Depth=1
	scratch_load_dwordx4 v[26:29], v10, off
	ds_read_b128 v[30:33], v9
	v_add_u32_e32 v8, 1, v8
	v_cmp_lt_u32_e32 vcc, 1, v8
	v_add_u32_e32 v9, 16, v9
	v_add_u32_e32 v10, 16, v10
	s_or_b64 s[6:7], vcc, s[6:7]
	s_waitcnt vmcnt(0) lgkmcnt(0)
	v_mul_f64 v[12:13], v[32:33], v[28:29]
	v_mul_f64 v[28:29], v[30:31], v[28:29]
	v_fma_f64 v[12:13], v[30:31], v[26:27], -v[12:13]
	v_fmac_f64_e32 v[28:29], v[32:33], v[26:27]
	v_add_f64 v[4:5], v[4:5], v[12:13]
	v_add_f64 v[2:3], v[2:3], v[28:29]
	s_andn2_b64 exec, exec, s[6:7]
	s_cbranch_execnz .LBB4_25
; %bb.26:
	s_or_b64 exec, exec, s[6:7]
	v_mov_b32_e32 v8, 0
	ds_read_b128 v[8:11], v8 offset:48
	s_waitcnt lgkmcnt(0)
	v_mul_f64 v[26:27], v[2:3], v[10:11]
	v_mul_f64 v[12:13], v[4:5], v[10:11]
	v_fma_f64 v[10:11], v[4:5], v[8:9], -v[26:27]
	v_fmac_f64_e32 v[12:13], v[2:3], v[8:9]
	scratch_store_dwordx4 off, v[10:13], off offset:48
.LBB4_27:
	s_or_b64 exec, exec, s[2:3]
	; wave barrier
	scratch_load_dwordx4 v[2:5], off, s17
	v_cmp_ne_u32_e32 vcc, 4, v1
	s_waitcnt vmcnt(0)
	ds_write_b128 v6, v[2:5]
	s_waitcnt lgkmcnt(0)
	; wave barrier
	s_and_saveexec_b64 s[2:3], vcc
	s_cbranch_execz .LBB4_31
; %bb.28:
	v_add_u32_e32 v6, 0x50, v24
	v_mov_b32_e32 v8, v24
	v_mov_b64_e32 v[2:3], 0
	s_mov_b64 s[6:7], 0
	v_mov_b64_e32 v[4:5], 0
.LBB4_29:                               ; =>This Inner Loop Header: Depth=1
	scratch_load_dwordx4 v[10:13], v8, off
	ds_read_b128 v[24:27], v6
	v_add_u32_e32 v7, 1, v7
	v_cmp_lt_u32_e32 vcc, 2, v7
	v_add_u32_e32 v6, 16, v6
	v_add_u32_e32 v8, 16, v8
	s_or_b64 s[6:7], vcc, s[6:7]
	s_waitcnt vmcnt(0) lgkmcnt(0)
	v_mul_f64 v[28:29], v[26:27], v[12:13]
	v_mul_f64 v[12:13], v[24:25], v[12:13]
	v_fma_f64 v[24:25], v[24:25], v[10:11], -v[28:29]
	v_fmac_f64_e32 v[12:13], v[26:27], v[10:11]
	v_add_f64 v[4:5], v[4:5], v[24:25]
	v_add_f64 v[2:3], v[2:3], v[12:13]
	s_andn2_b64 exec, exec, s[6:7]
	s_cbranch_execnz .LBB4_29
; %bb.30:
	s_or_b64 exec, exec, s[6:7]
	v_mov_b32_e32 v6, 0
	ds_read_b128 v[6:9], v6 offset:64
	s_waitcnt lgkmcnt(0)
	v_mul_f64 v[12:13], v[2:3], v[8:9]
	v_mul_f64 v[10:11], v[4:5], v[8:9]
	v_fma_f64 v[8:9], v[4:5], v[6:7], -v[12:13]
	v_fmac_f64_e32 v[10:11], v[2:3], v[6:7]
	scratch_store_dwordx4 off, v[8:11], off offset:64
.LBB4_31:
	s_or_b64 exec, exec, s[2:3]
	s_mov_b64 s[6:7], -1
	; wave barrier
.LBB4_32:
	s_and_b64 vcc, exec, s[6:7]
	s_cbranch_vccz .LBB4_34
; %bb.33:
	s_lshl_b64 s[2:3], s[4:5], 2
	s_add_u32 s2, s10, s2
	s_addc_u32 s3, s11, s3
	v_mov_b32_e32 v2, 0
	global_load_dword v2, v2, s[2:3]
	s_waitcnt vmcnt(0)
	v_cmp_ne_u32_e32 vcc, 0, v2
	s_cbranch_vccz .LBB4_35
.LBB4_34:
	s_endpgm
.LBB4_35:
	v_mov_b32_e32 v2, 0x50
	v_lshl_add_u32 v6, v1, 4, v2
	v_cmp_eq_u32_e32 vcc, 4, v1
	s_and_saveexec_b64 s[2:3], vcc
	s_cbranch_execz .LBB4_37
; %bb.36:
	scratch_load_dwordx4 v[2:5], off, s16
	v_mov_b32_e32 v8, 0
	v_mov_b32_e32 v9, v8
	;; [unrolled: 1-line block ×4, first 2 shown]
	scratch_store_dwordx4 off, v[8:11], off offset:48
	s_waitcnt vmcnt(1)
	ds_write_b128 v6, v[2:5]
.LBB4_37:
	s_or_b64 exec, exec, s[2:3]
	s_waitcnt lgkmcnt(0)
	; wave barrier
	scratch_load_dwordx4 v[8:11], off, off offset:64
	scratch_load_dwordx4 v[24:27], off, off offset:48
	v_mov_b32_e32 v2, 0
	ds_read_b128 v[28:31], v2 offset:144
	v_cmp_lt_u32_e32 vcc, 2, v1
	s_waitcnt vmcnt(1) lgkmcnt(0)
	v_mul_f64 v[4:5], v[28:29], v[10:11]
	v_mul_f64 v[10:11], v[30:31], v[10:11]
	v_fmac_f64_e32 v[4:5], v[30:31], v[8:9]
	v_fma_f64 v[8:9], v[28:29], v[8:9], -v[10:11]
	v_add_f64 v[4:5], v[4:5], 0
	v_add_f64 v[8:9], v[8:9], 0
	s_waitcnt vmcnt(0)
	v_add_f64 v[8:9], v[24:25], -v[8:9]
	v_add_f64 v[10:11], v[26:27], -v[4:5]
	scratch_store_dwordx4 off, v[8:11], off offset:48
	s_and_saveexec_b64 s[2:3], vcc
	s_cbranch_execz .LBB4_39
; %bb.38:
	scratch_load_dwordx4 v[8:11], off, s14
	v_mov_b32_e32 v3, v2
	v_mov_b32_e32 v4, v2
	v_mov_b32_e32 v5, v2
	scratch_store_dwordx4 off, v[2:5], off offset:32
	s_waitcnt vmcnt(1)
	ds_write_b128 v6, v[8:11]
.LBB4_39:
	s_or_b64 exec, exec, s[2:3]
	s_waitcnt lgkmcnt(0)
	; wave barrier
	scratch_load_dwordx4 v[8:11], off, off offset:48
	scratch_load_dwordx4 v[24:27], off, off offset:64
	;; [unrolled: 1-line block ×3, first 2 shown]
	ds_read_b128 v[32:35], v2 offset:128
	ds_read_b128 v[2:5], v2 offset:144
	v_cmp_lt_u32_e32 vcc, 1, v1
	s_waitcnt vmcnt(2) lgkmcnt(1)
	v_mul_f64 v[12:13], v[32:33], v[10:11]
	s_waitcnt vmcnt(1) lgkmcnt(0)
	v_mul_f64 v[36:37], v[2:3], v[26:27]
	v_mul_f64 v[10:11], v[34:35], v[10:11]
	;; [unrolled: 1-line block ×3, first 2 shown]
	v_fmac_f64_e32 v[12:13], v[34:35], v[8:9]
	v_fmac_f64_e32 v[36:37], v[4:5], v[24:25]
	v_fma_f64 v[4:5], v[32:33], v[8:9], -v[10:11]
	v_fma_f64 v[2:3], v[2:3], v[24:25], -v[26:27]
	v_add_f64 v[8:9], v[12:13], 0
	v_add_f64 v[4:5], v[4:5], 0
	;; [unrolled: 1-line block ×4, first 2 shown]
	s_waitcnt vmcnt(0)
	v_add_f64 v[2:3], v[28:29], -v[2:3]
	v_add_f64 v[4:5], v[30:31], -v[8:9]
	scratch_store_dwordx4 off, v[2:5], off offset:32
	s_and_saveexec_b64 s[2:3], vcc
	s_cbranch_execz .LBB4_41
; %bb.40:
	scratch_load_dwordx4 v[2:5], off, s15
	v_mov_b32_e32 v8, 0
	v_mov_b32_e32 v9, v8
	;; [unrolled: 1-line block ×4, first 2 shown]
	scratch_store_dwordx4 off, v[8:11], off offset:16
	s_waitcnt vmcnt(1)
	ds_write_b128 v6, v[2:5]
.LBB4_41:
	s_or_b64 exec, exec, s[2:3]
	s_waitcnt lgkmcnt(0)
	; wave barrier
	scratch_load_dwordx4 v[8:11], off, off offset:32
	scratch_load_dwordx4 v[24:27], off, off offset:48
	;; [unrolled: 1-line block ×4, first 2 shown]
	v_mov_b32_e32 v2, 0
	ds_read_b128 v[36:39], v2 offset:112
	ds_read_b128 v[40:43], v2 offset:128
	;; [unrolled: 1-line block ×3, first 2 shown]
	v_cmp_ne_u32_e32 vcc, 0, v1
	s_waitcnt vmcnt(3) lgkmcnt(2)
	v_mul_f64 v[4:5], v[36:37], v[10:11]
	v_mul_f64 v[10:11], v[38:39], v[10:11]
	s_waitcnt vmcnt(2) lgkmcnt(1)
	v_mul_f64 v[12:13], v[40:41], v[26:27]
	v_mul_f64 v[26:27], v[42:43], v[26:27]
	v_fmac_f64_e32 v[4:5], v[38:39], v[8:9]
	v_fma_f64 v[8:9], v[36:37], v[8:9], -v[10:11]
	s_waitcnt vmcnt(1) lgkmcnt(0)
	v_mul_f64 v[48:49], v[44:45], v[30:31]
	v_mul_f64 v[30:31], v[46:47], v[30:31]
	v_fmac_f64_e32 v[12:13], v[42:43], v[24:25]
	v_fma_f64 v[10:11], v[40:41], v[24:25], -v[26:27]
	v_add_f64 v[4:5], v[4:5], 0
	v_add_f64 v[8:9], v[8:9], 0
	v_fmac_f64_e32 v[48:49], v[46:47], v[28:29]
	v_fma_f64 v[24:25], v[44:45], v[28:29], -v[30:31]
	v_add_f64 v[4:5], v[4:5], v[12:13]
	v_add_f64 v[8:9], v[8:9], v[10:11]
	;; [unrolled: 1-line block ×4, first 2 shown]
	s_waitcnt vmcnt(0)
	v_add_f64 v[8:9], v[32:33], -v[8:9]
	v_add_f64 v[10:11], v[34:35], -v[4:5]
	scratch_store_dwordx4 off, v[8:11], off offset:16
	s_and_saveexec_b64 s[2:3], vcc
	s_cbranch_execz .LBB4_43
; %bb.42:
	scratch_load_dwordx4 v[8:11], off, off
	v_mov_b32_e32 v3, v2
	v_mov_b32_e32 v4, v2
	v_mov_b32_e32 v5, v2
	scratch_store_dwordx4 off, v[2:5], off
	s_waitcnt vmcnt(1)
	ds_write_b128 v6, v[8:11]
.LBB4_43:
	s_or_b64 exec, exec, s[2:3]
	s_waitcnt lgkmcnt(0)
	; wave barrier
	scratch_load_dwordx4 v[4:7], off, off offset:16
	scratch_load_dwordx4 v[8:11], off, off offset:32
	;; [unrolled: 1-line block ×4, first 2 shown]
	scratch_load_dwordx4 v[32:35], off, off
	ds_read_b128 v[36:39], v2 offset:96
	ds_read_b128 v[40:43], v2 offset:112
	;; [unrolled: 1-line block ×4, first 2 shown]
	s_and_b64 vcc, exec, s[22:23]
	s_waitcnt vmcnt(4) lgkmcnt(3)
	v_mul_f64 v[2:3], v[36:37], v[6:7]
	v_mul_f64 v[6:7], v[38:39], v[6:7]
	s_waitcnt vmcnt(3) lgkmcnt(2)
	v_mul_f64 v[12:13], v[40:41], v[10:11]
	v_mul_f64 v[10:11], v[42:43], v[10:11]
	v_fmac_f64_e32 v[2:3], v[38:39], v[4:5]
	v_fma_f64 v[4:5], v[36:37], v[4:5], -v[6:7]
	s_waitcnt vmcnt(2) lgkmcnt(1)
	v_mul_f64 v[52:53], v[44:45], v[26:27]
	v_mul_f64 v[26:27], v[46:47], v[26:27]
	v_fmac_f64_e32 v[12:13], v[42:43], v[8:9]
	v_fma_f64 v[6:7], v[40:41], v[8:9], -v[10:11]
	v_add_f64 v[2:3], v[2:3], 0
	v_add_f64 v[4:5], v[4:5], 0
	s_waitcnt vmcnt(1) lgkmcnt(0)
	v_mul_f64 v[54:55], v[48:49], v[30:31]
	v_mul_f64 v[30:31], v[50:51], v[30:31]
	v_fmac_f64_e32 v[52:53], v[46:47], v[24:25]
	v_fma_f64 v[8:9], v[44:45], v[24:25], -v[26:27]
	v_add_f64 v[2:3], v[2:3], v[12:13]
	v_add_f64 v[4:5], v[4:5], v[6:7]
	v_fmac_f64_e32 v[54:55], v[50:51], v[28:29]
	v_fma_f64 v[10:11], v[48:49], v[28:29], -v[30:31]
	v_add_f64 v[2:3], v[2:3], v[52:53]
	v_add_f64 v[4:5], v[4:5], v[8:9]
	;; [unrolled: 1-line block ×4, first 2 shown]
	s_waitcnt vmcnt(0)
	v_add_f64 v[2:3], v[32:33], -v[2:3]
	v_add_f64 v[4:5], v[34:35], -v[6:7]
	scratch_store_dwordx4 off, v[2:5], off
	s_cbranch_vccz .LBB4_52
; %bb.44:
	s_nop 0
	v_mov_b32_e32 v2, 0
	global_load_dword v3, v2, s[20:21] offset:12
	s_load_dwordx2 s[2:3], s[0:1], 0x4
	v_bfe_u32 v4, v0, 10, 10
	v_bfe_u32 v0, v0, 20, 10
	s_waitcnt lgkmcnt(0)
	s_lshr_b32 s0, s2, 16
	s_mul_i32 s0, s0, s3
	v_mul_u32_u24_e32 v1, s0, v1
	v_mul_u32_u24_e32 v4, s3, v4
	v_add3_u32 v0, v1, v4, v0
	v_mov_b32_e32 v1, 0xa8
	v_lshl_add_u32 v0, v0, 4, v1
	s_waitcnt vmcnt(0)
	v_readfirstlane_b32 s0, v3
	s_add_i32 s0, s0, -1
	s_cmp_lg_u32 s0, 3
	s_cbranch_scc0 .LBB4_46
; %bb.45:
	s_lshl_b32 s0, s0, 4
	scratch_load_dwordx4 v[4:7], off, s16
	scratch_load_dwordx4 v[8:11], off, s0
	s_waitcnt vmcnt(1)
	ds_write2_b64 v0, v[4:5], v[6:7] offset1:1
	s_waitcnt vmcnt(0)
	scratch_store_dwordx4 off, v[8:11], s16
	scratch_store_dwordx4 off, v[4:7], s0
.LBB4_46:
	global_load_dword v1, v2, s[20:21] offset:8
	s_waitcnt vmcnt(0)
	v_readfirstlane_b32 s0, v1
	s_add_i32 s0, s0, -1
	s_cmp_eq_u32 s0, 2
	s_cbranch_scc1 .LBB4_48
; %bb.47:
	s_lshl_b32 s0, s0, 4
	scratch_load_dwordx4 v[2:5], off, s14
	scratch_load_dwordx4 v[6:9], off, s0
	s_waitcnt vmcnt(1)
	ds_write2_b64 v0, v[2:3], v[4:5] offset1:1
	s_waitcnt vmcnt(0)
	scratch_store_dwordx4 off, v[6:9], s14
	scratch_store_dwordx4 off, v[2:5], s0
.LBB4_48:
	v_mov_b32_e32 v1, 0
	global_load_dword v2, v1, s[20:21] offset:4
	s_waitcnt vmcnt(0)
	v_readfirstlane_b32 s0, v2
	s_add_i32 s0, s0, -1
	s_cmp_eq_u32 s0, 1
	s_cbranch_scc1 .LBB4_50
; %bb.49:
	s_lshl_b32 s0, s0, 4
	scratch_load_dwordx4 v[2:5], off, s15
	scratch_load_dwordx4 v[6:9], off, s0
	s_waitcnt vmcnt(1)
	ds_write2_b64 v0, v[2:3], v[4:5] offset1:1
	s_waitcnt vmcnt(0)
	scratch_store_dwordx4 off, v[6:9], s15
	scratch_store_dwordx4 off, v[2:5], s0
.LBB4_50:
	global_load_dword v1, v1, s[20:21]
	s_waitcnt vmcnt(0)
	v_readfirstlane_b32 s0, v1
	s_add_i32 s0, s0, -1
	s_cmp_eq_u32 s0, 0
	s_cbranch_scc1 .LBB4_52
; %bb.51:
	s_lshl_b32 s0, s0, 4
	scratch_load_dwordx4 v[2:5], off, off
	scratch_load_dwordx4 v[6:9], off, s0
	s_waitcnt vmcnt(1)
	ds_write2_b64 v0, v[2:3], v[4:5] offset1:1
	s_waitcnt vmcnt(0)
	scratch_store_dwordx4 off, v[6:9], off
	scratch_store_dwordx4 off, v[2:5], s0
.LBB4_52:
	scratch_load_dwordx4 v[0:3], off, off
	s_nop 0
	scratch_load_dwordx4 v[4:7], off, s15
	scratch_load_dwordx4 v[8:11], off, s14
	;; [unrolled: 1-line block ×4, first 2 shown]
	s_waitcnt vmcnt(4)
	global_store_dwordx4 v[14:15], v[0:3], off
	s_waitcnt vmcnt(4)
	global_store_dwordx4 v[16:17], v[4:7], off
	;; [unrolled: 2-line block ×5, first 2 shown]
	s_endpgm
	.section	.rodata,"a",@progbits
	.p2align	6, 0x0
	.amdhsa_kernel _ZN9rocsolver6v33100L18getri_kernel_smallILi5E19rocblas_complex_numIdEPS3_EEvT1_iilPiilS6_bb
		.amdhsa_group_segment_fixed_size 1192
		.amdhsa_private_segment_fixed_size 96
		.amdhsa_kernarg_size 60
		.amdhsa_user_sgpr_count 4
		.amdhsa_user_sgpr_dispatch_ptr 1
		.amdhsa_user_sgpr_queue_ptr 0
		.amdhsa_user_sgpr_kernarg_segment_ptr 1
		.amdhsa_user_sgpr_dispatch_id 0
		.amdhsa_user_sgpr_kernarg_preload_length 0
		.amdhsa_user_sgpr_kernarg_preload_offset 0
		.amdhsa_user_sgpr_private_segment_size 0
		.amdhsa_uses_dynamic_stack 0
		.amdhsa_enable_private_segment 1
		.amdhsa_system_sgpr_workgroup_id_x 1
		.amdhsa_system_sgpr_workgroup_id_y 0
		.amdhsa_system_sgpr_workgroup_id_z 0
		.amdhsa_system_sgpr_workgroup_info 0
		.amdhsa_system_vgpr_workitem_id 2
		.amdhsa_next_free_vgpr 56
		.amdhsa_next_free_sgpr 24
		.amdhsa_accum_offset 56
		.amdhsa_reserve_vcc 1
		.amdhsa_float_round_mode_32 0
		.amdhsa_float_round_mode_16_64 0
		.amdhsa_float_denorm_mode_32 3
		.amdhsa_float_denorm_mode_16_64 3
		.amdhsa_dx10_clamp 1
		.amdhsa_ieee_mode 1
		.amdhsa_fp16_overflow 0
		.amdhsa_tg_split 0
		.amdhsa_exception_fp_ieee_invalid_op 0
		.amdhsa_exception_fp_denorm_src 0
		.amdhsa_exception_fp_ieee_div_zero 0
		.amdhsa_exception_fp_ieee_overflow 0
		.amdhsa_exception_fp_ieee_underflow 0
		.amdhsa_exception_fp_ieee_inexact 0
		.amdhsa_exception_int_div_zero 0
	.end_amdhsa_kernel
	.section	.text._ZN9rocsolver6v33100L18getri_kernel_smallILi5E19rocblas_complex_numIdEPS3_EEvT1_iilPiilS6_bb,"axG",@progbits,_ZN9rocsolver6v33100L18getri_kernel_smallILi5E19rocblas_complex_numIdEPS3_EEvT1_iilPiilS6_bb,comdat
.Lfunc_end4:
	.size	_ZN9rocsolver6v33100L18getri_kernel_smallILi5E19rocblas_complex_numIdEPS3_EEvT1_iilPiilS6_bb, .Lfunc_end4-_ZN9rocsolver6v33100L18getri_kernel_smallILi5E19rocblas_complex_numIdEPS3_EEvT1_iilPiilS6_bb
                                        ; -- End function
	.set _ZN9rocsolver6v33100L18getri_kernel_smallILi5E19rocblas_complex_numIdEPS3_EEvT1_iilPiilS6_bb.num_vgpr, 56
	.set _ZN9rocsolver6v33100L18getri_kernel_smallILi5E19rocblas_complex_numIdEPS3_EEvT1_iilPiilS6_bb.num_agpr, 0
	.set _ZN9rocsolver6v33100L18getri_kernel_smallILi5E19rocblas_complex_numIdEPS3_EEvT1_iilPiilS6_bb.numbered_sgpr, 24
	.set _ZN9rocsolver6v33100L18getri_kernel_smallILi5E19rocblas_complex_numIdEPS3_EEvT1_iilPiilS6_bb.num_named_barrier, 0
	.set _ZN9rocsolver6v33100L18getri_kernel_smallILi5E19rocblas_complex_numIdEPS3_EEvT1_iilPiilS6_bb.private_seg_size, 96
	.set _ZN9rocsolver6v33100L18getri_kernel_smallILi5E19rocblas_complex_numIdEPS3_EEvT1_iilPiilS6_bb.uses_vcc, 1
	.set _ZN9rocsolver6v33100L18getri_kernel_smallILi5E19rocblas_complex_numIdEPS3_EEvT1_iilPiilS6_bb.uses_flat_scratch, 0
	.set _ZN9rocsolver6v33100L18getri_kernel_smallILi5E19rocblas_complex_numIdEPS3_EEvT1_iilPiilS6_bb.has_dyn_sized_stack, 0
	.set _ZN9rocsolver6v33100L18getri_kernel_smallILi5E19rocblas_complex_numIdEPS3_EEvT1_iilPiilS6_bb.has_recursion, 0
	.set _ZN9rocsolver6v33100L18getri_kernel_smallILi5E19rocblas_complex_numIdEPS3_EEvT1_iilPiilS6_bb.has_indirect_call, 0
	.section	.AMDGPU.csdata,"",@progbits
; Kernel info:
; codeLenInByte = 3568
; TotalNumSgprs: 30
; NumVgprs: 56
; NumAgprs: 0
; TotalNumVgprs: 56
; ScratchSize: 96
; MemoryBound: 0
; FloatMode: 240
; IeeeMode: 1
; LDSByteSize: 1192 bytes/workgroup (compile time only)
; SGPRBlocks: 3
; VGPRBlocks: 6
; NumSGPRsForWavesPerEU: 30
; NumVGPRsForWavesPerEU: 56
; AccumOffset: 56
; Occupancy: 8
; WaveLimiterHint : 0
; COMPUTE_PGM_RSRC2:SCRATCH_EN: 1
; COMPUTE_PGM_RSRC2:USER_SGPR: 4
; COMPUTE_PGM_RSRC2:TRAP_HANDLER: 0
; COMPUTE_PGM_RSRC2:TGID_X_EN: 1
; COMPUTE_PGM_RSRC2:TGID_Y_EN: 0
; COMPUTE_PGM_RSRC2:TGID_Z_EN: 0
; COMPUTE_PGM_RSRC2:TIDIG_COMP_CNT: 2
; COMPUTE_PGM_RSRC3_GFX90A:ACCUM_OFFSET: 13
; COMPUTE_PGM_RSRC3_GFX90A:TG_SPLIT: 0
	.section	.text._ZN9rocsolver6v33100L18getri_kernel_smallILi6E19rocblas_complex_numIdEPS3_EEvT1_iilPiilS6_bb,"axG",@progbits,_ZN9rocsolver6v33100L18getri_kernel_smallILi6E19rocblas_complex_numIdEPS3_EEvT1_iilPiilS6_bb,comdat
	.globl	_ZN9rocsolver6v33100L18getri_kernel_smallILi6E19rocblas_complex_numIdEPS3_EEvT1_iilPiilS6_bb ; -- Begin function _ZN9rocsolver6v33100L18getri_kernel_smallILi6E19rocblas_complex_numIdEPS3_EEvT1_iilPiilS6_bb
	.p2align	8
	.type	_ZN9rocsolver6v33100L18getri_kernel_smallILi6E19rocblas_complex_numIdEPS3_EEvT1_iilPiilS6_bb,@function
_ZN9rocsolver6v33100L18getri_kernel_smallILi6E19rocblas_complex_numIdEPS3_EEvT1_iilPiilS6_bb: ; @_ZN9rocsolver6v33100L18getri_kernel_smallILi6E19rocblas_complex_numIdEPS3_EEvT1_iilPiilS6_bb
; %bb.0:
	v_and_b32_e32 v1, 0x3ff, v0
	v_cmp_gt_u32_e32 vcc, 6, v1
	s_and_saveexec_b64 s[6:7], vcc
	s_cbranch_execz .LBB5_38
; %bb.1:
	s_load_dword s6, s[2:3], 0x38
	s_load_dwordx4 s[16:19], s[2:3], 0x10
	s_load_dwordx4 s[8:11], s[2:3], 0x28
                                        ; implicit-def: $sgpr20_sgpr21
	s_waitcnt lgkmcnt(0)
	s_bitcmp1_b32 s6, 8
	s_cselect_b64 s[22:23], -1, 0
	s_ashr_i32 s5, s4, 31
	s_bfe_u32 s6, s6, 0x10008
	s_cmp_eq_u32 s6, 0
	s_cbranch_scc1 .LBB5_3
; %bb.2:
	s_load_dword s6, s[2:3], 0x20
	s_mul_i32 s7, s8, s5
	s_mul_hi_u32 s12, s8, s4
	s_mul_i32 s9, s9, s4
	s_add_i32 s12, s12, s7
	s_add_i32 s9, s12, s9
	s_mul_i32 s8, s8, s4
	s_waitcnt lgkmcnt(0)
	s_ashr_i32 s7, s6, 31
	s_lshl_b64 s[8:9], s[8:9], 2
	s_add_u32 s8, s18, s8
	s_addc_u32 s9, s19, s9
	s_lshl_b64 s[6:7], s[6:7], 2
	s_add_u32 s20, s8, s6
	s_addc_u32 s21, s9, s7
.LBB5_3:
	s_load_dwordx4 s[12:15], s[2:3], 0x0
	s_load_dword s8, s[2:3], 0x38
	s_mul_i32 s6, s16, s5
	s_mul_hi_u32 s7, s16, s4
	s_add_i32 s6, s7, s6
	s_mul_i32 s7, s17, s4
	s_add_i32 s7, s6, s7
	s_mul_i32 s6, s16, s4
	s_waitcnt lgkmcnt(0)
	s_ashr_i32 s3, s14, 31
	s_lshl_b64 s[6:7], s[6:7], 4
	s_mov_b32 s2, s14
	s_add_u32 s6, s12, s6
	s_addc_u32 s7, s13, s7
	s_lshl_b64 s[2:3], s[2:3], 4
	s_add_u32 s2, s6, s2
	s_addc_u32 s3, s7, s3
	v_lshlrev_b32_e32 v26, 4, v1
	v_mov_b32_e32 v27, 0
	v_lshl_add_u64 v[14:15], s[2:3], 0, v[26:27]
	s_ashr_i32 s7, s15, 31
	s_mov_b32 s6, s15
	v_lshl_add_u64 v[16:17], s[6:7], 4, v[14:15]
	s_add_i32 s6, s15, s15
	v_add_u32_e32 v20, s6, v1
	v_add_u32_e32 v22, s15, v20
	v_ashrrev_i32_e32 v21, 31, v20
	v_ashrrev_i32_e32 v23, 31, v22
	v_add_u32_e32 v24, s15, v22
	v_lshl_add_u64 v[18:19], v[20:21], 4, s[2:3]
	v_lshl_add_u64 v[20:21], v[22:23], 4, s[2:3]
	v_ashrrev_i32_e32 v25, 31, v24
	global_load_dwordx4 v[2:5], v26, s[2:3]
	global_load_dwordx4 v[6:9], v[16:17], off
	global_load_dwordx4 v[10:13], v[18:19], off
	v_lshl_add_u64 v[22:23], v[24:25], 4, s[2:3]
	global_load_dwordx4 v[28:31], v[20:21], off
	global_load_dwordx4 v[32:35], v[22:23], off
	v_add_u32_e32 v24, s15, v24
	v_ashrrev_i32_e32 v25, 31, v24
	v_lshl_add_u64 v[24:25], v[24:25], 4, s[2:3]
	global_load_dwordx4 v[36:39], v[24:25], off
	s_movk_i32 s18, 0x50
	s_mov_b32 s16, 16
	s_mov_b32 s14, 32
	;; [unrolled: 1-line block ×4, first 2 shown]
	s_bitcmp0_b32 s8, 0
	s_mov_b64 s[6:7], -1
	s_waitcnt vmcnt(5)
	scratch_store_dwordx4 off, v[2:5], off
	s_waitcnt vmcnt(5)
	scratch_store_dwordx4 off, v[6:9], off offset:16
	s_waitcnt vmcnt(5)
	scratch_store_dwordx4 off, v[10:13], off offset:32
	;; [unrolled: 2-line block ×5, first 2 shown]
	s_cbranch_scc1 .LBB5_36
; %bb.4:
	v_cmp_eq_u32_e64 s[2:3], 0, v1
	s_and_saveexec_b64 s[6:7], s[2:3]
; %bb.5:
	v_mov_b32_e32 v2, 0
	ds_write_b32 v2, v2 offset:192
; %bb.6:
	s_or_b64 exec, exec, s[6:7]
	s_waitcnt lgkmcnt(0)
	; wave barrier
	scratch_load_dwordx4 v[2:5], v26, off
	s_waitcnt vmcnt(0)
	v_cmp_eq_f64_e32 vcc, 0, v[2:3]
	v_cmp_eq_f64_e64 s[6:7], 0, v[4:5]
	s_and_b64 s[6:7], vcc, s[6:7]
	s_and_saveexec_b64 s[8:9], s[6:7]
	s_cbranch_execz .LBB5_10
; %bb.7:
	v_mov_b32_e32 v2, 0
	ds_read_b32 v4, v2 offset:192
	v_add_u32_e32 v3, 1, v1
	s_waitcnt lgkmcnt(0)
	v_readfirstlane_b32 s6, v4
	s_cmp_eq_u32 s6, 0
	s_cselect_b64 s[12:13], -1, 0
	v_cmp_gt_i32_e32 vcc, s6, v3
	s_or_b64 s[12:13], s[12:13], vcc
	s_and_b64 exec, exec, s[12:13]
	s_cbranch_execz .LBB5_10
; %bb.8:
	s_mov_b64 s[12:13], 0
	v_mov_b32_e32 v4, s6
.LBB5_9:                                ; =>This Inner Loop Header: Depth=1
	ds_cmpst_rtn_b32 v4, v2, v4, v3 offset:192
	s_waitcnt lgkmcnt(0)
	v_cmp_ne_u32_e32 vcc, 0, v4
	v_cmp_le_i32_e64 s[6:7], v4, v3
	s_and_b64 s[6:7], vcc, s[6:7]
	s_and_b64 s[6:7], exec, s[6:7]
	s_or_b64 s[12:13], s[6:7], s[12:13]
	s_andn2_b64 exec, exec, s[12:13]
	s_cbranch_execnz .LBB5_9
.LBB5_10:
	s_or_b64 exec, exec, s[8:9]
	v_mov_b32_e32 v3, 0
	; wave barrier
	ds_read_b32 v2, v3 offset:192
	s_and_saveexec_b64 s[6:7], s[2:3]
	s_cbranch_execz .LBB5_12
; %bb.11:
	s_lshl_b64 s[8:9], s[4:5], 2
	s_add_u32 s8, s10, s8
	s_addc_u32 s9, s11, s9
	s_waitcnt lgkmcnt(0)
	global_store_dword v3, v2, s[8:9]
.LBB5_12:
	s_or_b64 exec, exec, s[6:7]
	s_waitcnt lgkmcnt(0)
	v_cmp_ne_u32_e32 vcc, 0, v2
	s_mov_b64 s[6:7], 0
	s_cbranch_vccnz .LBB5_36
; %bb.13:
	v_mov_b32_e32 v27, v26
	scratch_load_dwordx4 v[2:5], v27, off
                                        ; implicit-def: $vgpr6_vgpr7
                                        ; implicit-def: $vgpr10_vgpr11
	s_waitcnt vmcnt(0)
	v_cmp_ngt_f64_e64 s[6:7], |v[2:3]|, |v[4:5]|
	s_and_saveexec_b64 s[8:9], s[6:7]
	s_xor_b64 s[6:7], exec, s[8:9]
	s_cbranch_execz .LBB5_15
; %bb.14:
	v_div_scale_f64 v[6:7], s[8:9], v[4:5], v[4:5], v[2:3]
	v_rcp_f64_e32 v[8:9], v[6:7]
	v_div_scale_f64 v[10:11], vcc, v[2:3], v[4:5], v[2:3]
	v_fma_f64 v[12:13], -v[6:7], v[8:9], 1.0
	v_fmac_f64_e32 v[8:9], v[8:9], v[12:13]
	v_fma_f64 v[12:13], -v[6:7], v[8:9], 1.0
	v_fmac_f64_e32 v[8:9], v[8:9], v[12:13]
	v_mul_f64 v[12:13], v[10:11], v[8:9]
	v_fma_f64 v[6:7], -v[6:7], v[12:13], v[10:11]
	v_div_fmas_f64 v[6:7], v[6:7], v[8:9], v[12:13]
	v_div_fixup_f64 v[6:7], v[6:7], v[4:5], v[2:3]
	v_fmac_f64_e32 v[4:5], v[2:3], v[6:7]
	v_div_scale_f64 v[2:3], s[8:9], v[4:5], v[4:5], 1.0
	v_rcp_f64_e32 v[8:9], v[2:3]
	s_nop 0
	v_fma_f64 v[10:11], -v[2:3], v[8:9], 1.0
	v_fmac_f64_e32 v[8:9], v[8:9], v[10:11]
	v_fma_f64 v[10:11], -v[2:3], v[8:9], 1.0
	v_fmac_f64_e32 v[8:9], v[8:9], v[10:11]
	v_div_scale_f64 v[10:11], vcc, 1.0, v[4:5], 1.0
	v_mul_f64 v[12:13], v[10:11], v[8:9]
	v_fma_f64 v[2:3], -v[2:3], v[12:13], v[10:11]
	s_nop 1
	v_div_fmas_f64 v[2:3], v[2:3], v[8:9], v[12:13]
	v_div_fixup_f64 v[8:9], v[2:3], v[4:5], 1.0
	v_mul_f64 v[6:7], v[6:7], v[8:9]
	v_xor_b32_e32 v9, 0x80000000, v9
	v_xor_b32_e32 v11, 0x80000000, v7
	v_mov_b32_e32 v10, v6
                                        ; implicit-def: $vgpr2_vgpr3
.LBB5_15:
	s_andn2_saveexec_b64 s[6:7], s[6:7]
	s_cbranch_execz .LBB5_17
; %bb.16:
	v_div_scale_f64 v[6:7], s[8:9], v[2:3], v[2:3], v[4:5]
	v_rcp_f64_e32 v[8:9], v[6:7]
	v_div_scale_f64 v[10:11], vcc, v[4:5], v[2:3], v[4:5]
	v_fma_f64 v[12:13], -v[6:7], v[8:9], 1.0
	v_fmac_f64_e32 v[8:9], v[8:9], v[12:13]
	v_fma_f64 v[12:13], -v[6:7], v[8:9], 1.0
	v_fmac_f64_e32 v[8:9], v[8:9], v[12:13]
	v_mul_f64 v[12:13], v[10:11], v[8:9]
	v_fma_f64 v[6:7], -v[6:7], v[12:13], v[10:11]
	v_div_fmas_f64 v[6:7], v[6:7], v[8:9], v[12:13]
	v_div_fixup_f64 v[8:9], v[6:7], v[2:3], v[4:5]
	v_fmac_f64_e32 v[2:3], v[4:5], v[8:9]
	v_div_scale_f64 v[4:5], s[8:9], v[2:3], v[2:3], 1.0
	v_rcp_f64_e32 v[6:7], v[4:5]
	s_nop 0
	v_fma_f64 v[10:11], -v[4:5], v[6:7], 1.0
	v_fmac_f64_e32 v[6:7], v[6:7], v[10:11]
	v_fma_f64 v[10:11], -v[4:5], v[6:7], 1.0
	v_fmac_f64_e32 v[6:7], v[6:7], v[10:11]
	v_div_scale_f64 v[10:11], vcc, 1.0, v[2:3], 1.0
	v_mul_f64 v[12:13], v[10:11], v[6:7]
	v_fma_f64 v[4:5], -v[4:5], v[12:13], v[10:11]
	s_nop 1
	v_div_fmas_f64 v[4:5], v[4:5], v[6:7], v[12:13]
	v_div_fixup_f64 v[6:7], v[4:5], v[2:3], 1.0
	v_xor_b32_e32 v11, 0x80000000, v7
	v_mov_b32_e32 v10, v6
	v_mul_f64 v[8:9], v[8:9], -v[6:7]
.LBB5_17:
	s_or_b64 exec, exec, s[6:7]
	scratch_store_dwordx4 v27, v[6:9], off
	scratch_load_dwordx4 v[2:5], off, s16
	v_xor_b32_e32 v13, 0x80000000, v9
	v_mov_b32_e32 v12, v8
	v_add_u32_e32 v6, 0x60, v26
	ds_write_b128 v26, v[10:13]
	s_waitcnt vmcnt(0)
	ds_write_b128 v26, v[2:5] offset:96
	s_waitcnt lgkmcnt(0)
	; wave barrier
	s_and_saveexec_b64 s[6:7], s[2:3]
	s_cbranch_execz .LBB5_19
; %bb.18:
	scratch_load_dwordx4 v[2:5], v27, off
	ds_read_b128 v[8:11], v6
	v_mov_b32_e32 v7, 0
	ds_read_b128 v[28:31], v7 offset:16
	s_waitcnt vmcnt(0) lgkmcnt(1)
	v_mul_f64 v[12:13], v[10:11], v[4:5]
	v_mul_f64 v[4:5], v[8:9], v[4:5]
	v_fma_f64 v[8:9], v[8:9], v[2:3], -v[12:13]
	v_fmac_f64_e32 v[4:5], v[10:11], v[2:3]
	v_add_f64 v[2:3], v[8:9], 0
	v_add_f64 v[8:9], v[4:5], 0
	s_waitcnt lgkmcnt(0)
	v_mul_f64 v[10:11], v[8:9], v[30:31]
	v_mul_f64 v[4:5], v[2:3], v[30:31]
	v_fma_f64 v[2:3], v[2:3], v[28:29], -v[10:11]
	v_fmac_f64_e32 v[4:5], v[8:9], v[28:29]
	scratch_store_dwordx4 off, v[2:5], off offset:16
.LBB5_19:
	s_or_b64 exec, exec, s[6:7]
	; wave barrier
	scratch_load_dwordx4 v[2:5], off, s14
	v_cmp_gt_u32_e32 vcc, 2, v1
	s_waitcnt vmcnt(0)
	ds_write_b128 v6, v[2:5]
	s_waitcnt lgkmcnt(0)
	; wave barrier
	s_and_saveexec_b64 s[6:7], vcc
	s_cbranch_execz .LBB5_23
; %bb.20:
	scratch_load_dwordx4 v[2:5], v27, off
	ds_read_b128 v[8:11], v6
	s_waitcnt vmcnt(0) lgkmcnt(0)
	v_mul_f64 v[12:13], v[10:11], v[4:5]
	v_mul_f64 v[28:29], v[8:9], v[4:5]
	v_fma_f64 v[4:5], v[8:9], v[2:3], -v[12:13]
	v_fmac_f64_e32 v[28:29], v[10:11], v[2:3]
	v_add_f64 v[4:5], v[4:5], 0
	v_add_f64 v[2:3], v[28:29], 0
	s_and_saveexec_b64 s[8:9], s[2:3]
	s_cbranch_execz .LBB5_22
; %bb.21:
	scratch_load_dwordx4 v[8:11], off, off offset:16
	v_mov_b32_e32 v7, 0
	ds_read_b128 v[28:31], v7 offset:112
	s_waitcnt vmcnt(0) lgkmcnt(0)
	v_mul_f64 v[12:13], v[28:29], v[10:11]
	v_mul_f64 v[10:11], v[30:31], v[10:11]
	v_fmac_f64_e32 v[12:13], v[30:31], v[8:9]
	v_fma_f64 v[8:9], v[28:29], v[8:9], -v[10:11]
	v_add_f64 v[2:3], v[2:3], v[12:13]
	v_add_f64 v[4:5], v[4:5], v[8:9]
.LBB5_22:
	s_or_b64 exec, exec, s[8:9]
	v_mov_b32_e32 v7, 0
	ds_read_b128 v[8:11], v7 offset:32
	s_waitcnt lgkmcnt(0)
	v_mul_f64 v[28:29], v[2:3], v[10:11]
	v_mul_f64 v[12:13], v[4:5], v[10:11]
	v_fma_f64 v[10:11], v[4:5], v[8:9], -v[28:29]
	v_fmac_f64_e32 v[12:13], v[2:3], v[8:9]
	scratch_store_dwordx4 off, v[10:13], off offset:32
.LBB5_23:
	s_or_b64 exec, exec, s[6:7]
	; wave barrier
	scratch_load_dwordx4 v[2:5], off, s15
	v_cmp_gt_u32_e32 vcc, 3, v1
	v_add_u32_e32 v7, -1, v1
	s_waitcnt vmcnt(0)
	ds_write_b128 v6, v[2:5]
	s_waitcnt lgkmcnt(0)
	; wave barrier
	s_and_saveexec_b64 s[2:3], vcc
	s_cbranch_execz .LBB5_27
; %bb.24:
	v_add_u32_e32 v8, -1, v1
	v_add_u32_e32 v9, 0x60, v26
	v_mov_b32_e32 v10, v26
	v_mov_b64_e32 v[2:3], 0
	s_mov_b64 s[6:7], 0
	v_mov_b64_e32 v[4:5], 0
.LBB5_25:                               ; =>This Inner Loop Header: Depth=1
	scratch_load_dwordx4 v[28:31], v10, off
	ds_read_b128 v[32:35], v9
	v_add_u32_e32 v8, 1, v8
	v_cmp_lt_u32_e32 vcc, 1, v8
	v_add_u32_e32 v9, 16, v9
	v_add_u32_e32 v10, 16, v10
	s_or_b64 s[6:7], vcc, s[6:7]
	s_waitcnt vmcnt(0) lgkmcnt(0)
	v_mul_f64 v[12:13], v[34:35], v[30:31]
	v_mul_f64 v[30:31], v[32:33], v[30:31]
	v_fma_f64 v[12:13], v[32:33], v[28:29], -v[12:13]
	v_fmac_f64_e32 v[30:31], v[34:35], v[28:29]
	v_add_f64 v[4:5], v[4:5], v[12:13]
	v_add_f64 v[2:3], v[2:3], v[30:31]
	s_andn2_b64 exec, exec, s[6:7]
	s_cbranch_execnz .LBB5_25
; %bb.26:
	s_or_b64 exec, exec, s[6:7]
	v_mov_b32_e32 v8, 0
	ds_read_b128 v[8:11], v8 offset:48
	s_waitcnt lgkmcnt(0)
	v_mul_f64 v[28:29], v[2:3], v[10:11]
	v_mul_f64 v[12:13], v[4:5], v[10:11]
	v_fma_f64 v[10:11], v[4:5], v[8:9], -v[28:29]
	v_fmac_f64_e32 v[12:13], v[2:3], v[8:9]
	scratch_store_dwordx4 off, v[10:13], off offset:48
.LBB5_27:
	s_or_b64 exec, exec, s[2:3]
	; wave barrier
	scratch_load_dwordx4 v[2:5], off, s17
	v_cmp_gt_u32_e32 vcc, 4, v1
	s_waitcnt vmcnt(0)
	ds_write_b128 v6, v[2:5]
	s_waitcnt lgkmcnt(0)
	; wave barrier
	s_and_saveexec_b64 s[2:3], vcc
	s_cbranch_execz .LBB5_31
; %bb.28:
	v_add_u32_e32 v8, -1, v1
	v_add_u32_e32 v9, 0x60, v26
	v_mov_b32_e32 v10, v26
	v_mov_b64_e32 v[2:3], 0
	s_mov_b64 s[6:7], 0
	v_mov_b64_e32 v[4:5], 0
.LBB5_29:                               ; =>This Inner Loop Header: Depth=1
	scratch_load_dwordx4 v[28:31], v10, off
	ds_read_b128 v[32:35], v9
	v_add_u32_e32 v8, 1, v8
	v_cmp_lt_u32_e32 vcc, 2, v8
	v_add_u32_e32 v9, 16, v9
	v_add_u32_e32 v10, 16, v10
	s_or_b64 s[6:7], vcc, s[6:7]
	s_waitcnt vmcnt(0) lgkmcnt(0)
	v_mul_f64 v[12:13], v[34:35], v[30:31]
	v_mul_f64 v[30:31], v[32:33], v[30:31]
	v_fma_f64 v[12:13], v[32:33], v[28:29], -v[12:13]
	v_fmac_f64_e32 v[30:31], v[34:35], v[28:29]
	v_add_f64 v[4:5], v[4:5], v[12:13]
	v_add_f64 v[2:3], v[2:3], v[30:31]
	s_andn2_b64 exec, exec, s[6:7]
	s_cbranch_execnz .LBB5_29
; %bb.30:
	s_or_b64 exec, exec, s[6:7]
	v_mov_b32_e32 v8, 0
	ds_read_b128 v[8:11], v8 offset:64
	s_waitcnt lgkmcnt(0)
	v_mul_f64 v[28:29], v[2:3], v[10:11]
	v_mul_f64 v[12:13], v[4:5], v[10:11]
	v_fma_f64 v[10:11], v[4:5], v[8:9], -v[28:29]
	v_fmac_f64_e32 v[12:13], v[2:3], v[8:9]
	scratch_store_dwordx4 off, v[10:13], off offset:64
.LBB5_31:
	s_or_b64 exec, exec, s[2:3]
	; wave barrier
	scratch_load_dwordx4 v[2:5], off, s18
	v_cmp_ne_u32_e32 vcc, 5, v1
	s_waitcnt vmcnt(0)
	ds_write_b128 v6, v[2:5]
	s_waitcnt lgkmcnt(0)
	; wave barrier
	s_and_saveexec_b64 s[2:3], vcc
	s_cbranch_execz .LBB5_35
; %bb.32:
	v_add_u32_e32 v6, 0x60, v26
	v_mov_b32_e32 v8, v26
	v_mov_b64_e32 v[2:3], 0
	s_mov_b64 s[6:7], 0
	v_mov_b64_e32 v[4:5], 0
.LBB5_33:                               ; =>This Inner Loop Header: Depth=1
	scratch_load_dwordx4 v[10:13], v8, off
	ds_read_b128 v[26:29], v6
	v_add_u32_e32 v7, 1, v7
	v_cmp_lt_u32_e32 vcc, 3, v7
	v_add_u32_e32 v6, 16, v6
	v_add_u32_e32 v8, 16, v8
	s_or_b64 s[6:7], vcc, s[6:7]
	s_waitcnt vmcnt(0) lgkmcnt(0)
	v_mul_f64 v[30:31], v[28:29], v[12:13]
	v_mul_f64 v[12:13], v[26:27], v[12:13]
	v_fma_f64 v[26:27], v[26:27], v[10:11], -v[30:31]
	v_fmac_f64_e32 v[12:13], v[28:29], v[10:11]
	v_add_f64 v[4:5], v[4:5], v[26:27]
	v_add_f64 v[2:3], v[2:3], v[12:13]
	s_andn2_b64 exec, exec, s[6:7]
	s_cbranch_execnz .LBB5_33
; %bb.34:
	s_or_b64 exec, exec, s[6:7]
	v_mov_b32_e32 v6, 0
	ds_read_b128 v[6:9], v6 offset:80
	s_waitcnt lgkmcnt(0)
	v_mul_f64 v[12:13], v[2:3], v[8:9]
	v_mul_f64 v[10:11], v[4:5], v[8:9]
	v_fma_f64 v[8:9], v[4:5], v[6:7], -v[12:13]
	v_fmac_f64_e32 v[10:11], v[2:3], v[6:7]
	scratch_store_dwordx4 off, v[8:11], off offset:80
.LBB5_35:
	s_or_b64 exec, exec, s[2:3]
	s_mov_b64 s[6:7], -1
	; wave barrier
.LBB5_36:
	s_and_b64 vcc, exec, s[6:7]
	s_cbranch_vccz .LBB5_38
; %bb.37:
	s_lshl_b64 s[2:3], s[4:5], 2
	s_add_u32 s2, s10, s2
	s_addc_u32 s3, s11, s3
	v_mov_b32_e32 v2, 0
	global_load_dword v2, v2, s[2:3]
	s_waitcnt vmcnt(0)
	v_cmp_ne_u32_e32 vcc, 0, v2
	s_cbranch_vccz .LBB5_39
.LBB5_38:
	s_endpgm
.LBB5_39:
	v_mov_b32_e32 v2, 0x60
	v_lshl_add_u32 v6, v1, 4, v2
	v_cmp_eq_u32_e32 vcc, 5, v1
	s_and_saveexec_b64 s[2:3], vcc
	s_cbranch_execz .LBB5_41
; %bb.40:
	scratch_load_dwordx4 v[2:5], off, s17
	v_mov_b32_e32 v8, 0
	v_mov_b32_e32 v9, v8
	;; [unrolled: 1-line block ×4, first 2 shown]
	scratch_store_dwordx4 off, v[8:11], off offset:64
	s_waitcnt vmcnt(1)
	ds_write_b128 v6, v[2:5]
.LBB5_41:
	s_or_b64 exec, exec, s[2:3]
	s_waitcnt lgkmcnt(0)
	; wave barrier
	scratch_load_dwordx4 v[8:11], off, off offset:80
	scratch_load_dwordx4 v[26:29], off, off offset:64
	v_mov_b32_e32 v2, 0
	ds_read_b128 v[30:33], v2 offset:176
	v_cmp_lt_u32_e32 vcc, 3, v1
	s_waitcnt vmcnt(1) lgkmcnt(0)
	v_mul_f64 v[4:5], v[30:31], v[10:11]
	v_mul_f64 v[10:11], v[32:33], v[10:11]
	v_fmac_f64_e32 v[4:5], v[32:33], v[8:9]
	v_fma_f64 v[8:9], v[30:31], v[8:9], -v[10:11]
	v_add_f64 v[4:5], v[4:5], 0
	v_add_f64 v[8:9], v[8:9], 0
	s_waitcnt vmcnt(0)
	v_add_f64 v[8:9], v[26:27], -v[8:9]
	v_add_f64 v[10:11], v[28:29], -v[4:5]
	scratch_store_dwordx4 off, v[8:11], off offset:64
	s_and_saveexec_b64 s[2:3], vcc
	s_cbranch_execz .LBB5_43
; %bb.42:
	scratch_load_dwordx4 v[8:11], off, s15
	v_mov_b32_e32 v3, v2
	v_mov_b32_e32 v4, v2
	;; [unrolled: 1-line block ×3, first 2 shown]
	scratch_store_dwordx4 off, v[2:5], off offset:48
	s_waitcnt vmcnt(1)
	ds_write_b128 v6, v[8:11]
.LBB5_43:
	s_or_b64 exec, exec, s[2:3]
	s_waitcnt lgkmcnt(0)
	; wave barrier
	scratch_load_dwordx4 v[8:11], off, off offset:64
	scratch_load_dwordx4 v[26:29], off, off offset:80
	;; [unrolled: 1-line block ×3, first 2 shown]
	ds_read_b128 v[34:37], v2 offset:160
	ds_read_b128 v[2:5], v2 offset:176
	v_cmp_lt_u32_e32 vcc, 2, v1
	s_waitcnt vmcnt(2) lgkmcnt(1)
	v_mul_f64 v[12:13], v[34:35], v[10:11]
	s_waitcnt vmcnt(1) lgkmcnt(0)
	v_mul_f64 v[38:39], v[2:3], v[28:29]
	v_mul_f64 v[10:11], v[36:37], v[10:11]
	;; [unrolled: 1-line block ×3, first 2 shown]
	v_fmac_f64_e32 v[12:13], v[36:37], v[8:9]
	v_fmac_f64_e32 v[38:39], v[4:5], v[26:27]
	v_fma_f64 v[4:5], v[34:35], v[8:9], -v[10:11]
	v_fma_f64 v[2:3], v[2:3], v[26:27], -v[28:29]
	v_add_f64 v[8:9], v[12:13], 0
	v_add_f64 v[4:5], v[4:5], 0
	;; [unrolled: 1-line block ×4, first 2 shown]
	s_waitcnt vmcnt(0)
	v_add_f64 v[2:3], v[30:31], -v[2:3]
	v_add_f64 v[4:5], v[32:33], -v[8:9]
	scratch_store_dwordx4 off, v[2:5], off offset:48
	s_and_saveexec_b64 s[2:3], vcc
	s_cbranch_execz .LBB5_45
; %bb.44:
	scratch_load_dwordx4 v[2:5], off, s14
	v_mov_b32_e32 v8, 0
	v_mov_b32_e32 v9, v8
	;; [unrolled: 1-line block ×4, first 2 shown]
	scratch_store_dwordx4 off, v[8:11], off offset:32
	s_waitcnt vmcnt(1)
	ds_write_b128 v6, v[2:5]
.LBB5_45:
	s_or_b64 exec, exec, s[2:3]
	s_waitcnt lgkmcnt(0)
	; wave barrier
	scratch_load_dwordx4 v[8:11], off, off offset:48
	scratch_load_dwordx4 v[26:29], off, off offset:64
	;; [unrolled: 1-line block ×4, first 2 shown]
	v_mov_b32_e32 v2, 0
	ds_read_b128 v[38:41], v2 offset:144
	ds_read_b128 v[42:45], v2 offset:160
	;; [unrolled: 1-line block ×3, first 2 shown]
	v_cmp_lt_u32_e32 vcc, 1, v1
	s_waitcnt vmcnt(3) lgkmcnt(2)
	v_mul_f64 v[4:5], v[38:39], v[10:11]
	v_mul_f64 v[10:11], v[40:41], v[10:11]
	s_waitcnt vmcnt(2) lgkmcnt(1)
	v_mul_f64 v[12:13], v[42:43], v[28:29]
	v_mul_f64 v[28:29], v[44:45], v[28:29]
	v_fmac_f64_e32 v[4:5], v[40:41], v[8:9]
	v_fma_f64 v[8:9], v[38:39], v[8:9], -v[10:11]
	s_waitcnt vmcnt(1) lgkmcnt(0)
	v_mul_f64 v[50:51], v[46:47], v[32:33]
	v_mul_f64 v[32:33], v[48:49], v[32:33]
	v_fmac_f64_e32 v[12:13], v[44:45], v[26:27]
	v_fma_f64 v[10:11], v[42:43], v[26:27], -v[28:29]
	v_add_f64 v[4:5], v[4:5], 0
	v_add_f64 v[8:9], v[8:9], 0
	v_fmac_f64_e32 v[50:51], v[48:49], v[30:31]
	v_fma_f64 v[26:27], v[46:47], v[30:31], -v[32:33]
	v_add_f64 v[4:5], v[4:5], v[12:13]
	v_add_f64 v[8:9], v[8:9], v[10:11]
	;; [unrolled: 1-line block ×4, first 2 shown]
	s_waitcnt vmcnt(0)
	v_add_f64 v[8:9], v[34:35], -v[8:9]
	v_add_f64 v[10:11], v[36:37], -v[4:5]
	scratch_store_dwordx4 off, v[8:11], off offset:32
	s_and_saveexec_b64 s[2:3], vcc
	s_cbranch_execz .LBB5_47
; %bb.46:
	scratch_load_dwordx4 v[8:11], off, s16
	v_mov_b32_e32 v3, v2
	v_mov_b32_e32 v4, v2
	;; [unrolled: 1-line block ×3, first 2 shown]
	scratch_store_dwordx4 off, v[2:5], off offset:16
	s_waitcnt vmcnt(1)
	ds_write_b128 v6, v[8:11]
.LBB5_47:
	s_or_b64 exec, exec, s[2:3]
	s_waitcnt lgkmcnt(0)
	; wave barrier
	scratch_load_dwordx4 v[8:11], off, off offset:32
	scratch_load_dwordx4 v[26:29], off, off offset:48
	;; [unrolled: 1-line block ×5, first 2 shown]
	ds_read_b128 v[42:45], v2 offset:128
	ds_read_b128 v[46:49], v2 offset:144
	;; [unrolled: 1-line block ×4, first 2 shown]
	v_cmp_ne_u32_e32 vcc, 0, v1
	s_waitcnt vmcnt(4) lgkmcnt(3)
	v_mul_f64 v[12:13], v[42:43], v[10:11]
	v_mul_f64 v[10:11], v[44:45], v[10:11]
	s_waitcnt vmcnt(3) lgkmcnt(2)
	v_mul_f64 v[54:55], v[46:47], v[28:29]
	s_waitcnt vmcnt(1) lgkmcnt(0)
	v_mul_f64 v[58:59], v[2:3], v[36:37]
	v_mul_f64 v[28:29], v[48:49], v[28:29]
	;; [unrolled: 1-line block ×3, first 2 shown]
	v_fmac_f64_e32 v[12:13], v[44:45], v[8:9]
	v_fmac_f64_e32 v[58:59], v[4:5], v[34:35]
	v_fma_f64 v[4:5], v[42:43], v[8:9], -v[10:11]
	v_mul_f64 v[56:57], v[50:51], v[32:33]
	v_mul_f64 v[32:33], v[52:53], v[32:33]
	v_fmac_f64_e32 v[54:55], v[48:49], v[26:27]
	v_fma_f64 v[8:9], v[46:47], v[26:27], -v[28:29]
	v_add_f64 v[12:13], v[12:13], 0
	v_add_f64 v[4:5], v[4:5], 0
	v_fmac_f64_e32 v[56:57], v[52:53], v[30:31]
	v_fma_f64 v[10:11], v[50:51], v[30:31], -v[32:33]
	v_add_f64 v[12:13], v[12:13], v[54:55]
	v_add_f64 v[4:5], v[4:5], v[8:9]
	v_fma_f64 v[2:3], v[2:3], v[34:35], -v[36:37]
	v_add_f64 v[8:9], v[12:13], v[56:57]
	v_add_f64 v[4:5], v[4:5], v[10:11]
	;; [unrolled: 1-line block ×4, first 2 shown]
	s_waitcnt vmcnt(0)
	v_add_f64 v[2:3], v[38:39], -v[2:3]
	v_add_f64 v[4:5], v[40:41], -v[8:9]
	scratch_store_dwordx4 off, v[2:5], off offset:16
	s_and_saveexec_b64 s[2:3], vcc
	s_cbranch_execz .LBB5_49
; %bb.48:
	scratch_load_dwordx4 v[2:5], off, off
	v_mov_b32_e32 v8, 0
	v_mov_b32_e32 v9, v8
	;; [unrolled: 1-line block ×4, first 2 shown]
	scratch_store_dwordx4 off, v[8:11], off
	s_waitcnt vmcnt(1)
	ds_write_b128 v6, v[2:5]
.LBB5_49:
	s_or_b64 exec, exec, s[2:3]
	s_waitcnt lgkmcnt(0)
	; wave barrier
	scratch_load_dwordx4 v[4:7], off, off offset:16
	scratch_load_dwordx4 v[8:11], off, off offset:32
	;; [unrolled: 1-line block ×5, first 2 shown]
	scratch_load_dwordx4 v[38:41], off, off
	v_mov_b32_e32 v2, 0
	ds_read_b128 v[42:45], v2 offset:112
	ds_read_b128 v[46:49], v2 offset:128
	;; [unrolled: 1-line block ×5, first 2 shown]
	s_and_b64 vcc, exec, s[22:23]
	s_waitcnt vmcnt(5) lgkmcnt(4)
	v_mul_f64 v[12:13], v[42:43], v[6:7]
	v_mul_f64 v[6:7], v[44:45], v[6:7]
	s_waitcnt vmcnt(4) lgkmcnt(3)
	v_mul_f64 v[62:63], v[46:47], v[10:11]
	v_mul_f64 v[10:11], v[48:49], v[10:11]
	v_fmac_f64_e32 v[12:13], v[44:45], v[4:5]
	v_fma_f64 v[4:5], v[42:43], v[4:5], -v[6:7]
	s_waitcnt vmcnt(3) lgkmcnt(2)
	v_mul_f64 v[64:65], v[50:51], v[28:29]
	v_mul_f64 v[28:29], v[52:53], v[28:29]
	v_fmac_f64_e32 v[62:63], v[48:49], v[8:9]
	v_fma_f64 v[6:7], v[46:47], v[8:9], -v[10:11]
	v_add_f64 v[12:13], v[12:13], 0
	v_add_f64 v[4:5], v[4:5], 0
	s_waitcnt vmcnt(2) lgkmcnt(1)
	v_mul_f64 v[66:67], v[54:55], v[32:33]
	v_mul_f64 v[32:33], v[56:57], v[32:33]
	v_fmac_f64_e32 v[64:65], v[52:53], v[26:27]
	v_fma_f64 v[8:9], v[50:51], v[26:27], -v[28:29]
	v_add_f64 v[12:13], v[12:13], v[62:63]
	v_add_f64 v[4:5], v[4:5], v[6:7]
	;; [unrolled: 7-line block ×3, first 2 shown]
	v_fmac_f64_e32 v[68:69], v[60:61], v[34:35]
	v_fma_f64 v[26:27], v[58:59], v[34:35], -v[36:37]
	v_add_f64 v[6:7], v[6:7], v[66:67]
	v_add_f64 v[4:5], v[4:5], v[10:11]
	;; [unrolled: 1-line block ×4, first 2 shown]
	s_waitcnt vmcnt(0)
	v_add_f64 v[4:5], v[38:39], -v[4:5]
	v_add_f64 v[6:7], v[40:41], -v[6:7]
	scratch_store_dwordx4 off, v[4:7], off
	s_cbranch_vccz .LBB5_60
; %bb.50:
	global_load_dword v2, v2, s[20:21] offset:16
	s_load_dwordx2 s[2:3], s[0:1], 0x4
	v_bfe_u32 v3, v0, 10, 10
	v_bfe_u32 v0, v0, 20, 10
	s_waitcnt lgkmcnt(0)
	s_lshr_b32 s0, s2, 16
	s_mul_i32 s0, s0, s3
	v_mul_u32_u24_e32 v1, s0, v1
	v_mul_u32_u24_e32 v3, s3, v3
	v_add3_u32 v0, v1, v3, v0
	v_mov_b32_e32 v1, 0xc8
	v_lshl_add_u32 v0, v0, 4, v1
	s_waitcnt vmcnt(0)
	v_readfirstlane_b32 s0, v2
	s_add_i32 s0, s0, -1
	s_cmp_lg_u32 s0, 4
	s_cbranch_scc0 .LBB5_52
; %bb.51:
	s_lshl_b32 s0, s0, 4
	scratch_load_dwordx4 v[2:5], off, s17
	scratch_load_dwordx4 v[6:9], off, s0
	s_waitcnt vmcnt(1)
	ds_write2_b64 v0, v[2:3], v[4:5] offset1:1
	s_waitcnt vmcnt(0)
	scratch_store_dwordx4 off, v[6:9], s17
	scratch_store_dwordx4 off, v[2:5], s0
.LBB5_52:
	v_mov_b32_e32 v1, 0
	global_load_dword v2, v1, s[20:21] offset:12
	s_waitcnt vmcnt(0)
	v_readfirstlane_b32 s0, v2
	s_add_i32 s0, s0, -1
	s_cmp_eq_u32 s0, 3
	s_cbranch_scc1 .LBB5_54
; %bb.53:
	s_lshl_b32 s0, s0, 4
	scratch_load_dwordx4 v[2:5], off, s15
	scratch_load_dwordx4 v[6:9], off, s0
	s_waitcnt vmcnt(1)
	ds_write2_b64 v0, v[2:3], v[4:5] offset1:1
	s_waitcnt vmcnt(0)
	scratch_store_dwordx4 off, v[6:9], s15
	scratch_store_dwordx4 off, v[2:5], s0
.LBB5_54:
	global_load_dword v1, v1, s[20:21] offset:8
	s_waitcnt vmcnt(0)
	v_readfirstlane_b32 s0, v1
	s_add_i32 s0, s0, -1
	s_cmp_eq_u32 s0, 2
	s_cbranch_scc1 .LBB5_56
; %bb.55:
	s_lshl_b32 s0, s0, 4
	scratch_load_dwordx4 v[2:5], off, s14
	scratch_load_dwordx4 v[6:9], off, s0
	s_waitcnt vmcnt(1)
	ds_write2_b64 v0, v[2:3], v[4:5] offset1:1
	s_waitcnt vmcnt(0)
	scratch_store_dwordx4 off, v[6:9], s14
	scratch_store_dwordx4 off, v[2:5], s0
.LBB5_56:
	v_mov_b32_e32 v1, 0
	global_load_dword v2, v1, s[20:21] offset:4
	s_waitcnt vmcnt(0)
	v_readfirstlane_b32 s0, v2
	s_add_i32 s0, s0, -1
	s_cmp_eq_u32 s0, 1
	s_cbranch_scc1 .LBB5_58
; %bb.57:
	s_lshl_b32 s0, s0, 4
	scratch_load_dwordx4 v[2:5], off, s16
	scratch_load_dwordx4 v[6:9], off, s0
	s_waitcnt vmcnt(1)
	ds_write2_b64 v0, v[2:3], v[4:5] offset1:1
	s_waitcnt vmcnt(0)
	scratch_store_dwordx4 off, v[6:9], s16
	scratch_store_dwordx4 off, v[2:5], s0
.LBB5_58:
	global_load_dword v1, v1, s[20:21]
	s_waitcnt vmcnt(0)
	v_readfirstlane_b32 s0, v1
	s_add_i32 s0, s0, -1
	s_cmp_eq_u32 s0, 0
	s_cbranch_scc1 .LBB5_60
; %bb.59:
	s_lshl_b32 s0, s0, 4
	scratch_load_dwordx4 v[2:5], off, off
	scratch_load_dwordx4 v[6:9], off, s0
	s_waitcnt vmcnt(1)
	ds_write2_b64 v0, v[2:3], v[4:5] offset1:1
	s_waitcnt vmcnt(0)
	scratch_store_dwordx4 off, v[6:9], off
	scratch_store_dwordx4 off, v[2:5], s0
.LBB5_60:
	scratch_load_dwordx4 v[0:3], off, off
	s_nop 0
	scratch_load_dwordx4 v[4:7], off, s16
	scratch_load_dwordx4 v[8:11], off, s14
	;; [unrolled: 1-line block ×5, first 2 shown]
	s_waitcnt vmcnt(5)
	global_store_dwordx4 v[14:15], v[0:3], off
	s_waitcnt vmcnt(5)
	global_store_dwordx4 v[16:17], v[4:7], off
	;; [unrolled: 2-line block ×6, first 2 shown]
	s_endpgm
	.section	.rodata,"a",@progbits
	.p2align	6, 0x0
	.amdhsa_kernel _ZN9rocsolver6v33100L18getri_kernel_smallILi6E19rocblas_complex_numIdEPS3_EEvT1_iilPiilS6_bb
		.amdhsa_group_segment_fixed_size 1224
		.amdhsa_private_segment_fixed_size 112
		.amdhsa_kernarg_size 60
		.amdhsa_user_sgpr_count 4
		.amdhsa_user_sgpr_dispatch_ptr 1
		.amdhsa_user_sgpr_queue_ptr 0
		.amdhsa_user_sgpr_kernarg_segment_ptr 1
		.amdhsa_user_sgpr_dispatch_id 0
		.amdhsa_user_sgpr_kernarg_preload_length 0
		.amdhsa_user_sgpr_kernarg_preload_offset 0
		.amdhsa_user_sgpr_private_segment_size 0
		.amdhsa_uses_dynamic_stack 0
		.amdhsa_enable_private_segment 1
		.amdhsa_system_sgpr_workgroup_id_x 1
		.amdhsa_system_sgpr_workgroup_id_y 0
		.amdhsa_system_sgpr_workgroup_id_z 0
		.amdhsa_system_sgpr_workgroup_info 0
		.amdhsa_system_vgpr_workitem_id 2
		.amdhsa_next_free_vgpr 70
		.amdhsa_next_free_sgpr 24
		.amdhsa_accum_offset 72
		.amdhsa_reserve_vcc 1
		.amdhsa_float_round_mode_32 0
		.amdhsa_float_round_mode_16_64 0
		.amdhsa_float_denorm_mode_32 3
		.amdhsa_float_denorm_mode_16_64 3
		.amdhsa_dx10_clamp 1
		.amdhsa_ieee_mode 1
		.amdhsa_fp16_overflow 0
		.amdhsa_tg_split 0
		.amdhsa_exception_fp_ieee_invalid_op 0
		.amdhsa_exception_fp_denorm_src 0
		.amdhsa_exception_fp_ieee_div_zero 0
		.amdhsa_exception_fp_ieee_overflow 0
		.amdhsa_exception_fp_ieee_underflow 0
		.amdhsa_exception_fp_ieee_inexact 0
		.amdhsa_exception_int_div_zero 0
	.end_amdhsa_kernel
	.section	.text._ZN9rocsolver6v33100L18getri_kernel_smallILi6E19rocblas_complex_numIdEPS3_EEvT1_iilPiilS6_bb,"axG",@progbits,_ZN9rocsolver6v33100L18getri_kernel_smallILi6E19rocblas_complex_numIdEPS3_EEvT1_iilPiilS6_bb,comdat
.Lfunc_end5:
	.size	_ZN9rocsolver6v33100L18getri_kernel_smallILi6E19rocblas_complex_numIdEPS3_EEvT1_iilPiilS6_bb, .Lfunc_end5-_ZN9rocsolver6v33100L18getri_kernel_smallILi6E19rocblas_complex_numIdEPS3_EEvT1_iilPiilS6_bb
                                        ; -- End function
	.set _ZN9rocsolver6v33100L18getri_kernel_smallILi6E19rocblas_complex_numIdEPS3_EEvT1_iilPiilS6_bb.num_vgpr, 70
	.set _ZN9rocsolver6v33100L18getri_kernel_smallILi6E19rocblas_complex_numIdEPS3_EEvT1_iilPiilS6_bb.num_agpr, 0
	.set _ZN9rocsolver6v33100L18getri_kernel_smallILi6E19rocblas_complex_numIdEPS3_EEvT1_iilPiilS6_bb.numbered_sgpr, 24
	.set _ZN9rocsolver6v33100L18getri_kernel_smallILi6E19rocblas_complex_numIdEPS3_EEvT1_iilPiilS6_bb.num_named_barrier, 0
	.set _ZN9rocsolver6v33100L18getri_kernel_smallILi6E19rocblas_complex_numIdEPS3_EEvT1_iilPiilS6_bb.private_seg_size, 112
	.set _ZN9rocsolver6v33100L18getri_kernel_smallILi6E19rocblas_complex_numIdEPS3_EEvT1_iilPiilS6_bb.uses_vcc, 1
	.set _ZN9rocsolver6v33100L18getri_kernel_smallILi6E19rocblas_complex_numIdEPS3_EEvT1_iilPiilS6_bb.uses_flat_scratch, 0
	.set _ZN9rocsolver6v33100L18getri_kernel_smallILi6E19rocblas_complex_numIdEPS3_EEvT1_iilPiilS6_bb.has_dyn_sized_stack, 0
	.set _ZN9rocsolver6v33100L18getri_kernel_smallILi6E19rocblas_complex_numIdEPS3_EEvT1_iilPiilS6_bb.has_recursion, 0
	.set _ZN9rocsolver6v33100L18getri_kernel_smallILi6E19rocblas_complex_numIdEPS3_EEvT1_iilPiilS6_bb.has_indirect_call, 0
	.section	.AMDGPU.csdata,"",@progbits
; Kernel info:
; codeLenInByte = 4340
; TotalNumSgprs: 30
; NumVgprs: 70
; NumAgprs: 0
; TotalNumVgprs: 70
; ScratchSize: 112
; MemoryBound: 0
; FloatMode: 240
; IeeeMode: 1
; LDSByteSize: 1224 bytes/workgroup (compile time only)
; SGPRBlocks: 3
; VGPRBlocks: 8
; NumSGPRsForWavesPerEU: 30
; NumVGPRsForWavesPerEU: 70
; AccumOffset: 72
; Occupancy: 7
; WaveLimiterHint : 1
; COMPUTE_PGM_RSRC2:SCRATCH_EN: 1
; COMPUTE_PGM_RSRC2:USER_SGPR: 4
; COMPUTE_PGM_RSRC2:TRAP_HANDLER: 0
; COMPUTE_PGM_RSRC2:TGID_X_EN: 1
; COMPUTE_PGM_RSRC2:TGID_Y_EN: 0
; COMPUTE_PGM_RSRC2:TGID_Z_EN: 0
; COMPUTE_PGM_RSRC2:TIDIG_COMP_CNT: 2
; COMPUTE_PGM_RSRC3_GFX90A:ACCUM_OFFSET: 17
; COMPUTE_PGM_RSRC3_GFX90A:TG_SPLIT: 0
	.section	.text._ZN9rocsolver6v33100L18getri_kernel_smallILi7E19rocblas_complex_numIdEPS3_EEvT1_iilPiilS6_bb,"axG",@progbits,_ZN9rocsolver6v33100L18getri_kernel_smallILi7E19rocblas_complex_numIdEPS3_EEvT1_iilPiilS6_bb,comdat
	.globl	_ZN9rocsolver6v33100L18getri_kernel_smallILi7E19rocblas_complex_numIdEPS3_EEvT1_iilPiilS6_bb ; -- Begin function _ZN9rocsolver6v33100L18getri_kernel_smallILi7E19rocblas_complex_numIdEPS3_EEvT1_iilPiilS6_bb
	.p2align	8
	.type	_ZN9rocsolver6v33100L18getri_kernel_smallILi7E19rocblas_complex_numIdEPS3_EEvT1_iilPiilS6_bb,@function
_ZN9rocsolver6v33100L18getri_kernel_smallILi7E19rocblas_complex_numIdEPS3_EEvT1_iilPiilS6_bb: ; @_ZN9rocsolver6v33100L18getri_kernel_smallILi7E19rocblas_complex_numIdEPS3_EEvT1_iilPiilS6_bb
; %bb.0:
	v_and_b32_e32 v1, 0x3ff, v0
	v_cmp_gt_u32_e32 vcc, 7, v1
	s_and_saveexec_b64 s[6:7], vcc
	s_cbranch_execz .LBB6_42
; %bb.1:
	s_load_dword s6, s[2:3], 0x38
	s_load_dwordx4 s[16:19], s[2:3], 0x10
	s_load_dwordx4 s[8:11], s[2:3], 0x28
                                        ; implicit-def: $sgpr20_sgpr21
	s_waitcnt lgkmcnt(0)
	s_bitcmp1_b32 s6, 8
	s_cselect_b64 s[22:23], -1, 0
	s_ashr_i32 s5, s4, 31
	s_bfe_u32 s6, s6, 0x10008
	s_cmp_eq_u32 s6, 0
	s_cbranch_scc1 .LBB6_3
; %bb.2:
	s_load_dword s6, s[2:3], 0x20
	s_mul_i32 s7, s8, s5
	s_mul_hi_u32 s12, s8, s4
	s_mul_i32 s9, s9, s4
	s_add_i32 s12, s12, s7
	s_add_i32 s9, s12, s9
	s_mul_i32 s8, s8, s4
	s_waitcnt lgkmcnt(0)
	s_ashr_i32 s7, s6, 31
	s_lshl_b64 s[8:9], s[8:9], 2
	s_add_u32 s8, s18, s8
	s_addc_u32 s9, s19, s9
	s_lshl_b64 s[6:7], s[6:7], 2
	s_add_u32 s20, s8, s6
	s_addc_u32 s21, s9, s7
.LBB6_3:
	s_load_dwordx4 s[12:15], s[2:3], 0x0
	s_load_dword s8, s[2:3], 0x38
	s_mul_i32 s6, s16, s5
	s_mul_hi_u32 s7, s16, s4
	s_add_i32 s6, s7, s6
	s_mul_i32 s7, s17, s4
	s_add_i32 s7, s6, s7
	s_mul_i32 s6, s16, s4
	s_waitcnt lgkmcnt(0)
	s_ashr_i32 s3, s14, 31
	s_lshl_b64 s[6:7], s[6:7], 4
	s_mov_b32 s2, s14
	s_add_u32 s6, s12, s6
	s_addc_u32 s7, s13, s7
	s_lshl_b64 s[2:3], s[2:3], 4
	s_add_u32 s2, s6, s2
	s_addc_u32 s3, s7, s3
	v_lshlrev_b32_e32 v28, 4, v1
	v_mov_b32_e32 v29, 0
	v_lshl_add_u64 v[14:15], s[2:3], 0, v[28:29]
	s_ashr_i32 s7, s15, 31
	s_mov_b32 s6, s15
	v_lshl_add_u64 v[16:17], s[6:7], 4, v[14:15]
	s_add_i32 s6, s15, s15
	v_add_u32_e32 v20, s6, v1
	v_add_u32_e32 v22, s15, v20
	;; [unrolled: 1-line block ×4, first 2 shown]
	v_ashrrev_i32_e32 v21, 31, v20
	v_ashrrev_i32_e32 v23, 31, v22
	;; [unrolled: 1-line block ×4, first 2 shown]
	v_lshl_add_u64 v[18:19], v[20:21], 4, s[2:3]
	v_lshl_add_u64 v[20:21], v[22:23], 4, s[2:3]
	;; [unrolled: 1-line block ×4, first 2 shown]
	v_add_u32_e32 v26, s15, v26
	v_ashrrev_i32_e32 v27, 31, v26
	global_load_dwordx4 v[2:5], v28, s[2:3]
	global_load_dwordx4 v[6:9], v[16:17], off
	global_load_dwordx4 v[10:13], v[18:19], off
	;; [unrolled: 1-line block ×4, first 2 shown]
	v_lshl_add_u64 v[26:27], v[26:27], 4, s[2:3]
	global_load_dwordx4 v[38:41], v[24:25], off
	global_load_dwordx4 v[42:45], v[26:27], off
	s_movk_i32 s18, 0x50
	s_movk_i32 s19, 0x60
	s_mov_b32 s16, 16
	s_mov_b32 s14, 32
	s_mov_b32 s15, 48
	s_mov_b32 s17, 64
	s_bitcmp0_b32 s8, 0
	s_mov_b64 s[6:7], -1
	s_waitcnt vmcnt(6)
	scratch_store_dwordx4 off, v[2:5], off
	s_waitcnt vmcnt(6)
	scratch_store_dwordx4 off, v[6:9], off offset:16
	s_waitcnt vmcnt(6)
	scratch_store_dwordx4 off, v[10:13], off offset:32
	;; [unrolled: 2-line block ×6, first 2 shown]
	s_cbranch_scc1 .LBB6_40
; %bb.4:
	v_cmp_eq_u32_e64 s[2:3], 0, v1
	s_and_saveexec_b64 s[6:7], s[2:3]
; %bb.5:
	v_mov_b32_e32 v2, 0
	ds_write_b32 v2, v2 offset:224
; %bb.6:
	s_or_b64 exec, exec, s[6:7]
	s_waitcnt lgkmcnt(0)
	; wave barrier
	scratch_load_dwordx4 v[2:5], v28, off
	s_waitcnt vmcnt(0)
	v_cmp_eq_f64_e32 vcc, 0, v[2:3]
	v_cmp_eq_f64_e64 s[6:7], 0, v[4:5]
	s_and_b64 s[6:7], vcc, s[6:7]
	s_and_saveexec_b64 s[8:9], s[6:7]
	s_cbranch_execz .LBB6_10
; %bb.7:
	v_mov_b32_e32 v2, 0
	ds_read_b32 v4, v2 offset:224
	v_add_u32_e32 v3, 1, v1
	s_waitcnt lgkmcnt(0)
	v_readfirstlane_b32 s6, v4
	s_cmp_eq_u32 s6, 0
	s_cselect_b64 s[12:13], -1, 0
	v_cmp_gt_i32_e32 vcc, s6, v3
	s_or_b64 s[12:13], s[12:13], vcc
	s_and_b64 exec, exec, s[12:13]
	s_cbranch_execz .LBB6_10
; %bb.8:
	s_mov_b64 s[12:13], 0
	v_mov_b32_e32 v4, s6
.LBB6_9:                                ; =>This Inner Loop Header: Depth=1
	ds_cmpst_rtn_b32 v4, v2, v4, v3 offset:224
	s_waitcnt lgkmcnt(0)
	v_cmp_ne_u32_e32 vcc, 0, v4
	v_cmp_le_i32_e64 s[6:7], v4, v3
	s_and_b64 s[6:7], vcc, s[6:7]
	s_and_b64 s[6:7], exec, s[6:7]
	s_or_b64 s[12:13], s[6:7], s[12:13]
	s_andn2_b64 exec, exec, s[12:13]
	s_cbranch_execnz .LBB6_9
.LBB6_10:
	s_or_b64 exec, exec, s[8:9]
	v_mov_b32_e32 v3, 0
	; wave barrier
	ds_read_b32 v2, v3 offset:224
	s_and_saveexec_b64 s[6:7], s[2:3]
	s_cbranch_execz .LBB6_12
; %bb.11:
	s_lshl_b64 s[8:9], s[4:5], 2
	s_add_u32 s8, s10, s8
	s_addc_u32 s9, s11, s9
	s_waitcnt lgkmcnt(0)
	global_store_dword v3, v2, s[8:9]
.LBB6_12:
	s_or_b64 exec, exec, s[6:7]
	s_waitcnt lgkmcnt(0)
	v_cmp_ne_u32_e32 vcc, 0, v2
	s_mov_b64 s[6:7], 0
	s_cbranch_vccnz .LBB6_40
; %bb.13:
	v_mov_b32_e32 v29, v28
	scratch_load_dwordx4 v[2:5], v29, off
                                        ; implicit-def: $vgpr6_vgpr7
                                        ; implicit-def: $vgpr10_vgpr11
	s_waitcnt vmcnt(0)
	v_cmp_ngt_f64_e64 s[6:7], |v[2:3]|, |v[4:5]|
	s_and_saveexec_b64 s[8:9], s[6:7]
	s_xor_b64 s[6:7], exec, s[8:9]
	s_cbranch_execz .LBB6_15
; %bb.14:
	v_div_scale_f64 v[6:7], s[8:9], v[4:5], v[4:5], v[2:3]
	v_rcp_f64_e32 v[8:9], v[6:7]
	v_div_scale_f64 v[10:11], vcc, v[2:3], v[4:5], v[2:3]
	v_fma_f64 v[12:13], -v[6:7], v[8:9], 1.0
	v_fmac_f64_e32 v[8:9], v[8:9], v[12:13]
	v_fma_f64 v[12:13], -v[6:7], v[8:9], 1.0
	v_fmac_f64_e32 v[8:9], v[8:9], v[12:13]
	v_mul_f64 v[12:13], v[10:11], v[8:9]
	v_fma_f64 v[6:7], -v[6:7], v[12:13], v[10:11]
	v_div_fmas_f64 v[6:7], v[6:7], v[8:9], v[12:13]
	v_div_fixup_f64 v[6:7], v[6:7], v[4:5], v[2:3]
	v_fmac_f64_e32 v[4:5], v[2:3], v[6:7]
	v_div_scale_f64 v[2:3], s[8:9], v[4:5], v[4:5], 1.0
	v_rcp_f64_e32 v[8:9], v[2:3]
	s_nop 0
	v_fma_f64 v[10:11], -v[2:3], v[8:9], 1.0
	v_fmac_f64_e32 v[8:9], v[8:9], v[10:11]
	v_fma_f64 v[10:11], -v[2:3], v[8:9], 1.0
	v_fmac_f64_e32 v[8:9], v[8:9], v[10:11]
	v_div_scale_f64 v[10:11], vcc, 1.0, v[4:5], 1.0
	v_mul_f64 v[12:13], v[10:11], v[8:9]
	v_fma_f64 v[2:3], -v[2:3], v[12:13], v[10:11]
	s_nop 1
	v_div_fmas_f64 v[2:3], v[2:3], v[8:9], v[12:13]
	v_div_fixup_f64 v[8:9], v[2:3], v[4:5], 1.0
	v_mul_f64 v[6:7], v[6:7], v[8:9]
	v_xor_b32_e32 v9, 0x80000000, v9
	v_xor_b32_e32 v11, 0x80000000, v7
	v_mov_b32_e32 v10, v6
                                        ; implicit-def: $vgpr2_vgpr3
.LBB6_15:
	s_andn2_saveexec_b64 s[6:7], s[6:7]
	s_cbranch_execz .LBB6_17
; %bb.16:
	v_div_scale_f64 v[6:7], s[8:9], v[2:3], v[2:3], v[4:5]
	v_rcp_f64_e32 v[8:9], v[6:7]
	v_div_scale_f64 v[10:11], vcc, v[4:5], v[2:3], v[4:5]
	v_fma_f64 v[12:13], -v[6:7], v[8:9], 1.0
	v_fmac_f64_e32 v[8:9], v[8:9], v[12:13]
	v_fma_f64 v[12:13], -v[6:7], v[8:9], 1.0
	v_fmac_f64_e32 v[8:9], v[8:9], v[12:13]
	v_mul_f64 v[12:13], v[10:11], v[8:9]
	v_fma_f64 v[6:7], -v[6:7], v[12:13], v[10:11]
	v_div_fmas_f64 v[6:7], v[6:7], v[8:9], v[12:13]
	v_div_fixup_f64 v[8:9], v[6:7], v[2:3], v[4:5]
	v_fmac_f64_e32 v[2:3], v[4:5], v[8:9]
	v_div_scale_f64 v[4:5], s[8:9], v[2:3], v[2:3], 1.0
	v_rcp_f64_e32 v[6:7], v[4:5]
	s_nop 0
	v_fma_f64 v[10:11], -v[4:5], v[6:7], 1.0
	v_fmac_f64_e32 v[6:7], v[6:7], v[10:11]
	v_fma_f64 v[10:11], -v[4:5], v[6:7], 1.0
	v_fmac_f64_e32 v[6:7], v[6:7], v[10:11]
	v_div_scale_f64 v[10:11], vcc, 1.0, v[2:3], 1.0
	v_mul_f64 v[12:13], v[10:11], v[6:7]
	v_fma_f64 v[4:5], -v[4:5], v[12:13], v[10:11]
	s_nop 1
	v_div_fmas_f64 v[4:5], v[4:5], v[6:7], v[12:13]
	v_div_fixup_f64 v[6:7], v[4:5], v[2:3], 1.0
	v_xor_b32_e32 v11, 0x80000000, v7
	v_mov_b32_e32 v10, v6
	v_mul_f64 v[8:9], v[8:9], -v[6:7]
.LBB6_17:
	s_or_b64 exec, exec, s[6:7]
	scratch_store_dwordx4 v29, v[6:9], off
	scratch_load_dwordx4 v[2:5], off, s16
	v_xor_b32_e32 v13, 0x80000000, v9
	v_mov_b32_e32 v12, v8
	v_add_u32_e32 v6, 0x70, v28
	ds_write_b128 v28, v[10:13]
	s_waitcnt vmcnt(0)
	ds_write_b128 v28, v[2:5] offset:112
	s_waitcnt lgkmcnt(0)
	; wave barrier
	s_and_saveexec_b64 s[6:7], s[2:3]
	s_cbranch_execz .LBB6_19
; %bb.18:
	scratch_load_dwordx4 v[2:5], v29, off
	ds_read_b128 v[8:11], v6
	v_mov_b32_e32 v7, 0
	ds_read_b128 v[30:33], v7 offset:16
	s_waitcnt vmcnt(0) lgkmcnt(1)
	v_mul_f64 v[12:13], v[10:11], v[4:5]
	v_mul_f64 v[4:5], v[8:9], v[4:5]
	v_fma_f64 v[8:9], v[8:9], v[2:3], -v[12:13]
	v_fmac_f64_e32 v[4:5], v[10:11], v[2:3]
	v_add_f64 v[2:3], v[8:9], 0
	v_add_f64 v[8:9], v[4:5], 0
	s_waitcnt lgkmcnt(0)
	v_mul_f64 v[10:11], v[8:9], v[32:33]
	v_mul_f64 v[4:5], v[2:3], v[32:33]
	v_fma_f64 v[2:3], v[2:3], v[30:31], -v[10:11]
	v_fmac_f64_e32 v[4:5], v[8:9], v[30:31]
	scratch_store_dwordx4 off, v[2:5], off offset:16
.LBB6_19:
	s_or_b64 exec, exec, s[6:7]
	; wave barrier
	scratch_load_dwordx4 v[2:5], off, s14
	v_cmp_gt_u32_e32 vcc, 2, v1
	s_waitcnt vmcnt(0)
	ds_write_b128 v6, v[2:5]
	s_waitcnt lgkmcnt(0)
	; wave barrier
	s_and_saveexec_b64 s[6:7], vcc
	s_cbranch_execz .LBB6_23
; %bb.20:
	scratch_load_dwordx4 v[2:5], v29, off
	ds_read_b128 v[8:11], v6
	s_waitcnt vmcnt(0) lgkmcnt(0)
	v_mul_f64 v[12:13], v[10:11], v[4:5]
	v_mul_f64 v[30:31], v[8:9], v[4:5]
	v_fma_f64 v[4:5], v[8:9], v[2:3], -v[12:13]
	v_fmac_f64_e32 v[30:31], v[10:11], v[2:3]
	v_add_f64 v[4:5], v[4:5], 0
	v_add_f64 v[2:3], v[30:31], 0
	s_and_saveexec_b64 s[8:9], s[2:3]
	s_cbranch_execz .LBB6_22
; %bb.21:
	scratch_load_dwordx4 v[8:11], off, off offset:16
	v_mov_b32_e32 v7, 0
	ds_read_b128 v[30:33], v7 offset:128
	s_waitcnt vmcnt(0) lgkmcnt(0)
	v_mul_f64 v[12:13], v[30:31], v[10:11]
	v_mul_f64 v[10:11], v[32:33], v[10:11]
	v_fmac_f64_e32 v[12:13], v[32:33], v[8:9]
	v_fma_f64 v[8:9], v[30:31], v[8:9], -v[10:11]
	v_add_f64 v[2:3], v[2:3], v[12:13]
	v_add_f64 v[4:5], v[4:5], v[8:9]
.LBB6_22:
	s_or_b64 exec, exec, s[8:9]
	v_mov_b32_e32 v7, 0
	ds_read_b128 v[8:11], v7 offset:32
	s_waitcnt lgkmcnt(0)
	v_mul_f64 v[30:31], v[2:3], v[10:11]
	v_mul_f64 v[12:13], v[4:5], v[10:11]
	v_fma_f64 v[10:11], v[4:5], v[8:9], -v[30:31]
	v_fmac_f64_e32 v[12:13], v[2:3], v[8:9]
	scratch_store_dwordx4 off, v[10:13], off offset:32
.LBB6_23:
	s_or_b64 exec, exec, s[6:7]
	; wave barrier
	scratch_load_dwordx4 v[2:5], off, s15
	v_cmp_gt_u32_e32 vcc, 3, v1
	v_add_u32_e32 v7, -1, v1
	s_waitcnt vmcnt(0)
	ds_write_b128 v6, v[2:5]
	s_waitcnt lgkmcnt(0)
	; wave barrier
	s_and_saveexec_b64 s[2:3], vcc
	s_cbranch_execz .LBB6_27
; %bb.24:
	v_add_u32_e32 v8, -1, v1
	v_add_u32_e32 v9, 0x70, v28
	v_mov_b32_e32 v10, v28
	v_mov_b64_e32 v[2:3], 0
	s_mov_b64 s[6:7], 0
	v_mov_b64_e32 v[4:5], 0
.LBB6_25:                               ; =>This Inner Loop Header: Depth=1
	scratch_load_dwordx4 v[30:33], v10, off
	ds_read_b128 v[34:37], v9
	v_add_u32_e32 v8, 1, v8
	v_cmp_lt_u32_e32 vcc, 1, v8
	v_add_u32_e32 v9, 16, v9
	v_add_u32_e32 v10, 16, v10
	s_or_b64 s[6:7], vcc, s[6:7]
	s_waitcnt vmcnt(0) lgkmcnt(0)
	v_mul_f64 v[12:13], v[36:37], v[32:33]
	v_mul_f64 v[32:33], v[34:35], v[32:33]
	v_fma_f64 v[12:13], v[34:35], v[30:31], -v[12:13]
	v_fmac_f64_e32 v[32:33], v[36:37], v[30:31]
	v_add_f64 v[4:5], v[4:5], v[12:13]
	v_add_f64 v[2:3], v[2:3], v[32:33]
	s_andn2_b64 exec, exec, s[6:7]
	s_cbranch_execnz .LBB6_25
; %bb.26:
	s_or_b64 exec, exec, s[6:7]
	v_mov_b32_e32 v8, 0
	ds_read_b128 v[8:11], v8 offset:48
	s_waitcnt lgkmcnt(0)
	v_mul_f64 v[30:31], v[2:3], v[10:11]
	v_mul_f64 v[12:13], v[4:5], v[10:11]
	v_fma_f64 v[10:11], v[4:5], v[8:9], -v[30:31]
	v_fmac_f64_e32 v[12:13], v[2:3], v[8:9]
	scratch_store_dwordx4 off, v[10:13], off offset:48
.LBB6_27:
	s_or_b64 exec, exec, s[2:3]
	; wave barrier
	scratch_load_dwordx4 v[2:5], off, s17
	v_cmp_gt_u32_e32 vcc, 4, v1
	s_waitcnt vmcnt(0)
	ds_write_b128 v6, v[2:5]
	s_waitcnt lgkmcnt(0)
	; wave barrier
	s_and_saveexec_b64 s[2:3], vcc
	s_cbranch_execz .LBB6_31
; %bb.28:
	v_add_u32_e32 v8, -1, v1
	v_add_u32_e32 v9, 0x70, v28
	v_mov_b32_e32 v10, v28
	v_mov_b64_e32 v[2:3], 0
	s_mov_b64 s[6:7], 0
	v_mov_b64_e32 v[4:5], 0
.LBB6_29:                               ; =>This Inner Loop Header: Depth=1
	scratch_load_dwordx4 v[30:33], v10, off
	ds_read_b128 v[34:37], v9
	v_add_u32_e32 v8, 1, v8
	v_cmp_lt_u32_e32 vcc, 2, v8
	v_add_u32_e32 v9, 16, v9
	v_add_u32_e32 v10, 16, v10
	s_or_b64 s[6:7], vcc, s[6:7]
	s_waitcnt vmcnt(0) lgkmcnt(0)
	v_mul_f64 v[12:13], v[36:37], v[32:33]
	v_mul_f64 v[32:33], v[34:35], v[32:33]
	v_fma_f64 v[12:13], v[34:35], v[30:31], -v[12:13]
	v_fmac_f64_e32 v[32:33], v[36:37], v[30:31]
	v_add_f64 v[4:5], v[4:5], v[12:13]
	v_add_f64 v[2:3], v[2:3], v[32:33]
	s_andn2_b64 exec, exec, s[6:7]
	s_cbranch_execnz .LBB6_29
; %bb.30:
	s_or_b64 exec, exec, s[6:7]
	v_mov_b32_e32 v8, 0
	ds_read_b128 v[8:11], v8 offset:64
	s_waitcnt lgkmcnt(0)
	v_mul_f64 v[30:31], v[2:3], v[10:11]
	v_mul_f64 v[12:13], v[4:5], v[10:11]
	v_fma_f64 v[10:11], v[4:5], v[8:9], -v[30:31]
	v_fmac_f64_e32 v[12:13], v[2:3], v[8:9]
	scratch_store_dwordx4 off, v[10:13], off offset:64
.LBB6_31:
	s_or_b64 exec, exec, s[2:3]
	; wave barrier
	scratch_load_dwordx4 v[2:5], off, s18
	v_cmp_gt_u32_e32 vcc, 5, v1
	s_waitcnt vmcnt(0)
	ds_write_b128 v6, v[2:5]
	s_waitcnt lgkmcnt(0)
	; wave barrier
	s_and_saveexec_b64 s[2:3], vcc
	s_cbranch_execz .LBB6_35
; %bb.32:
	v_add_u32_e32 v8, -1, v1
	v_add_u32_e32 v9, 0x70, v28
	v_mov_b32_e32 v10, v28
	v_mov_b64_e32 v[2:3], 0
	s_mov_b64 s[6:7], 0
	v_mov_b64_e32 v[4:5], 0
.LBB6_33:                               ; =>This Inner Loop Header: Depth=1
	scratch_load_dwordx4 v[30:33], v10, off
	ds_read_b128 v[34:37], v9
	v_add_u32_e32 v8, 1, v8
	v_cmp_lt_u32_e32 vcc, 3, v8
	v_add_u32_e32 v9, 16, v9
	v_add_u32_e32 v10, 16, v10
	s_or_b64 s[6:7], vcc, s[6:7]
	s_waitcnt vmcnt(0) lgkmcnt(0)
	v_mul_f64 v[12:13], v[36:37], v[32:33]
	v_mul_f64 v[32:33], v[34:35], v[32:33]
	v_fma_f64 v[12:13], v[34:35], v[30:31], -v[12:13]
	v_fmac_f64_e32 v[32:33], v[36:37], v[30:31]
	v_add_f64 v[4:5], v[4:5], v[12:13]
	v_add_f64 v[2:3], v[2:3], v[32:33]
	s_andn2_b64 exec, exec, s[6:7]
	s_cbranch_execnz .LBB6_33
; %bb.34:
	s_or_b64 exec, exec, s[6:7]
	v_mov_b32_e32 v8, 0
	ds_read_b128 v[8:11], v8 offset:80
	s_waitcnt lgkmcnt(0)
	v_mul_f64 v[30:31], v[2:3], v[10:11]
	v_mul_f64 v[12:13], v[4:5], v[10:11]
	v_fma_f64 v[10:11], v[4:5], v[8:9], -v[30:31]
	v_fmac_f64_e32 v[12:13], v[2:3], v[8:9]
	scratch_store_dwordx4 off, v[10:13], off offset:80
.LBB6_35:
	s_or_b64 exec, exec, s[2:3]
	; wave barrier
	scratch_load_dwordx4 v[2:5], off, s19
	v_cmp_ne_u32_e32 vcc, 6, v1
	s_waitcnt vmcnt(0)
	ds_write_b128 v6, v[2:5]
	s_waitcnt lgkmcnt(0)
	; wave barrier
	s_and_saveexec_b64 s[2:3], vcc
	s_cbranch_execz .LBB6_39
; %bb.36:
	v_add_u32_e32 v6, 0x70, v28
	v_mov_b32_e32 v8, v28
	v_mov_b64_e32 v[2:3], 0
	s_mov_b64 s[6:7], 0
	v_mov_b64_e32 v[4:5], 0
.LBB6_37:                               ; =>This Inner Loop Header: Depth=1
	scratch_load_dwordx4 v[10:13], v8, off
	ds_read_b128 v[28:31], v6
	v_add_u32_e32 v7, 1, v7
	v_cmp_lt_u32_e32 vcc, 4, v7
	v_add_u32_e32 v6, 16, v6
	v_add_u32_e32 v8, 16, v8
	s_or_b64 s[6:7], vcc, s[6:7]
	s_waitcnt vmcnt(0) lgkmcnt(0)
	v_mul_f64 v[32:33], v[30:31], v[12:13]
	v_mul_f64 v[12:13], v[28:29], v[12:13]
	v_fma_f64 v[28:29], v[28:29], v[10:11], -v[32:33]
	v_fmac_f64_e32 v[12:13], v[30:31], v[10:11]
	v_add_f64 v[4:5], v[4:5], v[28:29]
	v_add_f64 v[2:3], v[2:3], v[12:13]
	s_andn2_b64 exec, exec, s[6:7]
	s_cbranch_execnz .LBB6_37
; %bb.38:
	s_or_b64 exec, exec, s[6:7]
	v_mov_b32_e32 v6, 0
	ds_read_b128 v[6:9], v6 offset:96
	s_waitcnt lgkmcnt(0)
	v_mul_f64 v[12:13], v[2:3], v[8:9]
	v_mul_f64 v[10:11], v[4:5], v[8:9]
	v_fma_f64 v[8:9], v[4:5], v[6:7], -v[12:13]
	v_fmac_f64_e32 v[10:11], v[2:3], v[6:7]
	scratch_store_dwordx4 off, v[8:11], off offset:96
.LBB6_39:
	s_or_b64 exec, exec, s[2:3]
	s_mov_b64 s[6:7], -1
	; wave barrier
.LBB6_40:
	s_and_b64 vcc, exec, s[6:7]
	s_cbranch_vccz .LBB6_42
; %bb.41:
	s_lshl_b64 s[2:3], s[4:5], 2
	s_add_u32 s2, s10, s2
	s_addc_u32 s3, s11, s3
	v_mov_b32_e32 v2, 0
	global_load_dword v2, v2, s[2:3]
	s_waitcnt vmcnt(0)
	v_cmp_ne_u32_e32 vcc, 0, v2
	s_cbranch_vccz .LBB6_43
.LBB6_42:
	s_endpgm
.LBB6_43:
	v_mov_b32_e32 v2, 0x70
	v_lshl_add_u32 v6, v1, 4, v2
	v_cmp_eq_u32_e32 vcc, 6, v1
	s_and_saveexec_b64 s[2:3], vcc
	s_cbranch_execz .LBB6_45
; %bb.44:
	scratch_load_dwordx4 v[2:5], off, s18
	v_mov_b32_e32 v8, 0
	v_mov_b32_e32 v9, v8
	;; [unrolled: 1-line block ×4, first 2 shown]
	scratch_store_dwordx4 off, v[8:11], off offset:80
	s_waitcnt vmcnt(1)
	ds_write_b128 v6, v[2:5]
.LBB6_45:
	s_or_b64 exec, exec, s[2:3]
	s_waitcnt lgkmcnt(0)
	; wave barrier
	scratch_load_dwordx4 v[8:11], off, off offset:96
	scratch_load_dwordx4 v[28:31], off, off offset:80
	v_mov_b32_e32 v2, 0
	ds_read_b128 v[32:35], v2 offset:208
	v_cmp_lt_u32_e32 vcc, 4, v1
	s_waitcnt vmcnt(1) lgkmcnt(0)
	v_mul_f64 v[4:5], v[32:33], v[10:11]
	v_mul_f64 v[10:11], v[34:35], v[10:11]
	v_fmac_f64_e32 v[4:5], v[34:35], v[8:9]
	v_fma_f64 v[8:9], v[32:33], v[8:9], -v[10:11]
	v_add_f64 v[4:5], v[4:5], 0
	v_add_f64 v[8:9], v[8:9], 0
	s_waitcnt vmcnt(0)
	v_add_f64 v[8:9], v[28:29], -v[8:9]
	v_add_f64 v[10:11], v[30:31], -v[4:5]
	scratch_store_dwordx4 off, v[8:11], off offset:80
	s_and_saveexec_b64 s[2:3], vcc
	s_cbranch_execz .LBB6_47
; %bb.46:
	scratch_load_dwordx4 v[8:11], off, s17
	v_mov_b32_e32 v3, v2
	v_mov_b32_e32 v4, v2
	;; [unrolled: 1-line block ×3, first 2 shown]
	scratch_store_dwordx4 off, v[2:5], off offset:64
	s_waitcnt vmcnt(1)
	ds_write_b128 v6, v[8:11]
.LBB6_47:
	s_or_b64 exec, exec, s[2:3]
	s_waitcnt lgkmcnt(0)
	; wave barrier
	scratch_load_dwordx4 v[8:11], off, off offset:80
	scratch_load_dwordx4 v[28:31], off, off offset:96
	;; [unrolled: 1-line block ×3, first 2 shown]
	ds_read_b128 v[36:39], v2 offset:192
	ds_read_b128 v[2:5], v2 offset:208
	v_cmp_lt_u32_e32 vcc, 3, v1
	s_waitcnt vmcnt(2) lgkmcnt(1)
	v_mul_f64 v[12:13], v[36:37], v[10:11]
	s_waitcnt vmcnt(1) lgkmcnt(0)
	v_mul_f64 v[40:41], v[2:3], v[30:31]
	v_mul_f64 v[10:11], v[38:39], v[10:11]
	;; [unrolled: 1-line block ×3, first 2 shown]
	v_fmac_f64_e32 v[12:13], v[38:39], v[8:9]
	v_fmac_f64_e32 v[40:41], v[4:5], v[28:29]
	v_fma_f64 v[4:5], v[36:37], v[8:9], -v[10:11]
	v_fma_f64 v[2:3], v[2:3], v[28:29], -v[30:31]
	v_add_f64 v[8:9], v[12:13], 0
	v_add_f64 v[4:5], v[4:5], 0
	;; [unrolled: 1-line block ×4, first 2 shown]
	s_waitcnt vmcnt(0)
	v_add_f64 v[2:3], v[32:33], -v[2:3]
	v_add_f64 v[4:5], v[34:35], -v[8:9]
	scratch_store_dwordx4 off, v[2:5], off offset:64
	s_and_saveexec_b64 s[2:3], vcc
	s_cbranch_execz .LBB6_49
; %bb.48:
	scratch_load_dwordx4 v[2:5], off, s15
	v_mov_b32_e32 v8, 0
	v_mov_b32_e32 v9, v8
	;; [unrolled: 1-line block ×4, first 2 shown]
	scratch_store_dwordx4 off, v[8:11], off offset:48
	s_waitcnt vmcnt(1)
	ds_write_b128 v6, v[2:5]
.LBB6_49:
	s_or_b64 exec, exec, s[2:3]
	s_waitcnt lgkmcnt(0)
	; wave barrier
	scratch_load_dwordx4 v[8:11], off, off offset:64
	scratch_load_dwordx4 v[28:31], off, off offset:80
	;; [unrolled: 1-line block ×4, first 2 shown]
	v_mov_b32_e32 v2, 0
	ds_read_b128 v[40:43], v2 offset:176
	ds_read_b128 v[44:47], v2 offset:192
	ds_read_b128 v[48:51], v2 offset:208
	v_cmp_lt_u32_e32 vcc, 2, v1
	s_waitcnt vmcnt(3) lgkmcnt(2)
	v_mul_f64 v[4:5], v[40:41], v[10:11]
	v_mul_f64 v[10:11], v[42:43], v[10:11]
	s_waitcnt vmcnt(2) lgkmcnt(1)
	v_mul_f64 v[12:13], v[44:45], v[30:31]
	v_mul_f64 v[30:31], v[46:47], v[30:31]
	v_fmac_f64_e32 v[4:5], v[42:43], v[8:9]
	v_fma_f64 v[8:9], v[40:41], v[8:9], -v[10:11]
	s_waitcnt vmcnt(1) lgkmcnt(0)
	v_mul_f64 v[52:53], v[48:49], v[34:35]
	v_mul_f64 v[34:35], v[50:51], v[34:35]
	v_fmac_f64_e32 v[12:13], v[46:47], v[28:29]
	v_fma_f64 v[10:11], v[44:45], v[28:29], -v[30:31]
	v_add_f64 v[4:5], v[4:5], 0
	v_add_f64 v[8:9], v[8:9], 0
	v_fmac_f64_e32 v[52:53], v[50:51], v[32:33]
	v_fma_f64 v[28:29], v[48:49], v[32:33], -v[34:35]
	v_add_f64 v[4:5], v[4:5], v[12:13]
	v_add_f64 v[8:9], v[8:9], v[10:11]
	;; [unrolled: 1-line block ×4, first 2 shown]
	s_waitcnt vmcnt(0)
	v_add_f64 v[8:9], v[36:37], -v[8:9]
	v_add_f64 v[10:11], v[38:39], -v[4:5]
	scratch_store_dwordx4 off, v[8:11], off offset:48
	s_and_saveexec_b64 s[2:3], vcc
	s_cbranch_execz .LBB6_51
; %bb.50:
	scratch_load_dwordx4 v[8:11], off, s14
	v_mov_b32_e32 v3, v2
	v_mov_b32_e32 v4, v2
	;; [unrolled: 1-line block ×3, first 2 shown]
	scratch_store_dwordx4 off, v[2:5], off offset:32
	s_waitcnt vmcnt(1)
	ds_write_b128 v6, v[8:11]
.LBB6_51:
	s_or_b64 exec, exec, s[2:3]
	s_waitcnt lgkmcnt(0)
	; wave barrier
	scratch_load_dwordx4 v[8:11], off, off offset:48
	scratch_load_dwordx4 v[28:31], off, off offset:64
	;; [unrolled: 1-line block ×5, first 2 shown]
	ds_read_b128 v[44:47], v2 offset:160
	ds_read_b128 v[48:51], v2 offset:176
	;; [unrolled: 1-line block ×4, first 2 shown]
	v_cmp_lt_u32_e32 vcc, 1, v1
	s_waitcnt vmcnt(4) lgkmcnt(3)
	v_mul_f64 v[12:13], v[44:45], v[10:11]
	v_mul_f64 v[10:11], v[46:47], v[10:11]
	s_waitcnt vmcnt(3) lgkmcnt(2)
	v_mul_f64 v[56:57], v[48:49], v[30:31]
	s_waitcnt vmcnt(1) lgkmcnt(0)
	v_mul_f64 v[60:61], v[2:3], v[38:39]
	v_mul_f64 v[30:31], v[50:51], v[30:31]
	;; [unrolled: 1-line block ×3, first 2 shown]
	v_fmac_f64_e32 v[12:13], v[46:47], v[8:9]
	v_fmac_f64_e32 v[60:61], v[4:5], v[36:37]
	v_fma_f64 v[4:5], v[44:45], v[8:9], -v[10:11]
	v_mul_f64 v[58:59], v[52:53], v[34:35]
	v_mul_f64 v[34:35], v[54:55], v[34:35]
	v_fmac_f64_e32 v[56:57], v[50:51], v[28:29]
	v_fma_f64 v[8:9], v[48:49], v[28:29], -v[30:31]
	v_add_f64 v[12:13], v[12:13], 0
	v_add_f64 v[4:5], v[4:5], 0
	v_fmac_f64_e32 v[58:59], v[54:55], v[32:33]
	v_fma_f64 v[10:11], v[52:53], v[32:33], -v[34:35]
	v_add_f64 v[12:13], v[12:13], v[56:57]
	v_add_f64 v[4:5], v[4:5], v[8:9]
	v_fma_f64 v[2:3], v[2:3], v[36:37], -v[38:39]
	v_add_f64 v[8:9], v[12:13], v[58:59]
	v_add_f64 v[4:5], v[4:5], v[10:11]
	;; [unrolled: 1-line block ×4, first 2 shown]
	s_waitcnt vmcnt(0)
	v_add_f64 v[2:3], v[40:41], -v[2:3]
	v_add_f64 v[4:5], v[42:43], -v[8:9]
	scratch_store_dwordx4 off, v[2:5], off offset:32
	s_and_saveexec_b64 s[2:3], vcc
	s_cbranch_execz .LBB6_53
; %bb.52:
	scratch_load_dwordx4 v[2:5], off, s16
	v_mov_b32_e32 v8, 0
	v_mov_b32_e32 v9, v8
	;; [unrolled: 1-line block ×4, first 2 shown]
	scratch_store_dwordx4 off, v[8:11], off offset:16
	s_waitcnt vmcnt(1)
	ds_write_b128 v6, v[2:5]
.LBB6_53:
	s_or_b64 exec, exec, s[2:3]
	s_waitcnt lgkmcnt(0)
	; wave barrier
	scratch_load_dwordx4 v[8:11], off, off offset:32
	scratch_load_dwordx4 v[28:31], off, off offset:48
	;; [unrolled: 1-line block ×6, first 2 shown]
	v_mov_b32_e32 v2, 0
	ds_read_b128 v[48:51], v2 offset:144
	ds_read_b128 v[52:55], v2 offset:160
	;; [unrolled: 1-line block ×5, first 2 shown]
	v_cmp_ne_u32_e32 vcc, 0, v1
	s_waitcnt vmcnt(5) lgkmcnt(4)
	v_mul_f64 v[4:5], v[48:49], v[10:11]
	v_mul_f64 v[10:11], v[50:51], v[10:11]
	s_waitcnt vmcnt(4) lgkmcnt(3)
	v_mul_f64 v[12:13], v[52:53], v[30:31]
	v_mul_f64 v[30:31], v[54:55], v[30:31]
	v_fmac_f64_e32 v[4:5], v[50:51], v[8:9]
	v_fma_f64 v[8:9], v[48:49], v[8:9], -v[10:11]
	s_waitcnt vmcnt(3) lgkmcnt(2)
	v_mul_f64 v[68:69], v[56:57], v[34:35]
	v_mul_f64 v[34:35], v[58:59], v[34:35]
	v_fmac_f64_e32 v[12:13], v[54:55], v[28:29]
	v_fma_f64 v[10:11], v[52:53], v[28:29], -v[30:31]
	v_add_f64 v[4:5], v[4:5], 0
	v_add_f64 v[8:9], v[8:9], 0
	s_waitcnt vmcnt(2) lgkmcnt(1)
	v_mul_f64 v[70:71], v[60:61], v[38:39]
	v_mul_f64 v[38:39], v[62:63], v[38:39]
	v_fmac_f64_e32 v[68:69], v[58:59], v[32:33]
	v_fma_f64 v[28:29], v[56:57], v[32:33], -v[34:35]
	v_add_f64 v[4:5], v[4:5], v[12:13]
	v_add_f64 v[8:9], v[8:9], v[10:11]
	;; [unrolled: 7-line block ×3, first 2 shown]
	v_fmac_f64_e32 v[72:73], v[66:67], v[40:41]
	v_fma_f64 v[32:33], v[64:65], v[40:41], -v[42:43]
	v_add_f64 v[4:5], v[4:5], v[70:71]
	v_add_f64 v[8:9], v[8:9], v[30:31]
	;; [unrolled: 1-line block ×4, first 2 shown]
	s_waitcnt vmcnt(0)
	v_add_f64 v[8:9], v[44:45], -v[8:9]
	v_add_f64 v[10:11], v[46:47], -v[4:5]
	scratch_store_dwordx4 off, v[8:11], off offset:16
	s_and_saveexec_b64 s[2:3], vcc
	s_cbranch_execz .LBB6_55
; %bb.54:
	scratch_load_dwordx4 v[8:11], off, off
	v_mov_b32_e32 v3, v2
	v_mov_b32_e32 v4, v2
	;; [unrolled: 1-line block ×3, first 2 shown]
	scratch_store_dwordx4 off, v[2:5], off
	s_waitcnt vmcnt(1)
	ds_write_b128 v6, v[8:11]
.LBB6_55:
	s_or_b64 exec, exec, s[2:3]
	s_waitcnt lgkmcnt(0)
	; wave barrier
	scratch_load_dwordx4 v[4:7], off, off offset:16
	scratch_load_dwordx4 v[8:11], off, off offset:32
	;; [unrolled: 1-line block ×6, first 2 shown]
	scratch_load_dwordx4 v[44:47], off, off
	ds_read_b128 v[48:51], v2 offset:128
	ds_read_b128 v[52:55], v2 offset:144
	;; [unrolled: 1-line block ×6, first 2 shown]
	s_and_b64 vcc, exec, s[22:23]
	s_waitcnt vmcnt(6) lgkmcnt(5)
	v_mul_f64 v[2:3], v[48:49], v[6:7]
	v_mul_f64 v[6:7], v[50:51], v[6:7]
	s_waitcnt vmcnt(5) lgkmcnt(4)
	v_mul_f64 v[12:13], v[52:53], v[10:11]
	v_mul_f64 v[10:11], v[54:55], v[10:11]
	v_fmac_f64_e32 v[2:3], v[50:51], v[4:5]
	v_fma_f64 v[4:5], v[48:49], v[4:5], -v[6:7]
	s_waitcnt vmcnt(4) lgkmcnt(3)
	v_mul_f64 v[72:73], v[56:57], v[30:31]
	v_mul_f64 v[30:31], v[58:59], v[30:31]
	v_fmac_f64_e32 v[12:13], v[54:55], v[8:9]
	v_fma_f64 v[6:7], v[52:53], v[8:9], -v[10:11]
	v_add_f64 v[2:3], v[2:3], 0
	v_add_f64 v[4:5], v[4:5], 0
	s_waitcnt vmcnt(3) lgkmcnt(2)
	v_mul_f64 v[74:75], v[60:61], v[34:35]
	v_mul_f64 v[34:35], v[62:63], v[34:35]
	v_fmac_f64_e32 v[72:73], v[58:59], v[28:29]
	v_fma_f64 v[8:9], v[56:57], v[28:29], -v[30:31]
	v_add_f64 v[2:3], v[2:3], v[12:13]
	v_add_f64 v[4:5], v[4:5], v[6:7]
	;; [unrolled: 7-line block ×4, first 2 shown]
	v_fmac_f64_e32 v[78:79], v[70:71], v[40:41]
	v_fma_f64 v[30:31], v[68:69], v[40:41], -v[42:43]
	v_add_f64 v[2:3], v[2:3], v[76:77]
	v_add_f64 v[4:5], v[4:5], v[28:29]
	;; [unrolled: 1-line block ×4, first 2 shown]
	s_waitcnt vmcnt(0)
	v_add_f64 v[2:3], v[44:45], -v[2:3]
	v_add_f64 v[4:5], v[46:47], -v[6:7]
	scratch_store_dwordx4 off, v[2:5], off
	s_cbranch_vccz .LBB6_68
; %bb.56:
	s_nop 0
	v_mov_b32_e32 v2, 0
	global_load_dword v3, v2, s[20:21] offset:20
	s_load_dwordx2 s[2:3], s[0:1], 0x4
	v_bfe_u32 v4, v0, 10, 10
	v_bfe_u32 v0, v0, 20, 10
	s_waitcnt lgkmcnt(0)
	s_lshr_b32 s0, s2, 16
	s_mul_i32 s0, s0, s3
	v_mul_u32_u24_e32 v1, s0, v1
	v_mul_u32_u24_e32 v4, s3, v4
	v_add3_u32 v0, v1, v4, v0
	v_mov_b32_e32 v1, 0xe8
	v_lshl_add_u32 v0, v0, 4, v1
	s_waitcnt vmcnt(0)
	v_readfirstlane_b32 s0, v3
	s_add_i32 s0, s0, -1
	s_cmp_lg_u32 s0, 5
	s_cbranch_scc0 .LBB6_58
; %bb.57:
	s_lshl_b32 s0, s0, 4
	scratch_load_dwordx4 v[4:7], off, s18
	scratch_load_dwordx4 v[8:11], off, s0
	s_waitcnt vmcnt(1)
	ds_write2_b64 v0, v[4:5], v[6:7] offset1:1
	s_waitcnt vmcnt(0)
	scratch_store_dwordx4 off, v[8:11], s18
	scratch_store_dwordx4 off, v[4:7], s0
.LBB6_58:
	global_load_dword v1, v2, s[20:21] offset:16
	s_waitcnt vmcnt(0)
	v_readfirstlane_b32 s0, v1
	s_add_i32 s0, s0, -1
	s_cmp_eq_u32 s0, 4
	s_cbranch_scc1 .LBB6_60
; %bb.59:
	s_lshl_b32 s0, s0, 4
	scratch_load_dwordx4 v[2:5], off, s17
	scratch_load_dwordx4 v[6:9], off, s0
	s_waitcnt vmcnt(1)
	ds_write2_b64 v0, v[2:3], v[4:5] offset1:1
	s_waitcnt vmcnt(0)
	scratch_store_dwordx4 off, v[6:9], s17
	scratch_store_dwordx4 off, v[2:5], s0
.LBB6_60:
	v_mov_b32_e32 v1, 0
	global_load_dword v2, v1, s[20:21] offset:12
	s_waitcnt vmcnt(0)
	v_readfirstlane_b32 s0, v2
	s_add_i32 s0, s0, -1
	s_cmp_eq_u32 s0, 3
	s_cbranch_scc1 .LBB6_62
; %bb.61:
	s_lshl_b32 s0, s0, 4
	scratch_load_dwordx4 v[2:5], off, s15
	scratch_load_dwordx4 v[6:9], off, s0
	s_waitcnt vmcnt(1)
	ds_write2_b64 v0, v[2:3], v[4:5] offset1:1
	s_waitcnt vmcnt(0)
	scratch_store_dwordx4 off, v[6:9], s15
	scratch_store_dwordx4 off, v[2:5], s0
.LBB6_62:
	global_load_dword v1, v1, s[20:21] offset:8
	s_waitcnt vmcnt(0)
	v_readfirstlane_b32 s0, v1
	s_add_i32 s0, s0, -1
	s_cmp_eq_u32 s0, 2
	s_cbranch_scc1 .LBB6_64
; %bb.63:
	s_lshl_b32 s0, s0, 4
	scratch_load_dwordx4 v[2:5], off, s14
	scratch_load_dwordx4 v[6:9], off, s0
	s_waitcnt vmcnt(1)
	ds_write2_b64 v0, v[2:3], v[4:5] offset1:1
	s_waitcnt vmcnt(0)
	scratch_store_dwordx4 off, v[6:9], s14
	scratch_store_dwordx4 off, v[2:5], s0
.LBB6_64:
	v_mov_b32_e32 v1, 0
	global_load_dword v2, v1, s[20:21] offset:4
	s_waitcnt vmcnt(0)
	v_readfirstlane_b32 s0, v2
	s_add_i32 s0, s0, -1
	s_cmp_eq_u32 s0, 1
	s_cbranch_scc1 .LBB6_66
; %bb.65:
	s_lshl_b32 s0, s0, 4
	scratch_load_dwordx4 v[2:5], off, s16
	scratch_load_dwordx4 v[6:9], off, s0
	s_waitcnt vmcnt(1)
	ds_write2_b64 v0, v[2:3], v[4:5] offset1:1
	s_waitcnt vmcnt(0)
	scratch_store_dwordx4 off, v[6:9], s16
	scratch_store_dwordx4 off, v[2:5], s0
.LBB6_66:
	global_load_dword v1, v1, s[20:21]
	s_waitcnt vmcnt(0)
	v_readfirstlane_b32 s0, v1
	s_add_i32 s0, s0, -1
	s_cmp_eq_u32 s0, 0
	s_cbranch_scc1 .LBB6_68
; %bb.67:
	s_lshl_b32 s0, s0, 4
	scratch_load_dwordx4 v[2:5], off, off
	scratch_load_dwordx4 v[6:9], off, s0
	s_waitcnt vmcnt(1)
	ds_write2_b64 v0, v[2:3], v[4:5] offset1:1
	s_waitcnt vmcnt(0)
	scratch_store_dwordx4 off, v[6:9], off
	scratch_store_dwordx4 off, v[2:5], s0
.LBB6_68:
	scratch_load_dwordx4 v[0:3], off, off
	s_nop 0
	scratch_load_dwordx4 v[4:7], off, s16
	scratch_load_dwordx4 v[8:11], off, s14
	;; [unrolled: 1-line block ×6, first 2 shown]
	s_waitcnt vmcnt(6)
	global_store_dwordx4 v[14:15], v[0:3], off
	s_waitcnt vmcnt(6)
	global_store_dwordx4 v[16:17], v[4:7], off
	;; [unrolled: 2-line block ×7, first 2 shown]
	s_endpgm
	.section	.rodata,"a",@progbits
	.p2align	6, 0x0
	.amdhsa_kernel _ZN9rocsolver6v33100L18getri_kernel_smallILi7E19rocblas_complex_numIdEPS3_EEvT1_iilPiilS6_bb
		.amdhsa_group_segment_fixed_size 1256
		.amdhsa_private_segment_fixed_size 128
		.amdhsa_kernarg_size 60
		.amdhsa_user_sgpr_count 4
		.amdhsa_user_sgpr_dispatch_ptr 1
		.amdhsa_user_sgpr_queue_ptr 0
		.amdhsa_user_sgpr_kernarg_segment_ptr 1
		.amdhsa_user_sgpr_dispatch_id 0
		.amdhsa_user_sgpr_kernarg_preload_length 0
		.amdhsa_user_sgpr_kernarg_preload_offset 0
		.amdhsa_user_sgpr_private_segment_size 0
		.amdhsa_uses_dynamic_stack 0
		.amdhsa_enable_private_segment 1
		.amdhsa_system_sgpr_workgroup_id_x 1
		.amdhsa_system_sgpr_workgroup_id_y 0
		.amdhsa_system_sgpr_workgroup_id_z 0
		.amdhsa_system_sgpr_workgroup_info 0
		.amdhsa_system_vgpr_workitem_id 2
		.amdhsa_next_free_vgpr 80
		.amdhsa_next_free_sgpr 24
		.amdhsa_accum_offset 80
		.amdhsa_reserve_vcc 1
		.amdhsa_float_round_mode_32 0
		.amdhsa_float_round_mode_16_64 0
		.amdhsa_float_denorm_mode_32 3
		.amdhsa_float_denorm_mode_16_64 3
		.amdhsa_dx10_clamp 1
		.amdhsa_ieee_mode 1
		.amdhsa_fp16_overflow 0
		.amdhsa_tg_split 0
		.amdhsa_exception_fp_ieee_invalid_op 0
		.amdhsa_exception_fp_denorm_src 0
		.amdhsa_exception_fp_ieee_div_zero 0
		.amdhsa_exception_fp_ieee_overflow 0
		.amdhsa_exception_fp_ieee_underflow 0
		.amdhsa_exception_fp_ieee_inexact 0
		.amdhsa_exception_int_div_zero 0
	.end_amdhsa_kernel
	.section	.text._ZN9rocsolver6v33100L18getri_kernel_smallILi7E19rocblas_complex_numIdEPS3_EEvT1_iilPiilS6_bb,"axG",@progbits,_ZN9rocsolver6v33100L18getri_kernel_smallILi7E19rocblas_complex_numIdEPS3_EEvT1_iilPiilS6_bb,comdat
.Lfunc_end6:
	.size	_ZN9rocsolver6v33100L18getri_kernel_smallILi7E19rocblas_complex_numIdEPS3_EEvT1_iilPiilS6_bb, .Lfunc_end6-_ZN9rocsolver6v33100L18getri_kernel_smallILi7E19rocblas_complex_numIdEPS3_EEvT1_iilPiilS6_bb
                                        ; -- End function
	.set _ZN9rocsolver6v33100L18getri_kernel_smallILi7E19rocblas_complex_numIdEPS3_EEvT1_iilPiilS6_bb.num_vgpr, 80
	.set _ZN9rocsolver6v33100L18getri_kernel_smallILi7E19rocblas_complex_numIdEPS3_EEvT1_iilPiilS6_bb.num_agpr, 0
	.set _ZN9rocsolver6v33100L18getri_kernel_smallILi7E19rocblas_complex_numIdEPS3_EEvT1_iilPiilS6_bb.numbered_sgpr, 24
	.set _ZN9rocsolver6v33100L18getri_kernel_smallILi7E19rocblas_complex_numIdEPS3_EEvT1_iilPiilS6_bb.num_named_barrier, 0
	.set _ZN9rocsolver6v33100L18getri_kernel_smallILi7E19rocblas_complex_numIdEPS3_EEvT1_iilPiilS6_bb.private_seg_size, 128
	.set _ZN9rocsolver6v33100L18getri_kernel_smallILi7E19rocblas_complex_numIdEPS3_EEvT1_iilPiilS6_bb.uses_vcc, 1
	.set _ZN9rocsolver6v33100L18getri_kernel_smallILi7E19rocblas_complex_numIdEPS3_EEvT1_iilPiilS6_bb.uses_flat_scratch, 0
	.set _ZN9rocsolver6v33100L18getri_kernel_smallILi7E19rocblas_complex_numIdEPS3_EEvT1_iilPiilS6_bb.has_dyn_sized_stack, 0
	.set _ZN9rocsolver6v33100L18getri_kernel_smallILi7E19rocblas_complex_numIdEPS3_EEvT1_iilPiilS6_bb.has_recursion, 0
	.set _ZN9rocsolver6v33100L18getri_kernel_smallILi7E19rocblas_complex_numIdEPS3_EEvT1_iilPiilS6_bb.has_indirect_call, 0
	.section	.AMDGPU.csdata,"",@progbits
; Kernel info:
; codeLenInByte = 5184
; TotalNumSgprs: 30
; NumVgprs: 80
; NumAgprs: 0
; TotalNumVgprs: 80
; ScratchSize: 128
; MemoryBound: 0
; FloatMode: 240
; IeeeMode: 1
; LDSByteSize: 1256 bytes/workgroup (compile time only)
; SGPRBlocks: 3
; VGPRBlocks: 9
; NumSGPRsForWavesPerEU: 30
; NumVGPRsForWavesPerEU: 80
; AccumOffset: 80
; Occupancy: 6
; WaveLimiterHint : 1
; COMPUTE_PGM_RSRC2:SCRATCH_EN: 1
; COMPUTE_PGM_RSRC2:USER_SGPR: 4
; COMPUTE_PGM_RSRC2:TRAP_HANDLER: 0
; COMPUTE_PGM_RSRC2:TGID_X_EN: 1
; COMPUTE_PGM_RSRC2:TGID_Y_EN: 0
; COMPUTE_PGM_RSRC2:TGID_Z_EN: 0
; COMPUTE_PGM_RSRC2:TIDIG_COMP_CNT: 2
; COMPUTE_PGM_RSRC3_GFX90A:ACCUM_OFFSET: 19
; COMPUTE_PGM_RSRC3_GFX90A:TG_SPLIT: 0
	.section	.text._ZN9rocsolver6v33100L18getri_kernel_smallILi8E19rocblas_complex_numIdEPS3_EEvT1_iilPiilS6_bb,"axG",@progbits,_ZN9rocsolver6v33100L18getri_kernel_smallILi8E19rocblas_complex_numIdEPS3_EEvT1_iilPiilS6_bb,comdat
	.globl	_ZN9rocsolver6v33100L18getri_kernel_smallILi8E19rocblas_complex_numIdEPS3_EEvT1_iilPiilS6_bb ; -- Begin function _ZN9rocsolver6v33100L18getri_kernel_smallILi8E19rocblas_complex_numIdEPS3_EEvT1_iilPiilS6_bb
	.p2align	8
	.type	_ZN9rocsolver6v33100L18getri_kernel_smallILi8E19rocblas_complex_numIdEPS3_EEvT1_iilPiilS6_bb,@function
_ZN9rocsolver6v33100L18getri_kernel_smallILi8E19rocblas_complex_numIdEPS3_EEvT1_iilPiilS6_bb: ; @_ZN9rocsolver6v33100L18getri_kernel_smallILi8E19rocblas_complex_numIdEPS3_EEvT1_iilPiilS6_bb
; %bb.0:
	v_and_b32_e32 v1, 0x3ff, v0
	v_cmp_gt_u32_e32 vcc, 8, v1
	s_and_saveexec_b64 s[6:7], vcc
	s_cbranch_execz .LBB7_46
; %bb.1:
	s_load_dword s6, s[2:3], 0x38
	s_load_dwordx4 s[16:19], s[2:3], 0x10
	s_load_dwordx4 s[8:11], s[2:3], 0x28
                                        ; implicit-def: $sgpr20_sgpr21
	s_waitcnt lgkmcnt(0)
	s_bitcmp1_b32 s6, 8
	s_cselect_b64 s[22:23], -1, 0
	s_ashr_i32 s5, s4, 31
	s_bfe_u32 s6, s6, 0x10008
	s_cmp_eq_u32 s6, 0
	s_cbranch_scc1 .LBB7_3
; %bb.2:
	s_load_dword s6, s[2:3], 0x20
	s_mul_i32 s7, s8, s5
	s_mul_hi_u32 s12, s8, s4
	s_mul_i32 s9, s9, s4
	s_add_i32 s12, s12, s7
	s_add_i32 s9, s12, s9
	s_mul_i32 s8, s8, s4
	s_waitcnt lgkmcnt(0)
	s_ashr_i32 s7, s6, 31
	s_lshl_b64 s[8:9], s[8:9], 2
	s_add_u32 s8, s18, s8
	s_addc_u32 s9, s19, s9
	s_lshl_b64 s[6:7], s[6:7], 2
	s_add_u32 s20, s8, s6
	s_addc_u32 s21, s9, s7
.LBB7_3:
	s_load_dwordx4 s[12:15], s[2:3], 0x0
	s_load_dword s8, s[2:3], 0x38
	s_mul_i32 s6, s16, s5
	s_mul_hi_u32 s7, s16, s4
	s_add_i32 s6, s7, s6
	s_mul_i32 s7, s17, s4
	s_add_i32 s7, s6, s7
	s_mul_i32 s6, s16, s4
	s_waitcnt lgkmcnt(0)
	s_ashr_i32 s3, s14, 31
	s_lshl_b64 s[6:7], s[6:7], 4
	s_mov_b32 s2, s14
	s_add_u32 s6, s12, s6
	s_addc_u32 s7, s13, s7
	s_lshl_b64 s[2:3], s[2:3], 4
	s_add_u32 s2, s6, s2
	s_addc_u32 s3, s7, s3
	v_lshlrev_b32_e32 v30, 4, v1
	v_mov_b32_e32 v31, 0
	v_lshl_add_u64 v[14:15], s[2:3], 0, v[30:31]
	s_ashr_i32 s7, s15, 31
	s_mov_b32 s6, s15
	v_lshl_add_u64 v[16:17], s[6:7], 4, v[14:15]
	s_add_i32 s6, s15, s15
	v_add_u32_e32 v20, s6, v1
	v_add_u32_e32 v22, s15, v20
	v_add_u32_e32 v24, s15, v22
	v_add_u32_e32 v26, s15, v24
	v_ashrrev_i32_e32 v21, 31, v20
	v_ashrrev_i32_e32 v23, 31, v22
	;; [unrolled: 1-line block ×4, first 2 shown]
	v_add_u32_e32 v28, s15, v26
	v_lshl_add_u64 v[18:19], v[20:21], 4, s[2:3]
	v_lshl_add_u64 v[20:21], v[22:23], 4, s[2:3]
	;; [unrolled: 1-line block ×4, first 2 shown]
	v_ashrrev_i32_e32 v29, 31, v28
	global_load_dwordx4 v[2:5], v30, s[2:3]
	global_load_dwordx4 v[6:9], v[16:17], off
	global_load_dwordx4 v[10:13], v[18:19], off
	;; [unrolled: 1-line block ×4, first 2 shown]
	v_lshl_add_u64 v[26:27], v[28:29], 4, s[2:3]
	global_load_dwordx4 v[40:43], v[24:25], off
	global_load_dwordx4 v[44:47], v[26:27], off
	v_add_u32_e32 v28, s15, v28
	v_ashrrev_i32_e32 v29, 31, v28
	v_lshl_add_u64 v[28:29], v[28:29], 4, s[2:3]
	global_load_dwordx4 v[48:51], v[28:29], off
	s_movk_i32 s18, 0x50
	s_movk_i32 s19, 0x60
	;; [unrolled: 1-line block ×3, first 2 shown]
	s_mov_b32 s17, 16
	s_mov_b32 s14, 32
	;; [unrolled: 1-line block ×4, first 2 shown]
	s_bitcmp0_b32 s8, 0
	s_mov_b64 s[6:7], -1
	s_waitcnt vmcnt(7)
	scratch_store_dwordx4 off, v[2:5], off
	s_waitcnt vmcnt(7)
	scratch_store_dwordx4 off, v[6:9], off offset:16
	s_waitcnt vmcnt(7)
	scratch_store_dwordx4 off, v[10:13], off offset:32
	;; [unrolled: 2-line block ×7, first 2 shown]
	s_cbranch_scc1 .LBB7_44
; %bb.4:
	v_cmp_eq_u32_e64 s[2:3], 0, v1
	s_and_saveexec_b64 s[6:7], s[2:3]
; %bb.5:
	v_mov_b32_e32 v2, 0
	ds_write_b32 v2, v2 offset:256
; %bb.6:
	s_or_b64 exec, exec, s[6:7]
	s_waitcnt lgkmcnt(0)
	; wave barrier
	scratch_load_dwordx4 v[2:5], v30, off
	s_waitcnt vmcnt(0)
	v_cmp_eq_f64_e32 vcc, 0, v[2:3]
	v_cmp_eq_f64_e64 s[6:7], 0, v[4:5]
	s_and_b64 s[6:7], vcc, s[6:7]
	s_and_saveexec_b64 s[8:9], s[6:7]
	s_cbranch_execz .LBB7_10
; %bb.7:
	v_mov_b32_e32 v2, 0
	ds_read_b32 v4, v2 offset:256
	v_add_u32_e32 v3, 1, v1
	s_waitcnt lgkmcnt(0)
	v_readfirstlane_b32 s6, v4
	s_cmp_eq_u32 s6, 0
	s_cselect_b64 s[12:13], -1, 0
	v_cmp_gt_i32_e32 vcc, s6, v3
	s_or_b64 s[12:13], s[12:13], vcc
	s_and_b64 exec, exec, s[12:13]
	s_cbranch_execz .LBB7_10
; %bb.8:
	s_mov_b64 s[12:13], 0
	v_mov_b32_e32 v4, s6
.LBB7_9:                                ; =>This Inner Loop Header: Depth=1
	ds_cmpst_rtn_b32 v4, v2, v4, v3 offset:256
	s_waitcnt lgkmcnt(0)
	v_cmp_ne_u32_e32 vcc, 0, v4
	v_cmp_le_i32_e64 s[6:7], v4, v3
	s_and_b64 s[6:7], vcc, s[6:7]
	s_and_b64 s[6:7], exec, s[6:7]
	s_or_b64 s[12:13], s[6:7], s[12:13]
	s_andn2_b64 exec, exec, s[12:13]
	s_cbranch_execnz .LBB7_9
.LBB7_10:
	s_or_b64 exec, exec, s[8:9]
	v_mov_b32_e32 v3, 0
	; wave barrier
	ds_read_b32 v2, v3 offset:256
	s_and_saveexec_b64 s[6:7], s[2:3]
	s_cbranch_execz .LBB7_12
; %bb.11:
	s_lshl_b64 s[8:9], s[4:5], 2
	s_add_u32 s8, s10, s8
	s_addc_u32 s9, s11, s9
	s_waitcnt lgkmcnt(0)
	global_store_dword v3, v2, s[8:9]
.LBB7_12:
	s_or_b64 exec, exec, s[6:7]
	s_waitcnt lgkmcnt(0)
	v_cmp_ne_u32_e32 vcc, 0, v2
	s_mov_b64 s[6:7], 0
	s_cbranch_vccnz .LBB7_44
; %bb.13:
	v_mov_b32_e32 v31, v30
	scratch_load_dwordx4 v[2:5], v31, off
                                        ; implicit-def: $vgpr6_vgpr7
                                        ; implicit-def: $vgpr10_vgpr11
	s_waitcnt vmcnt(0)
	v_cmp_ngt_f64_e64 s[6:7], |v[2:3]|, |v[4:5]|
	s_and_saveexec_b64 s[8:9], s[6:7]
	s_xor_b64 s[6:7], exec, s[8:9]
	s_cbranch_execz .LBB7_15
; %bb.14:
	v_div_scale_f64 v[6:7], s[8:9], v[4:5], v[4:5], v[2:3]
	v_rcp_f64_e32 v[8:9], v[6:7]
	v_div_scale_f64 v[10:11], vcc, v[2:3], v[4:5], v[2:3]
	v_fma_f64 v[12:13], -v[6:7], v[8:9], 1.0
	v_fmac_f64_e32 v[8:9], v[8:9], v[12:13]
	v_fma_f64 v[12:13], -v[6:7], v[8:9], 1.0
	v_fmac_f64_e32 v[8:9], v[8:9], v[12:13]
	v_mul_f64 v[12:13], v[10:11], v[8:9]
	v_fma_f64 v[6:7], -v[6:7], v[12:13], v[10:11]
	v_div_fmas_f64 v[6:7], v[6:7], v[8:9], v[12:13]
	v_div_fixup_f64 v[6:7], v[6:7], v[4:5], v[2:3]
	v_fmac_f64_e32 v[4:5], v[2:3], v[6:7]
	v_div_scale_f64 v[2:3], s[8:9], v[4:5], v[4:5], 1.0
	v_rcp_f64_e32 v[8:9], v[2:3]
	s_nop 0
	v_fma_f64 v[10:11], -v[2:3], v[8:9], 1.0
	v_fmac_f64_e32 v[8:9], v[8:9], v[10:11]
	v_fma_f64 v[10:11], -v[2:3], v[8:9], 1.0
	v_fmac_f64_e32 v[8:9], v[8:9], v[10:11]
	v_div_scale_f64 v[10:11], vcc, 1.0, v[4:5], 1.0
	v_mul_f64 v[12:13], v[10:11], v[8:9]
	v_fma_f64 v[2:3], -v[2:3], v[12:13], v[10:11]
	s_nop 1
	v_div_fmas_f64 v[2:3], v[2:3], v[8:9], v[12:13]
	v_div_fixup_f64 v[8:9], v[2:3], v[4:5], 1.0
	v_mul_f64 v[6:7], v[6:7], v[8:9]
	v_xor_b32_e32 v9, 0x80000000, v9
	v_xor_b32_e32 v11, 0x80000000, v7
	v_mov_b32_e32 v10, v6
                                        ; implicit-def: $vgpr2_vgpr3
.LBB7_15:
	s_andn2_saveexec_b64 s[6:7], s[6:7]
	s_cbranch_execz .LBB7_17
; %bb.16:
	v_div_scale_f64 v[6:7], s[8:9], v[2:3], v[2:3], v[4:5]
	v_rcp_f64_e32 v[8:9], v[6:7]
	v_div_scale_f64 v[10:11], vcc, v[4:5], v[2:3], v[4:5]
	v_fma_f64 v[12:13], -v[6:7], v[8:9], 1.0
	v_fmac_f64_e32 v[8:9], v[8:9], v[12:13]
	v_fma_f64 v[12:13], -v[6:7], v[8:9], 1.0
	v_fmac_f64_e32 v[8:9], v[8:9], v[12:13]
	v_mul_f64 v[12:13], v[10:11], v[8:9]
	v_fma_f64 v[6:7], -v[6:7], v[12:13], v[10:11]
	v_div_fmas_f64 v[6:7], v[6:7], v[8:9], v[12:13]
	v_div_fixup_f64 v[8:9], v[6:7], v[2:3], v[4:5]
	v_fmac_f64_e32 v[2:3], v[4:5], v[8:9]
	v_div_scale_f64 v[4:5], s[8:9], v[2:3], v[2:3], 1.0
	v_rcp_f64_e32 v[6:7], v[4:5]
	s_nop 0
	v_fma_f64 v[10:11], -v[4:5], v[6:7], 1.0
	v_fmac_f64_e32 v[6:7], v[6:7], v[10:11]
	v_fma_f64 v[10:11], -v[4:5], v[6:7], 1.0
	v_fmac_f64_e32 v[6:7], v[6:7], v[10:11]
	v_div_scale_f64 v[10:11], vcc, 1.0, v[2:3], 1.0
	v_mul_f64 v[12:13], v[10:11], v[6:7]
	v_fma_f64 v[4:5], -v[4:5], v[12:13], v[10:11]
	s_nop 1
	v_div_fmas_f64 v[4:5], v[4:5], v[6:7], v[12:13]
	v_div_fixup_f64 v[6:7], v[4:5], v[2:3], 1.0
	v_xor_b32_e32 v11, 0x80000000, v7
	v_mov_b32_e32 v10, v6
	v_mul_f64 v[8:9], v[8:9], -v[6:7]
.LBB7_17:
	s_or_b64 exec, exec, s[6:7]
	scratch_store_dwordx4 v31, v[6:9], off
	scratch_load_dwordx4 v[2:5], off, s17
	v_xor_b32_e32 v13, 0x80000000, v9
	v_mov_b32_e32 v12, v8
	v_add_u32_e32 v6, 0x80, v30
	ds_write_b128 v30, v[10:13]
	s_waitcnt vmcnt(0)
	ds_write_b128 v30, v[2:5] offset:128
	s_waitcnt lgkmcnt(0)
	; wave barrier
	s_and_saveexec_b64 s[6:7], s[2:3]
	s_cbranch_execz .LBB7_19
; %bb.18:
	scratch_load_dwordx4 v[2:5], v31, off
	ds_read_b128 v[8:11], v6
	v_mov_b32_e32 v7, 0
	ds_read_b128 v[32:35], v7 offset:16
	s_waitcnt vmcnt(0) lgkmcnt(1)
	v_mul_f64 v[12:13], v[10:11], v[4:5]
	v_mul_f64 v[4:5], v[8:9], v[4:5]
	v_fma_f64 v[8:9], v[8:9], v[2:3], -v[12:13]
	v_fmac_f64_e32 v[4:5], v[10:11], v[2:3]
	v_add_f64 v[2:3], v[8:9], 0
	v_add_f64 v[8:9], v[4:5], 0
	s_waitcnt lgkmcnt(0)
	v_mul_f64 v[10:11], v[8:9], v[34:35]
	v_mul_f64 v[4:5], v[2:3], v[34:35]
	v_fma_f64 v[2:3], v[2:3], v[32:33], -v[10:11]
	v_fmac_f64_e32 v[4:5], v[8:9], v[32:33]
	scratch_store_dwordx4 off, v[2:5], off offset:16
.LBB7_19:
	s_or_b64 exec, exec, s[6:7]
	; wave barrier
	scratch_load_dwordx4 v[2:5], off, s14
	v_cmp_gt_u32_e32 vcc, 2, v1
	s_waitcnt vmcnt(0)
	ds_write_b128 v6, v[2:5]
	s_waitcnt lgkmcnt(0)
	; wave barrier
	s_and_saveexec_b64 s[6:7], vcc
	s_cbranch_execz .LBB7_23
; %bb.20:
	scratch_load_dwordx4 v[2:5], v31, off
	ds_read_b128 v[8:11], v6
	s_waitcnt vmcnt(0) lgkmcnt(0)
	v_mul_f64 v[12:13], v[10:11], v[4:5]
	v_mul_f64 v[32:33], v[8:9], v[4:5]
	v_fma_f64 v[4:5], v[8:9], v[2:3], -v[12:13]
	v_fmac_f64_e32 v[32:33], v[10:11], v[2:3]
	v_add_f64 v[4:5], v[4:5], 0
	v_add_f64 v[2:3], v[32:33], 0
	s_and_saveexec_b64 s[8:9], s[2:3]
	s_cbranch_execz .LBB7_22
; %bb.21:
	scratch_load_dwordx4 v[8:11], off, off offset:16
	v_mov_b32_e32 v7, 0
	ds_read_b128 v[32:35], v7 offset:144
	s_waitcnt vmcnt(0) lgkmcnt(0)
	v_mul_f64 v[12:13], v[32:33], v[10:11]
	v_mul_f64 v[10:11], v[34:35], v[10:11]
	v_fmac_f64_e32 v[12:13], v[34:35], v[8:9]
	v_fma_f64 v[8:9], v[32:33], v[8:9], -v[10:11]
	v_add_f64 v[2:3], v[2:3], v[12:13]
	v_add_f64 v[4:5], v[4:5], v[8:9]
.LBB7_22:
	s_or_b64 exec, exec, s[8:9]
	v_mov_b32_e32 v7, 0
	ds_read_b128 v[8:11], v7 offset:32
	s_waitcnt lgkmcnt(0)
	v_mul_f64 v[32:33], v[2:3], v[10:11]
	v_mul_f64 v[12:13], v[4:5], v[10:11]
	v_fma_f64 v[10:11], v[4:5], v[8:9], -v[32:33]
	v_fmac_f64_e32 v[12:13], v[2:3], v[8:9]
	scratch_store_dwordx4 off, v[10:13], off offset:32
.LBB7_23:
	s_or_b64 exec, exec, s[6:7]
	; wave barrier
	scratch_load_dwordx4 v[2:5], off, s15
	v_cmp_gt_u32_e32 vcc, 3, v1
	v_add_u32_e32 v7, -1, v1
	s_waitcnt vmcnt(0)
	ds_write_b128 v6, v[2:5]
	s_waitcnt lgkmcnt(0)
	; wave barrier
	s_and_saveexec_b64 s[2:3], vcc
	s_cbranch_execz .LBB7_27
; %bb.24:
	v_add_u32_e32 v8, -1, v1
	v_add_u32_e32 v9, 0x80, v30
	v_mov_b32_e32 v10, v30
	v_mov_b64_e32 v[2:3], 0
	s_mov_b64 s[6:7], 0
	v_mov_b64_e32 v[4:5], 0
.LBB7_25:                               ; =>This Inner Loop Header: Depth=1
	scratch_load_dwordx4 v[32:35], v10, off
	ds_read_b128 v[36:39], v9
	v_add_u32_e32 v8, 1, v8
	v_cmp_lt_u32_e32 vcc, 1, v8
	v_add_u32_e32 v9, 16, v9
	v_add_u32_e32 v10, 16, v10
	s_or_b64 s[6:7], vcc, s[6:7]
	s_waitcnt vmcnt(0) lgkmcnt(0)
	v_mul_f64 v[12:13], v[38:39], v[34:35]
	v_mul_f64 v[34:35], v[36:37], v[34:35]
	v_fma_f64 v[12:13], v[36:37], v[32:33], -v[12:13]
	v_fmac_f64_e32 v[34:35], v[38:39], v[32:33]
	v_add_f64 v[4:5], v[4:5], v[12:13]
	v_add_f64 v[2:3], v[2:3], v[34:35]
	s_andn2_b64 exec, exec, s[6:7]
	s_cbranch_execnz .LBB7_25
; %bb.26:
	s_or_b64 exec, exec, s[6:7]
	v_mov_b32_e32 v8, 0
	ds_read_b128 v[8:11], v8 offset:48
	s_waitcnt lgkmcnt(0)
	v_mul_f64 v[32:33], v[2:3], v[10:11]
	v_mul_f64 v[12:13], v[4:5], v[10:11]
	v_fma_f64 v[10:11], v[4:5], v[8:9], -v[32:33]
	v_fmac_f64_e32 v[12:13], v[2:3], v[8:9]
	scratch_store_dwordx4 off, v[10:13], off offset:48
.LBB7_27:
	s_or_b64 exec, exec, s[2:3]
	; wave barrier
	scratch_load_dwordx4 v[2:5], off, s16
	v_cmp_gt_u32_e32 vcc, 4, v1
	s_waitcnt vmcnt(0)
	ds_write_b128 v6, v[2:5]
	s_waitcnt lgkmcnt(0)
	; wave barrier
	s_and_saveexec_b64 s[2:3], vcc
	s_cbranch_execz .LBB7_31
; %bb.28:
	v_add_u32_e32 v8, -1, v1
	v_add_u32_e32 v9, 0x80, v30
	v_mov_b32_e32 v10, v30
	v_mov_b64_e32 v[2:3], 0
	s_mov_b64 s[6:7], 0
	v_mov_b64_e32 v[4:5], 0
.LBB7_29:                               ; =>This Inner Loop Header: Depth=1
	scratch_load_dwordx4 v[32:35], v10, off
	ds_read_b128 v[36:39], v9
	v_add_u32_e32 v8, 1, v8
	v_cmp_lt_u32_e32 vcc, 2, v8
	v_add_u32_e32 v9, 16, v9
	v_add_u32_e32 v10, 16, v10
	s_or_b64 s[6:7], vcc, s[6:7]
	s_waitcnt vmcnt(0) lgkmcnt(0)
	v_mul_f64 v[12:13], v[38:39], v[34:35]
	v_mul_f64 v[34:35], v[36:37], v[34:35]
	v_fma_f64 v[12:13], v[36:37], v[32:33], -v[12:13]
	v_fmac_f64_e32 v[34:35], v[38:39], v[32:33]
	v_add_f64 v[4:5], v[4:5], v[12:13]
	v_add_f64 v[2:3], v[2:3], v[34:35]
	s_andn2_b64 exec, exec, s[6:7]
	s_cbranch_execnz .LBB7_29
; %bb.30:
	s_or_b64 exec, exec, s[6:7]
	v_mov_b32_e32 v8, 0
	ds_read_b128 v[8:11], v8 offset:64
	s_waitcnt lgkmcnt(0)
	v_mul_f64 v[32:33], v[2:3], v[10:11]
	v_mul_f64 v[12:13], v[4:5], v[10:11]
	v_fma_f64 v[10:11], v[4:5], v[8:9], -v[32:33]
	v_fmac_f64_e32 v[12:13], v[2:3], v[8:9]
	scratch_store_dwordx4 off, v[10:13], off offset:64
.LBB7_31:
	s_or_b64 exec, exec, s[2:3]
	; wave barrier
	scratch_load_dwordx4 v[2:5], off, s18
	v_cmp_gt_u32_e32 vcc, 5, v1
	;; [unrolled: 45-line block ×3, first 2 shown]
	s_waitcnt vmcnt(0)
	ds_write_b128 v6, v[2:5]
	s_waitcnt lgkmcnt(0)
	; wave barrier
	s_and_saveexec_b64 s[2:3], vcc
	s_cbranch_execz .LBB7_39
; %bb.36:
	v_add_u32_e32 v8, -1, v1
	v_add_u32_e32 v9, 0x80, v30
	v_mov_b32_e32 v10, v30
	v_mov_b64_e32 v[2:3], 0
	s_mov_b64 s[6:7], 0
	v_mov_b64_e32 v[4:5], 0
.LBB7_37:                               ; =>This Inner Loop Header: Depth=1
	scratch_load_dwordx4 v[32:35], v10, off
	ds_read_b128 v[36:39], v9
	v_add_u32_e32 v8, 1, v8
	v_cmp_lt_u32_e32 vcc, 4, v8
	v_add_u32_e32 v9, 16, v9
	v_add_u32_e32 v10, 16, v10
	s_or_b64 s[6:7], vcc, s[6:7]
	s_waitcnt vmcnt(0) lgkmcnt(0)
	v_mul_f64 v[12:13], v[38:39], v[34:35]
	v_mul_f64 v[34:35], v[36:37], v[34:35]
	v_fma_f64 v[12:13], v[36:37], v[32:33], -v[12:13]
	v_fmac_f64_e32 v[34:35], v[38:39], v[32:33]
	v_add_f64 v[4:5], v[4:5], v[12:13]
	v_add_f64 v[2:3], v[2:3], v[34:35]
	s_andn2_b64 exec, exec, s[6:7]
	s_cbranch_execnz .LBB7_37
; %bb.38:
	s_or_b64 exec, exec, s[6:7]
	v_mov_b32_e32 v8, 0
	ds_read_b128 v[8:11], v8 offset:96
	s_waitcnt lgkmcnt(0)
	v_mul_f64 v[32:33], v[2:3], v[10:11]
	v_mul_f64 v[12:13], v[4:5], v[10:11]
	v_fma_f64 v[10:11], v[4:5], v[8:9], -v[32:33]
	v_fmac_f64_e32 v[12:13], v[2:3], v[8:9]
	scratch_store_dwordx4 off, v[10:13], off offset:96
.LBB7_39:
	s_or_b64 exec, exec, s[2:3]
	; wave barrier
	scratch_load_dwordx4 v[2:5], off, s24
	v_cmp_ne_u32_e32 vcc, 7, v1
	s_waitcnt vmcnt(0)
	ds_write_b128 v6, v[2:5]
	s_waitcnt lgkmcnt(0)
	; wave barrier
	s_and_saveexec_b64 s[2:3], vcc
	s_cbranch_execz .LBB7_43
; %bb.40:
	v_add_u32_e32 v6, 0x80, v30
	v_mov_b32_e32 v8, v30
	v_mov_b64_e32 v[2:3], 0
	s_mov_b64 s[6:7], 0
	v_mov_b64_e32 v[4:5], 0
.LBB7_41:                               ; =>This Inner Loop Header: Depth=1
	scratch_load_dwordx4 v[10:13], v8, off
	ds_read_b128 v[30:33], v6
	v_add_u32_e32 v7, 1, v7
	v_cmp_lt_u32_e32 vcc, 5, v7
	v_add_u32_e32 v6, 16, v6
	v_add_u32_e32 v8, 16, v8
	s_or_b64 s[6:7], vcc, s[6:7]
	s_waitcnt vmcnt(0) lgkmcnt(0)
	v_mul_f64 v[34:35], v[32:33], v[12:13]
	v_mul_f64 v[12:13], v[30:31], v[12:13]
	v_fma_f64 v[30:31], v[30:31], v[10:11], -v[34:35]
	v_fmac_f64_e32 v[12:13], v[32:33], v[10:11]
	v_add_f64 v[4:5], v[4:5], v[30:31]
	v_add_f64 v[2:3], v[2:3], v[12:13]
	s_andn2_b64 exec, exec, s[6:7]
	s_cbranch_execnz .LBB7_41
; %bb.42:
	s_or_b64 exec, exec, s[6:7]
	v_mov_b32_e32 v6, 0
	ds_read_b128 v[6:9], v6 offset:112
	s_waitcnt lgkmcnt(0)
	v_mul_f64 v[12:13], v[2:3], v[8:9]
	v_mul_f64 v[10:11], v[4:5], v[8:9]
	v_fma_f64 v[8:9], v[4:5], v[6:7], -v[12:13]
	v_fmac_f64_e32 v[10:11], v[2:3], v[6:7]
	scratch_store_dwordx4 off, v[8:11], off offset:112
.LBB7_43:
	s_or_b64 exec, exec, s[2:3]
	s_mov_b64 s[6:7], -1
	; wave barrier
.LBB7_44:
	s_and_b64 vcc, exec, s[6:7]
	s_cbranch_vccz .LBB7_46
; %bb.45:
	s_lshl_b64 s[2:3], s[4:5], 2
	s_add_u32 s2, s10, s2
	s_addc_u32 s3, s11, s3
	v_mov_b32_e32 v2, 0
	global_load_dword v2, v2, s[2:3]
	s_waitcnt vmcnt(0)
	v_cmp_ne_u32_e32 vcc, 0, v2
	s_cbranch_vccz .LBB7_47
.LBB7_46:
	s_endpgm
.LBB7_47:
	v_mov_b32_e32 v2, 0x80
	v_lshl_add_u32 v6, v1, 4, v2
	v_cmp_eq_u32_e32 vcc, 7, v1
	s_and_saveexec_b64 s[2:3], vcc
	s_cbranch_execz .LBB7_49
; %bb.48:
	scratch_load_dwordx4 v[2:5], off, s19
	v_mov_b32_e32 v8, 0
	v_mov_b32_e32 v9, v8
	;; [unrolled: 1-line block ×4, first 2 shown]
	scratch_store_dwordx4 off, v[8:11], off offset:96
	s_waitcnt vmcnt(1)
	ds_write_b128 v6, v[2:5]
.LBB7_49:
	s_or_b64 exec, exec, s[2:3]
	s_waitcnt lgkmcnt(0)
	; wave barrier
	scratch_load_dwordx4 v[8:11], off, off offset:112
	scratch_load_dwordx4 v[30:33], off, off offset:96
	v_mov_b32_e32 v2, 0
	ds_read_b128 v[34:37], v2 offset:240
	v_cmp_lt_u32_e32 vcc, 5, v1
	s_waitcnt vmcnt(1) lgkmcnt(0)
	v_mul_f64 v[4:5], v[34:35], v[10:11]
	v_mul_f64 v[10:11], v[36:37], v[10:11]
	v_fmac_f64_e32 v[4:5], v[36:37], v[8:9]
	v_fma_f64 v[8:9], v[34:35], v[8:9], -v[10:11]
	v_add_f64 v[4:5], v[4:5], 0
	v_add_f64 v[8:9], v[8:9], 0
	s_waitcnt vmcnt(0)
	v_add_f64 v[8:9], v[30:31], -v[8:9]
	v_add_f64 v[10:11], v[32:33], -v[4:5]
	scratch_store_dwordx4 off, v[8:11], off offset:96
	s_and_saveexec_b64 s[2:3], vcc
	s_cbranch_execz .LBB7_51
; %bb.50:
	scratch_load_dwordx4 v[8:11], off, s18
	v_mov_b32_e32 v3, v2
	v_mov_b32_e32 v4, v2
	;; [unrolled: 1-line block ×3, first 2 shown]
	scratch_store_dwordx4 off, v[2:5], off offset:80
	s_waitcnt vmcnt(1)
	ds_write_b128 v6, v[8:11]
.LBB7_51:
	s_or_b64 exec, exec, s[2:3]
	s_waitcnt lgkmcnt(0)
	; wave barrier
	scratch_load_dwordx4 v[8:11], off, off offset:96
	scratch_load_dwordx4 v[30:33], off, off offset:112
	;; [unrolled: 1-line block ×3, first 2 shown]
	ds_read_b128 v[38:41], v2 offset:224
	ds_read_b128 v[2:5], v2 offset:240
	v_cmp_lt_u32_e32 vcc, 4, v1
	s_waitcnt vmcnt(2) lgkmcnt(1)
	v_mul_f64 v[12:13], v[38:39], v[10:11]
	s_waitcnt vmcnt(1) lgkmcnt(0)
	v_mul_f64 v[42:43], v[2:3], v[32:33]
	v_mul_f64 v[10:11], v[40:41], v[10:11]
	;; [unrolled: 1-line block ×3, first 2 shown]
	v_fmac_f64_e32 v[12:13], v[40:41], v[8:9]
	v_fmac_f64_e32 v[42:43], v[4:5], v[30:31]
	v_fma_f64 v[4:5], v[38:39], v[8:9], -v[10:11]
	v_fma_f64 v[2:3], v[2:3], v[30:31], -v[32:33]
	v_add_f64 v[8:9], v[12:13], 0
	v_add_f64 v[4:5], v[4:5], 0
	;; [unrolled: 1-line block ×4, first 2 shown]
	s_waitcnt vmcnt(0)
	v_add_f64 v[2:3], v[34:35], -v[2:3]
	v_add_f64 v[4:5], v[36:37], -v[8:9]
	scratch_store_dwordx4 off, v[2:5], off offset:80
	s_and_saveexec_b64 s[2:3], vcc
	s_cbranch_execz .LBB7_53
; %bb.52:
	scratch_load_dwordx4 v[2:5], off, s16
	v_mov_b32_e32 v8, 0
	v_mov_b32_e32 v9, v8
	;; [unrolled: 1-line block ×4, first 2 shown]
	scratch_store_dwordx4 off, v[8:11], off offset:64
	s_waitcnt vmcnt(1)
	ds_write_b128 v6, v[2:5]
.LBB7_53:
	s_or_b64 exec, exec, s[2:3]
	s_waitcnt lgkmcnt(0)
	; wave barrier
	scratch_load_dwordx4 v[8:11], off, off offset:80
	scratch_load_dwordx4 v[30:33], off, off offset:96
	;; [unrolled: 1-line block ×4, first 2 shown]
	v_mov_b32_e32 v2, 0
	ds_read_b128 v[42:45], v2 offset:208
	ds_read_b128 v[46:49], v2 offset:224
	ds_read_b128 v[50:53], v2 offset:240
	v_cmp_lt_u32_e32 vcc, 3, v1
	s_waitcnt vmcnt(3) lgkmcnt(2)
	v_mul_f64 v[4:5], v[42:43], v[10:11]
	v_mul_f64 v[10:11], v[44:45], v[10:11]
	s_waitcnt vmcnt(2) lgkmcnt(1)
	v_mul_f64 v[12:13], v[46:47], v[32:33]
	v_mul_f64 v[32:33], v[48:49], v[32:33]
	v_fmac_f64_e32 v[4:5], v[44:45], v[8:9]
	v_fma_f64 v[8:9], v[42:43], v[8:9], -v[10:11]
	s_waitcnt vmcnt(1) lgkmcnt(0)
	v_mul_f64 v[54:55], v[50:51], v[36:37]
	v_mul_f64 v[36:37], v[52:53], v[36:37]
	v_fmac_f64_e32 v[12:13], v[48:49], v[30:31]
	v_fma_f64 v[10:11], v[46:47], v[30:31], -v[32:33]
	v_add_f64 v[4:5], v[4:5], 0
	v_add_f64 v[8:9], v[8:9], 0
	v_fmac_f64_e32 v[54:55], v[52:53], v[34:35]
	v_fma_f64 v[30:31], v[50:51], v[34:35], -v[36:37]
	v_add_f64 v[4:5], v[4:5], v[12:13]
	v_add_f64 v[8:9], v[8:9], v[10:11]
	;; [unrolled: 1-line block ×4, first 2 shown]
	s_waitcnt vmcnt(0)
	v_add_f64 v[8:9], v[38:39], -v[8:9]
	v_add_f64 v[10:11], v[40:41], -v[4:5]
	scratch_store_dwordx4 off, v[8:11], off offset:64
	s_and_saveexec_b64 s[2:3], vcc
	s_cbranch_execz .LBB7_55
; %bb.54:
	scratch_load_dwordx4 v[8:11], off, s15
	v_mov_b32_e32 v3, v2
	v_mov_b32_e32 v4, v2
	v_mov_b32_e32 v5, v2
	scratch_store_dwordx4 off, v[2:5], off offset:48
	s_waitcnt vmcnt(1)
	ds_write_b128 v6, v[8:11]
.LBB7_55:
	s_or_b64 exec, exec, s[2:3]
	s_waitcnt lgkmcnt(0)
	; wave barrier
	scratch_load_dwordx4 v[8:11], off, off offset:64
	scratch_load_dwordx4 v[30:33], off, off offset:80
	;; [unrolled: 1-line block ×5, first 2 shown]
	ds_read_b128 v[46:49], v2 offset:192
	ds_read_b128 v[50:53], v2 offset:208
	;; [unrolled: 1-line block ×4, first 2 shown]
	v_cmp_lt_u32_e32 vcc, 2, v1
	s_waitcnt vmcnt(4) lgkmcnt(3)
	v_mul_f64 v[12:13], v[46:47], v[10:11]
	v_mul_f64 v[10:11], v[48:49], v[10:11]
	s_waitcnt vmcnt(3) lgkmcnt(2)
	v_mul_f64 v[58:59], v[50:51], v[32:33]
	s_waitcnt vmcnt(1) lgkmcnt(0)
	v_mul_f64 v[62:63], v[2:3], v[40:41]
	v_mul_f64 v[32:33], v[52:53], v[32:33]
	;; [unrolled: 1-line block ×3, first 2 shown]
	v_fmac_f64_e32 v[12:13], v[48:49], v[8:9]
	v_fmac_f64_e32 v[62:63], v[4:5], v[38:39]
	v_fma_f64 v[4:5], v[46:47], v[8:9], -v[10:11]
	v_mul_f64 v[60:61], v[54:55], v[36:37]
	v_mul_f64 v[36:37], v[56:57], v[36:37]
	v_fmac_f64_e32 v[58:59], v[52:53], v[30:31]
	v_fma_f64 v[8:9], v[50:51], v[30:31], -v[32:33]
	v_add_f64 v[12:13], v[12:13], 0
	v_add_f64 v[4:5], v[4:5], 0
	v_fmac_f64_e32 v[60:61], v[56:57], v[34:35]
	v_fma_f64 v[10:11], v[54:55], v[34:35], -v[36:37]
	v_add_f64 v[12:13], v[12:13], v[58:59]
	v_add_f64 v[4:5], v[4:5], v[8:9]
	v_fma_f64 v[2:3], v[2:3], v[38:39], -v[40:41]
	v_add_f64 v[8:9], v[12:13], v[60:61]
	v_add_f64 v[4:5], v[4:5], v[10:11]
	;; [unrolled: 1-line block ×4, first 2 shown]
	s_waitcnt vmcnt(0)
	v_add_f64 v[2:3], v[42:43], -v[2:3]
	v_add_f64 v[4:5], v[44:45], -v[8:9]
	scratch_store_dwordx4 off, v[2:5], off offset:48
	s_and_saveexec_b64 s[2:3], vcc
	s_cbranch_execz .LBB7_57
; %bb.56:
	scratch_load_dwordx4 v[2:5], off, s14
	v_mov_b32_e32 v8, 0
	v_mov_b32_e32 v9, v8
	;; [unrolled: 1-line block ×4, first 2 shown]
	scratch_store_dwordx4 off, v[8:11], off offset:32
	s_waitcnt vmcnt(1)
	ds_write_b128 v6, v[2:5]
.LBB7_57:
	s_or_b64 exec, exec, s[2:3]
	s_waitcnt lgkmcnt(0)
	; wave barrier
	scratch_load_dwordx4 v[8:11], off, off offset:48
	scratch_load_dwordx4 v[30:33], off, off offset:64
	;; [unrolled: 1-line block ×6, first 2 shown]
	v_mov_b32_e32 v2, 0
	ds_read_b128 v[50:53], v2 offset:176
	ds_read_b128 v[54:57], v2 offset:192
	;; [unrolled: 1-line block ×5, first 2 shown]
	v_cmp_lt_u32_e32 vcc, 1, v1
	s_waitcnt vmcnt(5) lgkmcnt(4)
	v_mul_f64 v[4:5], v[50:51], v[10:11]
	v_mul_f64 v[10:11], v[52:53], v[10:11]
	s_waitcnt vmcnt(4) lgkmcnt(3)
	v_mul_f64 v[12:13], v[54:55], v[32:33]
	v_mul_f64 v[32:33], v[56:57], v[32:33]
	v_fmac_f64_e32 v[4:5], v[52:53], v[8:9]
	v_fma_f64 v[8:9], v[50:51], v[8:9], -v[10:11]
	s_waitcnt vmcnt(3) lgkmcnt(2)
	v_mul_f64 v[70:71], v[58:59], v[36:37]
	v_mul_f64 v[36:37], v[60:61], v[36:37]
	v_fmac_f64_e32 v[12:13], v[56:57], v[30:31]
	v_fma_f64 v[10:11], v[54:55], v[30:31], -v[32:33]
	v_add_f64 v[4:5], v[4:5], 0
	v_add_f64 v[8:9], v[8:9], 0
	s_waitcnt vmcnt(2) lgkmcnt(1)
	v_mul_f64 v[72:73], v[62:63], v[40:41]
	v_mul_f64 v[40:41], v[64:65], v[40:41]
	v_fmac_f64_e32 v[70:71], v[60:61], v[34:35]
	v_fma_f64 v[30:31], v[58:59], v[34:35], -v[36:37]
	v_add_f64 v[4:5], v[4:5], v[12:13]
	v_add_f64 v[8:9], v[8:9], v[10:11]
	s_waitcnt vmcnt(1) lgkmcnt(0)
	v_mul_f64 v[74:75], v[66:67], v[44:45]
	v_mul_f64 v[44:45], v[68:69], v[44:45]
	v_fmac_f64_e32 v[72:73], v[64:65], v[38:39]
	v_fma_f64 v[32:33], v[62:63], v[38:39], -v[40:41]
	v_add_f64 v[4:5], v[4:5], v[70:71]
	v_add_f64 v[8:9], v[8:9], v[30:31]
	v_fmac_f64_e32 v[74:75], v[68:69], v[42:43]
	v_fma_f64 v[34:35], v[66:67], v[42:43], -v[44:45]
	v_add_f64 v[4:5], v[4:5], v[72:73]
	v_add_f64 v[8:9], v[8:9], v[32:33]
	;; [unrolled: 1-line block ×4, first 2 shown]
	s_waitcnt vmcnt(0)
	v_add_f64 v[8:9], v[46:47], -v[8:9]
	v_add_f64 v[10:11], v[48:49], -v[4:5]
	scratch_store_dwordx4 off, v[8:11], off offset:32
	s_and_saveexec_b64 s[2:3], vcc
	s_cbranch_execz .LBB7_59
; %bb.58:
	scratch_load_dwordx4 v[8:11], off, s17
	v_mov_b32_e32 v3, v2
	v_mov_b32_e32 v4, v2
	;; [unrolled: 1-line block ×3, first 2 shown]
	scratch_store_dwordx4 off, v[2:5], off offset:16
	s_waitcnt vmcnt(1)
	ds_write_b128 v6, v[8:11]
.LBB7_59:
	s_or_b64 exec, exec, s[2:3]
	s_waitcnt lgkmcnt(0)
	; wave barrier
	scratch_load_dwordx4 v[8:11], off, off offset:32
	scratch_load_dwordx4 v[30:33], off, off offset:48
	;; [unrolled: 1-line block ×7, first 2 shown]
	ds_read_b128 v[54:57], v2 offset:160
	ds_read_b128 v[58:61], v2 offset:176
	;; [unrolled: 1-line block ×6, first 2 shown]
	v_cmp_ne_u32_e32 vcc, 0, v1
	s_waitcnt vmcnt(6) lgkmcnt(5)
	v_mul_f64 v[12:13], v[54:55], v[10:11]
	v_mul_f64 v[10:11], v[56:57], v[10:11]
	s_waitcnt vmcnt(5) lgkmcnt(4)
	v_mul_f64 v[74:75], v[58:59], v[32:33]
	v_mul_f64 v[32:33], v[60:61], v[32:33]
	v_fmac_f64_e32 v[12:13], v[56:57], v[8:9]
	s_waitcnt vmcnt(1) lgkmcnt(0)
	v_mul_f64 v[82:83], v[2:3], v[48:49]
	v_fma_f64 v[8:9], v[54:55], v[8:9], -v[10:11]
	v_mul_f64 v[76:77], v[62:63], v[36:37]
	v_mul_f64 v[36:37], v[64:65], v[36:37]
	;; [unrolled: 1-line block ×3, first 2 shown]
	v_fmac_f64_e32 v[74:75], v[60:61], v[30:31]
	v_fmac_f64_e32 v[82:83], v[4:5], v[46:47]
	v_fma_f64 v[4:5], v[58:59], v[30:31], -v[32:33]
	v_add_f64 v[12:13], v[12:13], 0
	v_add_f64 v[8:9], v[8:9], 0
	v_mul_f64 v[78:79], v[66:67], v[40:41]
	v_mul_f64 v[40:41], v[68:69], v[40:41]
	v_fmac_f64_e32 v[76:77], v[64:65], v[34:35]
	v_fma_f64 v[10:11], v[62:63], v[34:35], -v[36:37]
	v_add_f64 v[12:13], v[12:13], v[74:75]
	v_add_f64 v[4:5], v[8:9], v[4:5]
	v_mul_f64 v[80:81], v[70:71], v[44:45]
	v_mul_f64 v[44:45], v[72:73], v[44:45]
	v_fmac_f64_e32 v[78:79], v[68:69], v[38:39]
	v_fma_f64 v[30:31], v[66:67], v[38:39], -v[40:41]
	v_add_f64 v[8:9], v[12:13], v[76:77]
	v_add_f64 v[4:5], v[4:5], v[10:11]
	v_fmac_f64_e32 v[80:81], v[72:73], v[42:43]
	v_fma_f64 v[32:33], v[70:71], v[42:43], -v[44:45]
	v_add_f64 v[8:9], v[8:9], v[78:79]
	v_add_f64 v[4:5], v[4:5], v[30:31]
	v_fma_f64 v[2:3], v[2:3], v[46:47], -v[48:49]
	v_add_f64 v[8:9], v[8:9], v[80:81]
	v_add_f64 v[4:5], v[4:5], v[32:33]
	;; [unrolled: 1-line block ×4, first 2 shown]
	s_waitcnt vmcnt(0)
	v_add_f64 v[2:3], v[50:51], -v[2:3]
	v_add_f64 v[4:5], v[52:53], -v[8:9]
	scratch_store_dwordx4 off, v[2:5], off offset:16
	s_and_saveexec_b64 s[2:3], vcc
	s_cbranch_execz .LBB7_61
; %bb.60:
	scratch_load_dwordx4 v[2:5], off, off
	v_mov_b32_e32 v8, 0
	v_mov_b32_e32 v9, v8
	;; [unrolled: 1-line block ×4, first 2 shown]
	scratch_store_dwordx4 off, v[8:11], off
	s_waitcnt vmcnt(1)
	ds_write_b128 v6, v[2:5]
.LBB7_61:
	s_or_b64 exec, exec, s[2:3]
	s_waitcnt lgkmcnt(0)
	; wave barrier
	scratch_load_dwordx4 v[4:7], off, off offset:16
	scratch_load_dwordx4 v[8:11], off, off offset:32
	;; [unrolled: 1-line block ×7, first 2 shown]
	scratch_load_dwordx4 v[50:53], off, off
	v_mov_b32_e32 v2, 0
	ds_read_b128 v[54:57], v2 offset:144
	ds_read_b128 v[58:61], v2 offset:160
	;; [unrolled: 1-line block ×7, first 2 shown]
	s_and_b64 vcc, exec, s[22:23]
	s_waitcnt vmcnt(7) lgkmcnt(6)
	v_mul_f64 v[12:13], v[54:55], v[6:7]
	v_mul_f64 v[6:7], v[56:57], v[6:7]
	s_waitcnt vmcnt(6) lgkmcnt(5)
	v_mul_f64 v[82:83], v[58:59], v[10:11]
	v_mul_f64 v[10:11], v[60:61], v[10:11]
	v_fmac_f64_e32 v[12:13], v[56:57], v[4:5]
	v_fma_f64 v[4:5], v[54:55], v[4:5], -v[6:7]
	s_waitcnt vmcnt(5) lgkmcnt(4)
	v_mul_f64 v[84:85], v[62:63], v[32:33]
	v_mul_f64 v[32:33], v[64:65], v[32:33]
	v_fmac_f64_e32 v[82:83], v[60:61], v[8:9]
	v_fma_f64 v[6:7], v[58:59], v[8:9], -v[10:11]
	v_add_f64 v[12:13], v[12:13], 0
	v_add_f64 v[4:5], v[4:5], 0
	s_waitcnt vmcnt(4) lgkmcnt(3)
	v_mul_f64 v[86:87], v[66:67], v[36:37]
	v_mul_f64 v[36:37], v[68:69], v[36:37]
	v_fmac_f64_e32 v[84:85], v[64:65], v[30:31]
	v_fma_f64 v[8:9], v[62:63], v[30:31], -v[32:33]
	v_add_f64 v[12:13], v[12:13], v[82:83]
	v_add_f64 v[4:5], v[4:5], v[6:7]
	s_waitcnt vmcnt(3) lgkmcnt(2)
	v_mul_f64 v[88:89], v[70:71], v[40:41]
	v_mul_f64 v[40:41], v[72:73], v[40:41]
	v_fmac_f64_e32 v[86:87], v[68:69], v[34:35]
	v_fma_f64 v[10:11], v[66:67], v[34:35], -v[36:37]
	v_add_f64 v[6:7], v[12:13], v[84:85]
	v_add_f64 v[4:5], v[4:5], v[8:9]
	s_waitcnt vmcnt(2) lgkmcnt(1)
	v_mul_f64 v[90:91], v[74:75], v[44:45]
	v_mul_f64 v[44:45], v[76:77], v[44:45]
	v_fmac_f64_e32 v[88:89], v[72:73], v[38:39]
	v_fma_f64 v[30:31], v[70:71], v[38:39], -v[40:41]
	v_add_f64 v[6:7], v[6:7], v[86:87]
	v_add_f64 v[4:5], v[4:5], v[10:11]
	s_waitcnt vmcnt(1) lgkmcnt(0)
	v_mul_f64 v[92:93], v[78:79], v[48:49]
	v_mul_f64 v[48:49], v[80:81], v[48:49]
	v_fmac_f64_e32 v[90:91], v[76:77], v[42:43]
	v_fma_f64 v[32:33], v[74:75], v[42:43], -v[44:45]
	v_add_f64 v[6:7], v[6:7], v[88:89]
	v_add_f64 v[4:5], v[4:5], v[30:31]
	v_fmac_f64_e32 v[92:93], v[80:81], v[46:47]
	v_fma_f64 v[34:35], v[78:79], v[46:47], -v[48:49]
	v_add_f64 v[6:7], v[6:7], v[90:91]
	v_add_f64 v[4:5], v[4:5], v[32:33]
	;; [unrolled: 1-line block ×4, first 2 shown]
	s_waitcnt vmcnt(0)
	v_add_f64 v[4:5], v[50:51], -v[4:5]
	v_add_f64 v[6:7], v[52:53], -v[6:7]
	scratch_store_dwordx4 off, v[4:7], off
	s_cbranch_vccz .LBB7_76
; %bb.62:
	global_load_dword v2, v2, s[20:21] offset:24
	s_load_dwordx2 s[2:3], s[0:1], 0x4
	v_bfe_u32 v3, v0, 10, 10
	v_bfe_u32 v0, v0, 20, 10
	s_waitcnt lgkmcnt(0)
	s_lshr_b32 s0, s2, 16
	s_mul_i32 s0, s0, s3
	v_mul_u32_u24_e32 v1, s0, v1
	v_mul_u32_u24_e32 v3, s3, v3
	v_add3_u32 v0, v1, v3, v0
	v_mov_b32_e32 v1, 0x108
	v_lshl_add_u32 v0, v0, 4, v1
	s_waitcnt vmcnt(0)
	v_readfirstlane_b32 s0, v2
	s_add_i32 s0, s0, -1
	s_cmp_lg_u32 s0, 6
	s_cbranch_scc0 .LBB7_64
; %bb.63:
	s_lshl_b32 s0, s0, 4
	scratch_load_dwordx4 v[2:5], off, s19
	scratch_load_dwordx4 v[6:9], off, s0
	s_waitcnt vmcnt(1)
	ds_write2_b64 v0, v[2:3], v[4:5] offset1:1
	s_waitcnt vmcnt(0)
	scratch_store_dwordx4 off, v[6:9], s19
	scratch_store_dwordx4 off, v[2:5], s0
.LBB7_64:
	v_mov_b32_e32 v1, 0
	global_load_dword v2, v1, s[20:21] offset:20
	s_waitcnt vmcnt(0)
	v_readfirstlane_b32 s0, v2
	s_add_i32 s0, s0, -1
	s_cmp_eq_u32 s0, 5
	s_cbranch_scc1 .LBB7_66
; %bb.65:
	s_lshl_b32 s0, s0, 4
	scratch_load_dwordx4 v[2:5], off, s18
	scratch_load_dwordx4 v[6:9], off, s0
	s_waitcnt vmcnt(1)
	ds_write2_b64 v0, v[2:3], v[4:5] offset1:1
	s_waitcnt vmcnt(0)
	scratch_store_dwordx4 off, v[6:9], s18
	scratch_store_dwordx4 off, v[2:5], s0
.LBB7_66:
	global_load_dword v1, v1, s[20:21] offset:16
	s_waitcnt vmcnt(0)
	v_readfirstlane_b32 s0, v1
	s_add_i32 s0, s0, -1
	s_cmp_eq_u32 s0, 4
	s_cbranch_scc1 .LBB7_68
; %bb.67:
	s_lshl_b32 s0, s0, 4
	scratch_load_dwordx4 v[2:5], off, s16
	scratch_load_dwordx4 v[6:9], off, s0
	s_waitcnt vmcnt(1)
	ds_write2_b64 v0, v[2:3], v[4:5] offset1:1
	s_waitcnt vmcnt(0)
	scratch_store_dwordx4 off, v[6:9], s16
	scratch_store_dwordx4 off, v[2:5], s0
.LBB7_68:
	v_mov_b32_e32 v1, 0
	global_load_dword v2, v1, s[20:21] offset:12
	s_waitcnt vmcnt(0)
	v_readfirstlane_b32 s0, v2
	s_add_i32 s0, s0, -1
	s_cmp_eq_u32 s0, 3
	s_cbranch_scc1 .LBB7_70
; %bb.69:
	s_lshl_b32 s0, s0, 4
	scratch_load_dwordx4 v[2:5], off, s15
	scratch_load_dwordx4 v[6:9], off, s0
	s_waitcnt vmcnt(1)
	ds_write2_b64 v0, v[2:3], v[4:5] offset1:1
	s_waitcnt vmcnt(0)
	scratch_store_dwordx4 off, v[6:9], s15
	scratch_store_dwordx4 off, v[2:5], s0
.LBB7_70:
	global_load_dword v1, v1, s[20:21] offset:8
	s_waitcnt vmcnt(0)
	v_readfirstlane_b32 s0, v1
	s_add_i32 s0, s0, -1
	s_cmp_eq_u32 s0, 2
	s_cbranch_scc1 .LBB7_72
; %bb.71:
	s_lshl_b32 s0, s0, 4
	scratch_load_dwordx4 v[2:5], off, s14
	scratch_load_dwordx4 v[6:9], off, s0
	s_waitcnt vmcnt(1)
	ds_write2_b64 v0, v[2:3], v[4:5] offset1:1
	s_waitcnt vmcnt(0)
	scratch_store_dwordx4 off, v[6:9], s14
	scratch_store_dwordx4 off, v[2:5], s0
.LBB7_72:
	v_mov_b32_e32 v1, 0
	global_load_dword v2, v1, s[20:21] offset:4
	s_waitcnt vmcnt(0)
	v_readfirstlane_b32 s0, v2
	s_add_i32 s0, s0, -1
	s_cmp_eq_u32 s0, 1
	s_cbranch_scc1 .LBB7_74
; %bb.73:
	s_lshl_b32 s0, s0, 4
	scratch_load_dwordx4 v[2:5], off, s17
	scratch_load_dwordx4 v[6:9], off, s0
	s_waitcnt vmcnt(1)
	ds_write2_b64 v0, v[2:3], v[4:5] offset1:1
	s_waitcnt vmcnt(0)
	scratch_store_dwordx4 off, v[6:9], s17
	scratch_store_dwordx4 off, v[2:5], s0
.LBB7_74:
	global_load_dword v1, v1, s[20:21]
	s_waitcnt vmcnt(0)
	v_readfirstlane_b32 s0, v1
	s_add_i32 s0, s0, -1
	s_cmp_eq_u32 s0, 0
	s_cbranch_scc1 .LBB7_76
; %bb.75:
	s_lshl_b32 s0, s0, 4
	scratch_load_dwordx4 v[2:5], off, off
	scratch_load_dwordx4 v[6:9], off, s0
	s_waitcnt vmcnt(1)
	ds_write2_b64 v0, v[2:3], v[4:5] offset1:1
	s_waitcnt vmcnt(0)
	scratch_store_dwordx4 off, v[6:9], off
	scratch_store_dwordx4 off, v[2:5], s0
.LBB7_76:
	scratch_load_dwordx4 v[0:3], off, off
	s_nop 0
	scratch_load_dwordx4 v[4:7], off, s17
	scratch_load_dwordx4 v[8:11], off, s14
	;; [unrolled: 1-line block ×7, first 2 shown]
	s_waitcnt vmcnt(7)
	global_store_dwordx4 v[14:15], v[0:3], off
	s_waitcnt vmcnt(7)
	global_store_dwordx4 v[16:17], v[4:7], off
	;; [unrolled: 2-line block ×8, first 2 shown]
	s_endpgm
	.section	.rodata,"a",@progbits
	.p2align	6, 0x0
	.amdhsa_kernel _ZN9rocsolver6v33100L18getri_kernel_smallILi8E19rocblas_complex_numIdEPS3_EEvT1_iilPiilS6_bb
		.amdhsa_group_segment_fixed_size 1288
		.amdhsa_private_segment_fixed_size 144
		.amdhsa_kernarg_size 60
		.amdhsa_user_sgpr_count 4
		.amdhsa_user_sgpr_dispatch_ptr 1
		.amdhsa_user_sgpr_queue_ptr 0
		.amdhsa_user_sgpr_kernarg_segment_ptr 1
		.amdhsa_user_sgpr_dispatch_id 0
		.amdhsa_user_sgpr_kernarg_preload_length 0
		.amdhsa_user_sgpr_kernarg_preload_offset 0
		.amdhsa_user_sgpr_private_segment_size 0
		.amdhsa_uses_dynamic_stack 0
		.amdhsa_enable_private_segment 1
		.amdhsa_system_sgpr_workgroup_id_x 1
		.amdhsa_system_sgpr_workgroup_id_y 0
		.amdhsa_system_sgpr_workgroup_id_z 0
		.amdhsa_system_sgpr_workgroup_info 0
		.amdhsa_system_vgpr_workitem_id 2
		.amdhsa_next_free_vgpr 94
		.amdhsa_next_free_sgpr 25
		.amdhsa_accum_offset 96
		.amdhsa_reserve_vcc 1
		.amdhsa_float_round_mode_32 0
		.amdhsa_float_round_mode_16_64 0
		.amdhsa_float_denorm_mode_32 3
		.amdhsa_float_denorm_mode_16_64 3
		.amdhsa_dx10_clamp 1
		.amdhsa_ieee_mode 1
		.amdhsa_fp16_overflow 0
		.amdhsa_tg_split 0
		.amdhsa_exception_fp_ieee_invalid_op 0
		.amdhsa_exception_fp_denorm_src 0
		.amdhsa_exception_fp_ieee_div_zero 0
		.amdhsa_exception_fp_ieee_overflow 0
		.amdhsa_exception_fp_ieee_underflow 0
		.amdhsa_exception_fp_ieee_inexact 0
		.amdhsa_exception_int_div_zero 0
	.end_amdhsa_kernel
	.section	.text._ZN9rocsolver6v33100L18getri_kernel_smallILi8E19rocblas_complex_numIdEPS3_EEvT1_iilPiilS6_bb,"axG",@progbits,_ZN9rocsolver6v33100L18getri_kernel_smallILi8E19rocblas_complex_numIdEPS3_EEvT1_iilPiilS6_bb,comdat
.Lfunc_end7:
	.size	_ZN9rocsolver6v33100L18getri_kernel_smallILi8E19rocblas_complex_numIdEPS3_EEvT1_iilPiilS6_bb, .Lfunc_end7-_ZN9rocsolver6v33100L18getri_kernel_smallILi8E19rocblas_complex_numIdEPS3_EEvT1_iilPiilS6_bb
                                        ; -- End function
	.set _ZN9rocsolver6v33100L18getri_kernel_smallILi8E19rocblas_complex_numIdEPS3_EEvT1_iilPiilS6_bb.num_vgpr, 94
	.set _ZN9rocsolver6v33100L18getri_kernel_smallILi8E19rocblas_complex_numIdEPS3_EEvT1_iilPiilS6_bb.num_agpr, 0
	.set _ZN9rocsolver6v33100L18getri_kernel_smallILi8E19rocblas_complex_numIdEPS3_EEvT1_iilPiilS6_bb.numbered_sgpr, 25
	.set _ZN9rocsolver6v33100L18getri_kernel_smallILi8E19rocblas_complex_numIdEPS3_EEvT1_iilPiilS6_bb.num_named_barrier, 0
	.set _ZN9rocsolver6v33100L18getri_kernel_smallILi8E19rocblas_complex_numIdEPS3_EEvT1_iilPiilS6_bb.private_seg_size, 144
	.set _ZN9rocsolver6v33100L18getri_kernel_smallILi8E19rocblas_complex_numIdEPS3_EEvT1_iilPiilS6_bb.uses_vcc, 1
	.set _ZN9rocsolver6v33100L18getri_kernel_smallILi8E19rocblas_complex_numIdEPS3_EEvT1_iilPiilS6_bb.uses_flat_scratch, 0
	.set _ZN9rocsolver6v33100L18getri_kernel_smallILi8E19rocblas_complex_numIdEPS3_EEvT1_iilPiilS6_bb.has_dyn_sized_stack, 0
	.set _ZN9rocsolver6v33100L18getri_kernel_smallILi8E19rocblas_complex_numIdEPS3_EEvT1_iilPiilS6_bb.has_recursion, 0
	.set _ZN9rocsolver6v33100L18getri_kernel_smallILi8E19rocblas_complex_numIdEPS3_EEvT1_iilPiilS6_bb.has_indirect_call, 0
	.section	.AMDGPU.csdata,"",@progbits
; Kernel info:
; codeLenInByte = 6076
; TotalNumSgprs: 31
; NumVgprs: 94
; NumAgprs: 0
; TotalNumVgprs: 94
; ScratchSize: 144
; MemoryBound: 0
; FloatMode: 240
; IeeeMode: 1
; LDSByteSize: 1288 bytes/workgroup (compile time only)
; SGPRBlocks: 3
; VGPRBlocks: 11
; NumSGPRsForWavesPerEU: 31
; NumVGPRsForWavesPerEU: 94
; AccumOffset: 96
; Occupancy: 5
; WaveLimiterHint : 1
; COMPUTE_PGM_RSRC2:SCRATCH_EN: 1
; COMPUTE_PGM_RSRC2:USER_SGPR: 4
; COMPUTE_PGM_RSRC2:TRAP_HANDLER: 0
; COMPUTE_PGM_RSRC2:TGID_X_EN: 1
; COMPUTE_PGM_RSRC2:TGID_Y_EN: 0
; COMPUTE_PGM_RSRC2:TGID_Z_EN: 0
; COMPUTE_PGM_RSRC2:TIDIG_COMP_CNT: 2
; COMPUTE_PGM_RSRC3_GFX90A:ACCUM_OFFSET: 23
; COMPUTE_PGM_RSRC3_GFX90A:TG_SPLIT: 0
	.section	.text._ZN9rocsolver6v33100L18getri_kernel_smallILi9E19rocblas_complex_numIdEPS3_EEvT1_iilPiilS6_bb,"axG",@progbits,_ZN9rocsolver6v33100L18getri_kernel_smallILi9E19rocblas_complex_numIdEPS3_EEvT1_iilPiilS6_bb,comdat
	.globl	_ZN9rocsolver6v33100L18getri_kernel_smallILi9E19rocblas_complex_numIdEPS3_EEvT1_iilPiilS6_bb ; -- Begin function _ZN9rocsolver6v33100L18getri_kernel_smallILi9E19rocblas_complex_numIdEPS3_EEvT1_iilPiilS6_bb
	.p2align	8
	.type	_ZN9rocsolver6v33100L18getri_kernel_smallILi9E19rocblas_complex_numIdEPS3_EEvT1_iilPiilS6_bb,@function
_ZN9rocsolver6v33100L18getri_kernel_smallILi9E19rocblas_complex_numIdEPS3_EEvT1_iilPiilS6_bb: ; @_ZN9rocsolver6v33100L18getri_kernel_smallILi9E19rocblas_complex_numIdEPS3_EEvT1_iilPiilS6_bb
; %bb.0:
	v_and_b32_e32 v1, 0x3ff, v0
	v_cmp_gt_u32_e32 vcc, 9, v1
	s_and_saveexec_b64 s[6:7], vcc
	s_cbranch_execz .LBB8_50
; %bb.1:
	s_load_dword s6, s[2:3], 0x38
	s_load_dwordx4 s[16:19], s[2:3], 0x10
	s_load_dwordx4 s[8:11], s[2:3], 0x28
                                        ; implicit-def: $sgpr20_sgpr21
	s_waitcnt lgkmcnt(0)
	s_bitcmp1_b32 s6, 8
	s_cselect_b64 s[22:23], -1, 0
	s_ashr_i32 s5, s4, 31
	s_bfe_u32 s6, s6, 0x10008
	s_cmp_eq_u32 s6, 0
	s_cbranch_scc1 .LBB8_3
; %bb.2:
	s_load_dword s6, s[2:3], 0x20
	s_mul_i32 s7, s8, s5
	s_mul_hi_u32 s12, s8, s4
	s_mul_i32 s9, s9, s4
	s_add_i32 s12, s12, s7
	s_add_i32 s9, s12, s9
	s_mul_i32 s8, s8, s4
	s_waitcnt lgkmcnt(0)
	s_ashr_i32 s7, s6, 31
	s_lshl_b64 s[8:9], s[8:9], 2
	s_add_u32 s8, s18, s8
	s_addc_u32 s9, s19, s9
	s_lshl_b64 s[6:7], s[6:7], 2
	s_add_u32 s20, s8, s6
	s_addc_u32 s21, s9, s7
.LBB8_3:
	s_load_dwordx4 s[12:15], s[2:3], 0x0
	s_load_dword s8, s[2:3], 0x38
	s_mul_i32 s6, s16, s5
	s_mul_hi_u32 s7, s16, s4
	s_add_i32 s6, s7, s6
	s_mul_i32 s7, s17, s4
	s_add_i32 s7, s6, s7
	s_mul_i32 s6, s16, s4
	s_waitcnt lgkmcnt(0)
	s_ashr_i32 s3, s14, 31
	s_lshl_b64 s[6:7], s[6:7], 4
	s_mov_b32 s2, s14
	s_add_u32 s6, s12, s6
	s_addc_u32 s7, s13, s7
	s_lshl_b64 s[2:3], s[2:3], 4
	s_add_u32 s2, s6, s2
	s_addc_u32 s3, s7, s3
	v_lshlrev_b32_e32 v32, 4, v1
	v_mov_b32_e32 v33, 0
	v_lshl_add_u64 v[14:15], s[2:3], 0, v[32:33]
	s_ashr_i32 s7, s15, 31
	s_mov_b32 s6, s15
	v_lshl_add_u64 v[16:17], s[6:7], 4, v[14:15]
	s_add_i32 s6, s15, s15
	v_add_u32_e32 v20, s6, v1
	v_add_u32_e32 v22, s15, v20
	;; [unrolled: 1-line block ×6, first 2 shown]
	v_ashrrev_i32_e32 v21, 31, v20
	v_ashrrev_i32_e32 v23, 31, v22
	;; [unrolled: 1-line block ×6, first 2 shown]
	v_lshl_add_u64 v[18:19], v[20:21], 4, s[2:3]
	v_lshl_add_u64 v[20:21], v[22:23], 4, s[2:3]
	;; [unrolled: 1-line block ×6, first 2 shown]
	v_add_u32_e32 v30, s15, v30
	v_ashrrev_i32_e32 v31, 31, v30
	global_load_dwordx4 v[2:5], v32, s[2:3]
	global_load_dwordx4 v[6:9], v[16:17], off
	global_load_dwordx4 v[10:13], v[18:19], off
	;; [unrolled: 1-line block ×6, first 2 shown]
	v_lshl_add_u64 v[30:31], v[30:31], 4, s[2:3]
	global_load_dwordx4 v[50:53], v[28:29], off
	global_load_dwordx4 v[54:57], v[30:31], off
	s_movk_i32 s19, 0x50
	s_movk_i32 s24, 0x60
	;; [unrolled: 1-line block ×4, first 2 shown]
	s_mov_b32 s17, 16
	s_mov_b32 s14, 32
	;; [unrolled: 1-line block ×4, first 2 shown]
	s_bitcmp0_b32 s8, 0
	s_mov_b64 s[6:7], -1
	s_waitcnt vmcnt(8)
	scratch_store_dwordx4 off, v[2:5], off
	s_waitcnt vmcnt(8)
	scratch_store_dwordx4 off, v[6:9], off offset:16
	s_waitcnt vmcnt(8)
	scratch_store_dwordx4 off, v[10:13], off offset:32
	;; [unrolled: 2-line block ×8, first 2 shown]
	s_cbranch_scc1 .LBB8_48
; %bb.4:
	v_cmp_eq_u32_e64 s[2:3], 0, v1
	s_and_saveexec_b64 s[6:7], s[2:3]
; %bb.5:
	v_mov_b32_e32 v2, 0
	ds_write_b32 v2, v2 offset:288
; %bb.6:
	s_or_b64 exec, exec, s[6:7]
	s_waitcnt lgkmcnt(0)
	; wave barrier
	scratch_load_dwordx4 v[2:5], v32, off
	s_waitcnt vmcnt(0)
	v_cmp_eq_f64_e32 vcc, 0, v[2:3]
	v_cmp_eq_f64_e64 s[6:7], 0, v[4:5]
	s_and_b64 s[6:7], vcc, s[6:7]
	s_and_saveexec_b64 s[8:9], s[6:7]
	s_cbranch_execz .LBB8_10
; %bb.7:
	v_mov_b32_e32 v2, 0
	ds_read_b32 v4, v2 offset:288
	v_add_u32_e32 v3, 1, v1
	s_waitcnt lgkmcnt(0)
	v_readfirstlane_b32 s6, v4
	s_cmp_eq_u32 s6, 0
	s_cselect_b64 s[12:13], -1, 0
	v_cmp_gt_i32_e32 vcc, s6, v3
	s_or_b64 s[12:13], s[12:13], vcc
	s_and_b64 exec, exec, s[12:13]
	s_cbranch_execz .LBB8_10
; %bb.8:
	s_mov_b64 s[12:13], 0
	v_mov_b32_e32 v4, s6
.LBB8_9:                                ; =>This Inner Loop Header: Depth=1
	ds_cmpst_rtn_b32 v4, v2, v4, v3 offset:288
	s_waitcnt lgkmcnt(0)
	v_cmp_ne_u32_e32 vcc, 0, v4
	v_cmp_le_i32_e64 s[6:7], v4, v3
	s_and_b64 s[6:7], vcc, s[6:7]
	s_and_b64 s[6:7], exec, s[6:7]
	s_or_b64 s[12:13], s[6:7], s[12:13]
	s_andn2_b64 exec, exec, s[12:13]
	s_cbranch_execnz .LBB8_9
.LBB8_10:
	s_or_b64 exec, exec, s[8:9]
	v_mov_b32_e32 v3, 0
	; wave barrier
	ds_read_b32 v2, v3 offset:288
	s_and_saveexec_b64 s[6:7], s[2:3]
	s_cbranch_execz .LBB8_12
; %bb.11:
	s_lshl_b64 s[8:9], s[4:5], 2
	s_add_u32 s8, s10, s8
	s_addc_u32 s9, s11, s9
	s_waitcnt lgkmcnt(0)
	global_store_dword v3, v2, s[8:9]
.LBB8_12:
	s_or_b64 exec, exec, s[6:7]
	s_waitcnt lgkmcnt(0)
	v_cmp_ne_u32_e32 vcc, 0, v2
	s_mov_b64 s[6:7], 0
	s_cbranch_vccnz .LBB8_48
; %bb.13:
	v_mov_b32_e32 v33, v32
	scratch_load_dwordx4 v[2:5], v33, off
                                        ; implicit-def: $vgpr6_vgpr7
                                        ; implicit-def: $vgpr10_vgpr11
	s_waitcnt vmcnt(0)
	v_cmp_ngt_f64_e64 s[6:7], |v[2:3]|, |v[4:5]|
	s_and_saveexec_b64 s[8:9], s[6:7]
	s_xor_b64 s[6:7], exec, s[8:9]
	s_cbranch_execz .LBB8_15
; %bb.14:
	v_div_scale_f64 v[6:7], s[8:9], v[4:5], v[4:5], v[2:3]
	v_rcp_f64_e32 v[8:9], v[6:7]
	v_div_scale_f64 v[10:11], vcc, v[2:3], v[4:5], v[2:3]
	v_fma_f64 v[12:13], -v[6:7], v[8:9], 1.0
	v_fmac_f64_e32 v[8:9], v[8:9], v[12:13]
	v_fma_f64 v[12:13], -v[6:7], v[8:9], 1.0
	v_fmac_f64_e32 v[8:9], v[8:9], v[12:13]
	v_mul_f64 v[12:13], v[10:11], v[8:9]
	v_fma_f64 v[6:7], -v[6:7], v[12:13], v[10:11]
	v_div_fmas_f64 v[6:7], v[6:7], v[8:9], v[12:13]
	v_div_fixup_f64 v[6:7], v[6:7], v[4:5], v[2:3]
	v_fmac_f64_e32 v[4:5], v[2:3], v[6:7]
	v_div_scale_f64 v[2:3], s[8:9], v[4:5], v[4:5], 1.0
	v_rcp_f64_e32 v[8:9], v[2:3]
	s_nop 0
	v_fma_f64 v[10:11], -v[2:3], v[8:9], 1.0
	v_fmac_f64_e32 v[8:9], v[8:9], v[10:11]
	v_fma_f64 v[10:11], -v[2:3], v[8:9], 1.0
	v_fmac_f64_e32 v[8:9], v[8:9], v[10:11]
	v_div_scale_f64 v[10:11], vcc, 1.0, v[4:5], 1.0
	v_mul_f64 v[12:13], v[10:11], v[8:9]
	v_fma_f64 v[2:3], -v[2:3], v[12:13], v[10:11]
	s_nop 1
	v_div_fmas_f64 v[2:3], v[2:3], v[8:9], v[12:13]
	v_div_fixup_f64 v[8:9], v[2:3], v[4:5], 1.0
	v_mul_f64 v[6:7], v[6:7], v[8:9]
	v_xor_b32_e32 v9, 0x80000000, v9
	v_xor_b32_e32 v11, 0x80000000, v7
	v_mov_b32_e32 v10, v6
                                        ; implicit-def: $vgpr2_vgpr3
.LBB8_15:
	s_andn2_saveexec_b64 s[6:7], s[6:7]
	s_cbranch_execz .LBB8_17
; %bb.16:
	v_div_scale_f64 v[6:7], s[8:9], v[2:3], v[2:3], v[4:5]
	v_rcp_f64_e32 v[8:9], v[6:7]
	v_div_scale_f64 v[10:11], vcc, v[4:5], v[2:3], v[4:5]
	v_fma_f64 v[12:13], -v[6:7], v[8:9], 1.0
	v_fmac_f64_e32 v[8:9], v[8:9], v[12:13]
	v_fma_f64 v[12:13], -v[6:7], v[8:9], 1.0
	v_fmac_f64_e32 v[8:9], v[8:9], v[12:13]
	v_mul_f64 v[12:13], v[10:11], v[8:9]
	v_fma_f64 v[6:7], -v[6:7], v[12:13], v[10:11]
	v_div_fmas_f64 v[6:7], v[6:7], v[8:9], v[12:13]
	v_div_fixup_f64 v[8:9], v[6:7], v[2:3], v[4:5]
	v_fmac_f64_e32 v[2:3], v[4:5], v[8:9]
	v_div_scale_f64 v[4:5], s[8:9], v[2:3], v[2:3], 1.0
	v_rcp_f64_e32 v[6:7], v[4:5]
	s_nop 0
	v_fma_f64 v[10:11], -v[4:5], v[6:7], 1.0
	v_fmac_f64_e32 v[6:7], v[6:7], v[10:11]
	v_fma_f64 v[10:11], -v[4:5], v[6:7], 1.0
	v_fmac_f64_e32 v[6:7], v[6:7], v[10:11]
	v_div_scale_f64 v[10:11], vcc, 1.0, v[2:3], 1.0
	v_mul_f64 v[12:13], v[10:11], v[6:7]
	v_fma_f64 v[4:5], -v[4:5], v[12:13], v[10:11]
	s_nop 1
	v_div_fmas_f64 v[4:5], v[4:5], v[6:7], v[12:13]
	v_div_fixup_f64 v[6:7], v[4:5], v[2:3], 1.0
	v_xor_b32_e32 v11, 0x80000000, v7
	v_mov_b32_e32 v10, v6
	v_mul_f64 v[8:9], v[8:9], -v[6:7]
.LBB8_17:
	s_or_b64 exec, exec, s[6:7]
	scratch_store_dwordx4 v33, v[6:9], off
	scratch_load_dwordx4 v[2:5], off, s17
	v_xor_b32_e32 v13, 0x80000000, v9
	v_mov_b32_e32 v12, v8
	v_add_u32_e32 v6, 0x90, v32
	ds_write_b128 v32, v[10:13]
	s_waitcnt vmcnt(0)
	ds_write_b128 v32, v[2:5] offset:144
	s_waitcnt lgkmcnt(0)
	; wave barrier
	s_and_saveexec_b64 s[6:7], s[2:3]
	s_cbranch_execz .LBB8_19
; %bb.18:
	scratch_load_dwordx4 v[2:5], v33, off
	ds_read_b128 v[8:11], v6
	v_mov_b32_e32 v7, 0
	ds_read_b128 v[34:37], v7 offset:16
	s_waitcnt vmcnt(0) lgkmcnt(1)
	v_mul_f64 v[12:13], v[10:11], v[4:5]
	v_mul_f64 v[4:5], v[8:9], v[4:5]
	v_fma_f64 v[8:9], v[8:9], v[2:3], -v[12:13]
	v_fmac_f64_e32 v[4:5], v[10:11], v[2:3]
	v_add_f64 v[2:3], v[8:9], 0
	v_add_f64 v[8:9], v[4:5], 0
	s_waitcnt lgkmcnt(0)
	v_mul_f64 v[10:11], v[8:9], v[36:37]
	v_mul_f64 v[4:5], v[2:3], v[36:37]
	v_fma_f64 v[2:3], v[2:3], v[34:35], -v[10:11]
	v_fmac_f64_e32 v[4:5], v[8:9], v[34:35]
	scratch_store_dwordx4 off, v[2:5], off offset:16
.LBB8_19:
	s_or_b64 exec, exec, s[6:7]
	; wave barrier
	scratch_load_dwordx4 v[2:5], off, s14
	v_cmp_gt_u32_e32 vcc, 2, v1
	s_waitcnt vmcnt(0)
	ds_write_b128 v6, v[2:5]
	s_waitcnt lgkmcnt(0)
	; wave barrier
	s_and_saveexec_b64 s[6:7], vcc
	s_cbranch_execz .LBB8_23
; %bb.20:
	scratch_load_dwordx4 v[2:5], v33, off
	ds_read_b128 v[8:11], v6
	s_waitcnt vmcnt(0) lgkmcnt(0)
	v_mul_f64 v[12:13], v[10:11], v[4:5]
	v_mul_f64 v[34:35], v[8:9], v[4:5]
	v_fma_f64 v[4:5], v[8:9], v[2:3], -v[12:13]
	v_fmac_f64_e32 v[34:35], v[10:11], v[2:3]
	v_add_f64 v[4:5], v[4:5], 0
	v_add_f64 v[2:3], v[34:35], 0
	s_and_saveexec_b64 s[8:9], s[2:3]
	s_cbranch_execz .LBB8_22
; %bb.21:
	scratch_load_dwordx4 v[8:11], off, off offset:16
	v_mov_b32_e32 v7, 0
	ds_read_b128 v[34:37], v7 offset:160
	s_waitcnt vmcnt(0) lgkmcnt(0)
	v_mul_f64 v[12:13], v[34:35], v[10:11]
	v_mul_f64 v[10:11], v[36:37], v[10:11]
	v_fmac_f64_e32 v[12:13], v[36:37], v[8:9]
	v_fma_f64 v[8:9], v[34:35], v[8:9], -v[10:11]
	v_add_f64 v[2:3], v[2:3], v[12:13]
	v_add_f64 v[4:5], v[4:5], v[8:9]
.LBB8_22:
	s_or_b64 exec, exec, s[8:9]
	v_mov_b32_e32 v7, 0
	ds_read_b128 v[8:11], v7 offset:32
	s_waitcnt lgkmcnt(0)
	v_mul_f64 v[34:35], v[2:3], v[10:11]
	v_mul_f64 v[12:13], v[4:5], v[10:11]
	v_fma_f64 v[10:11], v[4:5], v[8:9], -v[34:35]
	v_fmac_f64_e32 v[12:13], v[2:3], v[8:9]
	scratch_store_dwordx4 off, v[10:13], off offset:32
.LBB8_23:
	s_or_b64 exec, exec, s[6:7]
	; wave barrier
	scratch_load_dwordx4 v[2:5], off, s15
	v_cmp_gt_u32_e32 vcc, 3, v1
	v_add_u32_e32 v7, -1, v1
	s_waitcnt vmcnt(0)
	ds_write_b128 v6, v[2:5]
	s_waitcnt lgkmcnt(0)
	; wave barrier
	s_and_saveexec_b64 s[2:3], vcc
	s_cbranch_execz .LBB8_27
; %bb.24:
	v_add_u32_e32 v8, -1, v1
	v_add_u32_e32 v9, 0x90, v32
	v_mov_b32_e32 v10, v32
	v_mov_b64_e32 v[2:3], 0
	s_mov_b64 s[6:7], 0
	v_mov_b64_e32 v[4:5], 0
.LBB8_25:                               ; =>This Inner Loop Header: Depth=1
	scratch_load_dwordx4 v[34:37], v10, off
	ds_read_b128 v[38:41], v9
	v_add_u32_e32 v8, 1, v8
	v_cmp_lt_u32_e32 vcc, 1, v8
	v_add_u32_e32 v9, 16, v9
	v_add_u32_e32 v10, 16, v10
	s_or_b64 s[6:7], vcc, s[6:7]
	s_waitcnt vmcnt(0) lgkmcnt(0)
	v_mul_f64 v[12:13], v[40:41], v[36:37]
	v_mul_f64 v[36:37], v[38:39], v[36:37]
	v_fma_f64 v[12:13], v[38:39], v[34:35], -v[12:13]
	v_fmac_f64_e32 v[36:37], v[40:41], v[34:35]
	v_add_f64 v[4:5], v[4:5], v[12:13]
	v_add_f64 v[2:3], v[2:3], v[36:37]
	s_andn2_b64 exec, exec, s[6:7]
	s_cbranch_execnz .LBB8_25
; %bb.26:
	s_or_b64 exec, exec, s[6:7]
	v_mov_b32_e32 v8, 0
	ds_read_b128 v[8:11], v8 offset:48
	s_waitcnt lgkmcnt(0)
	v_mul_f64 v[34:35], v[2:3], v[10:11]
	v_mul_f64 v[12:13], v[4:5], v[10:11]
	v_fma_f64 v[10:11], v[4:5], v[8:9], -v[34:35]
	v_fmac_f64_e32 v[12:13], v[2:3], v[8:9]
	scratch_store_dwordx4 off, v[10:13], off offset:48
.LBB8_27:
	s_or_b64 exec, exec, s[2:3]
	; wave barrier
	scratch_load_dwordx4 v[2:5], off, s16
	v_cmp_gt_u32_e32 vcc, 4, v1
	s_waitcnt vmcnt(0)
	ds_write_b128 v6, v[2:5]
	s_waitcnt lgkmcnt(0)
	; wave barrier
	s_and_saveexec_b64 s[2:3], vcc
	s_cbranch_execz .LBB8_31
; %bb.28:
	v_add_u32_e32 v8, -1, v1
	v_add_u32_e32 v9, 0x90, v32
	v_mov_b32_e32 v10, v32
	v_mov_b64_e32 v[2:3], 0
	s_mov_b64 s[6:7], 0
	v_mov_b64_e32 v[4:5], 0
.LBB8_29:                               ; =>This Inner Loop Header: Depth=1
	scratch_load_dwordx4 v[34:37], v10, off
	ds_read_b128 v[38:41], v9
	v_add_u32_e32 v8, 1, v8
	v_cmp_lt_u32_e32 vcc, 2, v8
	v_add_u32_e32 v9, 16, v9
	v_add_u32_e32 v10, 16, v10
	s_or_b64 s[6:7], vcc, s[6:7]
	s_waitcnt vmcnt(0) lgkmcnt(0)
	v_mul_f64 v[12:13], v[40:41], v[36:37]
	v_mul_f64 v[36:37], v[38:39], v[36:37]
	v_fma_f64 v[12:13], v[38:39], v[34:35], -v[12:13]
	v_fmac_f64_e32 v[36:37], v[40:41], v[34:35]
	v_add_f64 v[4:5], v[4:5], v[12:13]
	v_add_f64 v[2:3], v[2:3], v[36:37]
	s_andn2_b64 exec, exec, s[6:7]
	s_cbranch_execnz .LBB8_29
; %bb.30:
	s_or_b64 exec, exec, s[6:7]
	v_mov_b32_e32 v8, 0
	ds_read_b128 v[8:11], v8 offset:64
	s_waitcnt lgkmcnt(0)
	v_mul_f64 v[34:35], v[2:3], v[10:11]
	v_mul_f64 v[12:13], v[4:5], v[10:11]
	v_fma_f64 v[10:11], v[4:5], v[8:9], -v[34:35]
	v_fmac_f64_e32 v[12:13], v[2:3], v[8:9]
	scratch_store_dwordx4 off, v[10:13], off offset:64
.LBB8_31:
	s_or_b64 exec, exec, s[2:3]
	; wave barrier
	scratch_load_dwordx4 v[2:5], off, s19
	v_cmp_gt_u32_e32 vcc, 5, v1
	;; [unrolled: 45-line block ×4, first 2 shown]
	s_waitcnt vmcnt(0)
	ds_write_b128 v6, v[2:5]
	s_waitcnt lgkmcnt(0)
	; wave barrier
	s_and_saveexec_b64 s[2:3], vcc
	s_cbranch_execz .LBB8_43
; %bb.40:
	v_add_u32_e32 v8, -1, v1
	v_add_u32_e32 v9, 0x90, v32
	v_mov_b32_e32 v10, v32
	v_mov_b64_e32 v[2:3], 0
	s_mov_b64 s[6:7], 0
	v_mov_b64_e32 v[4:5], 0
.LBB8_41:                               ; =>This Inner Loop Header: Depth=1
	scratch_load_dwordx4 v[34:37], v10, off
	ds_read_b128 v[38:41], v9
	v_add_u32_e32 v8, 1, v8
	v_cmp_lt_u32_e32 vcc, 5, v8
	v_add_u32_e32 v9, 16, v9
	v_add_u32_e32 v10, 16, v10
	s_or_b64 s[6:7], vcc, s[6:7]
	s_waitcnt vmcnt(0) lgkmcnt(0)
	v_mul_f64 v[12:13], v[40:41], v[36:37]
	v_mul_f64 v[36:37], v[38:39], v[36:37]
	v_fma_f64 v[12:13], v[38:39], v[34:35], -v[12:13]
	v_fmac_f64_e32 v[36:37], v[40:41], v[34:35]
	v_add_f64 v[4:5], v[4:5], v[12:13]
	v_add_f64 v[2:3], v[2:3], v[36:37]
	s_andn2_b64 exec, exec, s[6:7]
	s_cbranch_execnz .LBB8_41
; %bb.42:
	s_or_b64 exec, exec, s[6:7]
	v_mov_b32_e32 v8, 0
	ds_read_b128 v[8:11], v8 offset:112
	s_waitcnt lgkmcnt(0)
	v_mul_f64 v[34:35], v[2:3], v[10:11]
	v_mul_f64 v[12:13], v[4:5], v[10:11]
	v_fma_f64 v[10:11], v[4:5], v[8:9], -v[34:35]
	v_fmac_f64_e32 v[12:13], v[2:3], v[8:9]
	scratch_store_dwordx4 off, v[10:13], off offset:112
.LBB8_43:
	s_or_b64 exec, exec, s[2:3]
	; wave barrier
	scratch_load_dwordx4 v[2:5], off, s18
	v_cmp_ne_u32_e32 vcc, 8, v1
	s_waitcnt vmcnt(0)
	ds_write_b128 v6, v[2:5]
	s_waitcnt lgkmcnt(0)
	; wave barrier
	s_and_saveexec_b64 s[2:3], vcc
	s_cbranch_execz .LBB8_47
; %bb.44:
	v_add_u32_e32 v6, 0x90, v32
	v_mov_b32_e32 v8, v32
	v_mov_b64_e32 v[2:3], 0
	s_mov_b64 s[6:7], 0
	v_mov_b64_e32 v[4:5], 0
.LBB8_45:                               ; =>This Inner Loop Header: Depth=1
	scratch_load_dwordx4 v[10:13], v8, off
	ds_read_b128 v[32:35], v6
	v_add_u32_e32 v7, 1, v7
	v_cmp_lt_u32_e32 vcc, 6, v7
	v_add_u32_e32 v6, 16, v6
	v_add_u32_e32 v8, 16, v8
	s_or_b64 s[6:7], vcc, s[6:7]
	s_waitcnt vmcnt(0) lgkmcnt(0)
	v_mul_f64 v[36:37], v[34:35], v[12:13]
	v_mul_f64 v[12:13], v[32:33], v[12:13]
	v_fma_f64 v[32:33], v[32:33], v[10:11], -v[36:37]
	v_fmac_f64_e32 v[12:13], v[34:35], v[10:11]
	v_add_f64 v[4:5], v[4:5], v[32:33]
	v_add_f64 v[2:3], v[2:3], v[12:13]
	s_andn2_b64 exec, exec, s[6:7]
	s_cbranch_execnz .LBB8_45
; %bb.46:
	s_or_b64 exec, exec, s[6:7]
	v_mov_b32_e32 v6, 0
	ds_read_b128 v[6:9], v6 offset:128
	s_waitcnt lgkmcnt(0)
	v_mul_f64 v[12:13], v[2:3], v[8:9]
	v_mul_f64 v[10:11], v[4:5], v[8:9]
	v_fma_f64 v[8:9], v[4:5], v[6:7], -v[12:13]
	v_fmac_f64_e32 v[10:11], v[2:3], v[6:7]
	scratch_store_dwordx4 off, v[8:11], off offset:128
.LBB8_47:
	s_or_b64 exec, exec, s[2:3]
	s_mov_b64 s[6:7], -1
	; wave barrier
.LBB8_48:
	s_and_b64 vcc, exec, s[6:7]
	s_cbranch_vccz .LBB8_50
; %bb.49:
	s_lshl_b64 s[2:3], s[4:5], 2
	s_add_u32 s2, s10, s2
	s_addc_u32 s3, s11, s3
	v_mov_b32_e32 v2, 0
	global_load_dword v2, v2, s[2:3]
	s_waitcnt vmcnt(0)
	v_cmp_ne_u32_e32 vcc, 0, v2
	s_cbranch_vccz .LBB8_51
.LBB8_50:
	s_endpgm
.LBB8_51:
	v_mov_b32_e32 v2, 0x90
	v_lshl_add_u32 v6, v1, 4, v2
	v_cmp_eq_u32_e32 vcc, 8, v1
	s_and_saveexec_b64 s[2:3], vcc
	s_cbranch_execz .LBB8_53
; %bb.52:
	scratch_load_dwordx4 v[2:5], off, s25
	v_mov_b32_e32 v8, 0
	v_mov_b32_e32 v9, v8
	;; [unrolled: 1-line block ×4, first 2 shown]
	scratch_store_dwordx4 off, v[8:11], off offset:112
	s_waitcnt vmcnt(1)
	ds_write_b128 v6, v[2:5]
.LBB8_53:
	s_or_b64 exec, exec, s[2:3]
	s_waitcnt lgkmcnt(0)
	; wave barrier
	scratch_load_dwordx4 v[8:11], off, off offset:128
	scratch_load_dwordx4 v[32:35], off, off offset:112
	v_mov_b32_e32 v2, 0
	ds_read_b128 v[36:39], v2 offset:272
	v_cmp_lt_u32_e32 vcc, 6, v1
	s_waitcnt vmcnt(1) lgkmcnt(0)
	v_mul_f64 v[4:5], v[36:37], v[10:11]
	v_mul_f64 v[10:11], v[38:39], v[10:11]
	v_fmac_f64_e32 v[4:5], v[38:39], v[8:9]
	v_fma_f64 v[8:9], v[36:37], v[8:9], -v[10:11]
	v_add_f64 v[4:5], v[4:5], 0
	v_add_f64 v[8:9], v[8:9], 0
	s_waitcnt vmcnt(0)
	v_add_f64 v[8:9], v[32:33], -v[8:9]
	v_add_f64 v[10:11], v[34:35], -v[4:5]
	scratch_store_dwordx4 off, v[8:11], off offset:112
	s_and_saveexec_b64 s[2:3], vcc
	s_cbranch_execz .LBB8_55
; %bb.54:
	scratch_load_dwordx4 v[8:11], off, s24
	v_mov_b32_e32 v3, v2
	v_mov_b32_e32 v4, v2
	;; [unrolled: 1-line block ×3, first 2 shown]
	scratch_store_dwordx4 off, v[2:5], off offset:96
	s_waitcnt vmcnt(1)
	ds_write_b128 v6, v[8:11]
.LBB8_55:
	s_or_b64 exec, exec, s[2:3]
	s_waitcnt lgkmcnt(0)
	; wave barrier
	scratch_load_dwordx4 v[8:11], off, off offset:112
	scratch_load_dwordx4 v[32:35], off, off offset:128
	;; [unrolled: 1-line block ×3, first 2 shown]
	ds_read_b128 v[40:43], v2 offset:256
	ds_read_b128 v[2:5], v2 offset:272
	v_cmp_lt_u32_e32 vcc, 5, v1
	s_waitcnt vmcnt(2) lgkmcnt(1)
	v_mul_f64 v[12:13], v[40:41], v[10:11]
	s_waitcnt vmcnt(1) lgkmcnt(0)
	v_mul_f64 v[44:45], v[2:3], v[34:35]
	v_mul_f64 v[10:11], v[42:43], v[10:11]
	;; [unrolled: 1-line block ×3, first 2 shown]
	v_fmac_f64_e32 v[12:13], v[42:43], v[8:9]
	v_fmac_f64_e32 v[44:45], v[4:5], v[32:33]
	v_fma_f64 v[4:5], v[40:41], v[8:9], -v[10:11]
	v_fma_f64 v[2:3], v[2:3], v[32:33], -v[34:35]
	v_add_f64 v[8:9], v[12:13], 0
	v_add_f64 v[4:5], v[4:5], 0
	;; [unrolled: 1-line block ×4, first 2 shown]
	s_waitcnt vmcnt(0)
	v_add_f64 v[2:3], v[36:37], -v[2:3]
	v_add_f64 v[4:5], v[38:39], -v[8:9]
	scratch_store_dwordx4 off, v[2:5], off offset:96
	s_and_saveexec_b64 s[2:3], vcc
	s_cbranch_execz .LBB8_57
; %bb.56:
	scratch_load_dwordx4 v[2:5], off, s19
	v_mov_b32_e32 v8, 0
	v_mov_b32_e32 v9, v8
	;; [unrolled: 1-line block ×4, first 2 shown]
	scratch_store_dwordx4 off, v[8:11], off offset:80
	s_waitcnt vmcnt(1)
	ds_write_b128 v6, v[2:5]
.LBB8_57:
	s_or_b64 exec, exec, s[2:3]
	s_waitcnt lgkmcnt(0)
	; wave barrier
	scratch_load_dwordx4 v[8:11], off, off offset:96
	scratch_load_dwordx4 v[32:35], off, off offset:112
	;; [unrolled: 1-line block ×4, first 2 shown]
	v_mov_b32_e32 v2, 0
	ds_read_b128 v[44:47], v2 offset:240
	ds_read_b128 v[48:51], v2 offset:256
	ds_read_b128 v[52:55], v2 offset:272
	v_cmp_lt_u32_e32 vcc, 4, v1
	s_waitcnt vmcnt(3) lgkmcnt(2)
	v_mul_f64 v[4:5], v[44:45], v[10:11]
	v_mul_f64 v[10:11], v[46:47], v[10:11]
	s_waitcnt vmcnt(2) lgkmcnt(1)
	v_mul_f64 v[12:13], v[48:49], v[34:35]
	v_mul_f64 v[34:35], v[50:51], v[34:35]
	v_fmac_f64_e32 v[4:5], v[46:47], v[8:9]
	v_fma_f64 v[8:9], v[44:45], v[8:9], -v[10:11]
	s_waitcnt vmcnt(1) lgkmcnt(0)
	v_mul_f64 v[56:57], v[52:53], v[38:39]
	v_mul_f64 v[38:39], v[54:55], v[38:39]
	v_fmac_f64_e32 v[12:13], v[50:51], v[32:33]
	v_fma_f64 v[10:11], v[48:49], v[32:33], -v[34:35]
	v_add_f64 v[4:5], v[4:5], 0
	v_add_f64 v[8:9], v[8:9], 0
	v_fmac_f64_e32 v[56:57], v[54:55], v[36:37]
	v_fma_f64 v[32:33], v[52:53], v[36:37], -v[38:39]
	v_add_f64 v[4:5], v[4:5], v[12:13]
	v_add_f64 v[8:9], v[8:9], v[10:11]
	;; [unrolled: 1-line block ×4, first 2 shown]
	s_waitcnt vmcnt(0)
	v_add_f64 v[8:9], v[40:41], -v[8:9]
	v_add_f64 v[10:11], v[42:43], -v[4:5]
	scratch_store_dwordx4 off, v[8:11], off offset:80
	s_and_saveexec_b64 s[2:3], vcc
	s_cbranch_execz .LBB8_59
; %bb.58:
	scratch_load_dwordx4 v[8:11], off, s16
	v_mov_b32_e32 v3, v2
	v_mov_b32_e32 v4, v2
	;; [unrolled: 1-line block ×3, first 2 shown]
	scratch_store_dwordx4 off, v[2:5], off offset:64
	s_waitcnt vmcnt(1)
	ds_write_b128 v6, v[8:11]
.LBB8_59:
	s_or_b64 exec, exec, s[2:3]
	s_waitcnt lgkmcnt(0)
	; wave barrier
	scratch_load_dwordx4 v[8:11], off, off offset:80
	scratch_load_dwordx4 v[32:35], off, off offset:96
	;; [unrolled: 1-line block ×5, first 2 shown]
	ds_read_b128 v[48:51], v2 offset:224
	ds_read_b128 v[52:55], v2 offset:240
	;; [unrolled: 1-line block ×4, first 2 shown]
	v_cmp_lt_u32_e32 vcc, 3, v1
	s_waitcnt vmcnt(4) lgkmcnt(3)
	v_mul_f64 v[12:13], v[48:49], v[10:11]
	v_mul_f64 v[10:11], v[50:51], v[10:11]
	s_waitcnt vmcnt(3) lgkmcnt(2)
	v_mul_f64 v[60:61], v[52:53], v[34:35]
	s_waitcnt vmcnt(1) lgkmcnt(0)
	v_mul_f64 v[64:65], v[2:3], v[42:43]
	v_mul_f64 v[34:35], v[54:55], v[34:35]
	;; [unrolled: 1-line block ×3, first 2 shown]
	v_fmac_f64_e32 v[12:13], v[50:51], v[8:9]
	v_fmac_f64_e32 v[64:65], v[4:5], v[40:41]
	v_fma_f64 v[4:5], v[48:49], v[8:9], -v[10:11]
	v_mul_f64 v[62:63], v[56:57], v[38:39]
	v_mul_f64 v[38:39], v[58:59], v[38:39]
	v_fmac_f64_e32 v[60:61], v[54:55], v[32:33]
	v_fma_f64 v[8:9], v[52:53], v[32:33], -v[34:35]
	v_add_f64 v[12:13], v[12:13], 0
	v_add_f64 v[4:5], v[4:5], 0
	v_fmac_f64_e32 v[62:63], v[58:59], v[36:37]
	v_fma_f64 v[10:11], v[56:57], v[36:37], -v[38:39]
	v_add_f64 v[12:13], v[12:13], v[60:61]
	v_add_f64 v[4:5], v[4:5], v[8:9]
	v_fma_f64 v[2:3], v[2:3], v[40:41], -v[42:43]
	v_add_f64 v[8:9], v[12:13], v[62:63]
	v_add_f64 v[4:5], v[4:5], v[10:11]
	;; [unrolled: 1-line block ×4, first 2 shown]
	s_waitcnt vmcnt(0)
	v_add_f64 v[2:3], v[44:45], -v[2:3]
	v_add_f64 v[4:5], v[46:47], -v[8:9]
	scratch_store_dwordx4 off, v[2:5], off offset:64
	s_and_saveexec_b64 s[2:3], vcc
	s_cbranch_execz .LBB8_61
; %bb.60:
	scratch_load_dwordx4 v[2:5], off, s15
	v_mov_b32_e32 v8, 0
	v_mov_b32_e32 v9, v8
	;; [unrolled: 1-line block ×4, first 2 shown]
	scratch_store_dwordx4 off, v[8:11], off offset:48
	s_waitcnt vmcnt(1)
	ds_write_b128 v6, v[2:5]
.LBB8_61:
	s_or_b64 exec, exec, s[2:3]
	s_waitcnt lgkmcnt(0)
	; wave barrier
	scratch_load_dwordx4 v[8:11], off, off offset:64
	scratch_load_dwordx4 v[32:35], off, off offset:80
	;; [unrolled: 1-line block ×6, first 2 shown]
	v_mov_b32_e32 v2, 0
	ds_read_b128 v[52:55], v2 offset:208
	ds_read_b128 v[56:59], v2 offset:224
	;; [unrolled: 1-line block ×5, first 2 shown]
	v_cmp_lt_u32_e32 vcc, 2, v1
	s_waitcnt vmcnt(5) lgkmcnt(4)
	v_mul_f64 v[4:5], v[52:53], v[10:11]
	v_mul_f64 v[10:11], v[54:55], v[10:11]
	s_waitcnt vmcnt(4) lgkmcnt(3)
	v_mul_f64 v[12:13], v[56:57], v[34:35]
	v_mul_f64 v[34:35], v[58:59], v[34:35]
	v_fmac_f64_e32 v[4:5], v[54:55], v[8:9]
	v_fma_f64 v[8:9], v[52:53], v[8:9], -v[10:11]
	s_waitcnt vmcnt(3) lgkmcnt(2)
	v_mul_f64 v[72:73], v[60:61], v[38:39]
	v_mul_f64 v[38:39], v[62:63], v[38:39]
	v_fmac_f64_e32 v[12:13], v[58:59], v[32:33]
	v_fma_f64 v[10:11], v[56:57], v[32:33], -v[34:35]
	v_add_f64 v[4:5], v[4:5], 0
	v_add_f64 v[8:9], v[8:9], 0
	s_waitcnt vmcnt(2) lgkmcnt(1)
	v_mul_f64 v[74:75], v[64:65], v[42:43]
	v_mul_f64 v[42:43], v[66:67], v[42:43]
	v_fmac_f64_e32 v[72:73], v[62:63], v[36:37]
	v_fma_f64 v[32:33], v[60:61], v[36:37], -v[38:39]
	v_add_f64 v[4:5], v[4:5], v[12:13]
	v_add_f64 v[8:9], v[8:9], v[10:11]
	;; [unrolled: 7-line block ×3, first 2 shown]
	v_fmac_f64_e32 v[76:77], v[70:71], v[44:45]
	v_fma_f64 v[36:37], v[68:69], v[44:45], -v[46:47]
	v_add_f64 v[4:5], v[4:5], v[74:75]
	v_add_f64 v[8:9], v[8:9], v[34:35]
	;; [unrolled: 1-line block ×4, first 2 shown]
	s_waitcnt vmcnt(0)
	v_add_f64 v[8:9], v[48:49], -v[8:9]
	v_add_f64 v[10:11], v[50:51], -v[4:5]
	scratch_store_dwordx4 off, v[8:11], off offset:48
	s_and_saveexec_b64 s[2:3], vcc
	s_cbranch_execz .LBB8_63
; %bb.62:
	scratch_load_dwordx4 v[8:11], off, s14
	v_mov_b32_e32 v3, v2
	v_mov_b32_e32 v4, v2
	;; [unrolled: 1-line block ×3, first 2 shown]
	scratch_store_dwordx4 off, v[2:5], off offset:32
	s_waitcnt vmcnt(1)
	ds_write_b128 v6, v[8:11]
.LBB8_63:
	s_or_b64 exec, exec, s[2:3]
	s_waitcnt lgkmcnt(0)
	; wave barrier
	scratch_load_dwordx4 v[8:11], off, off offset:48
	scratch_load_dwordx4 v[32:35], off, off offset:64
	scratch_load_dwordx4 v[36:39], off, off offset:80
	scratch_load_dwordx4 v[40:43], off, off offset:96
	scratch_load_dwordx4 v[44:47], off, off offset:112
	scratch_load_dwordx4 v[48:51], off, off offset:128
	scratch_load_dwordx4 v[52:55], off, off offset:32
	ds_read_b128 v[56:59], v2 offset:192
	ds_read_b128 v[60:63], v2 offset:208
	ds_read_b128 v[64:67], v2 offset:224
	ds_read_b128 v[68:71], v2 offset:240
	ds_read_b128 v[72:75], v2 offset:256
	ds_read_b128 v[2:5], v2 offset:272
	v_cmp_lt_u32_e32 vcc, 1, v1
	s_waitcnt vmcnt(6) lgkmcnt(5)
	v_mul_f64 v[12:13], v[56:57], v[10:11]
	v_mul_f64 v[10:11], v[58:59], v[10:11]
	s_waitcnt vmcnt(5) lgkmcnt(4)
	v_mul_f64 v[76:77], v[60:61], v[34:35]
	v_mul_f64 v[34:35], v[62:63], v[34:35]
	v_fmac_f64_e32 v[12:13], v[58:59], v[8:9]
	s_waitcnt vmcnt(1) lgkmcnt(0)
	v_mul_f64 v[84:85], v[2:3], v[50:51]
	v_fma_f64 v[8:9], v[56:57], v[8:9], -v[10:11]
	v_mul_f64 v[78:79], v[64:65], v[38:39]
	v_mul_f64 v[38:39], v[66:67], v[38:39]
	;; [unrolled: 1-line block ×3, first 2 shown]
	v_fmac_f64_e32 v[76:77], v[62:63], v[32:33]
	v_fmac_f64_e32 v[84:85], v[4:5], v[48:49]
	v_fma_f64 v[4:5], v[60:61], v[32:33], -v[34:35]
	v_add_f64 v[12:13], v[12:13], 0
	v_add_f64 v[8:9], v[8:9], 0
	v_mul_f64 v[80:81], v[68:69], v[42:43]
	v_mul_f64 v[42:43], v[70:71], v[42:43]
	v_fmac_f64_e32 v[78:79], v[66:67], v[36:37]
	v_fma_f64 v[10:11], v[64:65], v[36:37], -v[38:39]
	v_add_f64 v[12:13], v[12:13], v[76:77]
	v_add_f64 v[4:5], v[8:9], v[4:5]
	v_mul_f64 v[82:83], v[72:73], v[46:47]
	v_mul_f64 v[46:47], v[74:75], v[46:47]
	v_fmac_f64_e32 v[80:81], v[70:71], v[40:41]
	v_fma_f64 v[32:33], v[68:69], v[40:41], -v[42:43]
	v_add_f64 v[8:9], v[12:13], v[78:79]
	v_add_f64 v[4:5], v[4:5], v[10:11]
	v_fmac_f64_e32 v[82:83], v[74:75], v[44:45]
	v_fma_f64 v[34:35], v[72:73], v[44:45], -v[46:47]
	v_add_f64 v[8:9], v[8:9], v[80:81]
	v_add_f64 v[4:5], v[4:5], v[32:33]
	v_fma_f64 v[2:3], v[2:3], v[48:49], -v[50:51]
	v_add_f64 v[8:9], v[8:9], v[82:83]
	v_add_f64 v[4:5], v[4:5], v[34:35]
	;; [unrolled: 1-line block ×4, first 2 shown]
	s_waitcnt vmcnt(0)
	v_add_f64 v[2:3], v[52:53], -v[2:3]
	v_add_f64 v[4:5], v[54:55], -v[8:9]
	scratch_store_dwordx4 off, v[2:5], off offset:32
	s_and_saveexec_b64 s[2:3], vcc
	s_cbranch_execz .LBB8_65
; %bb.64:
	scratch_load_dwordx4 v[2:5], off, s17
	v_mov_b32_e32 v8, 0
	v_mov_b32_e32 v9, v8
	;; [unrolled: 1-line block ×4, first 2 shown]
	scratch_store_dwordx4 off, v[8:11], off offset:16
	s_waitcnt vmcnt(1)
	ds_write_b128 v6, v[2:5]
.LBB8_65:
	s_or_b64 exec, exec, s[2:3]
	s_waitcnt lgkmcnt(0)
	; wave barrier
	scratch_load_dwordx4 v[8:11], off, off offset:32
	scratch_load_dwordx4 v[32:35], off, off offset:48
	;; [unrolled: 1-line block ×8, first 2 shown]
	v_mov_b32_e32 v2, 0
	ds_read_b128 v[60:63], v2 offset:176
	ds_read_b128 v[64:67], v2 offset:192
	;; [unrolled: 1-line block ×7, first 2 shown]
	v_cmp_ne_u32_e32 vcc, 0, v1
	s_waitcnt vmcnt(7) lgkmcnt(6)
	v_mul_f64 v[4:5], v[60:61], v[10:11]
	v_mul_f64 v[10:11], v[62:63], v[10:11]
	s_waitcnt vmcnt(6) lgkmcnt(5)
	v_mul_f64 v[12:13], v[64:65], v[34:35]
	v_mul_f64 v[34:35], v[66:67], v[34:35]
	v_fmac_f64_e32 v[4:5], v[62:63], v[8:9]
	v_fma_f64 v[8:9], v[60:61], v[8:9], -v[10:11]
	s_waitcnt vmcnt(5) lgkmcnt(4)
	v_mul_f64 v[88:89], v[68:69], v[38:39]
	v_mul_f64 v[38:39], v[70:71], v[38:39]
	v_fmac_f64_e32 v[12:13], v[66:67], v[32:33]
	v_fma_f64 v[10:11], v[64:65], v[32:33], -v[34:35]
	v_add_f64 v[4:5], v[4:5], 0
	v_add_f64 v[8:9], v[8:9], 0
	s_waitcnt vmcnt(4) lgkmcnt(3)
	v_mul_f64 v[90:91], v[72:73], v[42:43]
	v_mul_f64 v[42:43], v[74:75], v[42:43]
	v_fmac_f64_e32 v[88:89], v[70:71], v[36:37]
	v_fma_f64 v[32:33], v[68:69], v[36:37], -v[38:39]
	v_add_f64 v[4:5], v[4:5], v[12:13]
	v_add_f64 v[8:9], v[8:9], v[10:11]
	;; [unrolled: 7-line block ×5, first 2 shown]
	v_fmac_f64_e32 v[96:97], v[86:87], v[52:53]
	v_fma_f64 v[40:41], v[84:85], v[52:53], -v[54:55]
	v_add_f64 v[4:5], v[4:5], v[94:95]
	v_add_f64 v[8:9], v[8:9], v[38:39]
	;; [unrolled: 1-line block ×4, first 2 shown]
	s_waitcnt vmcnt(0)
	v_add_f64 v[8:9], v[56:57], -v[8:9]
	v_add_f64 v[10:11], v[58:59], -v[4:5]
	scratch_store_dwordx4 off, v[8:11], off offset:16
	s_and_saveexec_b64 s[2:3], vcc
	s_cbranch_execz .LBB8_67
; %bb.66:
	scratch_load_dwordx4 v[8:11], off, off
	v_mov_b32_e32 v3, v2
	v_mov_b32_e32 v4, v2
	;; [unrolled: 1-line block ×3, first 2 shown]
	scratch_store_dwordx4 off, v[2:5], off
	s_waitcnt vmcnt(1)
	ds_write_b128 v6, v[8:11]
.LBB8_67:
	s_or_b64 exec, exec, s[2:3]
	s_waitcnt lgkmcnt(0)
	; wave barrier
	scratch_load_dwordx4 v[4:7], off, off offset:16
	scratch_load_dwordx4 v[8:11], off, off offset:32
	;; [unrolled: 1-line block ×8, first 2 shown]
	scratch_load_dwordx4 v[56:59], off, off
	ds_read_b128 v[60:63], v2 offset:160
	ds_read_b128 v[64:67], v2 offset:176
	;; [unrolled: 1-line block ×8, first 2 shown]
	s_and_b64 vcc, exec, s[22:23]
	s_waitcnt vmcnt(8) lgkmcnt(7)
	v_mul_f64 v[2:3], v[60:61], v[6:7]
	v_mul_f64 v[6:7], v[62:63], v[6:7]
	s_waitcnt vmcnt(7) lgkmcnt(6)
	v_mul_f64 v[12:13], v[64:65], v[10:11]
	v_mul_f64 v[10:11], v[66:67], v[10:11]
	v_fmac_f64_e32 v[2:3], v[62:63], v[4:5]
	v_fma_f64 v[4:5], v[60:61], v[4:5], -v[6:7]
	s_waitcnt vmcnt(6) lgkmcnt(5)
	v_mul_f64 v[92:93], v[68:69], v[34:35]
	v_mul_f64 v[34:35], v[70:71], v[34:35]
	v_fmac_f64_e32 v[12:13], v[66:67], v[8:9]
	v_fma_f64 v[6:7], v[64:65], v[8:9], -v[10:11]
	v_add_f64 v[2:3], v[2:3], 0
	v_add_f64 v[4:5], v[4:5], 0
	s_waitcnt vmcnt(5) lgkmcnt(4)
	v_mul_f64 v[94:95], v[72:73], v[38:39]
	v_mul_f64 v[38:39], v[74:75], v[38:39]
	v_fmac_f64_e32 v[92:93], v[70:71], v[32:33]
	v_fma_f64 v[8:9], v[68:69], v[32:33], -v[34:35]
	v_add_f64 v[2:3], v[2:3], v[12:13]
	v_add_f64 v[4:5], v[4:5], v[6:7]
	;; [unrolled: 7-line block ×6, first 2 shown]
	v_fmac_f64_e32 v[102:103], v[90:91], v[52:53]
	v_fma_f64 v[38:39], v[88:89], v[52:53], -v[54:55]
	v_add_f64 v[2:3], v[2:3], v[100:101]
	v_add_f64 v[4:5], v[4:5], v[36:37]
	;; [unrolled: 1-line block ×4, first 2 shown]
	s_waitcnt vmcnt(0)
	v_add_f64 v[2:3], v[56:57], -v[2:3]
	v_add_f64 v[4:5], v[58:59], -v[6:7]
	scratch_store_dwordx4 off, v[2:5], off
	s_cbranch_vccz .LBB8_84
; %bb.68:
	s_nop 0
	v_mov_b32_e32 v2, 0
	global_load_dword v3, v2, s[20:21] offset:28
	s_load_dwordx2 s[2:3], s[0:1], 0x4
	v_bfe_u32 v4, v0, 10, 10
	v_bfe_u32 v0, v0, 20, 10
	s_waitcnt lgkmcnt(0)
	s_lshr_b32 s0, s2, 16
	s_mul_i32 s0, s0, s3
	v_mul_u32_u24_e32 v1, s0, v1
	v_mul_u32_u24_e32 v4, s3, v4
	v_add3_u32 v0, v1, v4, v0
	v_mov_b32_e32 v1, 0x128
	v_lshl_add_u32 v0, v0, 4, v1
	s_waitcnt vmcnt(0)
	v_readfirstlane_b32 s0, v3
	s_add_i32 s0, s0, -1
	s_cmp_lg_u32 s0, 7
	s_cbranch_scc0 .LBB8_70
; %bb.69:
	s_lshl_b32 s0, s0, 4
	scratch_load_dwordx4 v[4:7], off, s25
	scratch_load_dwordx4 v[8:11], off, s0
	s_waitcnt vmcnt(1)
	ds_write2_b64 v0, v[4:5], v[6:7] offset1:1
	s_waitcnt vmcnt(0)
	scratch_store_dwordx4 off, v[8:11], s25
	scratch_store_dwordx4 off, v[4:7], s0
.LBB8_70:
	global_load_dword v1, v2, s[20:21] offset:24
	s_waitcnt vmcnt(0)
	v_readfirstlane_b32 s0, v1
	s_add_i32 s0, s0, -1
	s_cmp_eq_u32 s0, 6
	s_cbranch_scc1 .LBB8_72
; %bb.71:
	s_lshl_b32 s0, s0, 4
	scratch_load_dwordx4 v[2:5], off, s24
	scratch_load_dwordx4 v[6:9], off, s0
	s_waitcnt vmcnt(1)
	ds_write2_b64 v0, v[2:3], v[4:5] offset1:1
	s_waitcnt vmcnt(0)
	scratch_store_dwordx4 off, v[6:9], s24
	scratch_store_dwordx4 off, v[2:5], s0
.LBB8_72:
	v_mov_b32_e32 v1, 0
	global_load_dword v2, v1, s[20:21] offset:20
	s_waitcnt vmcnt(0)
	v_readfirstlane_b32 s0, v2
	s_add_i32 s0, s0, -1
	s_cmp_eq_u32 s0, 5
	s_cbranch_scc1 .LBB8_74
; %bb.73:
	s_lshl_b32 s0, s0, 4
	scratch_load_dwordx4 v[2:5], off, s19
	scratch_load_dwordx4 v[6:9], off, s0
	s_waitcnt vmcnt(1)
	ds_write2_b64 v0, v[2:3], v[4:5] offset1:1
	s_waitcnt vmcnt(0)
	scratch_store_dwordx4 off, v[6:9], s19
	scratch_store_dwordx4 off, v[2:5], s0
.LBB8_74:
	global_load_dword v1, v1, s[20:21] offset:16
	s_waitcnt vmcnt(0)
	v_readfirstlane_b32 s0, v1
	s_add_i32 s0, s0, -1
	s_cmp_eq_u32 s0, 4
	s_cbranch_scc1 .LBB8_76
; %bb.75:
	s_lshl_b32 s0, s0, 4
	scratch_load_dwordx4 v[2:5], off, s16
	scratch_load_dwordx4 v[6:9], off, s0
	s_waitcnt vmcnt(1)
	ds_write2_b64 v0, v[2:3], v[4:5] offset1:1
	s_waitcnt vmcnt(0)
	scratch_store_dwordx4 off, v[6:9], s16
	scratch_store_dwordx4 off, v[2:5], s0
.LBB8_76:
	v_mov_b32_e32 v1, 0
	global_load_dword v2, v1, s[20:21] offset:12
	s_waitcnt vmcnt(0)
	v_readfirstlane_b32 s0, v2
	s_add_i32 s0, s0, -1
	s_cmp_eq_u32 s0, 3
	s_cbranch_scc1 .LBB8_78
; %bb.77:
	s_lshl_b32 s0, s0, 4
	scratch_load_dwordx4 v[2:5], off, s15
	scratch_load_dwordx4 v[6:9], off, s0
	s_waitcnt vmcnt(1)
	ds_write2_b64 v0, v[2:3], v[4:5] offset1:1
	s_waitcnt vmcnt(0)
	scratch_store_dwordx4 off, v[6:9], s15
	scratch_store_dwordx4 off, v[2:5], s0
.LBB8_78:
	;; [unrolled: 33-line block ×3, first 2 shown]
	global_load_dword v1, v1, s[20:21]
	s_waitcnt vmcnt(0)
	v_readfirstlane_b32 s0, v1
	s_add_i32 s0, s0, -1
	s_cmp_eq_u32 s0, 0
	s_cbranch_scc1 .LBB8_84
; %bb.83:
	s_lshl_b32 s0, s0, 4
	scratch_load_dwordx4 v[2:5], off, off
	scratch_load_dwordx4 v[6:9], off, s0
	s_waitcnt vmcnt(1)
	ds_write2_b64 v0, v[2:3], v[4:5] offset1:1
	s_waitcnt vmcnt(0)
	scratch_store_dwordx4 off, v[6:9], off
	scratch_store_dwordx4 off, v[2:5], s0
.LBB8_84:
	scratch_load_dwordx4 v[0:3], off, off
	s_nop 0
	scratch_load_dwordx4 v[4:7], off, s17
	scratch_load_dwordx4 v[8:11], off, s14
	;; [unrolled: 1-line block ×8, first 2 shown]
	s_waitcnt vmcnt(8)
	global_store_dwordx4 v[14:15], v[0:3], off
	s_waitcnt vmcnt(8)
	global_store_dwordx4 v[16:17], v[4:7], off
	;; [unrolled: 2-line block ×9, first 2 shown]
	s_endpgm
	.section	.rodata,"a",@progbits
	.p2align	6, 0x0
	.amdhsa_kernel _ZN9rocsolver6v33100L18getri_kernel_smallILi9E19rocblas_complex_numIdEPS3_EEvT1_iilPiilS6_bb
		.amdhsa_group_segment_fixed_size 1320
		.amdhsa_private_segment_fixed_size 160
		.amdhsa_kernarg_size 60
		.amdhsa_user_sgpr_count 4
		.amdhsa_user_sgpr_dispatch_ptr 1
		.amdhsa_user_sgpr_queue_ptr 0
		.amdhsa_user_sgpr_kernarg_segment_ptr 1
		.amdhsa_user_sgpr_dispatch_id 0
		.amdhsa_user_sgpr_kernarg_preload_length 0
		.amdhsa_user_sgpr_kernarg_preload_offset 0
		.amdhsa_user_sgpr_private_segment_size 0
		.amdhsa_uses_dynamic_stack 0
		.amdhsa_enable_private_segment 1
		.amdhsa_system_sgpr_workgroup_id_x 1
		.amdhsa_system_sgpr_workgroup_id_y 0
		.amdhsa_system_sgpr_workgroup_id_z 0
		.amdhsa_system_sgpr_workgroup_info 0
		.amdhsa_system_vgpr_workitem_id 2
		.amdhsa_next_free_vgpr 104
		.amdhsa_next_free_sgpr 26
		.amdhsa_accum_offset 104
		.amdhsa_reserve_vcc 1
		.amdhsa_float_round_mode_32 0
		.amdhsa_float_round_mode_16_64 0
		.amdhsa_float_denorm_mode_32 3
		.amdhsa_float_denorm_mode_16_64 3
		.amdhsa_dx10_clamp 1
		.amdhsa_ieee_mode 1
		.amdhsa_fp16_overflow 0
		.amdhsa_tg_split 0
		.amdhsa_exception_fp_ieee_invalid_op 0
		.amdhsa_exception_fp_denorm_src 0
		.amdhsa_exception_fp_ieee_div_zero 0
		.amdhsa_exception_fp_ieee_overflow 0
		.amdhsa_exception_fp_ieee_underflow 0
		.amdhsa_exception_fp_ieee_inexact 0
		.amdhsa_exception_int_div_zero 0
	.end_amdhsa_kernel
	.section	.text._ZN9rocsolver6v33100L18getri_kernel_smallILi9E19rocblas_complex_numIdEPS3_EEvT1_iilPiilS6_bb,"axG",@progbits,_ZN9rocsolver6v33100L18getri_kernel_smallILi9E19rocblas_complex_numIdEPS3_EEvT1_iilPiilS6_bb,comdat
.Lfunc_end8:
	.size	_ZN9rocsolver6v33100L18getri_kernel_smallILi9E19rocblas_complex_numIdEPS3_EEvT1_iilPiilS6_bb, .Lfunc_end8-_ZN9rocsolver6v33100L18getri_kernel_smallILi9E19rocblas_complex_numIdEPS3_EEvT1_iilPiilS6_bb
                                        ; -- End function
	.set _ZN9rocsolver6v33100L18getri_kernel_smallILi9E19rocblas_complex_numIdEPS3_EEvT1_iilPiilS6_bb.num_vgpr, 104
	.set _ZN9rocsolver6v33100L18getri_kernel_smallILi9E19rocblas_complex_numIdEPS3_EEvT1_iilPiilS6_bb.num_agpr, 0
	.set _ZN9rocsolver6v33100L18getri_kernel_smallILi9E19rocblas_complex_numIdEPS3_EEvT1_iilPiilS6_bb.numbered_sgpr, 26
	.set _ZN9rocsolver6v33100L18getri_kernel_smallILi9E19rocblas_complex_numIdEPS3_EEvT1_iilPiilS6_bb.num_named_barrier, 0
	.set _ZN9rocsolver6v33100L18getri_kernel_smallILi9E19rocblas_complex_numIdEPS3_EEvT1_iilPiilS6_bb.private_seg_size, 160
	.set _ZN9rocsolver6v33100L18getri_kernel_smallILi9E19rocblas_complex_numIdEPS3_EEvT1_iilPiilS6_bb.uses_vcc, 1
	.set _ZN9rocsolver6v33100L18getri_kernel_smallILi9E19rocblas_complex_numIdEPS3_EEvT1_iilPiilS6_bb.uses_flat_scratch, 0
	.set _ZN9rocsolver6v33100L18getri_kernel_smallILi9E19rocblas_complex_numIdEPS3_EEvT1_iilPiilS6_bb.has_dyn_sized_stack, 0
	.set _ZN9rocsolver6v33100L18getri_kernel_smallILi9E19rocblas_complex_numIdEPS3_EEvT1_iilPiilS6_bb.has_recursion, 0
	.set _ZN9rocsolver6v33100L18getri_kernel_smallILi9E19rocblas_complex_numIdEPS3_EEvT1_iilPiilS6_bb.has_indirect_call, 0
	.section	.AMDGPU.csdata,"",@progbits
; Kernel info:
; codeLenInByte = 7048
; TotalNumSgprs: 32
; NumVgprs: 104
; NumAgprs: 0
; TotalNumVgprs: 104
; ScratchSize: 160
; MemoryBound: 0
; FloatMode: 240
; IeeeMode: 1
; LDSByteSize: 1320 bytes/workgroup (compile time only)
; SGPRBlocks: 3
; VGPRBlocks: 12
; NumSGPRsForWavesPerEU: 32
; NumVGPRsForWavesPerEU: 104
; AccumOffset: 104
; Occupancy: 4
; WaveLimiterHint : 1
; COMPUTE_PGM_RSRC2:SCRATCH_EN: 1
; COMPUTE_PGM_RSRC2:USER_SGPR: 4
; COMPUTE_PGM_RSRC2:TRAP_HANDLER: 0
; COMPUTE_PGM_RSRC2:TGID_X_EN: 1
; COMPUTE_PGM_RSRC2:TGID_Y_EN: 0
; COMPUTE_PGM_RSRC2:TGID_Z_EN: 0
; COMPUTE_PGM_RSRC2:TIDIG_COMP_CNT: 2
; COMPUTE_PGM_RSRC3_GFX90A:ACCUM_OFFSET: 25
; COMPUTE_PGM_RSRC3_GFX90A:TG_SPLIT: 0
	.section	.text._ZN9rocsolver6v33100L18getri_kernel_smallILi10E19rocblas_complex_numIdEPS3_EEvT1_iilPiilS6_bb,"axG",@progbits,_ZN9rocsolver6v33100L18getri_kernel_smallILi10E19rocblas_complex_numIdEPS3_EEvT1_iilPiilS6_bb,comdat
	.globl	_ZN9rocsolver6v33100L18getri_kernel_smallILi10E19rocblas_complex_numIdEPS3_EEvT1_iilPiilS6_bb ; -- Begin function _ZN9rocsolver6v33100L18getri_kernel_smallILi10E19rocblas_complex_numIdEPS3_EEvT1_iilPiilS6_bb
	.p2align	8
	.type	_ZN9rocsolver6v33100L18getri_kernel_smallILi10E19rocblas_complex_numIdEPS3_EEvT1_iilPiilS6_bb,@function
_ZN9rocsolver6v33100L18getri_kernel_smallILi10E19rocblas_complex_numIdEPS3_EEvT1_iilPiilS6_bb: ; @_ZN9rocsolver6v33100L18getri_kernel_smallILi10E19rocblas_complex_numIdEPS3_EEvT1_iilPiilS6_bb
; %bb.0:
	v_and_b32_e32 v1, 0x3ff, v0
	v_cmp_gt_u32_e32 vcc, 10, v1
	s_and_saveexec_b64 s[6:7], vcc
	s_cbranch_execz .LBB9_54
; %bb.1:
	s_load_dword s6, s[2:3], 0x38
	s_load_dwordx4 s[16:19], s[2:3], 0x10
	s_load_dwordx4 s[8:11], s[2:3], 0x28
                                        ; implicit-def: $sgpr20_sgpr21
	s_waitcnt lgkmcnt(0)
	s_bitcmp1_b32 s6, 8
	s_cselect_b64 s[22:23], -1, 0
	s_ashr_i32 s5, s4, 31
	s_bfe_u32 s6, s6, 0x10008
	s_cmp_eq_u32 s6, 0
	s_cbranch_scc1 .LBB9_3
; %bb.2:
	s_load_dword s6, s[2:3], 0x20
	s_mul_i32 s7, s8, s5
	s_mul_hi_u32 s12, s8, s4
	s_mul_i32 s9, s9, s4
	s_add_i32 s12, s12, s7
	s_add_i32 s9, s12, s9
	s_mul_i32 s8, s8, s4
	s_waitcnt lgkmcnt(0)
	s_ashr_i32 s7, s6, 31
	s_lshl_b64 s[8:9], s[8:9], 2
	s_add_u32 s8, s18, s8
	s_addc_u32 s9, s19, s9
	s_lshl_b64 s[6:7], s[6:7], 2
	s_add_u32 s20, s8, s6
	s_addc_u32 s21, s9, s7
.LBB9_3:
	s_load_dwordx4 s[12:15], s[2:3], 0x0
	s_load_dword s8, s[2:3], 0x38
	s_mul_i32 s6, s16, s5
	s_mul_hi_u32 s7, s16, s4
	s_add_i32 s6, s7, s6
	s_mul_i32 s7, s17, s4
	s_add_i32 s7, s6, s7
	s_mul_i32 s6, s16, s4
	s_waitcnt lgkmcnt(0)
	s_ashr_i32 s3, s14, 31
	s_lshl_b64 s[6:7], s[6:7], 4
	s_mov_b32 s2, s14
	s_add_u32 s6, s12, s6
	s_addc_u32 s7, s13, s7
	s_lshl_b64 s[2:3], s[2:3], 4
	s_add_u32 s2, s6, s2
	s_addc_u32 s3, s7, s3
	s_add_i32 s9, s15, s15
	v_add_u32_e32 v6, s9, v1
	v_add_u32_e32 v20, s15, v6
	v_add_u32_e32 v22, s15, v20
	v_add_u32_e32 v24, s15, v22
	v_add_u32_e32 v26, s15, v24
	v_lshlrev_b32_e32 v34, 4, v1
	v_mov_b32_e32 v35, 0
	v_add_u32_e32 v28, s15, v26
	s_mov_b32 s6, s15
	s_ashr_i32 s7, s15, 31
	v_lshl_add_u64 v[14:15], s[2:3], 0, v[34:35]
	v_ashrrev_i32_e32 v21, 31, v20
	v_ashrrev_i32_e32 v25, 31, v24
	;; [unrolled: 1-line block ×3, first 2 shown]
	v_add_u32_e32 v30, s15, v28
	v_lshl_add_u64 v[16:17], s[6:7], 4, v[14:15]
	v_ashrrev_i32_e32 v7, 31, v6
	v_lshl_add_u64 v[20:21], v[20:21], 4, s[2:3]
	v_ashrrev_i32_e32 v23, 31, v22
	;; [unrolled: 2-line block ×4, first 2 shown]
	global_load_dwordx4 v[2:5], v34, s[2:3]
	v_lshl_add_u64 v[18:19], v[6:7], 4, s[2:3]
	global_load_dwordx4 v[6:9], v[16:17], off
	global_load_dwordx4 v[10:13], v[18:19], off
	v_lshl_add_u64 v[22:23], v[22:23], 4, s[2:3]
	global_load_dwordx4 v[36:39], v[20:21], off
	global_load_dwordx4 v[40:43], v[22:23], off
	v_lshl_add_u64 v[26:27], v[26:27], 4, s[2:3]
	global_load_dwordx4 v[44:47], v[24:25], off
	global_load_dwordx4 v[48:51], v[26:27], off
	v_add_u32_e32 v32, s15, v30
	v_lshl_add_u64 v[30:31], v[30:31], 4, s[2:3]
	global_load_dwordx4 v[52:55], v[28:29], off
	global_load_dwordx4 v[56:59], v[30:31], off
	v_ashrrev_i32_e32 v33, 31, v32
	v_lshl_add_u64 v[32:33], v[32:33], 4, s[2:3]
	global_load_dwordx4 v[60:63], v[32:33], off
	s_movk_i32 s19, 0x50
	s_movk_i32 s25, 0x60
	;; [unrolled: 1-line block ×5, first 2 shown]
	s_mov_b32 s18, 16
	s_mov_b32 s14, 32
	;; [unrolled: 1-line block ×4, first 2 shown]
	s_bitcmp0_b32 s8, 0
	s_mov_b64 s[6:7], -1
	s_waitcnt vmcnt(9)
	scratch_store_dwordx4 off, v[2:5], off
	s_waitcnt vmcnt(9)
	scratch_store_dwordx4 off, v[6:9], off offset:16
	s_waitcnt vmcnt(9)
	scratch_store_dwordx4 off, v[10:13], off offset:32
	;; [unrolled: 2-line block ×9, first 2 shown]
	s_cbranch_scc1 .LBB9_52
; %bb.4:
	v_cmp_eq_u32_e64 s[2:3], 0, v1
	s_and_saveexec_b64 s[6:7], s[2:3]
; %bb.5:
	v_mov_b32_e32 v2, 0
	ds_write_b32 v2, v2 offset:320
; %bb.6:
	s_or_b64 exec, exec, s[6:7]
	s_waitcnt lgkmcnt(0)
	; wave barrier
	scratch_load_dwordx4 v[2:5], v34, off
	s_waitcnt vmcnt(0)
	v_cmp_eq_f64_e32 vcc, 0, v[2:3]
	v_cmp_eq_f64_e64 s[6:7], 0, v[4:5]
	s_and_b64 s[6:7], vcc, s[6:7]
	s_and_saveexec_b64 s[8:9], s[6:7]
	s_cbranch_execz .LBB9_10
; %bb.7:
	v_mov_b32_e32 v2, 0
	ds_read_b32 v4, v2 offset:320
	v_add_u32_e32 v3, 1, v1
	s_waitcnt lgkmcnt(0)
	v_readfirstlane_b32 s6, v4
	s_cmp_eq_u32 s6, 0
	s_cselect_b64 s[12:13], -1, 0
	v_cmp_gt_i32_e32 vcc, s6, v3
	s_or_b64 s[12:13], s[12:13], vcc
	s_and_b64 exec, exec, s[12:13]
	s_cbranch_execz .LBB9_10
; %bb.8:
	s_mov_b64 s[12:13], 0
	v_mov_b32_e32 v4, s6
.LBB9_9:                                ; =>This Inner Loop Header: Depth=1
	ds_cmpst_rtn_b32 v4, v2, v4, v3 offset:320
	s_waitcnt lgkmcnt(0)
	v_cmp_ne_u32_e32 vcc, 0, v4
	v_cmp_le_i32_e64 s[6:7], v4, v3
	s_and_b64 s[6:7], vcc, s[6:7]
	s_and_b64 s[6:7], exec, s[6:7]
	s_or_b64 s[12:13], s[6:7], s[12:13]
	s_andn2_b64 exec, exec, s[12:13]
	s_cbranch_execnz .LBB9_9
.LBB9_10:
	s_or_b64 exec, exec, s[8:9]
	v_mov_b32_e32 v3, 0
	; wave barrier
	ds_read_b32 v2, v3 offset:320
	s_and_saveexec_b64 s[6:7], s[2:3]
	s_cbranch_execz .LBB9_12
; %bb.11:
	s_lshl_b64 s[8:9], s[4:5], 2
	s_add_u32 s8, s10, s8
	s_addc_u32 s9, s11, s9
	s_waitcnt lgkmcnt(0)
	global_store_dword v3, v2, s[8:9]
.LBB9_12:
	s_or_b64 exec, exec, s[6:7]
	s_waitcnt lgkmcnt(0)
	v_cmp_ne_u32_e32 vcc, 0, v2
	s_mov_b64 s[6:7], 0
	s_cbranch_vccnz .LBB9_52
; %bb.13:
	v_mov_b32_e32 v35, v34
	scratch_load_dwordx4 v[2:5], v35, off
                                        ; implicit-def: $vgpr6_vgpr7
                                        ; implicit-def: $vgpr10_vgpr11
	s_waitcnt vmcnt(0)
	v_cmp_ngt_f64_e64 s[6:7], |v[2:3]|, |v[4:5]|
	s_and_saveexec_b64 s[8:9], s[6:7]
	s_xor_b64 s[6:7], exec, s[8:9]
	s_cbranch_execz .LBB9_15
; %bb.14:
	v_div_scale_f64 v[6:7], s[8:9], v[4:5], v[4:5], v[2:3]
	v_rcp_f64_e32 v[8:9], v[6:7]
	v_div_scale_f64 v[10:11], vcc, v[2:3], v[4:5], v[2:3]
	v_fma_f64 v[12:13], -v[6:7], v[8:9], 1.0
	v_fmac_f64_e32 v[8:9], v[8:9], v[12:13]
	v_fma_f64 v[12:13], -v[6:7], v[8:9], 1.0
	v_fmac_f64_e32 v[8:9], v[8:9], v[12:13]
	v_mul_f64 v[12:13], v[10:11], v[8:9]
	v_fma_f64 v[6:7], -v[6:7], v[12:13], v[10:11]
	v_div_fmas_f64 v[6:7], v[6:7], v[8:9], v[12:13]
	v_div_fixup_f64 v[6:7], v[6:7], v[4:5], v[2:3]
	v_fmac_f64_e32 v[4:5], v[2:3], v[6:7]
	v_div_scale_f64 v[2:3], s[8:9], v[4:5], v[4:5], 1.0
	v_rcp_f64_e32 v[8:9], v[2:3]
	s_nop 0
	v_fma_f64 v[10:11], -v[2:3], v[8:9], 1.0
	v_fmac_f64_e32 v[8:9], v[8:9], v[10:11]
	v_fma_f64 v[10:11], -v[2:3], v[8:9], 1.0
	v_fmac_f64_e32 v[8:9], v[8:9], v[10:11]
	v_div_scale_f64 v[10:11], vcc, 1.0, v[4:5], 1.0
	v_mul_f64 v[12:13], v[10:11], v[8:9]
	v_fma_f64 v[2:3], -v[2:3], v[12:13], v[10:11]
	s_nop 1
	v_div_fmas_f64 v[2:3], v[2:3], v[8:9], v[12:13]
	v_div_fixup_f64 v[8:9], v[2:3], v[4:5], 1.0
	v_mul_f64 v[6:7], v[6:7], v[8:9]
	v_xor_b32_e32 v9, 0x80000000, v9
	v_xor_b32_e32 v11, 0x80000000, v7
	v_mov_b32_e32 v10, v6
                                        ; implicit-def: $vgpr2_vgpr3
.LBB9_15:
	s_andn2_saveexec_b64 s[6:7], s[6:7]
	s_cbranch_execz .LBB9_17
; %bb.16:
	v_div_scale_f64 v[6:7], s[8:9], v[2:3], v[2:3], v[4:5]
	v_rcp_f64_e32 v[8:9], v[6:7]
	v_div_scale_f64 v[10:11], vcc, v[4:5], v[2:3], v[4:5]
	v_fma_f64 v[12:13], -v[6:7], v[8:9], 1.0
	v_fmac_f64_e32 v[8:9], v[8:9], v[12:13]
	v_fma_f64 v[12:13], -v[6:7], v[8:9], 1.0
	v_fmac_f64_e32 v[8:9], v[8:9], v[12:13]
	v_mul_f64 v[12:13], v[10:11], v[8:9]
	v_fma_f64 v[6:7], -v[6:7], v[12:13], v[10:11]
	v_div_fmas_f64 v[6:7], v[6:7], v[8:9], v[12:13]
	v_div_fixup_f64 v[8:9], v[6:7], v[2:3], v[4:5]
	v_fmac_f64_e32 v[2:3], v[4:5], v[8:9]
	v_div_scale_f64 v[4:5], s[8:9], v[2:3], v[2:3], 1.0
	v_rcp_f64_e32 v[6:7], v[4:5]
	s_nop 0
	v_fma_f64 v[10:11], -v[4:5], v[6:7], 1.0
	v_fmac_f64_e32 v[6:7], v[6:7], v[10:11]
	v_fma_f64 v[10:11], -v[4:5], v[6:7], 1.0
	v_fmac_f64_e32 v[6:7], v[6:7], v[10:11]
	v_div_scale_f64 v[10:11], vcc, 1.0, v[2:3], 1.0
	v_mul_f64 v[12:13], v[10:11], v[6:7]
	v_fma_f64 v[4:5], -v[4:5], v[12:13], v[10:11]
	s_nop 1
	v_div_fmas_f64 v[4:5], v[4:5], v[6:7], v[12:13]
	v_div_fixup_f64 v[6:7], v[4:5], v[2:3], 1.0
	v_xor_b32_e32 v11, 0x80000000, v7
	v_mov_b32_e32 v10, v6
	v_mul_f64 v[8:9], v[8:9], -v[6:7]
.LBB9_17:
	s_or_b64 exec, exec, s[6:7]
	scratch_store_dwordx4 v35, v[6:9], off
	scratch_load_dwordx4 v[2:5], off, s18
	v_xor_b32_e32 v13, 0x80000000, v9
	v_mov_b32_e32 v12, v8
	v_add_u32_e32 v6, 0xa0, v34
	ds_write_b128 v34, v[10:13]
	s_waitcnt vmcnt(0)
	ds_write_b128 v34, v[2:5] offset:160
	s_waitcnt lgkmcnt(0)
	; wave barrier
	s_and_saveexec_b64 s[6:7], s[2:3]
	s_cbranch_execz .LBB9_19
; %bb.18:
	scratch_load_dwordx4 v[2:5], v35, off
	ds_read_b128 v[8:11], v6
	v_mov_b32_e32 v7, 0
	ds_read_b128 v[36:39], v7 offset:16
	s_waitcnt vmcnt(0) lgkmcnt(1)
	v_mul_f64 v[12:13], v[10:11], v[4:5]
	v_mul_f64 v[4:5], v[8:9], v[4:5]
	v_fma_f64 v[8:9], v[8:9], v[2:3], -v[12:13]
	v_fmac_f64_e32 v[4:5], v[10:11], v[2:3]
	v_add_f64 v[2:3], v[8:9], 0
	v_add_f64 v[8:9], v[4:5], 0
	s_waitcnt lgkmcnt(0)
	v_mul_f64 v[10:11], v[8:9], v[38:39]
	v_mul_f64 v[4:5], v[2:3], v[38:39]
	v_fma_f64 v[2:3], v[2:3], v[36:37], -v[10:11]
	v_fmac_f64_e32 v[4:5], v[8:9], v[36:37]
	scratch_store_dwordx4 off, v[2:5], off offset:16
.LBB9_19:
	s_or_b64 exec, exec, s[6:7]
	; wave barrier
	scratch_load_dwordx4 v[2:5], off, s14
	v_cmp_gt_u32_e32 vcc, 2, v1
	s_waitcnt vmcnt(0)
	ds_write_b128 v6, v[2:5]
	s_waitcnt lgkmcnt(0)
	; wave barrier
	s_and_saveexec_b64 s[6:7], vcc
	s_cbranch_execz .LBB9_23
; %bb.20:
	scratch_load_dwordx4 v[2:5], v35, off
	ds_read_b128 v[8:11], v6
	s_waitcnt vmcnt(0) lgkmcnt(0)
	v_mul_f64 v[12:13], v[10:11], v[4:5]
	v_mul_f64 v[36:37], v[8:9], v[4:5]
	v_fma_f64 v[4:5], v[8:9], v[2:3], -v[12:13]
	v_fmac_f64_e32 v[36:37], v[10:11], v[2:3]
	v_add_f64 v[4:5], v[4:5], 0
	v_add_f64 v[2:3], v[36:37], 0
	s_and_saveexec_b64 s[8:9], s[2:3]
	s_cbranch_execz .LBB9_22
; %bb.21:
	scratch_load_dwordx4 v[8:11], off, off offset:16
	v_mov_b32_e32 v7, 0
	ds_read_b128 v[36:39], v7 offset:176
	s_waitcnt vmcnt(0) lgkmcnt(0)
	v_mul_f64 v[12:13], v[36:37], v[10:11]
	v_mul_f64 v[10:11], v[38:39], v[10:11]
	v_fmac_f64_e32 v[12:13], v[38:39], v[8:9]
	v_fma_f64 v[8:9], v[36:37], v[8:9], -v[10:11]
	v_add_f64 v[2:3], v[2:3], v[12:13]
	v_add_f64 v[4:5], v[4:5], v[8:9]
.LBB9_22:
	s_or_b64 exec, exec, s[8:9]
	v_mov_b32_e32 v7, 0
	ds_read_b128 v[8:11], v7 offset:32
	s_waitcnt lgkmcnt(0)
	v_mul_f64 v[36:37], v[2:3], v[10:11]
	v_mul_f64 v[12:13], v[4:5], v[10:11]
	v_fma_f64 v[10:11], v[4:5], v[8:9], -v[36:37]
	v_fmac_f64_e32 v[12:13], v[2:3], v[8:9]
	scratch_store_dwordx4 off, v[10:13], off offset:32
.LBB9_23:
	s_or_b64 exec, exec, s[6:7]
	; wave barrier
	scratch_load_dwordx4 v[2:5], off, s15
	v_cmp_gt_u32_e32 vcc, 3, v1
	v_add_u32_e32 v7, -1, v1
	s_waitcnt vmcnt(0)
	ds_write_b128 v6, v[2:5]
	s_waitcnt lgkmcnt(0)
	; wave barrier
	s_and_saveexec_b64 s[2:3], vcc
	s_cbranch_execz .LBB9_27
; %bb.24:
	v_add_u32_e32 v8, -1, v1
	v_add_u32_e32 v9, 0xa0, v34
	v_mov_b32_e32 v10, v34
	v_mov_b64_e32 v[2:3], 0
	s_mov_b64 s[6:7], 0
	v_mov_b64_e32 v[4:5], 0
.LBB9_25:                               ; =>This Inner Loop Header: Depth=1
	scratch_load_dwordx4 v[36:39], v10, off
	ds_read_b128 v[40:43], v9
	v_add_u32_e32 v8, 1, v8
	v_cmp_lt_u32_e32 vcc, 1, v8
	v_add_u32_e32 v9, 16, v9
	v_add_u32_e32 v10, 16, v10
	s_or_b64 s[6:7], vcc, s[6:7]
	s_waitcnt vmcnt(0) lgkmcnt(0)
	v_mul_f64 v[12:13], v[42:43], v[38:39]
	v_mul_f64 v[38:39], v[40:41], v[38:39]
	v_fma_f64 v[12:13], v[40:41], v[36:37], -v[12:13]
	v_fmac_f64_e32 v[38:39], v[42:43], v[36:37]
	v_add_f64 v[4:5], v[4:5], v[12:13]
	v_add_f64 v[2:3], v[2:3], v[38:39]
	s_andn2_b64 exec, exec, s[6:7]
	s_cbranch_execnz .LBB9_25
; %bb.26:
	s_or_b64 exec, exec, s[6:7]
	v_mov_b32_e32 v8, 0
	ds_read_b128 v[8:11], v8 offset:48
	s_waitcnt lgkmcnt(0)
	v_mul_f64 v[36:37], v[2:3], v[10:11]
	v_mul_f64 v[12:13], v[4:5], v[10:11]
	v_fma_f64 v[10:11], v[4:5], v[8:9], -v[36:37]
	v_fmac_f64_e32 v[12:13], v[2:3], v[8:9]
	scratch_store_dwordx4 off, v[10:13], off offset:48
.LBB9_27:
	s_or_b64 exec, exec, s[2:3]
	; wave barrier
	scratch_load_dwordx4 v[2:5], off, s16
	v_cmp_gt_u32_e32 vcc, 4, v1
	s_waitcnt vmcnt(0)
	ds_write_b128 v6, v[2:5]
	s_waitcnt lgkmcnt(0)
	; wave barrier
	s_and_saveexec_b64 s[2:3], vcc
	s_cbranch_execz .LBB9_31
; %bb.28:
	v_add_u32_e32 v8, -1, v1
	v_add_u32_e32 v9, 0xa0, v34
	v_mov_b32_e32 v10, v34
	v_mov_b64_e32 v[2:3], 0
	s_mov_b64 s[6:7], 0
	v_mov_b64_e32 v[4:5], 0
.LBB9_29:                               ; =>This Inner Loop Header: Depth=1
	scratch_load_dwordx4 v[36:39], v10, off
	ds_read_b128 v[40:43], v9
	v_add_u32_e32 v8, 1, v8
	v_cmp_lt_u32_e32 vcc, 2, v8
	v_add_u32_e32 v9, 16, v9
	v_add_u32_e32 v10, 16, v10
	s_or_b64 s[6:7], vcc, s[6:7]
	s_waitcnt vmcnt(0) lgkmcnt(0)
	v_mul_f64 v[12:13], v[42:43], v[38:39]
	v_mul_f64 v[38:39], v[40:41], v[38:39]
	v_fma_f64 v[12:13], v[40:41], v[36:37], -v[12:13]
	v_fmac_f64_e32 v[38:39], v[42:43], v[36:37]
	v_add_f64 v[4:5], v[4:5], v[12:13]
	v_add_f64 v[2:3], v[2:3], v[38:39]
	s_andn2_b64 exec, exec, s[6:7]
	s_cbranch_execnz .LBB9_29
; %bb.30:
	s_or_b64 exec, exec, s[6:7]
	v_mov_b32_e32 v8, 0
	ds_read_b128 v[8:11], v8 offset:64
	s_waitcnt lgkmcnt(0)
	v_mul_f64 v[36:37], v[2:3], v[10:11]
	v_mul_f64 v[12:13], v[4:5], v[10:11]
	v_fma_f64 v[10:11], v[4:5], v[8:9], -v[36:37]
	v_fmac_f64_e32 v[12:13], v[2:3], v[8:9]
	scratch_store_dwordx4 off, v[10:13], off offset:64
.LBB9_31:
	s_or_b64 exec, exec, s[2:3]
	; wave barrier
	scratch_load_dwordx4 v[2:5], off, s19
	v_cmp_gt_u32_e32 vcc, 5, v1
	s_waitcnt vmcnt(0)
	ds_write_b128 v6, v[2:5]
	s_waitcnt lgkmcnt(0)
	; wave barrier
	s_and_saveexec_b64 s[2:3], vcc
	s_cbranch_execz .LBB9_35
; %bb.32:
	v_add_u32_e32 v8, -1, v1
	v_add_u32_e32 v9, 0xa0, v34
	v_mov_b32_e32 v10, v34
	v_mov_b64_e32 v[2:3], 0
	s_mov_b64 s[6:7], 0
	v_mov_b64_e32 v[4:5], 0
.LBB9_33:                               ; =>This Inner Loop Header: Depth=1
	scratch_load_dwordx4 v[36:39], v10, off
	ds_read_b128 v[40:43], v9
	v_add_u32_e32 v8, 1, v8
	v_cmp_lt_u32_e32 vcc, 3, v8
	v_add_u32_e32 v9, 16, v9
	v_add_u32_e32 v10, 16, v10
	s_or_b64 s[6:7], vcc, s[6:7]
	s_waitcnt vmcnt(0) lgkmcnt(0)
	v_mul_f64 v[12:13], v[42:43], v[38:39]
	v_mul_f64 v[38:39], v[40:41], v[38:39]
	v_fma_f64 v[12:13], v[40:41], v[36:37], -v[12:13]
	v_fmac_f64_e32 v[38:39], v[42:43], v[36:37]
	v_add_f64 v[4:5], v[4:5], v[12:13]
	v_add_f64 v[2:3], v[2:3], v[38:39]
	s_andn2_b64 exec, exec, s[6:7]
	s_cbranch_execnz .LBB9_33
; %bb.34:
	s_or_b64 exec, exec, s[6:7]
	v_mov_b32_e32 v8, 0
	ds_read_b128 v[8:11], v8 offset:80
	s_waitcnt lgkmcnt(0)
	v_mul_f64 v[36:37], v[2:3], v[10:11]
	v_mul_f64 v[12:13], v[4:5], v[10:11]
	v_fma_f64 v[10:11], v[4:5], v[8:9], -v[36:37]
	v_fmac_f64_e32 v[12:13], v[2:3], v[8:9]
	scratch_store_dwordx4 off, v[10:13], off offset:80
.LBB9_35:
	s_or_b64 exec, exec, s[2:3]
	; wave barrier
	scratch_load_dwordx4 v[2:5], off, s25
	v_cmp_gt_u32_e32 vcc, 6, v1
	s_waitcnt vmcnt(0)
	ds_write_b128 v6, v[2:5]
	s_waitcnt lgkmcnt(0)
	; wave barrier
	s_and_saveexec_b64 s[2:3], vcc
	s_cbranch_execz .LBB9_39
; %bb.36:
	v_add_u32_e32 v8, -1, v1
	v_add_u32_e32 v9, 0xa0, v34
	v_mov_b32_e32 v10, v34
	v_mov_b64_e32 v[2:3], 0
	s_mov_b64 s[6:7], 0
	v_mov_b64_e32 v[4:5], 0
.LBB9_37:                               ; =>This Inner Loop Header: Depth=1
	scratch_load_dwordx4 v[36:39], v10, off
	ds_read_b128 v[40:43], v9
	v_add_u32_e32 v8, 1, v8
	v_cmp_lt_u32_e32 vcc, 4, v8
	v_add_u32_e32 v9, 16, v9
	v_add_u32_e32 v10, 16, v10
	s_or_b64 s[6:7], vcc, s[6:7]
	s_waitcnt vmcnt(0) lgkmcnt(0)
	v_mul_f64 v[12:13], v[42:43], v[38:39]
	v_mul_f64 v[38:39], v[40:41], v[38:39]
	v_fma_f64 v[12:13], v[40:41], v[36:37], -v[12:13]
	v_fmac_f64_e32 v[38:39], v[42:43], v[36:37]
	v_add_f64 v[4:5], v[4:5], v[12:13]
	v_add_f64 v[2:3], v[2:3], v[38:39]
	s_andn2_b64 exec, exec, s[6:7]
	s_cbranch_execnz .LBB9_37
; %bb.38:
	s_or_b64 exec, exec, s[6:7]
	v_mov_b32_e32 v8, 0
	ds_read_b128 v[8:11], v8 offset:96
	s_waitcnt lgkmcnt(0)
	v_mul_f64 v[36:37], v[2:3], v[10:11]
	v_mul_f64 v[12:13], v[4:5], v[10:11]
	v_fma_f64 v[10:11], v[4:5], v[8:9], -v[36:37]
	v_fmac_f64_e32 v[12:13], v[2:3], v[8:9]
	scratch_store_dwordx4 off, v[10:13], off offset:96
.LBB9_39:
	s_or_b64 exec, exec, s[2:3]
	; wave barrier
	scratch_load_dwordx4 v[2:5], off, s26
	v_cmp_gt_u32_e32 vcc, 7, v1
	s_waitcnt vmcnt(0)
	ds_write_b128 v6, v[2:5]
	s_waitcnt lgkmcnt(0)
	; wave barrier
	s_and_saveexec_b64 s[2:3], vcc
	s_cbranch_execz .LBB9_43
; %bb.40:
	v_add_u32_e32 v8, -1, v1
	v_add_u32_e32 v9, 0xa0, v34
	v_mov_b32_e32 v10, v34
	v_mov_b64_e32 v[2:3], 0
	s_mov_b64 s[6:7], 0
	v_mov_b64_e32 v[4:5], 0
.LBB9_41:                               ; =>This Inner Loop Header: Depth=1
	scratch_load_dwordx4 v[36:39], v10, off
	ds_read_b128 v[40:43], v9
	v_add_u32_e32 v8, 1, v8
	v_cmp_lt_u32_e32 vcc, 5, v8
	v_add_u32_e32 v9, 16, v9
	v_add_u32_e32 v10, 16, v10
	s_or_b64 s[6:7], vcc, s[6:7]
	s_waitcnt vmcnt(0) lgkmcnt(0)
	v_mul_f64 v[12:13], v[42:43], v[38:39]
	v_mul_f64 v[38:39], v[40:41], v[38:39]
	v_fma_f64 v[12:13], v[40:41], v[36:37], -v[12:13]
	v_fmac_f64_e32 v[38:39], v[42:43], v[36:37]
	v_add_f64 v[4:5], v[4:5], v[12:13]
	v_add_f64 v[2:3], v[2:3], v[38:39]
	s_andn2_b64 exec, exec, s[6:7]
	s_cbranch_execnz .LBB9_41
; %bb.42:
	s_or_b64 exec, exec, s[6:7]
	v_mov_b32_e32 v8, 0
	ds_read_b128 v[8:11], v8 offset:112
	s_waitcnt lgkmcnt(0)
	v_mul_f64 v[36:37], v[2:3], v[10:11]
	v_mul_f64 v[12:13], v[4:5], v[10:11]
	v_fma_f64 v[10:11], v[4:5], v[8:9], -v[36:37]
	v_fmac_f64_e32 v[12:13], v[2:3], v[8:9]
	scratch_store_dwordx4 off, v[10:13], off offset:112
.LBB9_43:
	s_or_b64 exec, exec, s[2:3]
	; wave barrier
	scratch_load_dwordx4 v[2:5], off, s17
	v_cmp_gt_u32_e32 vcc, 8, v1
	s_waitcnt vmcnt(0)
	ds_write_b128 v6, v[2:5]
	s_waitcnt lgkmcnt(0)
	; wave barrier
	s_and_saveexec_b64 s[2:3], vcc
	s_cbranch_execz .LBB9_47
; %bb.44:
	v_add_u32_e32 v8, -1, v1
	v_add_u32_e32 v9, 0xa0, v34
	v_mov_b32_e32 v10, v34
	v_mov_b64_e32 v[2:3], 0
	s_mov_b64 s[6:7], 0
	v_mov_b64_e32 v[4:5], 0
.LBB9_45:                               ; =>This Inner Loop Header: Depth=1
	scratch_load_dwordx4 v[36:39], v10, off
	ds_read_b128 v[40:43], v9
	v_add_u32_e32 v8, 1, v8
	v_cmp_lt_u32_e32 vcc, 6, v8
	v_add_u32_e32 v9, 16, v9
	v_add_u32_e32 v10, 16, v10
	s_or_b64 s[6:7], vcc, s[6:7]
	s_waitcnt vmcnt(0) lgkmcnt(0)
	v_mul_f64 v[12:13], v[42:43], v[38:39]
	v_mul_f64 v[38:39], v[40:41], v[38:39]
	v_fma_f64 v[12:13], v[40:41], v[36:37], -v[12:13]
	v_fmac_f64_e32 v[38:39], v[42:43], v[36:37]
	v_add_f64 v[4:5], v[4:5], v[12:13]
	v_add_f64 v[2:3], v[2:3], v[38:39]
	s_andn2_b64 exec, exec, s[6:7]
	s_cbranch_execnz .LBB9_45
; %bb.46:
	s_or_b64 exec, exec, s[6:7]
	v_mov_b32_e32 v8, 0
	ds_read_b128 v[8:11], v8 offset:128
	s_waitcnt lgkmcnt(0)
	v_mul_f64 v[36:37], v[2:3], v[10:11]
	v_mul_f64 v[12:13], v[4:5], v[10:11]
	v_fma_f64 v[10:11], v[4:5], v[8:9], -v[36:37]
	v_fmac_f64_e32 v[12:13], v[2:3], v[8:9]
	scratch_store_dwordx4 off, v[10:13], off offset:128
.LBB9_47:
	s_or_b64 exec, exec, s[2:3]
	; wave barrier
	scratch_load_dwordx4 v[2:5], off, s24
	v_cmp_ne_u32_e32 vcc, 9, v1
	s_waitcnt vmcnt(0)
	ds_write_b128 v6, v[2:5]
	s_waitcnt lgkmcnt(0)
	; wave barrier
	s_and_saveexec_b64 s[2:3], vcc
	s_cbranch_execz .LBB9_51
; %bb.48:
	v_add_u32_e32 v6, 0xa0, v34
	v_mov_b32_e32 v8, v34
	v_mov_b64_e32 v[2:3], 0
	s_mov_b64 s[6:7], 0
	v_mov_b64_e32 v[4:5], 0
.LBB9_49:                               ; =>This Inner Loop Header: Depth=1
	scratch_load_dwordx4 v[10:13], v8, off
	ds_read_b128 v[34:37], v6
	v_add_u32_e32 v7, 1, v7
	v_cmp_lt_u32_e32 vcc, 7, v7
	v_add_u32_e32 v6, 16, v6
	v_add_u32_e32 v8, 16, v8
	s_or_b64 s[6:7], vcc, s[6:7]
	s_waitcnt vmcnt(0) lgkmcnt(0)
	v_mul_f64 v[38:39], v[36:37], v[12:13]
	v_mul_f64 v[12:13], v[34:35], v[12:13]
	v_fma_f64 v[34:35], v[34:35], v[10:11], -v[38:39]
	v_fmac_f64_e32 v[12:13], v[36:37], v[10:11]
	v_add_f64 v[4:5], v[4:5], v[34:35]
	v_add_f64 v[2:3], v[2:3], v[12:13]
	s_andn2_b64 exec, exec, s[6:7]
	s_cbranch_execnz .LBB9_49
; %bb.50:
	s_or_b64 exec, exec, s[6:7]
	v_mov_b32_e32 v6, 0
	ds_read_b128 v[6:9], v6 offset:144
	s_waitcnt lgkmcnt(0)
	v_mul_f64 v[12:13], v[2:3], v[8:9]
	v_mul_f64 v[10:11], v[4:5], v[8:9]
	v_fma_f64 v[8:9], v[4:5], v[6:7], -v[12:13]
	v_fmac_f64_e32 v[10:11], v[2:3], v[6:7]
	scratch_store_dwordx4 off, v[8:11], off offset:144
.LBB9_51:
	s_or_b64 exec, exec, s[2:3]
	s_mov_b64 s[6:7], -1
	; wave barrier
.LBB9_52:
	s_and_b64 vcc, exec, s[6:7]
	s_cbranch_vccz .LBB9_54
; %bb.53:
	s_lshl_b64 s[2:3], s[4:5], 2
	s_add_u32 s2, s10, s2
	s_addc_u32 s3, s11, s3
	v_mov_b32_e32 v2, 0
	global_load_dword v2, v2, s[2:3]
	s_waitcnt vmcnt(0)
	v_cmp_ne_u32_e32 vcc, 0, v2
	s_cbranch_vccz .LBB9_55
.LBB9_54:
	s_endpgm
.LBB9_55:
	v_mov_b32_e32 v2, 0xa0
	v_lshl_add_u32 v6, v1, 4, v2
	v_cmp_eq_u32_e32 vcc, 9, v1
	s_and_saveexec_b64 s[2:3], vcc
	s_cbranch_execz .LBB9_57
; %bb.56:
	scratch_load_dwordx4 v[2:5], off, s17
	v_mov_b32_e32 v8, 0
	v_mov_b32_e32 v9, v8
	;; [unrolled: 1-line block ×4, first 2 shown]
	scratch_store_dwordx4 off, v[8:11], off offset:128
	s_waitcnt vmcnt(1)
	ds_write_b128 v6, v[2:5]
.LBB9_57:
	s_or_b64 exec, exec, s[2:3]
	s_waitcnt lgkmcnt(0)
	; wave barrier
	scratch_load_dwordx4 v[8:11], off, off offset:144
	scratch_load_dwordx4 v[34:37], off, off offset:128
	v_mov_b32_e32 v2, 0
	ds_read_b128 v[38:41], v2 offset:304
	v_cmp_lt_u32_e32 vcc, 7, v1
	s_waitcnt vmcnt(1) lgkmcnt(0)
	v_mul_f64 v[4:5], v[38:39], v[10:11]
	v_mul_f64 v[10:11], v[40:41], v[10:11]
	v_fmac_f64_e32 v[4:5], v[40:41], v[8:9]
	v_fma_f64 v[8:9], v[38:39], v[8:9], -v[10:11]
	v_add_f64 v[4:5], v[4:5], 0
	v_add_f64 v[8:9], v[8:9], 0
	s_waitcnt vmcnt(0)
	v_add_f64 v[8:9], v[34:35], -v[8:9]
	v_add_f64 v[10:11], v[36:37], -v[4:5]
	scratch_store_dwordx4 off, v[8:11], off offset:128
	s_and_saveexec_b64 s[2:3], vcc
	s_cbranch_execz .LBB9_59
; %bb.58:
	scratch_load_dwordx4 v[8:11], off, s26
	v_mov_b32_e32 v3, v2
	v_mov_b32_e32 v4, v2
	;; [unrolled: 1-line block ×3, first 2 shown]
	scratch_store_dwordx4 off, v[2:5], off offset:112
	s_waitcnt vmcnt(1)
	ds_write_b128 v6, v[8:11]
.LBB9_59:
	s_or_b64 exec, exec, s[2:3]
	s_waitcnt lgkmcnt(0)
	; wave barrier
	scratch_load_dwordx4 v[8:11], off, off offset:128
	scratch_load_dwordx4 v[34:37], off, off offset:144
	;; [unrolled: 1-line block ×3, first 2 shown]
	ds_read_b128 v[42:45], v2 offset:288
	ds_read_b128 v[2:5], v2 offset:304
	v_cmp_lt_u32_e32 vcc, 6, v1
	s_waitcnt vmcnt(2) lgkmcnt(1)
	v_mul_f64 v[12:13], v[42:43], v[10:11]
	s_waitcnt vmcnt(1) lgkmcnt(0)
	v_mul_f64 v[46:47], v[2:3], v[36:37]
	v_mul_f64 v[10:11], v[44:45], v[10:11]
	;; [unrolled: 1-line block ×3, first 2 shown]
	v_fmac_f64_e32 v[12:13], v[44:45], v[8:9]
	v_fmac_f64_e32 v[46:47], v[4:5], v[34:35]
	v_fma_f64 v[4:5], v[42:43], v[8:9], -v[10:11]
	v_fma_f64 v[2:3], v[2:3], v[34:35], -v[36:37]
	v_add_f64 v[8:9], v[12:13], 0
	v_add_f64 v[4:5], v[4:5], 0
	;; [unrolled: 1-line block ×4, first 2 shown]
	s_waitcnt vmcnt(0)
	v_add_f64 v[2:3], v[38:39], -v[2:3]
	v_add_f64 v[4:5], v[40:41], -v[8:9]
	scratch_store_dwordx4 off, v[2:5], off offset:112
	s_and_saveexec_b64 s[2:3], vcc
	s_cbranch_execz .LBB9_61
; %bb.60:
	scratch_load_dwordx4 v[2:5], off, s25
	v_mov_b32_e32 v8, 0
	v_mov_b32_e32 v9, v8
	;; [unrolled: 1-line block ×4, first 2 shown]
	scratch_store_dwordx4 off, v[8:11], off offset:96
	s_waitcnt vmcnt(1)
	ds_write_b128 v6, v[2:5]
.LBB9_61:
	s_or_b64 exec, exec, s[2:3]
	s_waitcnt lgkmcnt(0)
	; wave barrier
	scratch_load_dwordx4 v[8:11], off, off offset:112
	scratch_load_dwordx4 v[34:37], off, off offset:128
	;; [unrolled: 1-line block ×4, first 2 shown]
	v_mov_b32_e32 v2, 0
	ds_read_b128 v[46:49], v2 offset:272
	ds_read_b128 v[50:53], v2 offset:288
	;; [unrolled: 1-line block ×3, first 2 shown]
	v_cmp_lt_u32_e32 vcc, 5, v1
	s_waitcnt vmcnt(3) lgkmcnt(2)
	v_mul_f64 v[4:5], v[46:47], v[10:11]
	v_mul_f64 v[10:11], v[48:49], v[10:11]
	s_waitcnt vmcnt(2) lgkmcnt(1)
	v_mul_f64 v[12:13], v[50:51], v[36:37]
	v_mul_f64 v[36:37], v[52:53], v[36:37]
	v_fmac_f64_e32 v[4:5], v[48:49], v[8:9]
	v_fma_f64 v[8:9], v[46:47], v[8:9], -v[10:11]
	s_waitcnt vmcnt(1) lgkmcnt(0)
	v_mul_f64 v[58:59], v[54:55], v[40:41]
	v_mul_f64 v[40:41], v[56:57], v[40:41]
	v_fmac_f64_e32 v[12:13], v[52:53], v[34:35]
	v_fma_f64 v[10:11], v[50:51], v[34:35], -v[36:37]
	v_add_f64 v[4:5], v[4:5], 0
	v_add_f64 v[8:9], v[8:9], 0
	v_fmac_f64_e32 v[58:59], v[56:57], v[38:39]
	v_fma_f64 v[34:35], v[54:55], v[38:39], -v[40:41]
	v_add_f64 v[4:5], v[4:5], v[12:13]
	v_add_f64 v[8:9], v[8:9], v[10:11]
	;; [unrolled: 1-line block ×4, first 2 shown]
	s_waitcnt vmcnt(0)
	v_add_f64 v[8:9], v[42:43], -v[8:9]
	v_add_f64 v[10:11], v[44:45], -v[4:5]
	scratch_store_dwordx4 off, v[8:11], off offset:96
	s_and_saveexec_b64 s[2:3], vcc
	s_cbranch_execz .LBB9_63
; %bb.62:
	scratch_load_dwordx4 v[8:11], off, s19
	v_mov_b32_e32 v3, v2
	v_mov_b32_e32 v4, v2
	;; [unrolled: 1-line block ×3, first 2 shown]
	scratch_store_dwordx4 off, v[2:5], off offset:80
	s_waitcnt vmcnt(1)
	ds_write_b128 v6, v[8:11]
.LBB9_63:
	s_or_b64 exec, exec, s[2:3]
	s_waitcnt lgkmcnt(0)
	; wave barrier
	scratch_load_dwordx4 v[8:11], off, off offset:96
	scratch_load_dwordx4 v[34:37], off, off offset:112
	;; [unrolled: 1-line block ×5, first 2 shown]
	ds_read_b128 v[50:53], v2 offset:256
	ds_read_b128 v[54:57], v2 offset:272
	;; [unrolled: 1-line block ×4, first 2 shown]
	v_cmp_lt_u32_e32 vcc, 4, v1
	s_waitcnt vmcnt(4) lgkmcnt(3)
	v_mul_f64 v[12:13], v[50:51], v[10:11]
	v_mul_f64 v[10:11], v[52:53], v[10:11]
	s_waitcnt vmcnt(3) lgkmcnt(2)
	v_mul_f64 v[62:63], v[54:55], v[36:37]
	s_waitcnt vmcnt(1) lgkmcnt(0)
	v_mul_f64 v[66:67], v[2:3], v[44:45]
	v_mul_f64 v[36:37], v[56:57], v[36:37]
	;; [unrolled: 1-line block ×3, first 2 shown]
	v_fmac_f64_e32 v[12:13], v[52:53], v[8:9]
	v_fmac_f64_e32 v[66:67], v[4:5], v[42:43]
	v_fma_f64 v[4:5], v[50:51], v[8:9], -v[10:11]
	v_mul_f64 v[64:65], v[58:59], v[40:41]
	v_mul_f64 v[40:41], v[60:61], v[40:41]
	v_fmac_f64_e32 v[62:63], v[56:57], v[34:35]
	v_fma_f64 v[8:9], v[54:55], v[34:35], -v[36:37]
	v_add_f64 v[12:13], v[12:13], 0
	v_add_f64 v[4:5], v[4:5], 0
	v_fmac_f64_e32 v[64:65], v[60:61], v[38:39]
	v_fma_f64 v[10:11], v[58:59], v[38:39], -v[40:41]
	v_add_f64 v[12:13], v[12:13], v[62:63]
	v_add_f64 v[4:5], v[4:5], v[8:9]
	v_fma_f64 v[2:3], v[2:3], v[42:43], -v[44:45]
	v_add_f64 v[8:9], v[12:13], v[64:65]
	v_add_f64 v[4:5], v[4:5], v[10:11]
	;; [unrolled: 1-line block ×4, first 2 shown]
	s_waitcnt vmcnt(0)
	v_add_f64 v[2:3], v[46:47], -v[2:3]
	v_add_f64 v[4:5], v[48:49], -v[8:9]
	scratch_store_dwordx4 off, v[2:5], off offset:80
	s_and_saveexec_b64 s[2:3], vcc
	s_cbranch_execz .LBB9_65
; %bb.64:
	scratch_load_dwordx4 v[2:5], off, s16
	v_mov_b32_e32 v8, 0
	v_mov_b32_e32 v9, v8
	;; [unrolled: 1-line block ×4, first 2 shown]
	scratch_store_dwordx4 off, v[8:11], off offset:64
	s_waitcnt vmcnt(1)
	ds_write_b128 v6, v[2:5]
.LBB9_65:
	s_or_b64 exec, exec, s[2:3]
	s_waitcnt lgkmcnt(0)
	; wave barrier
	scratch_load_dwordx4 v[8:11], off, off offset:80
	scratch_load_dwordx4 v[34:37], off, off offset:96
	;; [unrolled: 1-line block ×6, first 2 shown]
	v_mov_b32_e32 v2, 0
	ds_read_b128 v[54:57], v2 offset:240
	ds_read_b128 v[58:61], v2 offset:256
	;; [unrolled: 1-line block ×5, first 2 shown]
	v_cmp_lt_u32_e32 vcc, 3, v1
	s_waitcnt vmcnt(5) lgkmcnt(4)
	v_mul_f64 v[4:5], v[54:55], v[10:11]
	v_mul_f64 v[10:11], v[56:57], v[10:11]
	s_waitcnt vmcnt(4) lgkmcnt(3)
	v_mul_f64 v[12:13], v[58:59], v[36:37]
	v_mul_f64 v[36:37], v[60:61], v[36:37]
	v_fmac_f64_e32 v[4:5], v[56:57], v[8:9]
	v_fma_f64 v[8:9], v[54:55], v[8:9], -v[10:11]
	s_waitcnt vmcnt(3) lgkmcnt(2)
	v_mul_f64 v[74:75], v[62:63], v[40:41]
	v_mul_f64 v[40:41], v[64:65], v[40:41]
	v_fmac_f64_e32 v[12:13], v[60:61], v[34:35]
	v_fma_f64 v[10:11], v[58:59], v[34:35], -v[36:37]
	v_add_f64 v[4:5], v[4:5], 0
	v_add_f64 v[8:9], v[8:9], 0
	s_waitcnt vmcnt(2) lgkmcnt(1)
	v_mul_f64 v[76:77], v[66:67], v[44:45]
	v_mul_f64 v[44:45], v[68:69], v[44:45]
	v_fmac_f64_e32 v[74:75], v[64:65], v[38:39]
	v_fma_f64 v[34:35], v[62:63], v[38:39], -v[40:41]
	v_add_f64 v[4:5], v[4:5], v[12:13]
	v_add_f64 v[8:9], v[8:9], v[10:11]
	s_waitcnt vmcnt(1) lgkmcnt(0)
	v_mul_f64 v[78:79], v[70:71], v[48:49]
	v_mul_f64 v[48:49], v[72:73], v[48:49]
	v_fmac_f64_e32 v[76:77], v[68:69], v[42:43]
	v_fma_f64 v[36:37], v[66:67], v[42:43], -v[44:45]
	v_add_f64 v[4:5], v[4:5], v[74:75]
	v_add_f64 v[8:9], v[8:9], v[34:35]
	v_fmac_f64_e32 v[78:79], v[72:73], v[46:47]
	v_fma_f64 v[38:39], v[70:71], v[46:47], -v[48:49]
	v_add_f64 v[4:5], v[4:5], v[76:77]
	v_add_f64 v[8:9], v[8:9], v[36:37]
	;; [unrolled: 1-line block ×4, first 2 shown]
	s_waitcnt vmcnt(0)
	v_add_f64 v[8:9], v[50:51], -v[8:9]
	v_add_f64 v[10:11], v[52:53], -v[4:5]
	scratch_store_dwordx4 off, v[8:11], off offset:64
	s_and_saveexec_b64 s[2:3], vcc
	s_cbranch_execz .LBB9_67
; %bb.66:
	scratch_load_dwordx4 v[8:11], off, s15
	v_mov_b32_e32 v3, v2
	v_mov_b32_e32 v4, v2
	;; [unrolled: 1-line block ×3, first 2 shown]
	scratch_store_dwordx4 off, v[2:5], off offset:48
	s_waitcnt vmcnt(1)
	ds_write_b128 v6, v[8:11]
.LBB9_67:
	s_or_b64 exec, exec, s[2:3]
	s_waitcnt lgkmcnt(0)
	; wave barrier
	scratch_load_dwordx4 v[8:11], off, off offset:64
	scratch_load_dwordx4 v[34:37], off, off offset:80
	;; [unrolled: 1-line block ×7, first 2 shown]
	ds_read_b128 v[58:61], v2 offset:224
	ds_read_b128 v[62:65], v2 offset:240
	;; [unrolled: 1-line block ×6, first 2 shown]
	v_cmp_lt_u32_e32 vcc, 2, v1
	s_waitcnt vmcnt(6) lgkmcnt(5)
	v_mul_f64 v[12:13], v[58:59], v[10:11]
	v_mul_f64 v[10:11], v[60:61], v[10:11]
	s_waitcnt vmcnt(5) lgkmcnt(4)
	v_mul_f64 v[78:79], v[62:63], v[36:37]
	v_mul_f64 v[36:37], v[64:65], v[36:37]
	v_fmac_f64_e32 v[12:13], v[60:61], v[8:9]
	s_waitcnt vmcnt(1) lgkmcnt(0)
	v_mul_f64 v[86:87], v[2:3], v[52:53]
	v_fma_f64 v[8:9], v[58:59], v[8:9], -v[10:11]
	v_mul_f64 v[80:81], v[66:67], v[40:41]
	v_mul_f64 v[40:41], v[68:69], v[40:41]
	;; [unrolled: 1-line block ×3, first 2 shown]
	v_fmac_f64_e32 v[78:79], v[64:65], v[34:35]
	v_fmac_f64_e32 v[86:87], v[4:5], v[50:51]
	v_fma_f64 v[4:5], v[62:63], v[34:35], -v[36:37]
	v_add_f64 v[12:13], v[12:13], 0
	v_add_f64 v[8:9], v[8:9], 0
	v_mul_f64 v[82:83], v[70:71], v[44:45]
	v_mul_f64 v[44:45], v[72:73], v[44:45]
	v_fmac_f64_e32 v[80:81], v[68:69], v[38:39]
	v_fma_f64 v[10:11], v[66:67], v[38:39], -v[40:41]
	v_add_f64 v[12:13], v[12:13], v[78:79]
	v_add_f64 v[4:5], v[8:9], v[4:5]
	v_mul_f64 v[84:85], v[74:75], v[48:49]
	v_mul_f64 v[48:49], v[76:77], v[48:49]
	v_fmac_f64_e32 v[82:83], v[72:73], v[42:43]
	v_fma_f64 v[34:35], v[70:71], v[42:43], -v[44:45]
	v_add_f64 v[8:9], v[12:13], v[80:81]
	v_add_f64 v[4:5], v[4:5], v[10:11]
	v_fmac_f64_e32 v[84:85], v[76:77], v[46:47]
	v_fma_f64 v[36:37], v[74:75], v[46:47], -v[48:49]
	v_add_f64 v[8:9], v[8:9], v[82:83]
	v_add_f64 v[4:5], v[4:5], v[34:35]
	v_fma_f64 v[2:3], v[2:3], v[50:51], -v[52:53]
	v_add_f64 v[8:9], v[8:9], v[84:85]
	v_add_f64 v[4:5], v[4:5], v[36:37]
	;; [unrolled: 1-line block ×4, first 2 shown]
	s_waitcnt vmcnt(0)
	v_add_f64 v[2:3], v[54:55], -v[2:3]
	v_add_f64 v[4:5], v[56:57], -v[8:9]
	scratch_store_dwordx4 off, v[2:5], off offset:48
	s_and_saveexec_b64 s[2:3], vcc
	s_cbranch_execz .LBB9_69
; %bb.68:
	scratch_load_dwordx4 v[2:5], off, s14
	v_mov_b32_e32 v8, 0
	v_mov_b32_e32 v9, v8
	;; [unrolled: 1-line block ×4, first 2 shown]
	scratch_store_dwordx4 off, v[8:11], off offset:32
	s_waitcnt vmcnt(1)
	ds_write_b128 v6, v[2:5]
.LBB9_69:
	s_or_b64 exec, exec, s[2:3]
	s_waitcnt lgkmcnt(0)
	; wave barrier
	scratch_load_dwordx4 v[8:11], off, off offset:48
	scratch_load_dwordx4 v[34:37], off, off offset:64
	;; [unrolled: 1-line block ×8, first 2 shown]
	v_mov_b32_e32 v2, 0
	ds_read_b128 v[62:65], v2 offset:208
	ds_read_b128 v[66:69], v2 offset:224
	;; [unrolled: 1-line block ×7, first 2 shown]
	v_cmp_lt_u32_e32 vcc, 1, v1
	s_waitcnt vmcnt(7) lgkmcnt(6)
	v_mul_f64 v[4:5], v[62:63], v[10:11]
	v_mul_f64 v[10:11], v[64:65], v[10:11]
	s_waitcnt vmcnt(6) lgkmcnt(5)
	v_mul_f64 v[12:13], v[66:67], v[36:37]
	v_mul_f64 v[36:37], v[68:69], v[36:37]
	v_fmac_f64_e32 v[4:5], v[64:65], v[8:9]
	v_fma_f64 v[8:9], v[62:63], v[8:9], -v[10:11]
	s_waitcnt vmcnt(5) lgkmcnt(4)
	v_mul_f64 v[90:91], v[70:71], v[40:41]
	v_mul_f64 v[40:41], v[72:73], v[40:41]
	v_fmac_f64_e32 v[12:13], v[68:69], v[34:35]
	v_fma_f64 v[10:11], v[66:67], v[34:35], -v[36:37]
	v_add_f64 v[4:5], v[4:5], 0
	v_add_f64 v[8:9], v[8:9], 0
	s_waitcnt vmcnt(4) lgkmcnt(3)
	v_mul_f64 v[92:93], v[74:75], v[44:45]
	v_mul_f64 v[44:45], v[76:77], v[44:45]
	v_fmac_f64_e32 v[90:91], v[72:73], v[38:39]
	v_fma_f64 v[34:35], v[70:71], v[38:39], -v[40:41]
	v_add_f64 v[4:5], v[4:5], v[12:13]
	v_add_f64 v[8:9], v[8:9], v[10:11]
	;; [unrolled: 7-line block ×5, first 2 shown]
	v_fmac_f64_e32 v[98:99], v[88:89], v[54:55]
	v_fma_f64 v[42:43], v[86:87], v[54:55], -v[56:57]
	v_add_f64 v[4:5], v[4:5], v[96:97]
	v_add_f64 v[8:9], v[8:9], v[40:41]
	;; [unrolled: 1-line block ×4, first 2 shown]
	s_waitcnt vmcnt(0)
	v_add_f64 v[8:9], v[58:59], -v[8:9]
	v_add_f64 v[10:11], v[60:61], -v[4:5]
	scratch_store_dwordx4 off, v[8:11], off offset:32
	s_and_saveexec_b64 s[2:3], vcc
	s_cbranch_execz .LBB9_71
; %bb.70:
	scratch_load_dwordx4 v[8:11], off, s18
	v_mov_b32_e32 v3, v2
	v_mov_b32_e32 v4, v2
	;; [unrolled: 1-line block ×3, first 2 shown]
	scratch_store_dwordx4 off, v[2:5], off offset:16
	s_waitcnt vmcnt(1)
	ds_write_b128 v6, v[8:11]
.LBB9_71:
	s_or_b64 exec, exec, s[2:3]
	s_waitcnt lgkmcnt(0)
	; wave barrier
	scratch_load_dwordx4 v[8:11], off, off offset:32
	scratch_load_dwordx4 v[34:37], off, off offset:48
	;; [unrolled: 1-line block ×9, first 2 shown]
	ds_read_b128 v[66:69], v2 offset:192
	ds_read_b128 v[70:73], v2 offset:208
	;; [unrolled: 1-line block ×8, first 2 shown]
	v_cmp_ne_u32_e32 vcc, 0, v1
	s_waitcnt vmcnt(8) lgkmcnt(7)
	v_mul_f64 v[12:13], v[66:67], v[10:11]
	v_mul_f64 v[10:11], v[68:69], v[10:11]
	s_waitcnt vmcnt(7) lgkmcnt(6)
	v_mul_f64 v[94:95], v[70:71], v[36:37]
	v_mul_f64 v[36:37], v[72:73], v[36:37]
	v_fmac_f64_e32 v[12:13], v[68:69], v[8:9]
	s_waitcnt vmcnt(6) lgkmcnt(5)
	v_mul_f64 v[96:97], v[74:75], v[40:41]
	v_mul_f64 v[40:41], v[76:77], v[40:41]
	s_waitcnt vmcnt(1) lgkmcnt(0)
	v_mul_f64 v[106:107], v[2:3], v[60:61]
	v_mul_f64 v[60:61], v[4:5], v[60:61]
	v_fmac_f64_e32 v[106:107], v[4:5], v[58:59]
	v_fma_f64 v[4:5], v[66:67], v[8:9], -v[10:11]
	v_fmac_f64_e32 v[94:95], v[72:73], v[34:35]
	v_fma_f64 v[8:9], v[70:71], v[34:35], -v[36:37]
	v_add_f64 v[12:13], v[12:13], 0
	v_add_f64 v[4:5], v[4:5], 0
	v_mul_f64 v[98:99], v[78:79], v[44:45]
	v_mul_f64 v[44:45], v[80:81], v[44:45]
	v_fmac_f64_e32 v[96:97], v[76:77], v[38:39]
	v_fma_f64 v[10:11], v[74:75], v[38:39], -v[40:41]
	v_add_f64 v[12:13], v[12:13], v[94:95]
	v_add_f64 v[4:5], v[4:5], v[8:9]
	v_mul_f64 v[100:101], v[82:83], v[48:49]
	v_mul_f64 v[48:49], v[84:85], v[48:49]
	;; [unrolled: 6-line block ×4, first 2 shown]
	v_fmac_f64_e32 v[102:103], v[88:89], v[50:51]
	v_fma_f64 v[38:39], v[86:87], v[50:51], -v[52:53]
	v_add_f64 v[8:9], v[8:9], v[100:101]
	v_add_f64 v[4:5], v[4:5], v[36:37]
	v_fmac_f64_e32 v[104:105], v[92:93], v[54:55]
	v_fma_f64 v[40:41], v[90:91], v[54:55], -v[56:57]
	v_add_f64 v[8:9], v[8:9], v[102:103]
	v_add_f64 v[4:5], v[4:5], v[38:39]
	v_fma_f64 v[2:3], v[2:3], v[58:59], -v[60:61]
	v_add_f64 v[8:9], v[8:9], v[104:105]
	v_add_f64 v[4:5], v[4:5], v[40:41]
	;; [unrolled: 1-line block ×4, first 2 shown]
	s_waitcnt vmcnt(0)
	v_add_f64 v[2:3], v[62:63], -v[2:3]
	v_add_f64 v[4:5], v[64:65], -v[8:9]
	scratch_store_dwordx4 off, v[2:5], off offset:16
	s_and_saveexec_b64 s[2:3], vcc
	s_cbranch_execz .LBB9_73
; %bb.72:
	scratch_load_dwordx4 v[2:5], off, off
	v_mov_b32_e32 v8, 0
	v_mov_b32_e32 v9, v8
	v_mov_b32_e32 v10, v8
	v_mov_b32_e32 v11, v8
	scratch_store_dwordx4 off, v[8:11], off
	s_waitcnt vmcnt(1)
	ds_write_b128 v6, v[2:5]
.LBB9_73:
	s_or_b64 exec, exec, s[2:3]
	s_waitcnt lgkmcnt(0)
	; wave barrier
	scratch_load_dwordx4 v[4:7], off, off offset:16
	scratch_load_dwordx4 v[8:11], off, off offset:32
	;; [unrolled: 1-line block ×9, first 2 shown]
	scratch_load_dwordx4 v[62:65], off, off
	v_mov_b32_e32 v2, 0
	ds_read_b128 v[66:69], v2 offset:176
	ds_read_b128 v[70:73], v2 offset:192
	;; [unrolled: 1-line block ×9, first 2 shown]
	s_and_b64 vcc, exec, s[22:23]
	s_waitcnt vmcnt(9) lgkmcnt(8)
	v_mul_f64 v[12:13], v[66:67], v[6:7]
	v_mul_f64 v[6:7], v[68:69], v[6:7]
	s_waitcnt vmcnt(8) lgkmcnt(7)
	v_mul_f64 v[102:103], v[70:71], v[10:11]
	v_mul_f64 v[10:11], v[72:73], v[10:11]
	v_fmac_f64_e32 v[12:13], v[68:69], v[4:5]
	v_fma_f64 v[4:5], v[66:67], v[4:5], -v[6:7]
	s_waitcnt vmcnt(7) lgkmcnt(6)
	v_mul_f64 v[104:105], v[74:75], v[36:37]
	v_mul_f64 v[36:37], v[76:77], v[36:37]
	v_fmac_f64_e32 v[102:103], v[72:73], v[8:9]
	v_fma_f64 v[6:7], v[70:71], v[8:9], -v[10:11]
	v_add_f64 v[12:13], v[12:13], 0
	v_add_f64 v[4:5], v[4:5], 0
	s_waitcnt vmcnt(6) lgkmcnt(5)
	v_mul_f64 v[106:107], v[78:79], v[40:41]
	v_mul_f64 v[40:41], v[80:81], v[40:41]
	v_fmac_f64_e32 v[104:105], v[76:77], v[34:35]
	v_fma_f64 v[8:9], v[74:75], v[34:35], -v[36:37]
	v_add_f64 v[12:13], v[12:13], v[102:103]
	v_add_f64 v[4:5], v[4:5], v[6:7]
	;; [unrolled: 7-line block ×7, first 2 shown]
	v_fmac_f64_e32 v[116:117], v[100:101], v[58:59]
	v_fma_f64 v[42:43], v[98:99], v[58:59], -v[60:61]
	v_add_f64 v[6:7], v[6:7], v[114:115]
	v_add_f64 v[4:5], v[4:5], v[40:41]
	;; [unrolled: 1-line block ×4, first 2 shown]
	s_waitcnt vmcnt(0)
	v_add_f64 v[4:5], v[62:63], -v[4:5]
	v_add_f64 v[6:7], v[64:65], -v[6:7]
	scratch_store_dwordx4 off, v[4:7], off
	s_cbranch_vccz .LBB9_92
; %bb.74:
	global_load_dword v2, v2, s[20:21] offset:32
	s_load_dwordx2 s[2:3], s[0:1], 0x4
	v_bfe_u32 v3, v0, 10, 10
	v_bfe_u32 v0, v0, 20, 10
	s_waitcnt lgkmcnt(0)
	s_lshr_b32 s0, s2, 16
	s_mul_i32 s0, s0, s3
	v_mul_u32_u24_e32 v1, s0, v1
	v_mul_u32_u24_e32 v3, s3, v3
	v_add3_u32 v0, v1, v3, v0
	v_mov_b32_e32 v1, 0x148
	v_lshl_add_u32 v0, v0, 4, v1
	s_waitcnt vmcnt(0)
	v_readfirstlane_b32 s0, v2
	s_add_i32 s0, s0, -1
	s_cmp_lg_u32 s0, 8
	s_cbranch_scc0 .LBB9_76
; %bb.75:
	s_lshl_b32 s0, s0, 4
	scratch_load_dwordx4 v[2:5], off, s17
	scratch_load_dwordx4 v[6:9], off, s0
	s_waitcnt vmcnt(1)
	ds_write2_b64 v0, v[2:3], v[4:5] offset1:1
	s_waitcnt vmcnt(0)
	scratch_store_dwordx4 off, v[6:9], s17
	scratch_store_dwordx4 off, v[2:5], s0
.LBB9_76:
	v_mov_b32_e32 v1, 0
	global_load_dword v2, v1, s[20:21] offset:28
	s_waitcnt vmcnt(0)
	v_readfirstlane_b32 s0, v2
	s_add_i32 s0, s0, -1
	s_cmp_eq_u32 s0, 7
	s_cbranch_scc1 .LBB9_78
; %bb.77:
	s_lshl_b32 s0, s0, 4
	scratch_load_dwordx4 v[2:5], off, s26
	scratch_load_dwordx4 v[6:9], off, s0
	s_waitcnt vmcnt(1)
	ds_write2_b64 v0, v[2:3], v[4:5] offset1:1
	s_waitcnt vmcnt(0)
	scratch_store_dwordx4 off, v[6:9], s26
	scratch_store_dwordx4 off, v[2:5], s0
.LBB9_78:
	global_load_dword v1, v1, s[20:21] offset:24
	s_waitcnt vmcnt(0)
	v_readfirstlane_b32 s0, v1
	s_add_i32 s0, s0, -1
	s_cmp_eq_u32 s0, 6
	s_cbranch_scc1 .LBB9_80
; %bb.79:
	s_lshl_b32 s0, s0, 4
	scratch_load_dwordx4 v[2:5], off, s25
	scratch_load_dwordx4 v[6:9], off, s0
	s_waitcnt vmcnt(1)
	ds_write2_b64 v0, v[2:3], v[4:5] offset1:1
	s_waitcnt vmcnt(0)
	scratch_store_dwordx4 off, v[6:9], s25
	scratch_store_dwordx4 off, v[2:5], s0
.LBB9_80:
	v_mov_b32_e32 v1, 0
	global_load_dword v2, v1, s[20:21] offset:20
	s_waitcnt vmcnt(0)
	v_readfirstlane_b32 s0, v2
	s_add_i32 s0, s0, -1
	s_cmp_eq_u32 s0, 5
	s_cbranch_scc1 .LBB9_82
; %bb.81:
	s_lshl_b32 s0, s0, 4
	scratch_load_dwordx4 v[2:5], off, s19
	scratch_load_dwordx4 v[6:9], off, s0
	s_waitcnt vmcnt(1)
	ds_write2_b64 v0, v[2:3], v[4:5] offset1:1
	s_waitcnt vmcnt(0)
	scratch_store_dwordx4 off, v[6:9], s19
	scratch_store_dwordx4 off, v[2:5], s0
.LBB9_82:
	global_load_dword v1, v1, s[20:21] offset:16
	s_waitcnt vmcnt(0)
	v_readfirstlane_b32 s0, v1
	s_add_i32 s0, s0, -1
	s_cmp_eq_u32 s0, 4
	s_cbranch_scc1 .LBB9_84
; %bb.83:
	s_lshl_b32 s0, s0, 4
	scratch_load_dwordx4 v[2:5], off, s16
	scratch_load_dwordx4 v[6:9], off, s0
	s_waitcnt vmcnt(1)
	ds_write2_b64 v0, v[2:3], v[4:5] offset1:1
	s_waitcnt vmcnt(0)
	scratch_store_dwordx4 off, v[6:9], s16
	scratch_store_dwordx4 off, v[2:5], s0
.LBB9_84:
	;; [unrolled: 33-line block ×3, first 2 shown]
	v_mov_b32_e32 v1, 0
	global_load_dword v2, v1, s[20:21] offset:4
	s_waitcnt vmcnt(0)
	v_readfirstlane_b32 s0, v2
	s_add_i32 s0, s0, -1
	s_cmp_eq_u32 s0, 1
	s_cbranch_scc1 .LBB9_90
; %bb.89:
	s_lshl_b32 s0, s0, 4
	scratch_load_dwordx4 v[2:5], off, s18
	scratch_load_dwordx4 v[6:9], off, s0
	s_waitcnt vmcnt(1)
	ds_write2_b64 v0, v[2:3], v[4:5] offset1:1
	s_waitcnt vmcnt(0)
	scratch_store_dwordx4 off, v[6:9], s18
	scratch_store_dwordx4 off, v[2:5], s0
.LBB9_90:
	global_load_dword v1, v1, s[20:21]
	s_waitcnt vmcnt(0)
	v_readfirstlane_b32 s0, v1
	s_add_i32 s0, s0, -1
	s_cmp_eq_u32 s0, 0
	s_cbranch_scc1 .LBB9_92
; %bb.91:
	s_lshl_b32 s0, s0, 4
	scratch_load_dwordx4 v[2:5], off, off
	scratch_load_dwordx4 v[6:9], off, s0
	s_waitcnt vmcnt(1)
	ds_write2_b64 v0, v[2:3], v[4:5] offset1:1
	s_waitcnt vmcnt(0)
	scratch_store_dwordx4 off, v[6:9], off
	scratch_store_dwordx4 off, v[2:5], s0
.LBB9_92:
	scratch_load_dwordx4 v[0:3], off, off
	s_nop 0
	scratch_load_dwordx4 v[4:7], off, s18
	scratch_load_dwordx4 v[8:11], off, s14
	;; [unrolled: 1-line block ×9, first 2 shown]
	s_waitcnt vmcnt(9)
	global_store_dwordx4 v[14:15], v[0:3], off
	s_waitcnt vmcnt(9)
	global_store_dwordx4 v[16:17], v[4:7], off
	;; [unrolled: 2-line block ×10, first 2 shown]
	s_endpgm
	.section	.rodata,"a",@progbits
	.p2align	6, 0x0
	.amdhsa_kernel _ZN9rocsolver6v33100L18getri_kernel_smallILi10E19rocblas_complex_numIdEPS3_EEvT1_iilPiilS6_bb
		.amdhsa_group_segment_fixed_size 1352
		.amdhsa_private_segment_fixed_size 176
		.amdhsa_kernarg_size 60
		.amdhsa_user_sgpr_count 4
		.amdhsa_user_sgpr_dispatch_ptr 1
		.amdhsa_user_sgpr_queue_ptr 0
		.amdhsa_user_sgpr_kernarg_segment_ptr 1
		.amdhsa_user_sgpr_dispatch_id 0
		.amdhsa_user_sgpr_kernarg_preload_length 0
		.amdhsa_user_sgpr_kernarg_preload_offset 0
		.amdhsa_user_sgpr_private_segment_size 0
		.amdhsa_uses_dynamic_stack 0
		.amdhsa_enable_private_segment 1
		.amdhsa_system_sgpr_workgroup_id_x 1
		.amdhsa_system_sgpr_workgroup_id_y 0
		.amdhsa_system_sgpr_workgroup_id_z 0
		.amdhsa_system_sgpr_workgroup_info 0
		.amdhsa_system_vgpr_workitem_id 2
		.amdhsa_next_free_vgpr 118
		.amdhsa_next_free_sgpr 27
		.amdhsa_accum_offset 120
		.amdhsa_reserve_vcc 1
		.amdhsa_float_round_mode_32 0
		.amdhsa_float_round_mode_16_64 0
		.amdhsa_float_denorm_mode_32 3
		.amdhsa_float_denorm_mode_16_64 3
		.amdhsa_dx10_clamp 1
		.amdhsa_ieee_mode 1
		.amdhsa_fp16_overflow 0
		.amdhsa_tg_split 0
		.amdhsa_exception_fp_ieee_invalid_op 0
		.amdhsa_exception_fp_denorm_src 0
		.amdhsa_exception_fp_ieee_div_zero 0
		.amdhsa_exception_fp_ieee_overflow 0
		.amdhsa_exception_fp_ieee_underflow 0
		.amdhsa_exception_fp_ieee_inexact 0
		.amdhsa_exception_int_div_zero 0
	.end_amdhsa_kernel
	.section	.text._ZN9rocsolver6v33100L18getri_kernel_smallILi10E19rocblas_complex_numIdEPS3_EEvT1_iilPiilS6_bb,"axG",@progbits,_ZN9rocsolver6v33100L18getri_kernel_smallILi10E19rocblas_complex_numIdEPS3_EEvT1_iilPiilS6_bb,comdat
.Lfunc_end9:
	.size	_ZN9rocsolver6v33100L18getri_kernel_smallILi10E19rocblas_complex_numIdEPS3_EEvT1_iilPiilS6_bb, .Lfunc_end9-_ZN9rocsolver6v33100L18getri_kernel_smallILi10E19rocblas_complex_numIdEPS3_EEvT1_iilPiilS6_bb
                                        ; -- End function
	.set _ZN9rocsolver6v33100L18getri_kernel_smallILi10E19rocblas_complex_numIdEPS3_EEvT1_iilPiilS6_bb.num_vgpr, 118
	.set _ZN9rocsolver6v33100L18getri_kernel_smallILi10E19rocblas_complex_numIdEPS3_EEvT1_iilPiilS6_bb.num_agpr, 0
	.set _ZN9rocsolver6v33100L18getri_kernel_smallILi10E19rocblas_complex_numIdEPS3_EEvT1_iilPiilS6_bb.numbered_sgpr, 27
	.set _ZN9rocsolver6v33100L18getri_kernel_smallILi10E19rocblas_complex_numIdEPS3_EEvT1_iilPiilS6_bb.num_named_barrier, 0
	.set _ZN9rocsolver6v33100L18getri_kernel_smallILi10E19rocblas_complex_numIdEPS3_EEvT1_iilPiilS6_bb.private_seg_size, 176
	.set _ZN9rocsolver6v33100L18getri_kernel_smallILi10E19rocblas_complex_numIdEPS3_EEvT1_iilPiilS6_bb.uses_vcc, 1
	.set _ZN9rocsolver6v33100L18getri_kernel_smallILi10E19rocblas_complex_numIdEPS3_EEvT1_iilPiilS6_bb.uses_flat_scratch, 0
	.set _ZN9rocsolver6v33100L18getri_kernel_smallILi10E19rocblas_complex_numIdEPS3_EEvT1_iilPiilS6_bb.has_dyn_sized_stack, 0
	.set _ZN9rocsolver6v33100L18getri_kernel_smallILi10E19rocblas_complex_numIdEPS3_EEvT1_iilPiilS6_bb.has_recursion, 0
	.set _ZN9rocsolver6v33100L18getri_kernel_smallILi10E19rocblas_complex_numIdEPS3_EEvT1_iilPiilS6_bb.has_indirect_call, 0
	.section	.AMDGPU.csdata,"",@progbits
; Kernel info:
; codeLenInByte = 8064
; TotalNumSgprs: 33
; NumVgprs: 118
; NumAgprs: 0
; TotalNumVgprs: 118
; ScratchSize: 176
; MemoryBound: 0
; FloatMode: 240
; IeeeMode: 1
; LDSByteSize: 1352 bytes/workgroup (compile time only)
; SGPRBlocks: 4
; VGPRBlocks: 14
; NumSGPRsForWavesPerEU: 33
; NumVGPRsForWavesPerEU: 118
; AccumOffset: 120
; Occupancy: 4
; WaveLimiterHint : 1
; COMPUTE_PGM_RSRC2:SCRATCH_EN: 1
; COMPUTE_PGM_RSRC2:USER_SGPR: 4
; COMPUTE_PGM_RSRC2:TRAP_HANDLER: 0
; COMPUTE_PGM_RSRC2:TGID_X_EN: 1
; COMPUTE_PGM_RSRC2:TGID_Y_EN: 0
; COMPUTE_PGM_RSRC2:TGID_Z_EN: 0
; COMPUTE_PGM_RSRC2:TIDIG_COMP_CNT: 2
; COMPUTE_PGM_RSRC3_GFX90A:ACCUM_OFFSET: 29
; COMPUTE_PGM_RSRC3_GFX90A:TG_SPLIT: 0
	.section	.text._ZN9rocsolver6v33100L18getri_kernel_smallILi11E19rocblas_complex_numIdEPS3_EEvT1_iilPiilS6_bb,"axG",@progbits,_ZN9rocsolver6v33100L18getri_kernel_smallILi11E19rocblas_complex_numIdEPS3_EEvT1_iilPiilS6_bb,comdat
	.globl	_ZN9rocsolver6v33100L18getri_kernel_smallILi11E19rocblas_complex_numIdEPS3_EEvT1_iilPiilS6_bb ; -- Begin function _ZN9rocsolver6v33100L18getri_kernel_smallILi11E19rocblas_complex_numIdEPS3_EEvT1_iilPiilS6_bb
	.p2align	8
	.type	_ZN9rocsolver6v33100L18getri_kernel_smallILi11E19rocblas_complex_numIdEPS3_EEvT1_iilPiilS6_bb,@function
_ZN9rocsolver6v33100L18getri_kernel_smallILi11E19rocblas_complex_numIdEPS3_EEvT1_iilPiilS6_bb: ; @_ZN9rocsolver6v33100L18getri_kernel_smallILi11E19rocblas_complex_numIdEPS3_EEvT1_iilPiilS6_bb
; %bb.0:
	v_and_b32_e32 v1, 0x3ff, v0
	v_cmp_gt_u32_e32 vcc, 11, v1
	s_and_saveexec_b64 s[6:7], vcc
	s_cbranch_execz .LBB10_58
; %bb.1:
	s_load_dword s6, s[2:3], 0x38
	s_load_dwordx4 s[16:19], s[2:3], 0x10
	s_load_dwordx4 s[8:11], s[2:3], 0x28
                                        ; implicit-def: $sgpr20_sgpr21
	s_waitcnt lgkmcnt(0)
	s_bitcmp1_b32 s6, 8
	s_cselect_b64 s[22:23], -1, 0
	s_ashr_i32 s5, s4, 31
	s_bfe_u32 s6, s6, 0x10008
	s_cmp_eq_u32 s6, 0
	s_cbranch_scc1 .LBB10_3
; %bb.2:
	s_load_dword s6, s[2:3], 0x20
	s_mul_i32 s7, s8, s5
	s_mul_hi_u32 s12, s8, s4
	s_mul_i32 s9, s9, s4
	s_add_i32 s12, s12, s7
	s_add_i32 s9, s12, s9
	s_mul_i32 s8, s8, s4
	s_waitcnt lgkmcnt(0)
	s_ashr_i32 s7, s6, 31
	s_lshl_b64 s[8:9], s[8:9], 2
	s_add_u32 s8, s18, s8
	s_addc_u32 s9, s19, s9
	s_lshl_b64 s[6:7], s[6:7], 2
	s_add_u32 s20, s8, s6
	s_addc_u32 s21, s9, s7
.LBB10_3:
	s_load_dwordx4 s[12:15], s[2:3], 0x0
	s_load_dword s8, s[2:3], 0x38
	s_mul_i32 s6, s16, s5
	s_mul_hi_u32 s7, s16, s4
	s_add_i32 s6, s7, s6
	s_mul_i32 s7, s17, s4
	s_add_i32 s7, s6, s7
	s_mul_i32 s6, s16, s4
	s_waitcnt lgkmcnt(0)
	s_ashr_i32 s3, s14, 31
	s_lshl_b64 s[6:7], s[6:7], 4
	s_mov_b32 s2, s14
	s_add_u32 s6, s12, s6
	s_addc_u32 s7, s13, s7
	s_lshl_b64 s[2:3], s[2:3], 4
	s_add_u32 s2, s6, s2
	s_addc_u32 s3, s7, s3
	v_lshlrev_b32_e32 v36, 4, v1
	v_mov_b32_e32 v37, 0
	v_lshl_add_u64 v[14:15], s[2:3], 0, v[36:37]
	s_ashr_i32 s7, s15, 31
	s_mov_b32 s6, s15
	v_lshl_add_u64 v[16:17], s[6:7], 4, v[14:15]
	s_add_i32 s6, s15, s15
	v_add_u32_e32 v20, s6, v1
	v_ashrrev_i32_e32 v21, 31, v20
	v_lshl_add_u64 v[18:19], v[20:21], 4, s[2:3]
	v_add_u32_e32 v20, s15, v20
	v_add_u32_e32 v22, s15, v20
	;; [unrolled: 1-line block ×7, first 2 shown]
	v_ashrrev_i32_e32 v21, 31, v20
	v_ashrrev_i32_e32 v25, 31, v24
	;; [unrolled: 1-line block ×4, first 2 shown]
	v_add_u32_e32 v34, s15, v32
	v_lshl_add_u64 v[20:21], v[20:21], 4, s[2:3]
	v_ashrrev_i32_e32 v23, 31, v22
	v_lshl_add_u64 v[24:25], v[24:25], 4, s[2:3]
	v_ashrrev_i32_e32 v27, 31, v26
	;; [unrolled: 2-line block ×4, first 2 shown]
	global_load_dwordx4 v[2:5], v36, s[2:3]
	global_load_dwordx4 v[6:9], v[16:17], off
	global_load_dwordx4 v[10:13], v[18:19], off
	v_lshl_add_u64 v[22:23], v[22:23], 4, s[2:3]
	global_load_dwordx4 v[38:41], v[20:21], off
	global_load_dwordx4 v[42:45], v[22:23], off
	v_lshl_add_u64 v[26:27], v[26:27], 4, s[2:3]
	;; [unrolled: 3-line block ×4, first 2 shown]
	global_load_dwordx4 v[62:65], v[32:33], off
	global_load_dwordx4 v[66:69], v[34:35], off
	s_movk_i32 s19, 0x50
	s_movk_i32 s25, 0x60
	;; [unrolled: 1-line block ×6, first 2 shown]
	s_mov_b32 s18, 16
	s_mov_b32 s14, 32
	;; [unrolled: 1-line block ×4, first 2 shown]
	s_bitcmp0_b32 s8, 0
	s_mov_b64 s[6:7], -1
	s_waitcnt vmcnt(10)
	scratch_store_dwordx4 off, v[2:5], off
	s_waitcnt vmcnt(10)
	scratch_store_dwordx4 off, v[6:9], off offset:16
	s_waitcnt vmcnt(10)
	scratch_store_dwordx4 off, v[10:13], off offset:32
	;; [unrolled: 2-line block ×10, first 2 shown]
	s_cbranch_scc1 .LBB10_56
; %bb.4:
	v_cmp_eq_u32_e64 s[2:3], 0, v1
	s_and_saveexec_b64 s[6:7], s[2:3]
; %bb.5:
	v_mov_b32_e32 v2, 0
	ds_write_b32 v2, v2 offset:352
; %bb.6:
	s_or_b64 exec, exec, s[6:7]
	s_waitcnt lgkmcnt(0)
	; wave barrier
	scratch_load_dwordx4 v[2:5], v36, off
	s_waitcnt vmcnt(0)
	v_cmp_eq_f64_e32 vcc, 0, v[2:3]
	v_cmp_eq_f64_e64 s[6:7], 0, v[4:5]
	s_and_b64 s[6:7], vcc, s[6:7]
	s_and_saveexec_b64 s[8:9], s[6:7]
	s_cbranch_execz .LBB10_10
; %bb.7:
	v_mov_b32_e32 v2, 0
	ds_read_b32 v4, v2 offset:352
	v_add_u32_e32 v3, 1, v1
	s_waitcnt lgkmcnt(0)
	v_readfirstlane_b32 s6, v4
	s_cmp_eq_u32 s6, 0
	s_cselect_b64 s[12:13], -1, 0
	v_cmp_gt_i32_e32 vcc, s6, v3
	s_or_b64 s[12:13], s[12:13], vcc
	s_and_b64 exec, exec, s[12:13]
	s_cbranch_execz .LBB10_10
; %bb.8:
	s_mov_b64 s[12:13], 0
	v_mov_b32_e32 v4, s6
.LBB10_9:                               ; =>This Inner Loop Header: Depth=1
	ds_cmpst_rtn_b32 v4, v2, v4, v3 offset:352
	s_waitcnt lgkmcnt(0)
	v_cmp_ne_u32_e32 vcc, 0, v4
	v_cmp_le_i32_e64 s[6:7], v4, v3
	s_and_b64 s[6:7], vcc, s[6:7]
	s_and_b64 s[6:7], exec, s[6:7]
	s_or_b64 s[12:13], s[6:7], s[12:13]
	s_andn2_b64 exec, exec, s[12:13]
	s_cbranch_execnz .LBB10_9
.LBB10_10:
	s_or_b64 exec, exec, s[8:9]
	v_mov_b32_e32 v3, 0
	; wave barrier
	ds_read_b32 v2, v3 offset:352
	s_and_saveexec_b64 s[6:7], s[2:3]
	s_cbranch_execz .LBB10_12
; %bb.11:
	s_lshl_b64 s[8:9], s[4:5], 2
	s_add_u32 s8, s10, s8
	s_addc_u32 s9, s11, s9
	s_waitcnt lgkmcnt(0)
	global_store_dword v3, v2, s[8:9]
.LBB10_12:
	s_or_b64 exec, exec, s[6:7]
	s_waitcnt lgkmcnt(0)
	v_cmp_ne_u32_e32 vcc, 0, v2
	s_mov_b64 s[6:7], 0
	s_cbranch_vccnz .LBB10_56
; %bb.13:
	v_mov_b32_e32 v37, v36
	scratch_load_dwordx4 v[2:5], v37, off
                                        ; implicit-def: $vgpr6_vgpr7
                                        ; implicit-def: $vgpr10_vgpr11
	s_waitcnt vmcnt(0)
	v_cmp_ngt_f64_e64 s[6:7], |v[2:3]|, |v[4:5]|
	s_and_saveexec_b64 s[8:9], s[6:7]
	s_xor_b64 s[6:7], exec, s[8:9]
	s_cbranch_execz .LBB10_15
; %bb.14:
	v_div_scale_f64 v[6:7], s[8:9], v[4:5], v[4:5], v[2:3]
	v_rcp_f64_e32 v[8:9], v[6:7]
	v_div_scale_f64 v[10:11], vcc, v[2:3], v[4:5], v[2:3]
	v_fma_f64 v[12:13], -v[6:7], v[8:9], 1.0
	v_fmac_f64_e32 v[8:9], v[8:9], v[12:13]
	v_fma_f64 v[12:13], -v[6:7], v[8:9], 1.0
	v_fmac_f64_e32 v[8:9], v[8:9], v[12:13]
	v_mul_f64 v[12:13], v[10:11], v[8:9]
	v_fma_f64 v[6:7], -v[6:7], v[12:13], v[10:11]
	v_div_fmas_f64 v[6:7], v[6:7], v[8:9], v[12:13]
	v_div_fixup_f64 v[6:7], v[6:7], v[4:5], v[2:3]
	v_fmac_f64_e32 v[4:5], v[2:3], v[6:7]
	v_div_scale_f64 v[2:3], s[8:9], v[4:5], v[4:5], 1.0
	v_rcp_f64_e32 v[8:9], v[2:3]
	s_nop 0
	v_fma_f64 v[10:11], -v[2:3], v[8:9], 1.0
	v_fmac_f64_e32 v[8:9], v[8:9], v[10:11]
	v_fma_f64 v[10:11], -v[2:3], v[8:9], 1.0
	v_fmac_f64_e32 v[8:9], v[8:9], v[10:11]
	v_div_scale_f64 v[10:11], vcc, 1.0, v[4:5], 1.0
	v_mul_f64 v[12:13], v[10:11], v[8:9]
	v_fma_f64 v[2:3], -v[2:3], v[12:13], v[10:11]
	s_nop 1
	v_div_fmas_f64 v[2:3], v[2:3], v[8:9], v[12:13]
	v_div_fixup_f64 v[8:9], v[2:3], v[4:5], 1.0
	v_mul_f64 v[6:7], v[6:7], v[8:9]
	v_xor_b32_e32 v9, 0x80000000, v9
	v_xor_b32_e32 v11, 0x80000000, v7
	v_mov_b32_e32 v10, v6
                                        ; implicit-def: $vgpr2_vgpr3
.LBB10_15:
	s_andn2_saveexec_b64 s[6:7], s[6:7]
	s_cbranch_execz .LBB10_17
; %bb.16:
	v_div_scale_f64 v[6:7], s[8:9], v[2:3], v[2:3], v[4:5]
	v_rcp_f64_e32 v[8:9], v[6:7]
	v_div_scale_f64 v[10:11], vcc, v[4:5], v[2:3], v[4:5]
	v_fma_f64 v[12:13], -v[6:7], v[8:9], 1.0
	v_fmac_f64_e32 v[8:9], v[8:9], v[12:13]
	v_fma_f64 v[12:13], -v[6:7], v[8:9], 1.0
	v_fmac_f64_e32 v[8:9], v[8:9], v[12:13]
	v_mul_f64 v[12:13], v[10:11], v[8:9]
	v_fma_f64 v[6:7], -v[6:7], v[12:13], v[10:11]
	v_div_fmas_f64 v[6:7], v[6:7], v[8:9], v[12:13]
	v_div_fixup_f64 v[8:9], v[6:7], v[2:3], v[4:5]
	v_fmac_f64_e32 v[2:3], v[4:5], v[8:9]
	v_div_scale_f64 v[4:5], s[8:9], v[2:3], v[2:3], 1.0
	v_rcp_f64_e32 v[6:7], v[4:5]
	s_nop 0
	v_fma_f64 v[10:11], -v[4:5], v[6:7], 1.0
	v_fmac_f64_e32 v[6:7], v[6:7], v[10:11]
	v_fma_f64 v[10:11], -v[4:5], v[6:7], 1.0
	v_fmac_f64_e32 v[6:7], v[6:7], v[10:11]
	v_div_scale_f64 v[10:11], vcc, 1.0, v[2:3], 1.0
	v_mul_f64 v[12:13], v[10:11], v[6:7]
	v_fma_f64 v[4:5], -v[4:5], v[12:13], v[10:11]
	s_nop 1
	v_div_fmas_f64 v[4:5], v[4:5], v[6:7], v[12:13]
	v_div_fixup_f64 v[6:7], v[4:5], v[2:3], 1.0
	v_xor_b32_e32 v11, 0x80000000, v7
	v_mov_b32_e32 v10, v6
	v_mul_f64 v[8:9], v[8:9], -v[6:7]
.LBB10_17:
	s_or_b64 exec, exec, s[6:7]
	scratch_store_dwordx4 v37, v[6:9], off
	scratch_load_dwordx4 v[2:5], off, s18
	v_xor_b32_e32 v13, 0x80000000, v9
	v_mov_b32_e32 v12, v8
	v_add_u32_e32 v6, 0xb0, v36
	ds_write_b128 v36, v[10:13]
	s_waitcnt vmcnt(0)
	ds_write_b128 v36, v[2:5] offset:176
	s_waitcnt lgkmcnt(0)
	; wave barrier
	s_and_saveexec_b64 s[6:7], s[2:3]
	s_cbranch_execz .LBB10_19
; %bb.18:
	scratch_load_dwordx4 v[2:5], v37, off
	ds_read_b128 v[8:11], v6
	v_mov_b32_e32 v7, 0
	ds_read_b128 v[38:41], v7 offset:16
	s_waitcnt vmcnt(0) lgkmcnt(1)
	v_mul_f64 v[12:13], v[10:11], v[4:5]
	v_mul_f64 v[4:5], v[8:9], v[4:5]
	v_fma_f64 v[8:9], v[8:9], v[2:3], -v[12:13]
	v_fmac_f64_e32 v[4:5], v[10:11], v[2:3]
	v_add_f64 v[2:3], v[8:9], 0
	v_add_f64 v[8:9], v[4:5], 0
	s_waitcnt lgkmcnt(0)
	v_mul_f64 v[10:11], v[8:9], v[40:41]
	v_mul_f64 v[4:5], v[2:3], v[40:41]
	v_fma_f64 v[2:3], v[2:3], v[38:39], -v[10:11]
	v_fmac_f64_e32 v[4:5], v[8:9], v[38:39]
	scratch_store_dwordx4 off, v[2:5], off offset:16
.LBB10_19:
	s_or_b64 exec, exec, s[6:7]
	; wave barrier
	scratch_load_dwordx4 v[2:5], off, s14
	v_cmp_gt_u32_e32 vcc, 2, v1
	s_waitcnt vmcnt(0)
	ds_write_b128 v6, v[2:5]
	s_waitcnt lgkmcnt(0)
	; wave barrier
	s_and_saveexec_b64 s[6:7], vcc
	s_cbranch_execz .LBB10_23
; %bb.20:
	scratch_load_dwordx4 v[2:5], v37, off
	ds_read_b128 v[8:11], v6
	s_waitcnt vmcnt(0) lgkmcnt(0)
	v_mul_f64 v[12:13], v[10:11], v[4:5]
	v_mul_f64 v[38:39], v[8:9], v[4:5]
	v_fma_f64 v[4:5], v[8:9], v[2:3], -v[12:13]
	v_fmac_f64_e32 v[38:39], v[10:11], v[2:3]
	v_add_f64 v[4:5], v[4:5], 0
	v_add_f64 v[2:3], v[38:39], 0
	s_and_saveexec_b64 s[8:9], s[2:3]
	s_cbranch_execz .LBB10_22
; %bb.21:
	scratch_load_dwordx4 v[8:11], off, off offset:16
	v_mov_b32_e32 v7, 0
	ds_read_b128 v[38:41], v7 offset:192
	s_waitcnt vmcnt(0) lgkmcnt(0)
	v_mul_f64 v[12:13], v[38:39], v[10:11]
	v_mul_f64 v[10:11], v[40:41], v[10:11]
	v_fmac_f64_e32 v[12:13], v[40:41], v[8:9]
	v_fma_f64 v[8:9], v[38:39], v[8:9], -v[10:11]
	v_add_f64 v[2:3], v[2:3], v[12:13]
	v_add_f64 v[4:5], v[4:5], v[8:9]
.LBB10_22:
	s_or_b64 exec, exec, s[8:9]
	v_mov_b32_e32 v7, 0
	ds_read_b128 v[8:11], v7 offset:32
	s_waitcnt lgkmcnt(0)
	v_mul_f64 v[38:39], v[2:3], v[10:11]
	v_mul_f64 v[12:13], v[4:5], v[10:11]
	v_fma_f64 v[10:11], v[4:5], v[8:9], -v[38:39]
	v_fmac_f64_e32 v[12:13], v[2:3], v[8:9]
	scratch_store_dwordx4 off, v[10:13], off offset:32
.LBB10_23:
	s_or_b64 exec, exec, s[6:7]
	; wave barrier
	scratch_load_dwordx4 v[2:5], off, s15
	v_cmp_gt_u32_e32 vcc, 3, v1
	v_add_u32_e32 v7, -1, v1
	s_waitcnt vmcnt(0)
	ds_write_b128 v6, v[2:5]
	s_waitcnt lgkmcnt(0)
	; wave barrier
	s_and_saveexec_b64 s[2:3], vcc
	s_cbranch_execz .LBB10_27
; %bb.24:
	v_add_u32_e32 v8, -1, v1
	v_add_u32_e32 v9, 0xb0, v36
	v_mov_b32_e32 v10, v36
	v_mov_b64_e32 v[2:3], 0
	s_mov_b64 s[6:7], 0
	v_mov_b64_e32 v[4:5], 0
.LBB10_25:                              ; =>This Inner Loop Header: Depth=1
	scratch_load_dwordx4 v[38:41], v10, off
	ds_read_b128 v[42:45], v9
	v_add_u32_e32 v8, 1, v8
	v_cmp_lt_u32_e32 vcc, 1, v8
	v_add_u32_e32 v9, 16, v9
	v_add_u32_e32 v10, 16, v10
	s_or_b64 s[6:7], vcc, s[6:7]
	s_waitcnt vmcnt(0) lgkmcnt(0)
	v_mul_f64 v[12:13], v[44:45], v[40:41]
	v_mul_f64 v[40:41], v[42:43], v[40:41]
	v_fma_f64 v[12:13], v[42:43], v[38:39], -v[12:13]
	v_fmac_f64_e32 v[40:41], v[44:45], v[38:39]
	v_add_f64 v[4:5], v[4:5], v[12:13]
	v_add_f64 v[2:3], v[2:3], v[40:41]
	s_andn2_b64 exec, exec, s[6:7]
	s_cbranch_execnz .LBB10_25
; %bb.26:
	s_or_b64 exec, exec, s[6:7]
	v_mov_b32_e32 v8, 0
	ds_read_b128 v[8:11], v8 offset:48
	s_waitcnt lgkmcnt(0)
	v_mul_f64 v[38:39], v[2:3], v[10:11]
	v_mul_f64 v[12:13], v[4:5], v[10:11]
	v_fma_f64 v[10:11], v[4:5], v[8:9], -v[38:39]
	v_fmac_f64_e32 v[12:13], v[2:3], v[8:9]
	scratch_store_dwordx4 off, v[10:13], off offset:48
.LBB10_27:
	s_or_b64 exec, exec, s[2:3]
	; wave barrier
	scratch_load_dwordx4 v[2:5], off, s17
	v_cmp_gt_u32_e32 vcc, 4, v1
	s_waitcnt vmcnt(0)
	ds_write_b128 v6, v[2:5]
	s_waitcnt lgkmcnt(0)
	; wave barrier
	s_and_saveexec_b64 s[2:3], vcc
	s_cbranch_execz .LBB10_31
; %bb.28:
	v_add_u32_e32 v8, -1, v1
	v_add_u32_e32 v9, 0xb0, v36
	v_mov_b32_e32 v10, v36
	v_mov_b64_e32 v[2:3], 0
	s_mov_b64 s[6:7], 0
	v_mov_b64_e32 v[4:5], 0
.LBB10_29:                              ; =>This Inner Loop Header: Depth=1
	scratch_load_dwordx4 v[38:41], v10, off
	ds_read_b128 v[42:45], v9
	v_add_u32_e32 v8, 1, v8
	v_cmp_lt_u32_e32 vcc, 2, v8
	v_add_u32_e32 v9, 16, v9
	v_add_u32_e32 v10, 16, v10
	s_or_b64 s[6:7], vcc, s[6:7]
	s_waitcnt vmcnt(0) lgkmcnt(0)
	v_mul_f64 v[12:13], v[44:45], v[40:41]
	v_mul_f64 v[40:41], v[42:43], v[40:41]
	v_fma_f64 v[12:13], v[42:43], v[38:39], -v[12:13]
	v_fmac_f64_e32 v[40:41], v[44:45], v[38:39]
	v_add_f64 v[4:5], v[4:5], v[12:13]
	v_add_f64 v[2:3], v[2:3], v[40:41]
	s_andn2_b64 exec, exec, s[6:7]
	s_cbranch_execnz .LBB10_29
; %bb.30:
	s_or_b64 exec, exec, s[6:7]
	v_mov_b32_e32 v8, 0
	ds_read_b128 v[8:11], v8 offset:64
	s_waitcnt lgkmcnt(0)
	v_mul_f64 v[38:39], v[2:3], v[10:11]
	v_mul_f64 v[12:13], v[4:5], v[10:11]
	v_fma_f64 v[10:11], v[4:5], v[8:9], -v[38:39]
	v_fmac_f64_e32 v[12:13], v[2:3], v[8:9]
	scratch_store_dwordx4 off, v[10:13], off offset:64
.LBB10_31:
	s_or_b64 exec, exec, s[2:3]
	; wave barrier
	scratch_load_dwordx4 v[2:5], off, s19
	v_cmp_gt_u32_e32 vcc, 5, v1
	;; [unrolled: 45-line block ×6, first 2 shown]
	s_waitcnt vmcnt(0)
	ds_write_b128 v6, v[2:5]
	s_waitcnt lgkmcnt(0)
	; wave barrier
	s_and_saveexec_b64 s[2:3], vcc
	s_cbranch_execz .LBB10_51
; %bb.48:
	v_add_u32_e32 v8, -1, v1
	v_add_u32_e32 v9, 0xb0, v36
	v_mov_b32_e32 v10, v36
	v_mov_b64_e32 v[2:3], 0
	s_mov_b64 s[6:7], 0
	v_mov_b64_e32 v[4:5], 0
.LBB10_49:                              ; =>This Inner Loop Header: Depth=1
	scratch_load_dwordx4 v[38:41], v10, off
	ds_read_b128 v[42:45], v9
	v_add_u32_e32 v8, 1, v8
	v_cmp_lt_u32_e32 vcc, 7, v8
	v_add_u32_e32 v9, 16, v9
	v_add_u32_e32 v10, 16, v10
	s_or_b64 s[6:7], vcc, s[6:7]
	s_waitcnt vmcnt(0) lgkmcnt(0)
	v_mul_f64 v[12:13], v[44:45], v[40:41]
	v_mul_f64 v[40:41], v[42:43], v[40:41]
	v_fma_f64 v[12:13], v[42:43], v[38:39], -v[12:13]
	v_fmac_f64_e32 v[40:41], v[44:45], v[38:39]
	v_add_f64 v[4:5], v[4:5], v[12:13]
	v_add_f64 v[2:3], v[2:3], v[40:41]
	s_andn2_b64 exec, exec, s[6:7]
	s_cbranch_execnz .LBB10_49
; %bb.50:
	s_or_b64 exec, exec, s[6:7]
	v_mov_b32_e32 v8, 0
	ds_read_b128 v[8:11], v8 offset:144
	s_waitcnt lgkmcnt(0)
	v_mul_f64 v[38:39], v[2:3], v[10:11]
	v_mul_f64 v[12:13], v[4:5], v[10:11]
	v_fma_f64 v[10:11], v[4:5], v[8:9], -v[38:39]
	v_fmac_f64_e32 v[12:13], v[2:3], v[8:9]
	scratch_store_dwordx4 off, v[10:13], off offset:144
.LBB10_51:
	s_or_b64 exec, exec, s[2:3]
	; wave barrier
	scratch_load_dwordx4 v[2:5], off, s26
	v_cmp_ne_u32_e32 vcc, 10, v1
	s_waitcnt vmcnt(0)
	ds_write_b128 v6, v[2:5]
	s_waitcnt lgkmcnt(0)
	; wave barrier
	s_and_saveexec_b64 s[2:3], vcc
	s_cbranch_execz .LBB10_55
; %bb.52:
	v_add_u32_e32 v6, 0xb0, v36
	v_mov_b32_e32 v8, v36
	v_mov_b64_e32 v[2:3], 0
	s_mov_b64 s[6:7], 0
	v_mov_b64_e32 v[4:5], 0
.LBB10_53:                              ; =>This Inner Loop Header: Depth=1
	scratch_load_dwordx4 v[10:13], v8, off
	ds_read_b128 v[36:39], v6
	v_add_u32_e32 v7, 1, v7
	v_cmp_lt_u32_e32 vcc, 8, v7
	v_add_u32_e32 v6, 16, v6
	v_add_u32_e32 v8, 16, v8
	s_or_b64 s[6:7], vcc, s[6:7]
	s_waitcnt vmcnt(0) lgkmcnt(0)
	v_mul_f64 v[40:41], v[38:39], v[12:13]
	v_mul_f64 v[12:13], v[36:37], v[12:13]
	v_fma_f64 v[36:37], v[36:37], v[10:11], -v[40:41]
	v_fmac_f64_e32 v[12:13], v[38:39], v[10:11]
	v_add_f64 v[4:5], v[4:5], v[36:37]
	v_add_f64 v[2:3], v[2:3], v[12:13]
	s_andn2_b64 exec, exec, s[6:7]
	s_cbranch_execnz .LBB10_53
; %bb.54:
	s_or_b64 exec, exec, s[6:7]
	v_mov_b32_e32 v6, 0
	ds_read_b128 v[6:9], v6 offset:160
	s_waitcnt lgkmcnt(0)
	v_mul_f64 v[12:13], v[2:3], v[8:9]
	v_mul_f64 v[10:11], v[4:5], v[8:9]
	v_fma_f64 v[8:9], v[4:5], v[6:7], -v[12:13]
	v_fmac_f64_e32 v[10:11], v[2:3], v[6:7]
	scratch_store_dwordx4 off, v[8:11], off offset:160
.LBB10_55:
	s_or_b64 exec, exec, s[2:3]
	s_mov_b64 s[6:7], -1
	; wave barrier
.LBB10_56:
	s_and_b64 vcc, exec, s[6:7]
	s_cbranch_vccz .LBB10_58
; %bb.57:
	s_lshl_b64 s[2:3], s[4:5], 2
	s_add_u32 s2, s10, s2
	s_addc_u32 s3, s11, s3
	v_mov_b32_e32 v2, 0
	global_load_dword v2, v2, s[2:3]
	s_waitcnt vmcnt(0)
	v_cmp_ne_u32_e32 vcc, 0, v2
	s_cbranch_vccz .LBB10_59
.LBB10_58:
	s_endpgm
.LBB10_59:
	v_mov_b32_e32 v2, 0xb0
	v_lshl_add_u32 v6, v1, 4, v2
	v_cmp_eq_u32_e32 vcc, 10, v1
	s_and_saveexec_b64 s[2:3], vcc
	s_cbranch_execz .LBB10_61
; %bb.60:
	scratch_load_dwordx4 v[2:5], off, s24
	v_mov_b32_e32 v8, 0
	v_mov_b32_e32 v9, v8
	;; [unrolled: 1-line block ×4, first 2 shown]
	scratch_store_dwordx4 off, v[8:11], off offset:144
	s_waitcnt vmcnt(1)
	ds_write_b128 v6, v[2:5]
.LBB10_61:
	s_or_b64 exec, exec, s[2:3]
	s_waitcnt lgkmcnt(0)
	; wave barrier
	scratch_load_dwordx4 v[8:11], off, off offset:160
	scratch_load_dwordx4 v[36:39], off, off offset:144
	v_mov_b32_e32 v2, 0
	ds_read_b128 v[40:43], v2 offset:336
	v_cmp_lt_u32_e32 vcc, 8, v1
	s_waitcnt vmcnt(1) lgkmcnt(0)
	v_mul_f64 v[4:5], v[40:41], v[10:11]
	v_mul_f64 v[10:11], v[42:43], v[10:11]
	v_fmac_f64_e32 v[4:5], v[42:43], v[8:9]
	v_fma_f64 v[8:9], v[40:41], v[8:9], -v[10:11]
	v_add_f64 v[4:5], v[4:5], 0
	v_add_f64 v[8:9], v[8:9], 0
	s_waitcnt vmcnt(0)
	v_add_f64 v[8:9], v[36:37], -v[8:9]
	v_add_f64 v[10:11], v[38:39], -v[4:5]
	scratch_store_dwordx4 off, v[8:11], off offset:144
	s_and_saveexec_b64 s[2:3], vcc
	s_cbranch_execz .LBB10_63
; %bb.62:
	scratch_load_dwordx4 v[8:11], off, s16
	v_mov_b32_e32 v3, v2
	v_mov_b32_e32 v4, v2
	;; [unrolled: 1-line block ×3, first 2 shown]
	scratch_store_dwordx4 off, v[2:5], off offset:128
	s_waitcnt vmcnt(1)
	ds_write_b128 v6, v[8:11]
.LBB10_63:
	s_or_b64 exec, exec, s[2:3]
	s_waitcnt lgkmcnt(0)
	; wave barrier
	scratch_load_dwordx4 v[8:11], off, off offset:144
	scratch_load_dwordx4 v[36:39], off, off offset:160
	;; [unrolled: 1-line block ×3, first 2 shown]
	ds_read_b128 v[44:47], v2 offset:320
	ds_read_b128 v[2:5], v2 offset:336
	v_cmp_lt_u32_e32 vcc, 7, v1
	s_waitcnt vmcnt(2) lgkmcnt(1)
	v_mul_f64 v[12:13], v[44:45], v[10:11]
	s_waitcnt vmcnt(1) lgkmcnt(0)
	v_mul_f64 v[48:49], v[2:3], v[38:39]
	v_mul_f64 v[10:11], v[46:47], v[10:11]
	;; [unrolled: 1-line block ×3, first 2 shown]
	v_fmac_f64_e32 v[12:13], v[46:47], v[8:9]
	v_fmac_f64_e32 v[48:49], v[4:5], v[36:37]
	v_fma_f64 v[4:5], v[44:45], v[8:9], -v[10:11]
	v_fma_f64 v[2:3], v[2:3], v[36:37], -v[38:39]
	v_add_f64 v[8:9], v[12:13], 0
	v_add_f64 v[4:5], v[4:5], 0
	;; [unrolled: 1-line block ×4, first 2 shown]
	s_waitcnt vmcnt(0)
	v_add_f64 v[2:3], v[40:41], -v[2:3]
	v_add_f64 v[4:5], v[42:43], -v[8:9]
	scratch_store_dwordx4 off, v[2:5], off offset:128
	s_and_saveexec_b64 s[2:3], vcc
	s_cbranch_execz .LBB10_65
; %bb.64:
	scratch_load_dwordx4 v[2:5], off, s27
	v_mov_b32_e32 v8, 0
	v_mov_b32_e32 v9, v8
	;; [unrolled: 1-line block ×4, first 2 shown]
	scratch_store_dwordx4 off, v[8:11], off offset:112
	s_waitcnt vmcnt(1)
	ds_write_b128 v6, v[2:5]
.LBB10_65:
	s_or_b64 exec, exec, s[2:3]
	s_waitcnt lgkmcnt(0)
	; wave barrier
	scratch_load_dwordx4 v[8:11], off, off offset:128
	scratch_load_dwordx4 v[36:39], off, off offset:144
	;; [unrolled: 1-line block ×4, first 2 shown]
	v_mov_b32_e32 v2, 0
	ds_read_b128 v[48:51], v2 offset:304
	ds_read_b128 v[52:55], v2 offset:320
	;; [unrolled: 1-line block ×3, first 2 shown]
	v_cmp_lt_u32_e32 vcc, 6, v1
	s_waitcnt vmcnt(3) lgkmcnt(2)
	v_mul_f64 v[4:5], v[48:49], v[10:11]
	v_mul_f64 v[10:11], v[50:51], v[10:11]
	s_waitcnt vmcnt(2) lgkmcnt(1)
	v_mul_f64 v[12:13], v[52:53], v[38:39]
	v_mul_f64 v[38:39], v[54:55], v[38:39]
	v_fmac_f64_e32 v[4:5], v[50:51], v[8:9]
	v_fma_f64 v[8:9], v[48:49], v[8:9], -v[10:11]
	s_waitcnt vmcnt(1) lgkmcnt(0)
	v_mul_f64 v[60:61], v[56:57], v[42:43]
	v_mul_f64 v[42:43], v[58:59], v[42:43]
	v_fmac_f64_e32 v[12:13], v[54:55], v[36:37]
	v_fma_f64 v[10:11], v[52:53], v[36:37], -v[38:39]
	v_add_f64 v[4:5], v[4:5], 0
	v_add_f64 v[8:9], v[8:9], 0
	v_fmac_f64_e32 v[60:61], v[58:59], v[40:41]
	v_fma_f64 v[36:37], v[56:57], v[40:41], -v[42:43]
	v_add_f64 v[4:5], v[4:5], v[12:13]
	v_add_f64 v[8:9], v[8:9], v[10:11]
	;; [unrolled: 1-line block ×4, first 2 shown]
	s_waitcnt vmcnt(0)
	v_add_f64 v[8:9], v[44:45], -v[8:9]
	v_add_f64 v[10:11], v[46:47], -v[4:5]
	scratch_store_dwordx4 off, v[8:11], off offset:112
	s_and_saveexec_b64 s[2:3], vcc
	s_cbranch_execz .LBB10_67
; %bb.66:
	scratch_load_dwordx4 v[8:11], off, s25
	v_mov_b32_e32 v3, v2
	v_mov_b32_e32 v4, v2
	;; [unrolled: 1-line block ×3, first 2 shown]
	scratch_store_dwordx4 off, v[2:5], off offset:96
	s_waitcnt vmcnt(1)
	ds_write_b128 v6, v[8:11]
.LBB10_67:
	s_or_b64 exec, exec, s[2:3]
	s_waitcnt lgkmcnt(0)
	; wave barrier
	scratch_load_dwordx4 v[8:11], off, off offset:112
	scratch_load_dwordx4 v[36:39], off, off offset:128
	;; [unrolled: 1-line block ×5, first 2 shown]
	ds_read_b128 v[52:55], v2 offset:288
	ds_read_b128 v[56:59], v2 offset:304
	;; [unrolled: 1-line block ×4, first 2 shown]
	v_cmp_lt_u32_e32 vcc, 5, v1
	s_waitcnt vmcnt(4) lgkmcnt(3)
	v_mul_f64 v[12:13], v[52:53], v[10:11]
	v_mul_f64 v[10:11], v[54:55], v[10:11]
	s_waitcnt vmcnt(3) lgkmcnt(2)
	v_mul_f64 v[64:65], v[56:57], v[38:39]
	s_waitcnt vmcnt(1) lgkmcnt(0)
	v_mul_f64 v[68:69], v[2:3], v[46:47]
	v_mul_f64 v[38:39], v[58:59], v[38:39]
	;; [unrolled: 1-line block ×3, first 2 shown]
	v_fmac_f64_e32 v[12:13], v[54:55], v[8:9]
	v_fmac_f64_e32 v[68:69], v[4:5], v[44:45]
	v_fma_f64 v[4:5], v[52:53], v[8:9], -v[10:11]
	v_mul_f64 v[66:67], v[60:61], v[42:43]
	v_mul_f64 v[42:43], v[62:63], v[42:43]
	v_fmac_f64_e32 v[64:65], v[58:59], v[36:37]
	v_fma_f64 v[8:9], v[56:57], v[36:37], -v[38:39]
	v_add_f64 v[12:13], v[12:13], 0
	v_add_f64 v[4:5], v[4:5], 0
	v_fmac_f64_e32 v[66:67], v[62:63], v[40:41]
	v_fma_f64 v[10:11], v[60:61], v[40:41], -v[42:43]
	v_add_f64 v[12:13], v[12:13], v[64:65]
	v_add_f64 v[4:5], v[4:5], v[8:9]
	v_fma_f64 v[2:3], v[2:3], v[44:45], -v[46:47]
	v_add_f64 v[8:9], v[12:13], v[66:67]
	v_add_f64 v[4:5], v[4:5], v[10:11]
	;; [unrolled: 1-line block ×4, first 2 shown]
	s_waitcnt vmcnt(0)
	v_add_f64 v[2:3], v[48:49], -v[2:3]
	v_add_f64 v[4:5], v[50:51], -v[8:9]
	scratch_store_dwordx4 off, v[2:5], off offset:96
	s_and_saveexec_b64 s[2:3], vcc
	s_cbranch_execz .LBB10_69
; %bb.68:
	scratch_load_dwordx4 v[2:5], off, s19
	v_mov_b32_e32 v8, 0
	v_mov_b32_e32 v9, v8
	v_mov_b32_e32 v10, v8
	v_mov_b32_e32 v11, v8
	scratch_store_dwordx4 off, v[8:11], off offset:80
	s_waitcnt vmcnt(1)
	ds_write_b128 v6, v[2:5]
.LBB10_69:
	s_or_b64 exec, exec, s[2:3]
	s_waitcnt lgkmcnt(0)
	; wave barrier
	scratch_load_dwordx4 v[8:11], off, off offset:96
	scratch_load_dwordx4 v[36:39], off, off offset:112
	;; [unrolled: 1-line block ×6, first 2 shown]
	v_mov_b32_e32 v2, 0
	ds_read_b128 v[56:59], v2 offset:272
	ds_read_b128 v[60:63], v2 offset:288
	;; [unrolled: 1-line block ×5, first 2 shown]
	v_cmp_lt_u32_e32 vcc, 4, v1
	s_waitcnt vmcnt(5) lgkmcnt(4)
	v_mul_f64 v[4:5], v[56:57], v[10:11]
	v_mul_f64 v[10:11], v[58:59], v[10:11]
	s_waitcnt vmcnt(4) lgkmcnt(3)
	v_mul_f64 v[12:13], v[60:61], v[38:39]
	v_mul_f64 v[38:39], v[62:63], v[38:39]
	v_fmac_f64_e32 v[4:5], v[58:59], v[8:9]
	v_fma_f64 v[8:9], v[56:57], v[8:9], -v[10:11]
	s_waitcnt vmcnt(3) lgkmcnt(2)
	v_mul_f64 v[76:77], v[64:65], v[42:43]
	v_mul_f64 v[42:43], v[66:67], v[42:43]
	v_fmac_f64_e32 v[12:13], v[62:63], v[36:37]
	v_fma_f64 v[10:11], v[60:61], v[36:37], -v[38:39]
	v_add_f64 v[4:5], v[4:5], 0
	v_add_f64 v[8:9], v[8:9], 0
	s_waitcnt vmcnt(2) lgkmcnt(1)
	v_mul_f64 v[78:79], v[68:69], v[46:47]
	v_mul_f64 v[46:47], v[70:71], v[46:47]
	v_fmac_f64_e32 v[76:77], v[66:67], v[40:41]
	v_fma_f64 v[36:37], v[64:65], v[40:41], -v[42:43]
	v_add_f64 v[4:5], v[4:5], v[12:13]
	v_add_f64 v[8:9], v[8:9], v[10:11]
	;; [unrolled: 7-line block ×3, first 2 shown]
	v_fmac_f64_e32 v[80:81], v[74:75], v[48:49]
	v_fma_f64 v[40:41], v[72:73], v[48:49], -v[50:51]
	v_add_f64 v[4:5], v[4:5], v[78:79]
	v_add_f64 v[8:9], v[8:9], v[38:39]
	;; [unrolled: 1-line block ×4, first 2 shown]
	s_waitcnt vmcnt(0)
	v_add_f64 v[8:9], v[52:53], -v[8:9]
	v_add_f64 v[10:11], v[54:55], -v[4:5]
	scratch_store_dwordx4 off, v[8:11], off offset:80
	s_and_saveexec_b64 s[2:3], vcc
	s_cbranch_execz .LBB10_71
; %bb.70:
	scratch_load_dwordx4 v[8:11], off, s17
	v_mov_b32_e32 v3, v2
	v_mov_b32_e32 v4, v2
	;; [unrolled: 1-line block ×3, first 2 shown]
	scratch_store_dwordx4 off, v[2:5], off offset:64
	s_waitcnt vmcnt(1)
	ds_write_b128 v6, v[8:11]
.LBB10_71:
	s_or_b64 exec, exec, s[2:3]
	s_waitcnt lgkmcnt(0)
	; wave barrier
	scratch_load_dwordx4 v[8:11], off, off offset:80
	scratch_load_dwordx4 v[36:39], off, off offset:96
	;; [unrolled: 1-line block ×7, first 2 shown]
	ds_read_b128 v[60:63], v2 offset:256
	ds_read_b128 v[64:67], v2 offset:272
	;; [unrolled: 1-line block ×6, first 2 shown]
	v_cmp_lt_u32_e32 vcc, 3, v1
	s_waitcnt vmcnt(6) lgkmcnt(5)
	v_mul_f64 v[12:13], v[60:61], v[10:11]
	v_mul_f64 v[10:11], v[62:63], v[10:11]
	s_waitcnt vmcnt(5) lgkmcnt(4)
	v_mul_f64 v[80:81], v[64:65], v[38:39]
	v_mul_f64 v[38:39], v[66:67], v[38:39]
	v_fmac_f64_e32 v[12:13], v[62:63], v[8:9]
	s_waitcnt vmcnt(1) lgkmcnt(0)
	v_mul_f64 v[88:89], v[2:3], v[54:55]
	v_mul_f64 v[54:55], v[4:5], v[54:55]
	v_fmac_f64_e32 v[88:89], v[4:5], v[52:53]
	v_fma_f64 v[4:5], v[60:61], v[8:9], -v[10:11]
	v_mul_f64 v[82:83], v[68:69], v[42:43]
	v_mul_f64 v[42:43], v[70:71], v[42:43]
	v_fmac_f64_e32 v[80:81], v[66:67], v[36:37]
	v_fma_f64 v[8:9], v[64:65], v[36:37], -v[38:39]
	v_add_f64 v[12:13], v[12:13], 0
	v_add_f64 v[4:5], v[4:5], 0
	v_mul_f64 v[84:85], v[72:73], v[46:47]
	v_mul_f64 v[46:47], v[74:75], v[46:47]
	v_fmac_f64_e32 v[82:83], v[70:71], v[40:41]
	v_fma_f64 v[10:11], v[68:69], v[40:41], -v[42:43]
	v_add_f64 v[12:13], v[12:13], v[80:81]
	v_add_f64 v[4:5], v[4:5], v[8:9]
	;; [unrolled: 6-line block ×3, first 2 shown]
	v_fmac_f64_e32 v[86:87], v[78:79], v[48:49]
	v_fma_f64 v[38:39], v[76:77], v[48:49], -v[50:51]
	v_add_f64 v[8:9], v[8:9], v[84:85]
	v_add_f64 v[4:5], v[4:5], v[36:37]
	v_fma_f64 v[2:3], v[2:3], v[52:53], -v[54:55]
	v_add_f64 v[8:9], v[8:9], v[86:87]
	v_add_f64 v[4:5], v[4:5], v[38:39]
	;; [unrolled: 1-line block ×4, first 2 shown]
	s_waitcnt vmcnt(0)
	v_add_f64 v[2:3], v[56:57], -v[2:3]
	v_add_f64 v[4:5], v[58:59], -v[8:9]
	scratch_store_dwordx4 off, v[2:5], off offset:64
	s_and_saveexec_b64 s[2:3], vcc
	s_cbranch_execz .LBB10_73
; %bb.72:
	scratch_load_dwordx4 v[2:5], off, s15
	v_mov_b32_e32 v8, 0
	v_mov_b32_e32 v9, v8
	;; [unrolled: 1-line block ×4, first 2 shown]
	scratch_store_dwordx4 off, v[8:11], off offset:48
	s_waitcnt vmcnt(1)
	ds_write_b128 v6, v[2:5]
.LBB10_73:
	s_or_b64 exec, exec, s[2:3]
	s_waitcnt lgkmcnt(0)
	; wave barrier
	scratch_load_dwordx4 v[8:11], off, off offset:64
	scratch_load_dwordx4 v[36:39], off, off offset:80
	;; [unrolled: 1-line block ×8, first 2 shown]
	v_mov_b32_e32 v2, 0
	ds_read_b128 v[64:67], v2 offset:240
	ds_read_b128 v[68:71], v2 offset:256
	ds_read_b128 v[72:75], v2 offset:272
	ds_read_b128 v[76:79], v2 offset:288
	ds_read_b128 v[80:83], v2 offset:304
	ds_read_b128 v[84:87], v2 offset:320
	ds_read_b128 v[88:91], v2 offset:336
	v_cmp_lt_u32_e32 vcc, 2, v1
	s_waitcnt vmcnt(7) lgkmcnt(6)
	v_mul_f64 v[4:5], v[64:65], v[10:11]
	v_mul_f64 v[10:11], v[66:67], v[10:11]
	s_waitcnt vmcnt(6) lgkmcnt(5)
	v_mul_f64 v[12:13], v[68:69], v[38:39]
	v_mul_f64 v[38:39], v[70:71], v[38:39]
	v_fmac_f64_e32 v[4:5], v[66:67], v[8:9]
	v_fma_f64 v[8:9], v[64:65], v[8:9], -v[10:11]
	s_waitcnt vmcnt(5) lgkmcnt(4)
	v_mul_f64 v[92:93], v[72:73], v[42:43]
	v_mul_f64 v[42:43], v[74:75], v[42:43]
	v_fmac_f64_e32 v[12:13], v[70:71], v[36:37]
	v_fma_f64 v[10:11], v[68:69], v[36:37], -v[38:39]
	v_add_f64 v[4:5], v[4:5], 0
	v_add_f64 v[8:9], v[8:9], 0
	s_waitcnt vmcnt(4) lgkmcnt(3)
	v_mul_f64 v[94:95], v[76:77], v[46:47]
	v_mul_f64 v[46:47], v[78:79], v[46:47]
	v_fmac_f64_e32 v[92:93], v[74:75], v[40:41]
	v_fma_f64 v[36:37], v[72:73], v[40:41], -v[42:43]
	v_add_f64 v[4:5], v[4:5], v[12:13]
	v_add_f64 v[8:9], v[8:9], v[10:11]
	;; [unrolled: 7-line block ×5, first 2 shown]
	v_fmac_f64_e32 v[100:101], v[90:91], v[56:57]
	v_fma_f64 v[44:45], v[88:89], v[56:57], -v[58:59]
	v_add_f64 v[4:5], v[4:5], v[98:99]
	v_add_f64 v[8:9], v[8:9], v[42:43]
	;; [unrolled: 1-line block ×4, first 2 shown]
	s_waitcnt vmcnt(0)
	v_add_f64 v[8:9], v[60:61], -v[8:9]
	v_add_f64 v[10:11], v[62:63], -v[4:5]
	scratch_store_dwordx4 off, v[8:11], off offset:48
	s_and_saveexec_b64 s[2:3], vcc
	s_cbranch_execz .LBB10_75
; %bb.74:
	scratch_load_dwordx4 v[8:11], off, s14
	v_mov_b32_e32 v3, v2
	v_mov_b32_e32 v4, v2
	;; [unrolled: 1-line block ×3, first 2 shown]
	scratch_store_dwordx4 off, v[2:5], off offset:32
	s_waitcnt vmcnt(1)
	ds_write_b128 v6, v[8:11]
.LBB10_75:
	s_or_b64 exec, exec, s[2:3]
	s_waitcnt lgkmcnt(0)
	; wave barrier
	scratch_load_dwordx4 v[8:11], off, off offset:48
	scratch_load_dwordx4 v[36:39], off, off offset:64
	;; [unrolled: 1-line block ×9, first 2 shown]
	ds_read_b128 v[68:71], v2 offset:224
	ds_read_b128 v[72:75], v2 offset:240
	;; [unrolled: 1-line block ×8, first 2 shown]
	v_cmp_lt_u32_e32 vcc, 1, v1
	s_waitcnt vmcnt(8) lgkmcnt(7)
	v_mul_f64 v[12:13], v[68:69], v[10:11]
	v_mul_f64 v[10:11], v[70:71], v[10:11]
	s_waitcnt vmcnt(7) lgkmcnt(6)
	v_mul_f64 v[96:97], v[72:73], v[38:39]
	v_mul_f64 v[38:39], v[74:75], v[38:39]
	v_fmac_f64_e32 v[12:13], v[70:71], v[8:9]
	s_waitcnt vmcnt(6) lgkmcnt(5)
	v_mul_f64 v[98:99], v[76:77], v[42:43]
	v_mul_f64 v[42:43], v[78:79], v[42:43]
	s_waitcnt vmcnt(1) lgkmcnt(0)
	v_mul_f64 v[108:109], v[2:3], v[62:63]
	v_mul_f64 v[62:63], v[4:5], v[62:63]
	v_fmac_f64_e32 v[108:109], v[4:5], v[60:61]
	v_fma_f64 v[4:5], v[68:69], v[8:9], -v[10:11]
	v_fmac_f64_e32 v[96:97], v[74:75], v[36:37]
	v_fma_f64 v[8:9], v[72:73], v[36:37], -v[38:39]
	v_add_f64 v[12:13], v[12:13], 0
	v_add_f64 v[4:5], v[4:5], 0
	v_mul_f64 v[100:101], v[80:81], v[46:47]
	v_mul_f64 v[46:47], v[82:83], v[46:47]
	v_fmac_f64_e32 v[98:99], v[78:79], v[40:41]
	v_fma_f64 v[10:11], v[76:77], v[40:41], -v[42:43]
	v_add_f64 v[12:13], v[12:13], v[96:97]
	v_add_f64 v[4:5], v[4:5], v[8:9]
	v_mul_f64 v[102:103], v[84:85], v[50:51]
	v_mul_f64 v[50:51], v[86:87], v[50:51]
	;; [unrolled: 6-line block ×4, first 2 shown]
	v_fmac_f64_e32 v[104:105], v[90:91], v[52:53]
	v_fma_f64 v[40:41], v[88:89], v[52:53], -v[54:55]
	v_add_f64 v[8:9], v[8:9], v[102:103]
	v_add_f64 v[4:5], v[4:5], v[38:39]
	v_fmac_f64_e32 v[106:107], v[94:95], v[56:57]
	v_fma_f64 v[42:43], v[92:93], v[56:57], -v[58:59]
	v_add_f64 v[8:9], v[8:9], v[104:105]
	v_add_f64 v[4:5], v[4:5], v[40:41]
	v_fma_f64 v[2:3], v[2:3], v[60:61], -v[62:63]
	v_add_f64 v[8:9], v[8:9], v[106:107]
	v_add_f64 v[4:5], v[4:5], v[42:43]
	;; [unrolled: 1-line block ×4, first 2 shown]
	s_waitcnt vmcnt(0)
	v_add_f64 v[2:3], v[64:65], -v[2:3]
	v_add_f64 v[4:5], v[66:67], -v[8:9]
	scratch_store_dwordx4 off, v[2:5], off offset:32
	s_and_saveexec_b64 s[2:3], vcc
	s_cbranch_execz .LBB10_77
; %bb.76:
	scratch_load_dwordx4 v[2:5], off, s18
	v_mov_b32_e32 v8, 0
	v_mov_b32_e32 v9, v8
	;; [unrolled: 1-line block ×4, first 2 shown]
	scratch_store_dwordx4 off, v[8:11], off offset:16
	s_waitcnt vmcnt(1)
	ds_write_b128 v6, v[2:5]
.LBB10_77:
	s_or_b64 exec, exec, s[2:3]
	s_waitcnt lgkmcnt(0)
	; wave barrier
	scratch_load_dwordx4 v[8:11], off, off offset:32
	scratch_load_dwordx4 v[36:39], off, off offset:48
	;; [unrolled: 1-line block ×10, first 2 shown]
	v_mov_b32_e32 v2, 0
	ds_read_b128 v[72:75], v2 offset:208
	ds_read_b128 v[76:79], v2 offset:224
	ds_read_b128 v[80:83], v2 offset:240
	ds_read_b128 v[84:87], v2 offset:256
	ds_read_b128 v[88:91], v2 offset:272
	ds_read_b128 v[92:95], v2 offset:288
	ds_read_b128 v[96:99], v2 offset:304
	ds_read_b128 v[100:103], v2 offset:320
	ds_read_b128 v[104:107], v2 offset:336
	v_cmp_ne_u32_e32 vcc, 0, v1
	s_waitcnt vmcnt(9) lgkmcnt(8)
	v_mul_f64 v[4:5], v[72:73], v[10:11]
	v_mul_f64 v[10:11], v[74:75], v[10:11]
	s_waitcnt vmcnt(8) lgkmcnt(7)
	v_mul_f64 v[12:13], v[76:77], v[38:39]
	v_mul_f64 v[38:39], v[78:79], v[38:39]
	v_fmac_f64_e32 v[4:5], v[74:75], v[8:9]
	v_fma_f64 v[8:9], v[72:73], v[8:9], -v[10:11]
	s_waitcnt vmcnt(7) lgkmcnt(6)
	v_mul_f64 v[108:109], v[80:81], v[42:43]
	v_mul_f64 v[42:43], v[82:83], v[42:43]
	v_fmac_f64_e32 v[12:13], v[78:79], v[36:37]
	v_fma_f64 v[10:11], v[76:77], v[36:37], -v[38:39]
	v_add_f64 v[4:5], v[4:5], 0
	v_add_f64 v[8:9], v[8:9], 0
	s_waitcnt vmcnt(6) lgkmcnt(5)
	v_mul_f64 v[110:111], v[84:85], v[46:47]
	v_mul_f64 v[46:47], v[86:87], v[46:47]
	v_fmac_f64_e32 v[108:109], v[82:83], v[40:41]
	v_fma_f64 v[36:37], v[80:81], v[40:41], -v[42:43]
	v_add_f64 v[4:5], v[4:5], v[12:13]
	v_add_f64 v[8:9], v[8:9], v[10:11]
	;; [unrolled: 7-line block ×7, first 2 shown]
	v_fmac_f64_e32 v[120:121], v[106:107], v[64:65]
	v_fma_f64 v[48:49], v[104:105], v[64:65], -v[66:67]
	v_add_f64 v[4:5], v[4:5], v[118:119]
	v_add_f64 v[8:9], v[8:9], v[46:47]
	;; [unrolled: 1-line block ×4, first 2 shown]
	s_waitcnt vmcnt(0)
	v_add_f64 v[8:9], v[68:69], -v[8:9]
	v_add_f64 v[10:11], v[70:71], -v[4:5]
	scratch_store_dwordx4 off, v[8:11], off offset:16
	s_and_saveexec_b64 s[2:3], vcc
	s_cbranch_execz .LBB10_79
; %bb.78:
	scratch_load_dwordx4 v[8:11], off, off
	v_mov_b32_e32 v3, v2
	v_mov_b32_e32 v4, v2
	;; [unrolled: 1-line block ×3, first 2 shown]
	scratch_store_dwordx4 off, v[2:5], off
	s_waitcnt vmcnt(1)
	ds_write_b128 v6, v[8:11]
.LBB10_79:
	s_or_b64 exec, exec, s[2:3]
	s_waitcnt lgkmcnt(0)
	; wave barrier
	ds_read_b128 v[4:7], v2 offset:192
	ds_read_b128 v[8:11], v2 offset:208
	;; [unrolled: 1-line block ×4, first 2 shown]
	scratch_load_dwordx4 v[44:47], off, off offset:16
	scratch_load_dwordx4 v[48:51], off, off offset:32
	;; [unrolled: 1-line block ×6, first 2 shown]
	s_and_b64 vcc, exec, s[22:23]
	scratch_load_dwordx4 v[64:67], off, off offset:80
	scratch_load_dwordx4 v[72:75], off, off offset:96
	s_waitcnt vmcnt(7) lgkmcnt(3)
	v_mul_f64 v[12:13], v[4:5], v[46:47]
	v_fmac_f64_e32 v[12:13], v[6:7], v[44:45]
	s_waitcnt vmcnt(6) lgkmcnt(2)
	v_mul_f64 v[52:53], v[8:9], v[50:51]
	v_add_f64 v[12:13], v[12:13], 0
	v_fmac_f64_e32 v[52:53], v[10:11], v[48:49]
	v_add_f64 v[12:13], v[12:13], v[52:53]
	scratch_load_dwordx4 v[52:55], off, off offset:48
	s_waitcnt vmcnt(0) lgkmcnt(1)
	v_mul_f64 v[56:57], v[36:37], v[54:55]
	v_fmac_f64_e32 v[56:57], v[38:39], v[52:53]
	v_add_f64 v[12:13], v[12:13], v[56:57]
	scratch_load_dwordx4 v[56:59], off, off offset:64
	s_waitcnt vmcnt(0) lgkmcnt(0)
	v_mul_f64 v[60:61], v[40:41], v[58:59]
	v_fmac_f64_e32 v[60:61], v[42:43], v[56:57]
	v_add_f64 v[12:13], v[12:13], v[60:61]
	ds_read_b128 v[60:63], v2 offset:256
	s_waitcnt lgkmcnt(0)
	v_mul_f64 v[68:69], v[60:61], v[66:67]
	v_fmac_f64_e32 v[68:69], v[62:63], v[64:65]
	v_add_f64 v[12:13], v[12:13], v[68:69]
	ds_read_b128 v[68:71], v2 offset:272
	s_waitcnt lgkmcnt(0)
	;; [unrolled: 5-line block ×6, first 2 shown]
	v_mul_f64 v[2:3], v[100:101], v[106:107]
	v_fmac_f64_e32 v[2:3], v[102:103], v[104:105]
	v_add_f64 v[12:13], v[12:13], v[2:3]
	v_mul_f64 v[2:3], v[6:7], v[46:47]
	v_fma_f64 v[2:3], v[4:5], v[44:45], -v[2:3]
	v_mul_f64 v[4:5], v[10:11], v[50:51]
	v_add_f64 v[2:3], v[2:3], 0
	v_fma_f64 v[4:5], v[8:9], v[48:49], -v[4:5]
	v_add_f64 v[2:3], v[2:3], v[4:5]
	v_mul_f64 v[4:5], v[38:39], v[54:55]
	v_fma_f64 v[4:5], v[36:37], v[52:53], -v[4:5]
	v_add_f64 v[2:3], v[2:3], v[4:5]
	v_mul_f64 v[4:5], v[42:43], v[58:59]
	;; [unrolled: 3-line block ×8, first 2 shown]
	v_fma_f64 v[4:5], v[100:101], v[104:105], -v[4:5]
	v_add_f64 v[6:7], v[2:3], v[4:5]
	scratch_load_dwordx4 v[2:5], off, off
	s_waitcnt vmcnt(0)
	v_add_f64 v[2:3], v[2:3], -v[6:7]
	v_add_f64 v[4:5], v[4:5], -v[12:13]
	scratch_store_dwordx4 off, v[2:5], off
	s_cbranch_vccz .LBB10_100
; %bb.80:
	s_nop 0
	v_mov_b32_e32 v2, 0
	global_load_dword v3, v2, s[20:21] offset:36
	s_load_dwordx2 s[2:3], s[0:1], 0x4
	v_bfe_u32 v4, v0, 10, 10
	v_bfe_u32 v0, v0, 20, 10
	s_waitcnt lgkmcnt(0)
	s_lshr_b32 s0, s2, 16
	s_mul_i32 s0, s0, s3
	v_mul_u32_u24_e32 v1, s0, v1
	v_mul_u32_u24_e32 v4, s3, v4
	v_add3_u32 v0, v1, v4, v0
	v_mov_b32_e32 v1, 0x168
	v_lshl_add_u32 v0, v0, 4, v1
	s_waitcnt vmcnt(0)
	v_readfirstlane_b32 s0, v3
	s_add_i32 s0, s0, -1
	s_cmp_lg_u32 s0, 9
	s_cbranch_scc0 .LBB10_82
; %bb.81:
	s_lshl_b32 s0, s0, 4
	scratch_load_dwordx4 v[4:7], off, s24
	scratch_load_dwordx4 v[8:11], off, s0
	s_waitcnt vmcnt(1)
	ds_write2_b64 v0, v[4:5], v[6:7] offset1:1
	s_waitcnt vmcnt(0)
	scratch_store_dwordx4 off, v[8:11], s24
	scratch_store_dwordx4 off, v[4:7], s0
.LBB10_82:
	global_load_dword v1, v2, s[20:21] offset:32
	s_waitcnt vmcnt(0)
	v_readfirstlane_b32 s0, v1
	s_add_i32 s0, s0, -1
	s_cmp_eq_u32 s0, 8
	s_cbranch_scc1 .LBB10_84
; %bb.83:
	s_lshl_b32 s0, s0, 4
	scratch_load_dwordx4 v[2:5], off, s16
	scratch_load_dwordx4 v[6:9], off, s0
	s_waitcnt vmcnt(1)
	ds_write2_b64 v0, v[2:3], v[4:5] offset1:1
	s_waitcnt vmcnt(0)
	scratch_store_dwordx4 off, v[6:9], s16
	scratch_store_dwordx4 off, v[2:5], s0
.LBB10_84:
	v_mov_b32_e32 v1, 0
	global_load_dword v2, v1, s[20:21] offset:28
	s_waitcnt vmcnt(0)
	v_readfirstlane_b32 s0, v2
	s_add_i32 s0, s0, -1
	s_cmp_eq_u32 s0, 7
	s_cbranch_scc1 .LBB10_86
; %bb.85:
	s_lshl_b32 s0, s0, 4
	scratch_load_dwordx4 v[2:5], off, s27
	scratch_load_dwordx4 v[6:9], off, s0
	s_waitcnt vmcnt(1)
	ds_write2_b64 v0, v[2:3], v[4:5] offset1:1
	s_waitcnt vmcnt(0)
	scratch_store_dwordx4 off, v[6:9], s27
	scratch_store_dwordx4 off, v[2:5], s0
.LBB10_86:
	global_load_dword v1, v1, s[20:21] offset:24
	s_waitcnt vmcnt(0)
	v_readfirstlane_b32 s0, v1
	s_add_i32 s0, s0, -1
	s_cmp_eq_u32 s0, 6
	s_cbranch_scc1 .LBB10_88
; %bb.87:
	s_lshl_b32 s0, s0, 4
	scratch_load_dwordx4 v[2:5], off, s25
	scratch_load_dwordx4 v[6:9], off, s0
	s_waitcnt vmcnt(1)
	ds_write2_b64 v0, v[2:3], v[4:5] offset1:1
	s_waitcnt vmcnt(0)
	scratch_store_dwordx4 off, v[6:9], s25
	scratch_store_dwordx4 off, v[2:5], s0
.LBB10_88:
	v_mov_b32_e32 v1, 0
	global_load_dword v2, v1, s[20:21] offset:20
	s_waitcnt vmcnt(0)
	v_readfirstlane_b32 s0, v2
	s_add_i32 s0, s0, -1
	s_cmp_eq_u32 s0, 5
	s_cbranch_scc1 .LBB10_90
; %bb.89:
	s_lshl_b32 s0, s0, 4
	scratch_load_dwordx4 v[2:5], off, s19
	scratch_load_dwordx4 v[6:9], off, s0
	s_waitcnt vmcnt(1)
	ds_write2_b64 v0, v[2:3], v[4:5] offset1:1
	s_waitcnt vmcnt(0)
	scratch_store_dwordx4 off, v[6:9], s19
	scratch_store_dwordx4 off, v[2:5], s0
.LBB10_90:
	;; [unrolled: 33-line block ×4, first 2 shown]
	global_load_dword v1, v1, s[20:21]
	s_waitcnt vmcnt(0)
	v_readfirstlane_b32 s0, v1
	s_add_i32 s0, s0, -1
	s_cmp_eq_u32 s0, 0
	s_cbranch_scc1 .LBB10_100
; %bb.99:
	s_lshl_b32 s0, s0, 4
	scratch_load_dwordx4 v[2:5], off, off
	scratch_load_dwordx4 v[6:9], off, s0
	s_waitcnt vmcnt(1)
	ds_write2_b64 v0, v[2:3], v[4:5] offset1:1
	s_waitcnt vmcnt(0)
	scratch_store_dwordx4 off, v[6:9], off
	scratch_store_dwordx4 off, v[2:5], s0
.LBB10_100:
	scratch_load_dwordx4 v[0:3], off, off
	s_nop 0
	scratch_load_dwordx4 v[4:7], off, s18
	scratch_load_dwordx4 v[8:11], off, s14
	;; [unrolled: 1-line block ×10, first 2 shown]
	s_waitcnt vmcnt(10)
	global_store_dwordx4 v[14:15], v[0:3], off
	s_waitcnt vmcnt(10)
	global_store_dwordx4 v[16:17], v[4:7], off
	;; [unrolled: 2-line block ×11, first 2 shown]
	s_endpgm
	.section	.rodata,"a",@progbits
	.p2align	6, 0x0
	.amdhsa_kernel _ZN9rocsolver6v33100L18getri_kernel_smallILi11E19rocblas_complex_numIdEPS3_EEvT1_iilPiilS6_bb
		.amdhsa_group_segment_fixed_size 1384
		.amdhsa_private_segment_fixed_size 192
		.amdhsa_kernarg_size 60
		.amdhsa_user_sgpr_count 4
		.amdhsa_user_sgpr_dispatch_ptr 1
		.amdhsa_user_sgpr_queue_ptr 0
		.amdhsa_user_sgpr_kernarg_segment_ptr 1
		.amdhsa_user_sgpr_dispatch_id 0
		.amdhsa_user_sgpr_kernarg_preload_length 0
		.amdhsa_user_sgpr_kernarg_preload_offset 0
		.amdhsa_user_sgpr_private_segment_size 0
		.amdhsa_uses_dynamic_stack 0
		.amdhsa_enable_private_segment 1
		.amdhsa_system_sgpr_workgroup_id_x 1
		.amdhsa_system_sgpr_workgroup_id_y 0
		.amdhsa_system_sgpr_workgroup_id_z 0
		.amdhsa_system_sgpr_workgroup_info 0
		.amdhsa_system_vgpr_workitem_id 2
		.amdhsa_next_free_vgpr 122
		.amdhsa_next_free_sgpr 28
		.amdhsa_accum_offset 124
		.amdhsa_reserve_vcc 1
		.amdhsa_float_round_mode_32 0
		.amdhsa_float_round_mode_16_64 0
		.amdhsa_float_denorm_mode_32 3
		.amdhsa_float_denorm_mode_16_64 3
		.amdhsa_dx10_clamp 1
		.amdhsa_ieee_mode 1
		.amdhsa_fp16_overflow 0
		.amdhsa_tg_split 0
		.amdhsa_exception_fp_ieee_invalid_op 0
		.amdhsa_exception_fp_denorm_src 0
		.amdhsa_exception_fp_ieee_div_zero 0
		.amdhsa_exception_fp_ieee_overflow 0
		.amdhsa_exception_fp_ieee_underflow 0
		.amdhsa_exception_fp_ieee_inexact 0
		.amdhsa_exception_int_div_zero 0
	.end_amdhsa_kernel
	.section	.text._ZN9rocsolver6v33100L18getri_kernel_smallILi11E19rocblas_complex_numIdEPS3_EEvT1_iilPiilS6_bb,"axG",@progbits,_ZN9rocsolver6v33100L18getri_kernel_smallILi11E19rocblas_complex_numIdEPS3_EEvT1_iilPiilS6_bb,comdat
.Lfunc_end10:
	.size	_ZN9rocsolver6v33100L18getri_kernel_smallILi11E19rocblas_complex_numIdEPS3_EEvT1_iilPiilS6_bb, .Lfunc_end10-_ZN9rocsolver6v33100L18getri_kernel_smallILi11E19rocblas_complex_numIdEPS3_EEvT1_iilPiilS6_bb
                                        ; -- End function
	.set _ZN9rocsolver6v33100L18getri_kernel_smallILi11E19rocblas_complex_numIdEPS3_EEvT1_iilPiilS6_bb.num_vgpr, 122
	.set _ZN9rocsolver6v33100L18getri_kernel_smallILi11E19rocblas_complex_numIdEPS3_EEvT1_iilPiilS6_bb.num_agpr, 0
	.set _ZN9rocsolver6v33100L18getri_kernel_smallILi11E19rocblas_complex_numIdEPS3_EEvT1_iilPiilS6_bb.numbered_sgpr, 28
	.set _ZN9rocsolver6v33100L18getri_kernel_smallILi11E19rocblas_complex_numIdEPS3_EEvT1_iilPiilS6_bb.num_named_barrier, 0
	.set _ZN9rocsolver6v33100L18getri_kernel_smallILi11E19rocblas_complex_numIdEPS3_EEvT1_iilPiilS6_bb.private_seg_size, 192
	.set _ZN9rocsolver6v33100L18getri_kernel_smallILi11E19rocblas_complex_numIdEPS3_EEvT1_iilPiilS6_bb.uses_vcc, 1
	.set _ZN9rocsolver6v33100L18getri_kernel_smallILi11E19rocblas_complex_numIdEPS3_EEvT1_iilPiilS6_bb.uses_flat_scratch, 0
	.set _ZN9rocsolver6v33100L18getri_kernel_smallILi11E19rocblas_complex_numIdEPS3_EEvT1_iilPiilS6_bb.has_dyn_sized_stack, 0
	.set _ZN9rocsolver6v33100L18getri_kernel_smallILi11E19rocblas_complex_numIdEPS3_EEvT1_iilPiilS6_bb.has_recursion, 0
	.set _ZN9rocsolver6v33100L18getri_kernel_smallILi11E19rocblas_complex_numIdEPS3_EEvT1_iilPiilS6_bb.has_indirect_call, 0
	.section	.AMDGPU.csdata,"",@progbits
; Kernel info:
; codeLenInByte = 9164
; TotalNumSgprs: 34
; NumVgprs: 122
; NumAgprs: 0
; TotalNumVgprs: 122
; ScratchSize: 192
; MemoryBound: 0
; FloatMode: 240
; IeeeMode: 1
; LDSByteSize: 1384 bytes/workgroup (compile time only)
; SGPRBlocks: 4
; VGPRBlocks: 15
; NumSGPRsForWavesPerEU: 34
; NumVGPRsForWavesPerEU: 122
; AccumOffset: 124
; Occupancy: 4
; WaveLimiterHint : 1
; COMPUTE_PGM_RSRC2:SCRATCH_EN: 1
; COMPUTE_PGM_RSRC2:USER_SGPR: 4
; COMPUTE_PGM_RSRC2:TRAP_HANDLER: 0
; COMPUTE_PGM_RSRC2:TGID_X_EN: 1
; COMPUTE_PGM_RSRC2:TGID_Y_EN: 0
; COMPUTE_PGM_RSRC2:TGID_Z_EN: 0
; COMPUTE_PGM_RSRC2:TIDIG_COMP_CNT: 2
; COMPUTE_PGM_RSRC3_GFX90A:ACCUM_OFFSET: 30
; COMPUTE_PGM_RSRC3_GFX90A:TG_SPLIT: 0
	.section	.text._ZN9rocsolver6v33100L18getri_kernel_smallILi12E19rocblas_complex_numIdEPS3_EEvT1_iilPiilS6_bb,"axG",@progbits,_ZN9rocsolver6v33100L18getri_kernel_smallILi12E19rocblas_complex_numIdEPS3_EEvT1_iilPiilS6_bb,comdat
	.globl	_ZN9rocsolver6v33100L18getri_kernel_smallILi12E19rocblas_complex_numIdEPS3_EEvT1_iilPiilS6_bb ; -- Begin function _ZN9rocsolver6v33100L18getri_kernel_smallILi12E19rocblas_complex_numIdEPS3_EEvT1_iilPiilS6_bb
	.p2align	8
	.type	_ZN9rocsolver6v33100L18getri_kernel_smallILi12E19rocblas_complex_numIdEPS3_EEvT1_iilPiilS6_bb,@function
_ZN9rocsolver6v33100L18getri_kernel_smallILi12E19rocblas_complex_numIdEPS3_EEvT1_iilPiilS6_bb: ; @_ZN9rocsolver6v33100L18getri_kernel_smallILi12E19rocblas_complex_numIdEPS3_EEvT1_iilPiilS6_bb
; %bb.0:
	v_and_b32_e32 v1, 0x3ff, v0
	v_cmp_gt_u32_e32 vcc, 12, v1
	s_and_saveexec_b64 s[6:7], vcc
	s_cbranch_execz .LBB11_62
; %bb.1:
	s_load_dword s6, s[2:3], 0x38
	s_load_dwordx4 s[16:19], s[2:3], 0x10
	s_load_dwordx4 s[8:11], s[2:3], 0x28
                                        ; implicit-def: $sgpr20_sgpr21
	s_waitcnt lgkmcnt(0)
	s_bitcmp1_b32 s6, 8
	s_cselect_b64 s[22:23], -1, 0
	s_ashr_i32 s5, s4, 31
	s_bfe_u32 s6, s6, 0x10008
	s_cmp_eq_u32 s6, 0
	s_cbranch_scc1 .LBB11_3
; %bb.2:
	s_load_dword s6, s[2:3], 0x20
	s_mul_i32 s7, s8, s5
	s_mul_hi_u32 s12, s8, s4
	s_mul_i32 s9, s9, s4
	s_add_i32 s12, s12, s7
	s_add_i32 s9, s12, s9
	s_mul_i32 s8, s8, s4
	s_waitcnt lgkmcnt(0)
	s_ashr_i32 s7, s6, 31
	s_lshl_b64 s[8:9], s[8:9], 2
	s_add_u32 s8, s18, s8
	s_addc_u32 s9, s19, s9
	s_lshl_b64 s[6:7], s[6:7], 2
	s_add_u32 s20, s8, s6
	s_addc_u32 s21, s9, s7
.LBB11_3:
	s_load_dwordx4 s[12:15], s[2:3], 0x0
	s_load_dword s8, s[2:3], 0x38
	s_mul_i32 s6, s16, s5
	s_mul_hi_u32 s7, s16, s4
	s_add_i32 s6, s7, s6
	s_mul_i32 s7, s17, s4
	s_add_i32 s7, s6, s7
	s_mul_i32 s6, s16, s4
	s_waitcnt lgkmcnt(0)
	s_ashr_i32 s3, s14, 31
	s_lshl_b64 s[6:7], s[6:7], 4
	s_mov_b32 s2, s14
	s_add_u32 s6, s12, s6
	s_addc_u32 s7, s13, s7
	s_lshl_b64 s[2:3], s[2:3], 4
	s_add_u32 s2, s6, s2
	s_addc_u32 s3, s7, s3
	v_lshlrev_b32_e32 v38, 4, v1
	v_mov_b32_e32 v39, 0
	v_lshl_add_u64 v[14:15], s[2:3], 0, v[38:39]
	s_ashr_i32 s7, s15, 31
	s_mov_b32 s6, s15
	v_lshl_add_u64 v[16:17], s[6:7], 4, v[14:15]
	s_add_i32 s6, s15, s15
	v_add_u32_e32 v20, s6, v1
	v_add_u32_e32 v22, s15, v20
	v_ashrrev_i32_e32 v21, 31, v20
	v_ashrrev_i32_e32 v23, 31, v22
	v_lshl_add_u64 v[18:19], v[20:21], 4, s[2:3]
	v_lshl_add_u64 v[20:21], v[22:23], 4, s[2:3]
	v_add_u32_e32 v22, s15, v22
	v_add_u32_e32 v24, s15, v22
	;; [unrolled: 1-line block ×6, first 2 shown]
	v_ashrrev_i32_e32 v25, 31, v24
	v_ashrrev_i32_e32 v29, 31, v28
	v_ashrrev_i32_e32 v33, 31, v32
	v_add_u32_e32 v34, s15, v32
	v_ashrrev_i32_e32 v23, 31, v22
	v_lshl_add_u64 v[24:25], v[24:25], 4, s[2:3]
	v_ashrrev_i32_e32 v27, 31, v26
	v_lshl_add_u64 v[28:29], v[28:29], 4, s[2:3]
	;; [unrolled: 2-line block ×3, first 2 shown]
	v_ashrrev_i32_e32 v35, 31, v34
	global_load_dwordx4 v[2:5], v38, s[2:3]
	global_load_dwordx4 v[6:9], v[16:17], off
	global_load_dwordx4 v[10:13], v[18:19], off
	v_lshl_add_u64 v[22:23], v[22:23], 4, s[2:3]
	global_load_dwordx4 v[40:43], v[20:21], off
	global_load_dwordx4 v[44:47], v[22:23], off
	v_lshl_add_u64 v[26:27], v[26:27], 4, s[2:3]
	;; [unrolled: 3-line block ×3, first 2 shown]
	global_load_dwordx4 v[56:59], v[28:29], off
	global_load_dwordx4 v[60:63], v[30:31], off
	v_add_u32_e32 v36, s15, v34
	v_lshl_add_u64 v[34:35], v[34:35], 4, s[2:3]
	global_load_dwordx4 v[64:67], v[32:33], off
	global_load_dwordx4 v[68:71], v[34:35], off
	v_ashrrev_i32_e32 v37, 31, v36
	v_lshl_add_u64 v[36:37], v[36:37], 4, s[2:3]
	global_load_dwordx4 v[72:75], v[36:37], off
	s_movk_i32 s24, 0x50
	s_movk_i32 s25, 0x60
	;; [unrolled: 1-line block ×7, first 2 shown]
	s_mov_b32 s18, 16
	s_mov_b32 s14, 32
	s_mov_b32 s15, 48
	s_mov_b32 s17, 64
	s_bitcmp0_b32 s8, 0
	s_mov_b64 s[6:7], -1
	s_waitcnt vmcnt(11)
	scratch_store_dwordx4 off, v[2:5], off
	s_waitcnt vmcnt(11)
	scratch_store_dwordx4 off, v[6:9], off offset:16
	s_waitcnt vmcnt(11)
	scratch_store_dwordx4 off, v[10:13], off offset:32
	;; [unrolled: 2-line block ×11, first 2 shown]
	s_cbranch_scc1 .LBB11_60
; %bb.4:
	v_cmp_eq_u32_e64 s[2:3], 0, v1
	s_and_saveexec_b64 s[6:7], s[2:3]
; %bb.5:
	v_mov_b32_e32 v2, 0
	ds_write_b32 v2, v2 offset:384
; %bb.6:
	s_or_b64 exec, exec, s[6:7]
	s_waitcnt lgkmcnt(0)
	; wave barrier
	scratch_load_dwordx4 v[2:5], v38, off
	s_waitcnt vmcnt(0)
	v_cmp_eq_f64_e32 vcc, 0, v[2:3]
	v_cmp_eq_f64_e64 s[6:7], 0, v[4:5]
	s_and_b64 s[6:7], vcc, s[6:7]
	s_and_saveexec_b64 s[8:9], s[6:7]
	s_cbranch_execz .LBB11_10
; %bb.7:
	v_mov_b32_e32 v2, 0
	ds_read_b32 v4, v2 offset:384
	v_add_u32_e32 v3, 1, v1
	s_waitcnt lgkmcnt(0)
	v_readfirstlane_b32 s6, v4
	s_cmp_eq_u32 s6, 0
	s_cselect_b64 s[12:13], -1, 0
	v_cmp_gt_i32_e32 vcc, s6, v3
	s_or_b64 s[12:13], s[12:13], vcc
	s_and_b64 exec, exec, s[12:13]
	s_cbranch_execz .LBB11_10
; %bb.8:
	s_mov_b64 s[12:13], 0
	v_mov_b32_e32 v4, s6
.LBB11_9:                               ; =>This Inner Loop Header: Depth=1
	ds_cmpst_rtn_b32 v4, v2, v4, v3 offset:384
	s_waitcnt lgkmcnt(0)
	v_cmp_ne_u32_e32 vcc, 0, v4
	v_cmp_le_i32_e64 s[6:7], v4, v3
	s_and_b64 s[6:7], vcc, s[6:7]
	s_and_b64 s[6:7], exec, s[6:7]
	s_or_b64 s[12:13], s[6:7], s[12:13]
	s_andn2_b64 exec, exec, s[12:13]
	s_cbranch_execnz .LBB11_9
.LBB11_10:
	s_or_b64 exec, exec, s[8:9]
	v_mov_b32_e32 v3, 0
	; wave barrier
	ds_read_b32 v2, v3 offset:384
	s_and_saveexec_b64 s[6:7], s[2:3]
	s_cbranch_execz .LBB11_12
; %bb.11:
	s_lshl_b64 s[8:9], s[4:5], 2
	s_add_u32 s8, s10, s8
	s_addc_u32 s9, s11, s9
	s_waitcnt lgkmcnt(0)
	global_store_dword v3, v2, s[8:9]
.LBB11_12:
	s_or_b64 exec, exec, s[6:7]
	s_waitcnt lgkmcnt(0)
	v_cmp_ne_u32_e32 vcc, 0, v2
	s_mov_b64 s[6:7], 0
	s_cbranch_vccnz .LBB11_60
; %bb.13:
	v_mov_b32_e32 v39, v38
	scratch_load_dwordx4 v[2:5], v39, off
                                        ; implicit-def: $vgpr6_vgpr7
                                        ; implicit-def: $vgpr10_vgpr11
	s_waitcnt vmcnt(0)
	v_cmp_ngt_f64_e64 s[6:7], |v[2:3]|, |v[4:5]|
	s_and_saveexec_b64 s[8:9], s[6:7]
	s_xor_b64 s[6:7], exec, s[8:9]
	s_cbranch_execz .LBB11_15
; %bb.14:
	v_div_scale_f64 v[6:7], s[8:9], v[4:5], v[4:5], v[2:3]
	v_rcp_f64_e32 v[8:9], v[6:7]
	v_div_scale_f64 v[10:11], vcc, v[2:3], v[4:5], v[2:3]
	v_fma_f64 v[12:13], -v[6:7], v[8:9], 1.0
	v_fmac_f64_e32 v[8:9], v[8:9], v[12:13]
	v_fma_f64 v[12:13], -v[6:7], v[8:9], 1.0
	v_fmac_f64_e32 v[8:9], v[8:9], v[12:13]
	v_mul_f64 v[12:13], v[10:11], v[8:9]
	v_fma_f64 v[6:7], -v[6:7], v[12:13], v[10:11]
	v_div_fmas_f64 v[6:7], v[6:7], v[8:9], v[12:13]
	v_div_fixup_f64 v[6:7], v[6:7], v[4:5], v[2:3]
	v_fmac_f64_e32 v[4:5], v[2:3], v[6:7]
	v_div_scale_f64 v[2:3], s[8:9], v[4:5], v[4:5], 1.0
	v_rcp_f64_e32 v[8:9], v[2:3]
	s_nop 0
	v_fma_f64 v[10:11], -v[2:3], v[8:9], 1.0
	v_fmac_f64_e32 v[8:9], v[8:9], v[10:11]
	v_fma_f64 v[10:11], -v[2:3], v[8:9], 1.0
	v_fmac_f64_e32 v[8:9], v[8:9], v[10:11]
	v_div_scale_f64 v[10:11], vcc, 1.0, v[4:5], 1.0
	v_mul_f64 v[12:13], v[10:11], v[8:9]
	v_fma_f64 v[2:3], -v[2:3], v[12:13], v[10:11]
	s_nop 1
	v_div_fmas_f64 v[2:3], v[2:3], v[8:9], v[12:13]
	v_div_fixup_f64 v[8:9], v[2:3], v[4:5], 1.0
	v_mul_f64 v[6:7], v[6:7], v[8:9]
	v_xor_b32_e32 v9, 0x80000000, v9
	v_xor_b32_e32 v11, 0x80000000, v7
	v_mov_b32_e32 v10, v6
                                        ; implicit-def: $vgpr2_vgpr3
.LBB11_15:
	s_andn2_saveexec_b64 s[6:7], s[6:7]
	s_cbranch_execz .LBB11_17
; %bb.16:
	v_div_scale_f64 v[6:7], s[8:9], v[2:3], v[2:3], v[4:5]
	v_rcp_f64_e32 v[8:9], v[6:7]
	v_div_scale_f64 v[10:11], vcc, v[4:5], v[2:3], v[4:5]
	v_fma_f64 v[12:13], -v[6:7], v[8:9], 1.0
	v_fmac_f64_e32 v[8:9], v[8:9], v[12:13]
	v_fma_f64 v[12:13], -v[6:7], v[8:9], 1.0
	v_fmac_f64_e32 v[8:9], v[8:9], v[12:13]
	v_mul_f64 v[12:13], v[10:11], v[8:9]
	v_fma_f64 v[6:7], -v[6:7], v[12:13], v[10:11]
	v_div_fmas_f64 v[6:7], v[6:7], v[8:9], v[12:13]
	v_div_fixup_f64 v[8:9], v[6:7], v[2:3], v[4:5]
	v_fmac_f64_e32 v[2:3], v[4:5], v[8:9]
	v_div_scale_f64 v[4:5], s[8:9], v[2:3], v[2:3], 1.0
	v_rcp_f64_e32 v[6:7], v[4:5]
	s_nop 0
	v_fma_f64 v[10:11], -v[4:5], v[6:7], 1.0
	v_fmac_f64_e32 v[6:7], v[6:7], v[10:11]
	v_fma_f64 v[10:11], -v[4:5], v[6:7], 1.0
	v_fmac_f64_e32 v[6:7], v[6:7], v[10:11]
	v_div_scale_f64 v[10:11], vcc, 1.0, v[2:3], 1.0
	v_mul_f64 v[12:13], v[10:11], v[6:7]
	v_fma_f64 v[4:5], -v[4:5], v[12:13], v[10:11]
	s_nop 1
	v_div_fmas_f64 v[4:5], v[4:5], v[6:7], v[12:13]
	v_div_fixup_f64 v[6:7], v[4:5], v[2:3], 1.0
	v_xor_b32_e32 v11, 0x80000000, v7
	v_mov_b32_e32 v10, v6
	v_mul_f64 v[8:9], v[8:9], -v[6:7]
.LBB11_17:
	s_or_b64 exec, exec, s[6:7]
	scratch_store_dwordx4 v39, v[6:9], off
	scratch_load_dwordx4 v[2:5], off, s18
	v_xor_b32_e32 v13, 0x80000000, v9
	v_mov_b32_e32 v12, v8
	v_add_u32_e32 v6, 0xc0, v38
	ds_write_b128 v38, v[10:13]
	s_waitcnt vmcnt(0)
	ds_write_b128 v38, v[2:5] offset:192
	s_waitcnt lgkmcnt(0)
	; wave barrier
	s_and_saveexec_b64 s[6:7], s[2:3]
	s_cbranch_execz .LBB11_19
; %bb.18:
	scratch_load_dwordx4 v[2:5], v39, off
	ds_read_b128 v[8:11], v6
	v_mov_b32_e32 v7, 0
	ds_read_b128 v[40:43], v7 offset:16
	s_waitcnt vmcnt(0) lgkmcnt(1)
	v_mul_f64 v[12:13], v[10:11], v[4:5]
	v_mul_f64 v[4:5], v[8:9], v[4:5]
	v_fma_f64 v[8:9], v[8:9], v[2:3], -v[12:13]
	v_fmac_f64_e32 v[4:5], v[10:11], v[2:3]
	v_add_f64 v[2:3], v[8:9], 0
	v_add_f64 v[8:9], v[4:5], 0
	s_waitcnt lgkmcnt(0)
	v_mul_f64 v[10:11], v[8:9], v[42:43]
	v_mul_f64 v[4:5], v[2:3], v[42:43]
	v_fma_f64 v[2:3], v[2:3], v[40:41], -v[10:11]
	v_fmac_f64_e32 v[4:5], v[8:9], v[40:41]
	scratch_store_dwordx4 off, v[2:5], off offset:16
.LBB11_19:
	s_or_b64 exec, exec, s[6:7]
	; wave barrier
	scratch_load_dwordx4 v[2:5], off, s14
	v_cmp_gt_u32_e32 vcc, 2, v1
	s_waitcnt vmcnt(0)
	ds_write_b128 v6, v[2:5]
	s_waitcnt lgkmcnt(0)
	; wave barrier
	s_and_saveexec_b64 s[6:7], vcc
	s_cbranch_execz .LBB11_23
; %bb.20:
	scratch_load_dwordx4 v[2:5], v39, off
	ds_read_b128 v[8:11], v6
	s_waitcnt vmcnt(0) lgkmcnt(0)
	v_mul_f64 v[12:13], v[10:11], v[4:5]
	v_mul_f64 v[40:41], v[8:9], v[4:5]
	v_fma_f64 v[4:5], v[8:9], v[2:3], -v[12:13]
	v_fmac_f64_e32 v[40:41], v[10:11], v[2:3]
	v_add_f64 v[4:5], v[4:5], 0
	v_add_f64 v[2:3], v[40:41], 0
	s_and_saveexec_b64 s[8:9], s[2:3]
	s_cbranch_execz .LBB11_22
; %bb.21:
	scratch_load_dwordx4 v[8:11], off, off offset:16
	v_mov_b32_e32 v7, 0
	ds_read_b128 v[40:43], v7 offset:208
	s_waitcnt vmcnt(0) lgkmcnt(0)
	v_mul_f64 v[12:13], v[40:41], v[10:11]
	v_mul_f64 v[10:11], v[42:43], v[10:11]
	v_fmac_f64_e32 v[12:13], v[42:43], v[8:9]
	v_fma_f64 v[8:9], v[40:41], v[8:9], -v[10:11]
	v_add_f64 v[2:3], v[2:3], v[12:13]
	v_add_f64 v[4:5], v[4:5], v[8:9]
.LBB11_22:
	s_or_b64 exec, exec, s[8:9]
	v_mov_b32_e32 v7, 0
	ds_read_b128 v[8:11], v7 offset:32
	s_waitcnt lgkmcnt(0)
	v_mul_f64 v[40:41], v[2:3], v[10:11]
	v_mul_f64 v[12:13], v[4:5], v[10:11]
	v_fma_f64 v[10:11], v[4:5], v[8:9], -v[40:41]
	v_fmac_f64_e32 v[12:13], v[2:3], v[8:9]
	scratch_store_dwordx4 off, v[10:13], off offset:32
.LBB11_23:
	s_or_b64 exec, exec, s[6:7]
	; wave barrier
	scratch_load_dwordx4 v[2:5], off, s15
	v_cmp_gt_u32_e32 vcc, 3, v1
	v_add_u32_e32 v7, -1, v1
	s_waitcnt vmcnt(0)
	ds_write_b128 v6, v[2:5]
	s_waitcnt lgkmcnt(0)
	; wave barrier
	s_and_saveexec_b64 s[2:3], vcc
	s_cbranch_execz .LBB11_27
; %bb.24:
	v_add_u32_e32 v8, -1, v1
	v_add_u32_e32 v9, 0xc0, v38
	v_mov_b32_e32 v10, v38
	v_mov_b64_e32 v[2:3], 0
	s_mov_b64 s[6:7], 0
	v_mov_b64_e32 v[4:5], 0
.LBB11_25:                              ; =>This Inner Loop Header: Depth=1
	scratch_load_dwordx4 v[40:43], v10, off
	ds_read_b128 v[44:47], v9
	v_add_u32_e32 v8, 1, v8
	v_cmp_lt_u32_e32 vcc, 1, v8
	v_add_u32_e32 v9, 16, v9
	v_add_u32_e32 v10, 16, v10
	s_or_b64 s[6:7], vcc, s[6:7]
	s_waitcnt vmcnt(0) lgkmcnt(0)
	v_mul_f64 v[12:13], v[46:47], v[42:43]
	v_mul_f64 v[42:43], v[44:45], v[42:43]
	v_fma_f64 v[12:13], v[44:45], v[40:41], -v[12:13]
	v_fmac_f64_e32 v[42:43], v[46:47], v[40:41]
	v_add_f64 v[4:5], v[4:5], v[12:13]
	v_add_f64 v[2:3], v[2:3], v[42:43]
	s_andn2_b64 exec, exec, s[6:7]
	s_cbranch_execnz .LBB11_25
; %bb.26:
	s_or_b64 exec, exec, s[6:7]
	v_mov_b32_e32 v8, 0
	ds_read_b128 v[8:11], v8 offset:48
	s_waitcnt lgkmcnt(0)
	v_mul_f64 v[40:41], v[2:3], v[10:11]
	v_mul_f64 v[12:13], v[4:5], v[10:11]
	v_fma_f64 v[10:11], v[4:5], v[8:9], -v[40:41]
	v_fmac_f64_e32 v[12:13], v[2:3], v[8:9]
	scratch_store_dwordx4 off, v[10:13], off offset:48
.LBB11_27:
	s_or_b64 exec, exec, s[2:3]
	; wave barrier
	scratch_load_dwordx4 v[2:5], off, s17
	v_cmp_gt_u32_e32 vcc, 4, v1
	s_waitcnt vmcnt(0)
	ds_write_b128 v6, v[2:5]
	s_waitcnt lgkmcnt(0)
	; wave barrier
	s_and_saveexec_b64 s[2:3], vcc
	s_cbranch_execz .LBB11_31
; %bb.28:
	v_add_u32_e32 v8, -1, v1
	v_add_u32_e32 v9, 0xc0, v38
	v_mov_b32_e32 v10, v38
	v_mov_b64_e32 v[2:3], 0
	s_mov_b64 s[6:7], 0
	v_mov_b64_e32 v[4:5], 0
.LBB11_29:                              ; =>This Inner Loop Header: Depth=1
	scratch_load_dwordx4 v[40:43], v10, off
	ds_read_b128 v[44:47], v9
	v_add_u32_e32 v8, 1, v8
	v_cmp_lt_u32_e32 vcc, 2, v8
	v_add_u32_e32 v9, 16, v9
	v_add_u32_e32 v10, 16, v10
	s_or_b64 s[6:7], vcc, s[6:7]
	s_waitcnt vmcnt(0) lgkmcnt(0)
	v_mul_f64 v[12:13], v[46:47], v[42:43]
	v_mul_f64 v[42:43], v[44:45], v[42:43]
	v_fma_f64 v[12:13], v[44:45], v[40:41], -v[12:13]
	v_fmac_f64_e32 v[42:43], v[46:47], v[40:41]
	v_add_f64 v[4:5], v[4:5], v[12:13]
	v_add_f64 v[2:3], v[2:3], v[42:43]
	s_andn2_b64 exec, exec, s[6:7]
	s_cbranch_execnz .LBB11_29
; %bb.30:
	s_or_b64 exec, exec, s[6:7]
	v_mov_b32_e32 v8, 0
	ds_read_b128 v[8:11], v8 offset:64
	s_waitcnt lgkmcnt(0)
	v_mul_f64 v[40:41], v[2:3], v[10:11]
	v_mul_f64 v[12:13], v[4:5], v[10:11]
	v_fma_f64 v[10:11], v[4:5], v[8:9], -v[40:41]
	v_fmac_f64_e32 v[12:13], v[2:3], v[8:9]
	scratch_store_dwordx4 off, v[10:13], off offset:64
.LBB11_31:
	s_or_b64 exec, exec, s[2:3]
	; wave barrier
	scratch_load_dwordx4 v[2:5], off, s24
	v_cmp_gt_u32_e32 vcc, 5, v1
	;; [unrolled: 45-line block ×7, first 2 shown]
	s_waitcnt vmcnt(0)
	ds_write_b128 v6, v[2:5]
	s_waitcnt lgkmcnt(0)
	; wave barrier
	s_and_saveexec_b64 s[2:3], vcc
	s_cbranch_execz .LBB11_55
; %bb.52:
	v_add_u32_e32 v8, -1, v1
	v_add_u32_e32 v9, 0xc0, v38
	v_mov_b32_e32 v10, v38
	v_mov_b64_e32 v[2:3], 0
	s_mov_b64 s[6:7], 0
	v_mov_b64_e32 v[4:5], 0
.LBB11_53:                              ; =>This Inner Loop Header: Depth=1
	scratch_load_dwordx4 v[40:43], v10, off
	ds_read_b128 v[44:47], v9
	v_add_u32_e32 v8, 1, v8
	v_cmp_lt_u32_e32 vcc, 8, v8
	v_add_u32_e32 v9, 16, v9
	v_add_u32_e32 v10, 16, v10
	s_or_b64 s[6:7], vcc, s[6:7]
	s_waitcnt vmcnt(0) lgkmcnt(0)
	v_mul_f64 v[12:13], v[46:47], v[42:43]
	v_mul_f64 v[42:43], v[44:45], v[42:43]
	v_fma_f64 v[12:13], v[44:45], v[40:41], -v[12:13]
	v_fmac_f64_e32 v[42:43], v[46:47], v[40:41]
	v_add_f64 v[4:5], v[4:5], v[12:13]
	v_add_f64 v[2:3], v[2:3], v[42:43]
	s_andn2_b64 exec, exec, s[6:7]
	s_cbranch_execnz .LBB11_53
; %bb.54:
	s_or_b64 exec, exec, s[6:7]
	v_mov_b32_e32 v8, 0
	ds_read_b128 v[8:11], v8 offset:160
	s_waitcnt lgkmcnt(0)
	v_mul_f64 v[40:41], v[2:3], v[10:11]
	v_mul_f64 v[12:13], v[4:5], v[10:11]
	v_fma_f64 v[10:11], v[4:5], v[8:9], -v[40:41]
	v_fmac_f64_e32 v[12:13], v[2:3], v[8:9]
	scratch_store_dwordx4 off, v[10:13], off offset:160
.LBB11_55:
	s_or_b64 exec, exec, s[2:3]
	; wave barrier
	scratch_load_dwordx4 v[2:5], off, s28
	v_cmp_ne_u32_e32 vcc, 11, v1
	s_waitcnt vmcnt(0)
	ds_write_b128 v6, v[2:5]
	s_waitcnt lgkmcnt(0)
	; wave barrier
	s_and_saveexec_b64 s[2:3], vcc
	s_cbranch_execz .LBB11_59
; %bb.56:
	v_add_u32_e32 v6, 0xc0, v38
	v_mov_b32_e32 v8, v38
	v_mov_b64_e32 v[2:3], 0
	s_mov_b64 s[6:7], 0
	v_mov_b64_e32 v[4:5], 0
.LBB11_57:                              ; =>This Inner Loop Header: Depth=1
	scratch_load_dwordx4 v[10:13], v8, off
	ds_read_b128 v[38:41], v6
	v_add_u32_e32 v7, 1, v7
	v_cmp_lt_u32_e32 vcc, 9, v7
	v_add_u32_e32 v6, 16, v6
	v_add_u32_e32 v8, 16, v8
	s_or_b64 s[6:7], vcc, s[6:7]
	s_waitcnt vmcnt(0) lgkmcnt(0)
	v_mul_f64 v[42:43], v[40:41], v[12:13]
	v_mul_f64 v[12:13], v[38:39], v[12:13]
	v_fma_f64 v[38:39], v[38:39], v[10:11], -v[42:43]
	v_fmac_f64_e32 v[12:13], v[40:41], v[10:11]
	v_add_f64 v[4:5], v[4:5], v[38:39]
	v_add_f64 v[2:3], v[2:3], v[12:13]
	s_andn2_b64 exec, exec, s[6:7]
	s_cbranch_execnz .LBB11_57
; %bb.58:
	s_or_b64 exec, exec, s[6:7]
	v_mov_b32_e32 v6, 0
	ds_read_b128 v[6:9], v6 offset:176
	s_waitcnt lgkmcnt(0)
	v_mul_f64 v[12:13], v[2:3], v[8:9]
	v_mul_f64 v[10:11], v[4:5], v[8:9]
	v_fma_f64 v[8:9], v[4:5], v[6:7], -v[12:13]
	v_fmac_f64_e32 v[10:11], v[2:3], v[6:7]
	scratch_store_dwordx4 off, v[8:11], off offset:176
.LBB11_59:
	s_or_b64 exec, exec, s[2:3]
	s_mov_b64 s[6:7], -1
	; wave barrier
.LBB11_60:
	s_and_b64 vcc, exec, s[6:7]
	s_cbranch_vccz .LBB11_62
; %bb.61:
	s_lshl_b64 s[2:3], s[4:5], 2
	s_add_u32 s2, s10, s2
	s_addc_u32 s3, s11, s3
	v_mov_b32_e32 v2, 0
	global_load_dword v2, v2, s[2:3]
	s_waitcnt vmcnt(0)
	v_cmp_ne_u32_e32 vcc, 0, v2
	s_cbranch_vccz .LBB11_63
.LBB11_62:
	s_endpgm
.LBB11_63:
	v_mov_b32_e32 v2, 0xc0
	v_lshl_add_u32 v6, v1, 4, v2
	v_cmp_eq_u32_e32 vcc, 11, v1
	s_and_saveexec_b64 s[2:3], vcc
	s_cbranch_execz .LBB11_65
; %bb.64:
	scratch_load_dwordx4 v[2:5], off, s26
	v_mov_b32_e32 v8, 0
	v_mov_b32_e32 v9, v8
	v_mov_b32_e32 v10, v8
	v_mov_b32_e32 v11, v8
	scratch_store_dwordx4 off, v[8:11], off offset:160
	s_waitcnt vmcnt(1)
	ds_write_b128 v6, v[2:5]
.LBB11_65:
	s_or_b64 exec, exec, s[2:3]
	s_waitcnt lgkmcnt(0)
	; wave barrier
	scratch_load_dwordx4 v[8:11], off, off offset:176
	scratch_load_dwordx4 v[38:41], off, off offset:160
	v_mov_b32_e32 v2, 0
	ds_read_b128 v[42:45], v2 offset:368
	v_cmp_lt_u32_e32 vcc, 9, v1
	s_waitcnt vmcnt(1) lgkmcnt(0)
	v_mul_f64 v[4:5], v[42:43], v[10:11]
	v_mul_f64 v[10:11], v[44:45], v[10:11]
	v_fmac_f64_e32 v[4:5], v[44:45], v[8:9]
	v_fma_f64 v[8:9], v[42:43], v[8:9], -v[10:11]
	v_add_f64 v[4:5], v[4:5], 0
	v_add_f64 v[8:9], v[8:9], 0
	s_waitcnt vmcnt(0)
	v_add_f64 v[8:9], v[38:39], -v[8:9]
	v_add_f64 v[10:11], v[40:41], -v[4:5]
	scratch_store_dwordx4 off, v[8:11], off offset:160
	s_and_saveexec_b64 s[2:3], vcc
	s_cbranch_execz .LBB11_67
; %bb.66:
	scratch_load_dwordx4 v[8:11], off, s19
	v_mov_b32_e32 v3, v2
	v_mov_b32_e32 v4, v2
	;; [unrolled: 1-line block ×3, first 2 shown]
	scratch_store_dwordx4 off, v[2:5], off offset:144
	s_waitcnt vmcnt(1)
	ds_write_b128 v6, v[8:11]
.LBB11_67:
	s_or_b64 exec, exec, s[2:3]
	s_waitcnt lgkmcnt(0)
	; wave barrier
	scratch_load_dwordx4 v[8:11], off, off offset:160
	scratch_load_dwordx4 v[38:41], off, off offset:176
	;; [unrolled: 1-line block ×3, first 2 shown]
	ds_read_b128 v[46:49], v2 offset:352
	ds_read_b128 v[2:5], v2 offset:368
	v_cmp_lt_u32_e32 vcc, 8, v1
	s_waitcnt vmcnt(2) lgkmcnt(1)
	v_mul_f64 v[12:13], v[46:47], v[10:11]
	s_waitcnt vmcnt(1) lgkmcnt(0)
	v_mul_f64 v[50:51], v[2:3], v[40:41]
	v_mul_f64 v[10:11], v[48:49], v[10:11]
	;; [unrolled: 1-line block ×3, first 2 shown]
	v_fmac_f64_e32 v[12:13], v[48:49], v[8:9]
	v_fmac_f64_e32 v[50:51], v[4:5], v[38:39]
	v_fma_f64 v[4:5], v[46:47], v[8:9], -v[10:11]
	v_fma_f64 v[2:3], v[2:3], v[38:39], -v[40:41]
	v_add_f64 v[8:9], v[12:13], 0
	v_add_f64 v[4:5], v[4:5], 0
	;; [unrolled: 1-line block ×4, first 2 shown]
	s_waitcnt vmcnt(0)
	v_add_f64 v[2:3], v[42:43], -v[2:3]
	v_add_f64 v[4:5], v[44:45], -v[8:9]
	scratch_store_dwordx4 off, v[2:5], off offset:144
	s_and_saveexec_b64 s[2:3], vcc
	s_cbranch_execz .LBB11_69
; %bb.68:
	scratch_load_dwordx4 v[2:5], off, s16
	v_mov_b32_e32 v8, 0
	v_mov_b32_e32 v9, v8
	;; [unrolled: 1-line block ×4, first 2 shown]
	scratch_store_dwordx4 off, v[8:11], off offset:128
	s_waitcnt vmcnt(1)
	ds_write_b128 v6, v[2:5]
.LBB11_69:
	s_or_b64 exec, exec, s[2:3]
	s_waitcnt lgkmcnt(0)
	; wave barrier
	scratch_load_dwordx4 v[8:11], off, off offset:144
	scratch_load_dwordx4 v[38:41], off, off offset:160
	;; [unrolled: 1-line block ×4, first 2 shown]
	v_mov_b32_e32 v2, 0
	ds_read_b128 v[50:53], v2 offset:336
	ds_read_b128 v[54:57], v2 offset:352
	;; [unrolled: 1-line block ×3, first 2 shown]
	v_cmp_lt_u32_e32 vcc, 7, v1
	s_waitcnt vmcnt(3) lgkmcnt(2)
	v_mul_f64 v[4:5], v[50:51], v[10:11]
	v_mul_f64 v[10:11], v[52:53], v[10:11]
	s_waitcnt vmcnt(2) lgkmcnt(1)
	v_mul_f64 v[12:13], v[54:55], v[40:41]
	v_mul_f64 v[40:41], v[56:57], v[40:41]
	v_fmac_f64_e32 v[4:5], v[52:53], v[8:9]
	v_fma_f64 v[8:9], v[50:51], v[8:9], -v[10:11]
	s_waitcnt vmcnt(1) lgkmcnt(0)
	v_mul_f64 v[62:63], v[58:59], v[44:45]
	v_mul_f64 v[44:45], v[60:61], v[44:45]
	v_fmac_f64_e32 v[12:13], v[56:57], v[38:39]
	v_fma_f64 v[10:11], v[54:55], v[38:39], -v[40:41]
	v_add_f64 v[4:5], v[4:5], 0
	v_add_f64 v[8:9], v[8:9], 0
	v_fmac_f64_e32 v[62:63], v[60:61], v[42:43]
	v_fma_f64 v[38:39], v[58:59], v[42:43], -v[44:45]
	v_add_f64 v[4:5], v[4:5], v[12:13]
	v_add_f64 v[8:9], v[8:9], v[10:11]
	;; [unrolled: 1-line block ×4, first 2 shown]
	s_waitcnt vmcnt(0)
	v_add_f64 v[8:9], v[46:47], -v[8:9]
	v_add_f64 v[10:11], v[48:49], -v[4:5]
	scratch_store_dwordx4 off, v[8:11], off offset:128
	s_and_saveexec_b64 s[2:3], vcc
	s_cbranch_execz .LBB11_71
; %bb.70:
	scratch_load_dwordx4 v[8:11], off, s27
	v_mov_b32_e32 v3, v2
	v_mov_b32_e32 v4, v2
	;; [unrolled: 1-line block ×3, first 2 shown]
	scratch_store_dwordx4 off, v[2:5], off offset:112
	s_waitcnt vmcnt(1)
	ds_write_b128 v6, v[8:11]
.LBB11_71:
	s_or_b64 exec, exec, s[2:3]
	s_waitcnt lgkmcnt(0)
	; wave barrier
	scratch_load_dwordx4 v[8:11], off, off offset:128
	scratch_load_dwordx4 v[38:41], off, off offset:144
	;; [unrolled: 1-line block ×5, first 2 shown]
	ds_read_b128 v[54:57], v2 offset:320
	ds_read_b128 v[58:61], v2 offset:336
	;; [unrolled: 1-line block ×4, first 2 shown]
	v_cmp_lt_u32_e32 vcc, 6, v1
	s_waitcnt vmcnt(4) lgkmcnt(3)
	v_mul_f64 v[12:13], v[54:55], v[10:11]
	v_mul_f64 v[10:11], v[56:57], v[10:11]
	s_waitcnt vmcnt(3) lgkmcnt(2)
	v_mul_f64 v[66:67], v[58:59], v[40:41]
	s_waitcnt vmcnt(1) lgkmcnt(0)
	v_mul_f64 v[70:71], v[2:3], v[48:49]
	v_mul_f64 v[40:41], v[60:61], v[40:41]
	;; [unrolled: 1-line block ×3, first 2 shown]
	v_fmac_f64_e32 v[12:13], v[56:57], v[8:9]
	v_fmac_f64_e32 v[70:71], v[4:5], v[46:47]
	v_fma_f64 v[4:5], v[54:55], v[8:9], -v[10:11]
	v_mul_f64 v[68:69], v[62:63], v[44:45]
	v_mul_f64 v[44:45], v[64:65], v[44:45]
	v_fmac_f64_e32 v[66:67], v[60:61], v[38:39]
	v_fma_f64 v[8:9], v[58:59], v[38:39], -v[40:41]
	v_add_f64 v[12:13], v[12:13], 0
	v_add_f64 v[4:5], v[4:5], 0
	v_fmac_f64_e32 v[68:69], v[64:65], v[42:43]
	v_fma_f64 v[10:11], v[62:63], v[42:43], -v[44:45]
	v_add_f64 v[12:13], v[12:13], v[66:67]
	v_add_f64 v[4:5], v[4:5], v[8:9]
	v_fma_f64 v[2:3], v[2:3], v[46:47], -v[48:49]
	v_add_f64 v[8:9], v[12:13], v[68:69]
	v_add_f64 v[4:5], v[4:5], v[10:11]
	;; [unrolled: 1-line block ×4, first 2 shown]
	s_waitcnt vmcnt(0)
	v_add_f64 v[2:3], v[50:51], -v[2:3]
	v_add_f64 v[4:5], v[52:53], -v[8:9]
	scratch_store_dwordx4 off, v[2:5], off offset:112
	s_and_saveexec_b64 s[2:3], vcc
	s_cbranch_execz .LBB11_73
; %bb.72:
	scratch_load_dwordx4 v[2:5], off, s25
	v_mov_b32_e32 v8, 0
	v_mov_b32_e32 v9, v8
	;; [unrolled: 1-line block ×4, first 2 shown]
	scratch_store_dwordx4 off, v[8:11], off offset:96
	s_waitcnt vmcnt(1)
	ds_write_b128 v6, v[2:5]
.LBB11_73:
	s_or_b64 exec, exec, s[2:3]
	s_waitcnt lgkmcnt(0)
	; wave barrier
	scratch_load_dwordx4 v[8:11], off, off offset:112
	scratch_load_dwordx4 v[38:41], off, off offset:128
	;; [unrolled: 1-line block ×6, first 2 shown]
	v_mov_b32_e32 v2, 0
	ds_read_b128 v[58:61], v2 offset:304
	ds_read_b128 v[62:65], v2 offset:320
	;; [unrolled: 1-line block ×5, first 2 shown]
	v_cmp_lt_u32_e32 vcc, 5, v1
	s_waitcnt vmcnt(5) lgkmcnt(4)
	v_mul_f64 v[4:5], v[58:59], v[10:11]
	v_mul_f64 v[10:11], v[60:61], v[10:11]
	s_waitcnt vmcnt(4) lgkmcnt(3)
	v_mul_f64 v[12:13], v[62:63], v[40:41]
	v_mul_f64 v[40:41], v[64:65], v[40:41]
	v_fmac_f64_e32 v[4:5], v[60:61], v[8:9]
	v_fma_f64 v[8:9], v[58:59], v[8:9], -v[10:11]
	s_waitcnt vmcnt(3) lgkmcnt(2)
	v_mul_f64 v[78:79], v[66:67], v[44:45]
	v_mul_f64 v[44:45], v[68:69], v[44:45]
	v_fmac_f64_e32 v[12:13], v[64:65], v[38:39]
	v_fma_f64 v[10:11], v[62:63], v[38:39], -v[40:41]
	v_add_f64 v[4:5], v[4:5], 0
	v_add_f64 v[8:9], v[8:9], 0
	s_waitcnt vmcnt(2) lgkmcnt(1)
	v_mul_f64 v[80:81], v[70:71], v[48:49]
	v_mul_f64 v[48:49], v[72:73], v[48:49]
	v_fmac_f64_e32 v[78:79], v[68:69], v[42:43]
	v_fma_f64 v[38:39], v[66:67], v[42:43], -v[44:45]
	v_add_f64 v[4:5], v[4:5], v[12:13]
	v_add_f64 v[8:9], v[8:9], v[10:11]
	;; [unrolled: 7-line block ×3, first 2 shown]
	v_fmac_f64_e32 v[82:83], v[76:77], v[50:51]
	v_fma_f64 v[42:43], v[74:75], v[50:51], -v[52:53]
	v_add_f64 v[4:5], v[4:5], v[80:81]
	v_add_f64 v[8:9], v[8:9], v[40:41]
	;; [unrolled: 1-line block ×4, first 2 shown]
	s_waitcnt vmcnt(0)
	v_add_f64 v[8:9], v[54:55], -v[8:9]
	v_add_f64 v[10:11], v[56:57], -v[4:5]
	scratch_store_dwordx4 off, v[8:11], off offset:96
	s_and_saveexec_b64 s[2:3], vcc
	s_cbranch_execz .LBB11_75
; %bb.74:
	scratch_load_dwordx4 v[8:11], off, s24
	v_mov_b32_e32 v3, v2
	v_mov_b32_e32 v4, v2
	;; [unrolled: 1-line block ×3, first 2 shown]
	scratch_store_dwordx4 off, v[2:5], off offset:80
	s_waitcnt vmcnt(1)
	ds_write_b128 v6, v[8:11]
.LBB11_75:
	s_or_b64 exec, exec, s[2:3]
	s_waitcnt lgkmcnt(0)
	; wave barrier
	scratch_load_dwordx4 v[8:11], off, off offset:96
	scratch_load_dwordx4 v[38:41], off, off offset:112
	;; [unrolled: 1-line block ×7, first 2 shown]
	ds_read_b128 v[62:65], v2 offset:288
	ds_read_b128 v[66:69], v2 offset:304
	ds_read_b128 v[70:73], v2 offset:320
	ds_read_b128 v[74:77], v2 offset:336
	ds_read_b128 v[78:81], v2 offset:352
	ds_read_b128 v[2:5], v2 offset:368
	v_cmp_lt_u32_e32 vcc, 4, v1
	s_waitcnt vmcnt(6) lgkmcnt(5)
	v_mul_f64 v[12:13], v[62:63], v[10:11]
	v_mul_f64 v[10:11], v[64:65], v[10:11]
	s_waitcnt vmcnt(5) lgkmcnt(4)
	v_mul_f64 v[82:83], v[66:67], v[40:41]
	v_mul_f64 v[40:41], v[68:69], v[40:41]
	v_fmac_f64_e32 v[12:13], v[64:65], v[8:9]
	s_waitcnt vmcnt(1) lgkmcnt(0)
	v_mul_f64 v[90:91], v[2:3], v[56:57]
	v_mul_f64 v[56:57], v[4:5], v[56:57]
	v_fmac_f64_e32 v[90:91], v[4:5], v[54:55]
	v_fma_f64 v[4:5], v[62:63], v[8:9], -v[10:11]
	v_mul_f64 v[84:85], v[70:71], v[44:45]
	v_mul_f64 v[44:45], v[72:73], v[44:45]
	v_fmac_f64_e32 v[82:83], v[68:69], v[38:39]
	v_fma_f64 v[8:9], v[66:67], v[38:39], -v[40:41]
	v_add_f64 v[12:13], v[12:13], 0
	v_add_f64 v[4:5], v[4:5], 0
	v_mul_f64 v[86:87], v[74:75], v[48:49]
	v_mul_f64 v[48:49], v[76:77], v[48:49]
	v_fmac_f64_e32 v[84:85], v[72:73], v[42:43]
	v_fma_f64 v[10:11], v[70:71], v[42:43], -v[44:45]
	v_add_f64 v[12:13], v[12:13], v[82:83]
	v_add_f64 v[4:5], v[4:5], v[8:9]
	;; [unrolled: 6-line block ×3, first 2 shown]
	v_fmac_f64_e32 v[88:89], v[80:81], v[50:51]
	v_fma_f64 v[40:41], v[78:79], v[50:51], -v[52:53]
	v_add_f64 v[8:9], v[8:9], v[86:87]
	v_add_f64 v[4:5], v[4:5], v[38:39]
	v_fma_f64 v[2:3], v[2:3], v[54:55], -v[56:57]
	v_add_f64 v[8:9], v[8:9], v[88:89]
	v_add_f64 v[4:5], v[4:5], v[40:41]
	;; [unrolled: 1-line block ×4, first 2 shown]
	s_waitcnt vmcnt(0)
	v_add_f64 v[2:3], v[58:59], -v[2:3]
	v_add_f64 v[4:5], v[60:61], -v[8:9]
	scratch_store_dwordx4 off, v[2:5], off offset:80
	s_and_saveexec_b64 s[2:3], vcc
	s_cbranch_execz .LBB11_77
; %bb.76:
	scratch_load_dwordx4 v[2:5], off, s17
	v_mov_b32_e32 v8, 0
	v_mov_b32_e32 v9, v8
	;; [unrolled: 1-line block ×4, first 2 shown]
	scratch_store_dwordx4 off, v[8:11], off offset:64
	s_waitcnt vmcnt(1)
	ds_write_b128 v6, v[2:5]
.LBB11_77:
	s_or_b64 exec, exec, s[2:3]
	s_waitcnt lgkmcnt(0)
	; wave barrier
	scratch_load_dwordx4 v[8:11], off, off offset:80
	scratch_load_dwordx4 v[38:41], off, off offset:96
	;; [unrolled: 1-line block ×8, first 2 shown]
	v_mov_b32_e32 v2, 0
	ds_read_b128 v[66:69], v2 offset:272
	ds_read_b128 v[70:73], v2 offset:288
	;; [unrolled: 1-line block ×7, first 2 shown]
	v_cmp_lt_u32_e32 vcc, 3, v1
	s_waitcnt vmcnt(7) lgkmcnt(6)
	v_mul_f64 v[4:5], v[66:67], v[10:11]
	v_mul_f64 v[10:11], v[68:69], v[10:11]
	s_waitcnt vmcnt(6) lgkmcnt(5)
	v_mul_f64 v[12:13], v[70:71], v[40:41]
	v_mul_f64 v[40:41], v[72:73], v[40:41]
	v_fmac_f64_e32 v[4:5], v[68:69], v[8:9]
	v_fma_f64 v[8:9], v[66:67], v[8:9], -v[10:11]
	s_waitcnt vmcnt(5) lgkmcnt(4)
	v_mul_f64 v[94:95], v[74:75], v[44:45]
	v_mul_f64 v[44:45], v[76:77], v[44:45]
	v_fmac_f64_e32 v[12:13], v[72:73], v[38:39]
	v_fma_f64 v[10:11], v[70:71], v[38:39], -v[40:41]
	v_add_f64 v[4:5], v[4:5], 0
	v_add_f64 v[8:9], v[8:9], 0
	s_waitcnt vmcnt(4) lgkmcnt(3)
	v_mul_f64 v[96:97], v[78:79], v[48:49]
	v_mul_f64 v[48:49], v[80:81], v[48:49]
	v_fmac_f64_e32 v[94:95], v[76:77], v[42:43]
	v_fma_f64 v[38:39], v[74:75], v[42:43], -v[44:45]
	v_add_f64 v[4:5], v[4:5], v[12:13]
	v_add_f64 v[8:9], v[8:9], v[10:11]
	;; [unrolled: 7-line block ×5, first 2 shown]
	v_fmac_f64_e32 v[102:103], v[92:93], v[58:59]
	v_fma_f64 v[46:47], v[90:91], v[58:59], -v[60:61]
	v_add_f64 v[4:5], v[4:5], v[100:101]
	v_add_f64 v[8:9], v[8:9], v[44:45]
	;; [unrolled: 1-line block ×4, first 2 shown]
	s_waitcnt vmcnt(0)
	v_add_f64 v[8:9], v[62:63], -v[8:9]
	v_add_f64 v[10:11], v[64:65], -v[4:5]
	scratch_store_dwordx4 off, v[8:11], off offset:64
	s_and_saveexec_b64 s[2:3], vcc
	s_cbranch_execz .LBB11_79
; %bb.78:
	scratch_load_dwordx4 v[8:11], off, s15
	v_mov_b32_e32 v3, v2
	v_mov_b32_e32 v4, v2
	v_mov_b32_e32 v5, v2
	scratch_store_dwordx4 off, v[2:5], off offset:48
	s_waitcnt vmcnt(1)
	ds_write_b128 v6, v[8:11]
.LBB11_79:
	s_or_b64 exec, exec, s[2:3]
	s_waitcnt lgkmcnt(0)
	; wave barrier
	scratch_load_dwordx4 v[8:11], off, off offset:64
	scratch_load_dwordx4 v[38:41], off, off offset:80
	;; [unrolled: 1-line block ×9, first 2 shown]
	ds_read_b128 v[70:73], v2 offset:256
	ds_read_b128 v[74:77], v2 offset:272
	;; [unrolled: 1-line block ×8, first 2 shown]
	v_cmp_lt_u32_e32 vcc, 2, v1
	s_waitcnt vmcnt(8) lgkmcnt(7)
	v_mul_f64 v[12:13], v[70:71], v[10:11]
	v_mul_f64 v[10:11], v[72:73], v[10:11]
	s_waitcnt vmcnt(7) lgkmcnt(6)
	v_mul_f64 v[98:99], v[74:75], v[40:41]
	v_mul_f64 v[40:41], v[76:77], v[40:41]
	v_fmac_f64_e32 v[12:13], v[72:73], v[8:9]
	s_waitcnt vmcnt(6) lgkmcnt(5)
	v_mul_f64 v[100:101], v[78:79], v[44:45]
	v_mul_f64 v[44:45], v[80:81], v[44:45]
	s_waitcnt vmcnt(1) lgkmcnt(0)
	v_mul_f64 v[110:111], v[2:3], v[64:65]
	v_mul_f64 v[64:65], v[4:5], v[64:65]
	v_fmac_f64_e32 v[110:111], v[4:5], v[62:63]
	v_fma_f64 v[4:5], v[70:71], v[8:9], -v[10:11]
	v_fmac_f64_e32 v[98:99], v[76:77], v[38:39]
	v_fma_f64 v[8:9], v[74:75], v[38:39], -v[40:41]
	v_add_f64 v[12:13], v[12:13], 0
	v_add_f64 v[4:5], v[4:5], 0
	v_mul_f64 v[102:103], v[82:83], v[48:49]
	v_mul_f64 v[48:49], v[84:85], v[48:49]
	v_fmac_f64_e32 v[100:101], v[80:81], v[42:43]
	v_fma_f64 v[10:11], v[78:79], v[42:43], -v[44:45]
	v_add_f64 v[12:13], v[12:13], v[98:99]
	v_add_f64 v[4:5], v[4:5], v[8:9]
	v_mul_f64 v[104:105], v[86:87], v[52:53]
	v_mul_f64 v[52:53], v[88:89], v[52:53]
	;; [unrolled: 6-line block ×4, first 2 shown]
	v_fmac_f64_e32 v[106:107], v[92:93], v[54:55]
	v_fma_f64 v[42:43], v[90:91], v[54:55], -v[56:57]
	v_add_f64 v[8:9], v[8:9], v[104:105]
	v_add_f64 v[4:5], v[4:5], v[40:41]
	v_fmac_f64_e32 v[108:109], v[96:97], v[58:59]
	v_fma_f64 v[44:45], v[94:95], v[58:59], -v[60:61]
	v_add_f64 v[8:9], v[8:9], v[106:107]
	v_add_f64 v[4:5], v[4:5], v[42:43]
	v_fma_f64 v[2:3], v[2:3], v[62:63], -v[64:65]
	v_add_f64 v[8:9], v[8:9], v[108:109]
	v_add_f64 v[4:5], v[4:5], v[44:45]
	;; [unrolled: 1-line block ×4, first 2 shown]
	s_waitcnt vmcnt(0)
	v_add_f64 v[2:3], v[66:67], -v[2:3]
	v_add_f64 v[4:5], v[68:69], -v[8:9]
	scratch_store_dwordx4 off, v[2:5], off offset:48
	s_and_saveexec_b64 s[2:3], vcc
	s_cbranch_execz .LBB11_81
; %bb.80:
	scratch_load_dwordx4 v[2:5], off, s14
	v_mov_b32_e32 v8, 0
	v_mov_b32_e32 v9, v8
	;; [unrolled: 1-line block ×4, first 2 shown]
	scratch_store_dwordx4 off, v[8:11], off offset:32
	s_waitcnt vmcnt(1)
	ds_write_b128 v6, v[2:5]
.LBB11_81:
	s_or_b64 exec, exec, s[2:3]
	s_waitcnt lgkmcnt(0)
	; wave barrier
	scratch_load_dwordx4 v[8:11], off, off offset:48
	scratch_load_dwordx4 v[38:41], off, off offset:64
	;; [unrolled: 1-line block ×10, first 2 shown]
	v_mov_b32_e32 v2, 0
	ds_read_b128 v[74:77], v2 offset:240
	ds_read_b128 v[78:81], v2 offset:256
	;; [unrolled: 1-line block ×9, first 2 shown]
	v_cmp_lt_u32_e32 vcc, 1, v1
	s_waitcnt vmcnt(9) lgkmcnt(8)
	v_mul_f64 v[4:5], v[74:75], v[10:11]
	v_mul_f64 v[10:11], v[76:77], v[10:11]
	s_waitcnt vmcnt(8) lgkmcnt(7)
	v_mul_f64 v[12:13], v[78:79], v[40:41]
	v_mul_f64 v[40:41], v[80:81], v[40:41]
	v_fmac_f64_e32 v[4:5], v[76:77], v[8:9]
	v_fma_f64 v[8:9], v[74:75], v[8:9], -v[10:11]
	s_waitcnt vmcnt(7) lgkmcnt(6)
	v_mul_f64 v[110:111], v[82:83], v[44:45]
	v_mul_f64 v[44:45], v[84:85], v[44:45]
	v_fmac_f64_e32 v[12:13], v[80:81], v[38:39]
	v_fma_f64 v[10:11], v[78:79], v[38:39], -v[40:41]
	v_add_f64 v[4:5], v[4:5], 0
	v_add_f64 v[8:9], v[8:9], 0
	s_waitcnt vmcnt(6) lgkmcnt(5)
	v_mul_f64 v[112:113], v[86:87], v[48:49]
	v_mul_f64 v[48:49], v[88:89], v[48:49]
	v_fmac_f64_e32 v[110:111], v[84:85], v[42:43]
	v_fma_f64 v[38:39], v[82:83], v[42:43], -v[44:45]
	v_add_f64 v[4:5], v[4:5], v[12:13]
	v_add_f64 v[8:9], v[8:9], v[10:11]
	;; [unrolled: 7-line block ×7, first 2 shown]
	v_fmac_f64_e32 v[122:123], v[108:109], v[66:67]
	v_fma_f64 v[50:51], v[106:107], v[66:67], -v[68:69]
	v_add_f64 v[4:5], v[4:5], v[120:121]
	v_add_f64 v[8:9], v[8:9], v[48:49]
	;; [unrolled: 1-line block ×4, first 2 shown]
	s_waitcnt vmcnt(0)
	v_add_f64 v[8:9], v[70:71], -v[8:9]
	v_add_f64 v[10:11], v[72:73], -v[4:5]
	scratch_store_dwordx4 off, v[8:11], off offset:32
	s_and_saveexec_b64 s[2:3], vcc
	s_cbranch_execz .LBB11_83
; %bb.82:
	scratch_load_dwordx4 v[8:11], off, s18
	v_mov_b32_e32 v3, v2
	v_mov_b32_e32 v4, v2
	;; [unrolled: 1-line block ×3, first 2 shown]
	scratch_store_dwordx4 off, v[2:5], off offset:16
	s_waitcnt vmcnt(1)
	ds_write_b128 v6, v[8:11]
.LBB11_83:
	s_or_b64 exec, exec, s[2:3]
	s_waitcnt lgkmcnt(0)
	; wave barrier
	ds_read_b128 v[8:11], v2 offset:224
	ds_read_b128 v[38:41], v2 offset:240
	;; [unrolled: 1-line block ×4, first 2 shown]
	scratch_load_dwordx4 v[50:53], off, off offset:32
	scratch_load_dwordx4 v[54:57], off, off offset:48
	;; [unrolled: 1-line block ×10, first 2 shown]
	ds_read_b128 v[66:69], v2 offset:288
	ds_read_b128 v[74:77], v2 offset:304
	;; [unrolled: 1-line block ×5, first 2 shown]
	v_cmp_ne_u32_e32 vcc, 0, v1
	s_waitcnt vmcnt(9) lgkmcnt(8)
	v_mul_f64 v[4:5], v[8:9], v[52:53]
	v_fmac_f64_e32 v[4:5], v[10:11], v[50:51]
	s_waitcnt vmcnt(8) lgkmcnt(7)
	v_mul_f64 v[12:13], v[38:39], v[56:57]
	v_add_f64 v[4:5], v[4:5], 0
	v_fmac_f64_e32 v[12:13], v[40:41], v[54:55]
	v_add_f64 v[4:5], v[4:5], v[12:13]
	s_waitcnt vmcnt(7) lgkmcnt(6)
	v_mul_f64 v[12:13], v[42:43], v[60:61]
	v_fmac_f64_e32 v[12:13], v[44:45], v[58:59]
	v_add_f64 v[4:5], v[4:5], v[12:13]
	s_waitcnt vmcnt(6) lgkmcnt(5)
	v_mul_f64 v[12:13], v[46:47], v[64:65]
	;; [unrolled: 4-line block ×3, first 2 shown]
	v_mul_f64 v[10:11], v[10:11], v[52:53]
	v_fmac_f64_e32 v[12:13], v[68:69], v[70:71]
	v_fma_f64 v[8:9], v[8:9], v[50:51], -v[10:11]
	v_mul_f64 v[10:11], v[40:41], v[56:57]
	v_add_f64 v[4:5], v[4:5], v[12:13]
	s_waitcnt vmcnt(4) lgkmcnt(3)
	v_mul_f64 v[12:13], v[74:75], v[80:81]
	v_add_f64 v[8:9], v[8:9], 0
	v_fma_f64 v[10:11], v[38:39], v[54:55], -v[10:11]
	v_fmac_f64_e32 v[12:13], v[76:77], v[78:79]
	v_add_f64 v[8:9], v[8:9], v[10:11]
	v_mul_f64 v[10:11], v[44:45], v[60:61]
	v_add_f64 v[4:5], v[4:5], v[12:13]
	s_waitcnt vmcnt(3) lgkmcnt(2)
	v_mul_f64 v[12:13], v[82:83], v[88:89]
	v_fma_f64 v[10:11], v[42:43], v[58:59], -v[10:11]
	v_fmac_f64_e32 v[12:13], v[84:85], v[86:87]
	v_add_f64 v[8:9], v[8:9], v[10:11]
	v_mul_f64 v[10:11], v[48:49], v[64:65]
	v_add_f64 v[4:5], v[4:5], v[12:13]
	s_waitcnt vmcnt(2) lgkmcnt(1)
	v_mul_f64 v[12:13], v[90:91], v[96:97]
	;; [unrolled: 7-line block ×3, first 2 shown]
	v_fma_f64 v[10:11], v[66:67], v[70:71], -v[10:11]
	v_fmac_f64_e32 v[12:13], v[100:101], v[102:103]
	v_add_f64 v[8:9], v[8:9], v[10:11]
	v_mul_f64 v[10:11], v[76:77], v[80:81]
	v_add_f64 v[12:13], v[4:5], v[12:13]
	ds_read_b128 v[2:5], v2 offset:368
	v_fma_f64 v[10:11], v[74:75], v[78:79], -v[10:11]
	v_add_f64 v[8:9], v[8:9], v[10:11]
	v_mul_f64 v[10:11], v[84:85], v[88:89]
	v_fma_f64 v[10:11], v[82:83], v[86:87], -v[10:11]
	v_add_f64 v[8:9], v[8:9], v[10:11]
	v_mul_f64 v[10:11], v[92:93], v[96:97]
	v_fma_f64 v[10:11], v[90:91], v[94:95], -v[10:11]
	s_waitcnt vmcnt(0) lgkmcnt(0)
	v_mul_f64 v[110:111], v[2:3], v[108:109]
	v_add_f64 v[8:9], v[8:9], v[10:11]
	v_mul_f64 v[10:11], v[100:101], v[104:105]
	v_fmac_f64_e32 v[110:111], v[4:5], v[106:107]
	v_fma_f64 v[10:11], v[98:99], v[102:103], -v[10:11]
	v_mul_f64 v[4:5], v[4:5], v[108:109]
	v_add_f64 v[8:9], v[8:9], v[10:11]
	v_fma_f64 v[2:3], v[2:3], v[106:107], -v[4:5]
	v_add_f64 v[8:9], v[8:9], v[2:3]
	scratch_load_dwordx4 v[2:5], off, off offset:16
	v_add_f64 v[12:13], v[12:13], v[110:111]
	s_waitcnt vmcnt(0)
	v_add_f64 v[2:3], v[2:3], -v[8:9]
	v_add_f64 v[4:5], v[4:5], -v[12:13]
	scratch_store_dwordx4 off, v[2:5], off offset:16
	s_and_saveexec_b64 s[2:3], vcc
	s_cbranch_execz .LBB11_85
; %bb.84:
	scratch_load_dwordx4 v[2:5], off, off
	v_mov_b32_e32 v8, 0
	v_mov_b32_e32 v9, v8
	;; [unrolled: 1-line block ×4, first 2 shown]
	scratch_store_dwordx4 off, v[8:11], off
	s_waitcnt vmcnt(1)
	ds_write_b128 v6, v[2:5]
.LBB11_85:
	s_or_b64 exec, exec, s[2:3]
	v_mov_b32_e32 v4, 0
	s_waitcnt lgkmcnt(0)
	; wave barrier
	ds_read_b128 v[6:9], v4 offset:208
	ds_read_b128 v[10:13], v4 offset:224
	;; [unrolled: 1-line block ×4, first 2 shown]
	scratch_load_dwordx4 v[46:49], off, off offset:16
	scratch_load_dwordx4 v[50:53], off, off offset:32
	;; [unrolled: 1-line block ×7, first 2 shown]
	s_and_b64 vcc, exec, s[22:23]
	scratch_load_dwordx4 v[66:69], off, off offset:80
	scratch_load_dwordx4 v[74:77], off, off offset:96
	s_waitcnt vmcnt(8) lgkmcnt(3)
	v_mul_f64 v[2:3], v[6:7], v[48:49]
	v_fmac_f64_e32 v[2:3], v[8:9], v[46:47]
	s_waitcnt vmcnt(7) lgkmcnt(2)
	v_mul_f64 v[54:55], v[10:11], v[52:53]
	v_add_f64 v[2:3], v[2:3], 0
	v_fmac_f64_e32 v[54:55], v[12:13], v[50:51]
	v_add_f64 v[2:3], v[2:3], v[54:55]
	scratch_load_dwordx4 v[54:57], off, off offset:48
	v_mul_f64 v[8:9], v[8:9], v[48:49]
	v_fma_f64 v[6:7], v[6:7], v[46:47], -v[8:9]
	v_mul_f64 v[8:9], v[12:13], v[52:53]
	v_add_f64 v[6:7], v[6:7], 0
	v_fma_f64 v[8:9], v[10:11], v[50:51], -v[8:9]
	v_add_f64 v[6:7], v[6:7], v[8:9]
	s_waitcnt vmcnt(0) lgkmcnt(1)
	v_mul_f64 v[58:59], v[38:39], v[56:57]
	v_fmac_f64_e32 v[58:59], v[40:41], v[54:55]
	v_add_f64 v[2:3], v[2:3], v[58:59]
	scratch_load_dwordx4 v[58:61], off, off offset:64
	v_mul_f64 v[8:9], v[40:41], v[56:57]
	v_fma_f64 v[8:9], v[38:39], v[54:55], -v[8:9]
	v_add_f64 v[6:7], v[6:7], v[8:9]
	s_waitcnt vmcnt(0) lgkmcnt(0)
	v_mul_f64 v[62:63], v[42:43], v[60:61]
	v_fmac_f64_e32 v[62:63], v[44:45], v[58:59]
	v_add_f64 v[2:3], v[2:3], v[62:63]
	ds_read_b128 v[62:65], v4 offset:272
	v_mul_f64 v[8:9], v[44:45], v[60:61]
	v_fma_f64 v[8:9], v[42:43], v[58:59], -v[8:9]
	v_add_f64 v[6:7], v[6:7], v[8:9]
	s_waitcnt lgkmcnt(0)
	v_mul_f64 v[70:71], v[62:63], v[68:69]
	v_fmac_f64_e32 v[70:71], v[64:65], v[66:67]
	v_add_f64 v[2:3], v[2:3], v[70:71]
	ds_read_b128 v[70:73], v4 offset:288
	v_mul_f64 v[8:9], v[64:65], v[68:69]
	v_fma_f64 v[8:9], v[62:63], v[66:67], -v[8:9]
	v_add_f64 v[6:7], v[6:7], v[8:9]
	s_waitcnt lgkmcnt(0)
	;; [unrolled: 8-line block ×7, first 2 shown]
	v_mul_f64 v[8:9], v[112:113], v[116:117]
	v_fma_f64 v[8:9], v[110:111], v[114:115], -v[8:9]
	v_add_f64 v[10:11], v[6:7], v[8:9]
	scratch_load_dwordx4 v[6:9], off, off
	v_mul_f64 v[118:119], v[110:111], v[116:117]
	v_fmac_f64_e32 v[118:119], v[112:113], v[114:115]
	v_add_f64 v[2:3], v[2:3], v[118:119]
	s_waitcnt vmcnt(0)
	v_add_f64 v[6:7], v[6:7], -v[10:11]
	v_add_f64 v[8:9], v[8:9], -v[2:3]
	scratch_store_dwordx4 off, v[6:9], off
	s_cbranch_vccz .LBB11_108
; %bb.86:
	global_load_dword v2, v4, s[20:21] offset:40
	s_load_dwordx2 s[2:3], s[0:1], 0x4
	v_bfe_u32 v3, v0, 10, 10
	v_bfe_u32 v0, v0, 20, 10
	s_waitcnt lgkmcnt(0)
	s_lshr_b32 s0, s2, 16
	s_mul_i32 s0, s0, s3
	v_mul_u32_u24_e32 v1, s0, v1
	v_mul_u32_u24_e32 v3, s3, v3
	v_add3_u32 v0, v1, v3, v0
	v_mov_b32_e32 v1, 0x188
	v_lshl_add_u32 v0, v0, 4, v1
	s_waitcnt vmcnt(0)
	v_readfirstlane_b32 s0, v2
	s_add_i32 s0, s0, -1
	s_cmp_lg_u32 s0, 10
	s_cbranch_scc0 .LBB11_88
; %bb.87:
	s_lshl_b32 s0, s0, 4
	scratch_load_dwordx4 v[2:5], off, s26
	scratch_load_dwordx4 v[6:9], off, s0
	s_waitcnt vmcnt(1)
	ds_write2_b64 v0, v[2:3], v[4:5] offset1:1
	s_waitcnt vmcnt(0)
	scratch_store_dwordx4 off, v[6:9], s26
	scratch_store_dwordx4 off, v[2:5], s0
.LBB11_88:
	v_mov_b32_e32 v1, 0
	global_load_dword v2, v1, s[20:21] offset:36
	s_waitcnt vmcnt(0)
	v_readfirstlane_b32 s0, v2
	s_add_i32 s0, s0, -1
	s_cmp_eq_u32 s0, 9
	s_cbranch_scc1 .LBB11_90
; %bb.89:
	s_lshl_b32 s0, s0, 4
	scratch_load_dwordx4 v[2:5], off, s19
	scratch_load_dwordx4 v[6:9], off, s0
	s_waitcnt vmcnt(1)
	ds_write2_b64 v0, v[2:3], v[4:5] offset1:1
	s_waitcnt vmcnt(0)
	scratch_store_dwordx4 off, v[6:9], s19
	scratch_store_dwordx4 off, v[2:5], s0
.LBB11_90:
	global_load_dword v1, v1, s[20:21] offset:32
	s_waitcnt vmcnt(0)
	v_readfirstlane_b32 s0, v1
	s_add_i32 s0, s0, -1
	s_cmp_eq_u32 s0, 8
	s_cbranch_scc1 .LBB11_92
; %bb.91:
	s_lshl_b32 s0, s0, 4
	scratch_load_dwordx4 v[2:5], off, s16
	scratch_load_dwordx4 v[6:9], off, s0
	s_waitcnt vmcnt(1)
	ds_write2_b64 v0, v[2:3], v[4:5] offset1:1
	s_waitcnt vmcnt(0)
	scratch_store_dwordx4 off, v[6:9], s16
	scratch_store_dwordx4 off, v[2:5], s0
.LBB11_92:
	v_mov_b32_e32 v1, 0
	global_load_dword v2, v1, s[20:21] offset:28
	s_waitcnt vmcnt(0)
	v_readfirstlane_b32 s0, v2
	s_add_i32 s0, s0, -1
	s_cmp_eq_u32 s0, 7
	s_cbranch_scc1 .LBB11_94
; %bb.93:
	s_lshl_b32 s0, s0, 4
	scratch_load_dwordx4 v[2:5], off, s27
	scratch_load_dwordx4 v[6:9], off, s0
	s_waitcnt vmcnt(1)
	ds_write2_b64 v0, v[2:3], v[4:5] offset1:1
	s_waitcnt vmcnt(0)
	scratch_store_dwordx4 off, v[6:9], s27
	scratch_store_dwordx4 off, v[2:5], s0
.LBB11_94:
	global_load_dword v1, v1, s[20:21] offset:24
	s_waitcnt vmcnt(0)
	v_readfirstlane_b32 s0, v1
	s_add_i32 s0, s0, -1
	s_cmp_eq_u32 s0, 6
	s_cbranch_scc1 .LBB11_96
; %bb.95:
	s_lshl_b32 s0, s0, 4
	scratch_load_dwordx4 v[2:5], off, s25
	scratch_load_dwordx4 v[6:9], off, s0
	s_waitcnt vmcnt(1)
	ds_write2_b64 v0, v[2:3], v[4:5] offset1:1
	s_waitcnt vmcnt(0)
	scratch_store_dwordx4 off, v[6:9], s25
	scratch_store_dwordx4 off, v[2:5], s0
.LBB11_96:
	;; [unrolled: 33-line block ×4, first 2 shown]
	v_mov_b32_e32 v1, 0
	global_load_dword v2, v1, s[20:21] offset:4
	s_waitcnt vmcnt(0)
	v_readfirstlane_b32 s0, v2
	s_add_i32 s0, s0, -1
	s_cmp_eq_u32 s0, 1
	s_cbranch_scc1 .LBB11_106
; %bb.105:
	s_lshl_b32 s0, s0, 4
	scratch_load_dwordx4 v[2:5], off, s18
	scratch_load_dwordx4 v[6:9], off, s0
	s_waitcnt vmcnt(1)
	ds_write2_b64 v0, v[2:3], v[4:5] offset1:1
	s_waitcnt vmcnt(0)
	scratch_store_dwordx4 off, v[6:9], s18
	scratch_store_dwordx4 off, v[2:5], s0
.LBB11_106:
	global_load_dword v1, v1, s[20:21]
	s_waitcnt vmcnt(0)
	v_readfirstlane_b32 s0, v1
	s_add_i32 s0, s0, -1
	s_cmp_eq_u32 s0, 0
	s_cbranch_scc1 .LBB11_108
; %bb.107:
	s_lshl_b32 s0, s0, 4
	scratch_load_dwordx4 v[2:5], off, off
	scratch_load_dwordx4 v[6:9], off, s0
	s_waitcnt vmcnt(1)
	ds_write2_b64 v0, v[2:3], v[4:5] offset1:1
	s_waitcnt vmcnt(0)
	scratch_store_dwordx4 off, v[6:9], off
	scratch_store_dwordx4 off, v[2:5], s0
.LBB11_108:
	scratch_load_dwordx4 v[0:3], off, off
	s_nop 0
	scratch_load_dwordx4 v[4:7], off, s18
	scratch_load_dwordx4 v[8:11], off, s14
	;; [unrolled: 1-line block ×11, first 2 shown]
	s_waitcnt vmcnt(11)
	global_store_dwordx4 v[14:15], v[0:3], off
	s_waitcnt vmcnt(11)
	global_store_dwordx4 v[16:17], v[4:7], off
	;; [unrolled: 2-line block ×12, first 2 shown]
	s_endpgm
	.section	.rodata,"a",@progbits
	.p2align	6, 0x0
	.amdhsa_kernel _ZN9rocsolver6v33100L18getri_kernel_smallILi12E19rocblas_complex_numIdEPS3_EEvT1_iilPiilS6_bb
		.amdhsa_group_segment_fixed_size 1416
		.amdhsa_private_segment_fixed_size 208
		.amdhsa_kernarg_size 60
		.amdhsa_user_sgpr_count 4
		.amdhsa_user_sgpr_dispatch_ptr 1
		.amdhsa_user_sgpr_queue_ptr 0
		.amdhsa_user_sgpr_kernarg_segment_ptr 1
		.amdhsa_user_sgpr_dispatch_id 0
		.amdhsa_user_sgpr_kernarg_preload_length 0
		.amdhsa_user_sgpr_kernarg_preload_offset 0
		.amdhsa_user_sgpr_private_segment_size 0
		.amdhsa_uses_dynamic_stack 0
		.amdhsa_enable_private_segment 1
		.amdhsa_system_sgpr_workgroup_id_x 1
		.amdhsa_system_sgpr_workgroup_id_y 0
		.amdhsa_system_sgpr_workgroup_id_z 0
		.amdhsa_system_sgpr_workgroup_info 0
		.amdhsa_system_vgpr_workitem_id 2
		.amdhsa_next_free_vgpr 124
		.amdhsa_next_free_sgpr 29
		.amdhsa_accum_offset 124
		.amdhsa_reserve_vcc 1
		.amdhsa_float_round_mode_32 0
		.amdhsa_float_round_mode_16_64 0
		.amdhsa_float_denorm_mode_32 3
		.amdhsa_float_denorm_mode_16_64 3
		.amdhsa_dx10_clamp 1
		.amdhsa_ieee_mode 1
		.amdhsa_fp16_overflow 0
		.amdhsa_tg_split 0
		.amdhsa_exception_fp_ieee_invalid_op 0
		.amdhsa_exception_fp_denorm_src 0
		.amdhsa_exception_fp_ieee_div_zero 0
		.amdhsa_exception_fp_ieee_overflow 0
		.amdhsa_exception_fp_ieee_underflow 0
		.amdhsa_exception_fp_ieee_inexact 0
		.amdhsa_exception_int_div_zero 0
	.end_amdhsa_kernel
	.section	.text._ZN9rocsolver6v33100L18getri_kernel_smallILi12E19rocblas_complex_numIdEPS3_EEvT1_iilPiilS6_bb,"axG",@progbits,_ZN9rocsolver6v33100L18getri_kernel_smallILi12E19rocblas_complex_numIdEPS3_EEvT1_iilPiilS6_bb,comdat
.Lfunc_end11:
	.size	_ZN9rocsolver6v33100L18getri_kernel_smallILi12E19rocblas_complex_numIdEPS3_EEvT1_iilPiilS6_bb, .Lfunc_end11-_ZN9rocsolver6v33100L18getri_kernel_smallILi12E19rocblas_complex_numIdEPS3_EEvT1_iilPiilS6_bb
                                        ; -- End function
	.set _ZN9rocsolver6v33100L18getri_kernel_smallILi12E19rocblas_complex_numIdEPS3_EEvT1_iilPiilS6_bb.num_vgpr, 124
	.set _ZN9rocsolver6v33100L18getri_kernel_smallILi12E19rocblas_complex_numIdEPS3_EEvT1_iilPiilS6_bb.num_agpr, 0
	.set _ZN9rocsolver6v33100L18getri_kernel_smallILi12E19rocblas_complex_numIdEPS3_EEvT1_iilPiilS6_bb.numbered_sgpr, 29
	.set _ZN9rocsolver6v33100L18getri_kernel_smallILi12E19rocblas_complex_numIdEPS3_EEvT1_iilPiilS6_bb.num_named_barrier, 0
	.set _ZN9rocsolver6v33100L18getri_kernel_smallILi12E19rocblas_complex_numIdEPS3_EEvT1_iilPiilS6_bb.private_seg_size, 208
	.set _ZN9rocsolver6v33100L18getri_kernel_smallILi12E19rocblas_complex_numIdEPS3_EEvT1_iilPiilS6_bb.uses_vcc, 1
	.set _ZN9rocsolver6v33100L18getri_kernel_smallILi12E19rocblas_complex_numIdEPS3_EEvT1_iilPiilS6_bb.uses_flat_scratch, 0
	.set _ZN9rocsolver6v33100L18getri_kernel_smallILi12E19rocblas_complex_numIdEPS3_EEvT1_iilPiilS6_bb.has_dyn_sized_stack, 0
	.set _ZN9rocsolver6v33100L18getri_kernel_smallILi12E19rocblas_complex_numIdEPS3_EEvT1_iilPiilS6_bb.has_recursion, 0
	.set _ZN9rocsolver6v33100L18getri_kernel_smallILi12E19rocblas_complex_numIdEPS3_EEvT1_iilPiilS6_bb.has_indirect_call, 0
	.section	.AMDGPU.csdata,"",@progbits
; Kernel info:
; codeLenInByte = 10324
; TotalNumSgprs: 35
; NumVgprs: 124
; NumAgprs: 0
; TotalNumVgprs: 124
; ScratchSize: 208
; MemoryBound: 0
; FloatMode: 240
; IeeeMode: 1
; LDSByteSize: 1416 bytes/workgroup (compile time only)
; SGPRBlocks: 4
; VGPRBlocks: 15
; NumSGPRsForWavesPerEU: 35
; NumVGPRsForWavesPerEU: 124
; AccumOffset: 124
; Occupancy: 4
; WaveLimiterHint : 1
; COMPUTE_PGM_RSRC2:SCRATCH_EN: 1
; COMPUTE_PGM_RSRC2:USER_SGPR: 4
; COMPUTE_PGM_RSRC2:TRAP_HANDLER: 0
; COMPUTE_PGM_RSRC2:TGID_X_EN: 1
; COMPUTE_PGM_RSRC2:TGID_Y_EN: 0
; COMPUTE_PGM_RSRC2:TGID_Z_EN: 0
; COMPUTE_PGM_RSRC2:TIDIG_COMP_CNT: 2
; COMPUTE_PGM_RSRC3_GFX90A:ACCUM_OFFSET: 30
; COMPUTE_PGM_RSRC3_GFX90A:TG_SPLIT: 0
	.section	.text._ZN9rocsolver6v33100L18getri_kernel_smallILi13E19rocblas_complex_numIdEPS3_EEvT1_iilPiilS6_bb,"axG",@progbits,_ZN9rocsolver6v33100L18getri_kernel_smallILi13E19rocblas_complex_numIdEPS3_EEvT1_iilPiilS6_bb,comdat
	.globl	_ZN9rocsolver6v33100L18getri_kernel_smallILi13E19rocblas_complex_numIdEPS3_EEvT1_iilPiilS6_bb ; -- Begin function _ZN9rocsolver6v33100L18getri_kernel_smallILi13E19rocblas_complex_numIdEPS3_EEvT1_iilPiilS6_bb
	.p2align	8
	.type	_ZN9rocsolver6v33100L18getri_kernel_smallILi13E19rocblas_complex_numIdEPS3_EEvT1_iilPiilS6_bb,@function
_ZN9rocsolver6v33100L18getri_kernel_smallILi13E19rocblas_complex_numIdEPS3_EEvT1_iilPiilS6_bb: ; @_ZN9rocsolver6v33100L18getri_kernel_smallILi13E19rocblas_complex_numIdEPS3_EEvT1_iilPiilS6_bb
; %bb.0:
	v_and_b32_e32 v1, 0x3ff, v0
	v_cmp_gt_u32_e32 vcc, 13, v1
	s_and_saveexec_b64 s[6:7], vcc
	s_cbranch_execz .LBB12_66
; %bb.1:
	s_load_dword s6, s[2:3], 0x38
	s_load_dwordx4 s[16:19], s[2:3], 0x10
	s_load_dwordx4 s[8:11], s[2:3], 0x28
                                        ; implicit-def: $sgpr20_sgpr21
	s_waitcnt lgkmcnt(0)
	s_bitcmp1_b32 s6, 8
	s_cselect_b64 s[22:23], -1, 0
	s_ashr_i32 s5, s4, 31
	s_bfe_u32 s6, s6, 0x10008
	s_cmp_eq_u32 s6, 0
	s_cbranch_scc1 .LBB12_3
; %bb.2:
	s_load_dword s6, s[2:3], 0x20
	s_mul_i32 s7, s8, s5
	s_mul_hi_u32 s12, s8, s4
	s_mul_i32 s9, s9, s4
	s_add_i32 s12, s12, s7
	s_add_i32 s9, s12, s9
	s_mul_i32 s8, s8, s4
	s_waitcnt lgkmcnt(0)
	s_ashr_i32 s7, s6, 31
	s_lshl_b64 s[8:9], s[8:9], 2
	s_add_u32 s8, s18, s8
	s_addc_u32 s9, s19, s9
	s_lshl_b64 s[6:7], s[6:7], 2
	s_add_u32 s20, s8, s6
	s_addc_u32 s21, s9, s7
.LBB12_3:
	s_load_dwordx4 s[12:15], s[2:3], 0x0
	s_load_dword s8, s[2:3], 0x38
	s_mul_i32 s6, s16, s5
	s_mul_hi_u32 s7, s16, s4
	s_add_i32 s6, s7, s6
	s_mul_i32 s7, s17, s4
	s_add_i32 s7, s6, s7
	s_mul_i32 s6, s16, s4
	s_waitcnt lgkmcnt(0)
	s_ashr_i32 s3, s14, 31
	s_lshl_b64 s[6:7], s[6:7], 4
	s_mov_b32 s2, s14
	s_add_u32 s6, s12, s6
	s_addc_u32 s7, s13, s7
	s_lshl_b64 s[2:3], s[2:3], 4
	s_add_u32 s2, s6, s2
	s_addc_u32 s3, s7, s3
	v_lshlrev_b32_e32 v14, 4, v1
	v_mov_b32_e32 v15, 0
	v_lshl_add_u64 v[16:17], s[2:3], 0, v[14:15]
	s_ashr_i32 s7, s15, 31
	s_mov_b32 s6, s15
	v_lshl_add_u64 v[18:19], s[6:7], 4, v[16:17]
	s_add_i32 s6, s15, s15
	v_add_u32_e32 v22, s6, v1
	v_add_u32_e32 v24, s15, v22
	;; [unrolled: 1-line block ×4, first 2 shown]
	v_ashrrev_i32_e32 v23, 31, v22
	v_ashrrev_i32_e32 v25, 31, v24
	;; [unrolled: 1-line block ×4, first 2 shown]
	v_lshl_add_u64 v[20:21], v[22:23], 4, s[2:3]
	v_lshl_add_u64 v[22:23], v[24:25], 4, s[2:3]
	;; [unrolled: 1-line block ×4, first 2 shown]
	v_add_u32_e32 v28, s15, v28
	v_add_u32_e32 v30, s15, v28
	;; [unrolled: 1-line block ×6, first 2 shown]
	v_ashrrev_i32_e32 v31, 31, v30
	v_ashrrev_i32_e32 v35, 31, v34
	;; [unrolled: 1-line block ×3, first 2 shown]
	v_add_u32_e32 v40, s15, v38
	v_ashrrev_i32_e32 v29, 31, v28
	v_lshl_add_u64 v[30:31], v[30:31], 4, s[2:3]
	v_ashrrev_i32_e32 v33, 31, v32
	v_lshl_add_u64 v[34:35], v[34:35], 4, s[2:3]
	;; [unrolled: 2-line block ×3, first 2 shown]
	v_ashrrev_i32_e32 v41, 31, v40
	global_load_dwordx4 v[2:5], v14, s[2:3]
	global_load_dwordx4 v[6:9], v[18:19], off
	global_load_dwordx4 v[10:13], v[20:21], off
	;; [unrolled: 1-line block ×4, first 2 shown]
	v_lshl_add_u64 v[28:29], v[28:29], 4, s[2:3]
	global_load_dwordx4 v[50:53], v[26:27], off
	global_load_dwordx4 v[54:57], v[28:29], off
	v_lshl_add_u64 v[32:33], v[32:33], 4, s[2:3]
	global_load_dwordx4 v[58:61], v[30:31], off
	global_load_dwordx4 v[62:65], v[32:33], off
	;; [unrolled: 3-line block ×4, first 2 shown]
	s_movk_i32 s24, 0x50
	s_movk_i32 s26, 0x60
	s_movk_i32 s27, 0x70
	s_movk_i32 s16, 0x80
	s_movk_i32 s18, 0x90
	s_movk_i32 s25, 0xa0
	s_movk_i32 s28, 0xb0
	s_movk_i32 s29, 0xc0
	s_mov_b32 s19, 16
	s_mov_b32 s14, 32
	;; [unrolled: 1-line block ×4, first 2 shown]
	s_bitcmp0_b32 s8, 0
	s_mov_b64 s[6:7], -1
	s_waitcnt vmcnt(12)
	scratch_store_dwordx4 off, v[2:5], off
	s_waitcnt vmcnt(12)
	scratch_store_dwordx4 off, v[6:9], off offset:16
	s_waitcnt vmcnt(12)
	scratch_store_dwordx4 off, v[10:13], off offset:32
	;; [unrolled: 2-line block ×12, first 2 shown]
	s_cbranch_scc1 .LBB12_64
; %bb.4:
	v_cmp_eq_u32_e64 s[2:3], 0, v1
	s_and_saveexec_b64 s[6:7], s[2:3]
; %bb.5:
	v_mov_b32_e32 v2, 0
	ds_write_b32 v2, v2 offset:416
; %bb.6:
	s_or_b64 exec, exec, s[6:7]
	s_waitcnt lgkmcnt(0)
	; wave barrier
	scratch_load_dwordx4 v[2:5], v14, off
	s_waitcnt vmcnt(0)
	v_cmp_eq_f64_e32 vcc, 0, v[2:3]
	v_cmp_eq_f64_e64 s[6:7], 0, v[4:5]
	s_and_b64 s[6:7], vcc, s[6:7]
	s_and_saveexec_b64 s[8:9], s[6:7]
	s_cbranch_execz .LBB12_10
; %bb.7:
	v_mov_b32_e32 v2, 0
	ds_read_b32 v4, v2 offset:416
	v_add_u32_e32 v3, 1, v1
	s_waitcnt lgkmcnt(0)
	v_readfirstlane_b32 s6, v4
	s_cmp_eq_u32 s6, 0
	s_cselect_b64 s[12:13], -1, 0
	v_cmp_gt_i32_e32 vcc, s6, v3
	s_or_b64 s[12:13], s[12:13], vcc
	s_and_b64 exec, exec, s[12:13]
	s_cbranch_execz .LBB12_10
; %bb.8:
	s_mov_b64 s[12:13], 0
	v_mov_b32_e32 v4, s6
.LBB12_9:                               ; =>This Inner Loop Header: Depth=1
	ds_cmpst_rtn_b32 v4, v2, v4, v3 offset:416
	s_waitcnt lgkmcnt(0)
	v_cmp_ne_u32_e32 vcc, 0, v4
	v_cmp_le_i32_e64 s[6:7], v4, v3
	s_and_b64 s[6:7], vcc, s[6:7]
	s_and_b64 s[6:7], exec, s[6:7]
	s_or_b64 s[12:13], s[6:7], s[12:13]
	s_andn2_b64 exec, exec, s[12:13]
	s_cbranch_execnz .LBB12_9
.LBB12_10:
	s_or_b64 exec, exec, s[8:9]
	v_mov_b32_e32 v3, 0
	; wave barrier
	ds_read_b32 v2, v3 offset:416
	s_and_saveexec_b64 s[6:7], s[2:3]
	s_cbranch_execz .LBB12_12
; %bb.11:
	s_lshl_b64 s[8:9], s[4:5], 2
	s_add_u32 s8, s10, s8
	s_addc_u32 s9, s11, s9
	s_waitcnt lgkmcnt(0)
	global_store_dword v3, v2, s[8:9]
.LBB12_12:
	s_or_b64 exec, exec, s[6:7]
	s_waitcnt lgkmcnt(0)
	v_cmp_ne_u32_e32 vcc, 0, v2
	s_mov_b64 s[6:7], 0
	s_cbranch_vccnz .LBB12_64
; %bb.13:
	v_mov_b32_e32 v15, v14
	scratch_load_dwordx4 v[2:5], v15, off
                                        ; implicit-def: $vgpr6_vgpr7
                                        ; implicit-def: $vgpr10_vgpr11
	s_waitcnt vmcnt(0)
	v_cmp_ngt_f64_e64 s[6:7], |v[2:3]|, |v[4:5]|
	s_and_saveexec_b64 s[8:9], s[6:7]
	s_xor_b64 s[6:7], exec, s[8:9]
	s_cbranch_execz .LBB12_15
; %bb.14:
	v_div_scale_f64 v[6:7], s[8:9], v[4:5], v[4:5], v[2:3]
	v_rcp_f64_e32 v[8:9], v[6:7]
	v_div_scale_f64 v[10:11], vcc, v[2:3], v[4:5], v[2:3]
	v_fma_f64 v[12:13], -v[6:7], v[8:9], 1.0
	v_fmac_f64_e32 v[8:9], v[8:9], v[12:13]
	v_fma_f64 v[12:13], -v[6:7], v[8:9], 1.0
	v_fmac_f64_e32 v[8:9], v[8:9], v[12:13]
	v_mul_f64 v[12:13], v[10:11], v[8:9]
	v_fma_f64 v[6:7], -v[6:7], v[12:13], v[10:11]
	v_div_fmas_f64 v[6:7], v[6:7], v[8:9], v[12:13]
	v_div_fixup_f64 v[6:7], v[6:7], v[4:5], v[2:3]
	v_fmac_f64_e32 v[4:5], v[2:3], v[6:7]
	v_div_scale_f64 v[2:3], s[8:9], v[4:5], v[4:5], 1.0
	v_rcp_f64_e32 v[8:9], v[2:3]
	s_nop 0
	v_fma_f64 v[10:11], -v[2:3], v[8:9], 1.0
	v_fmac_f64_e32 v[8:9], v[8:9], v[10:11]
	v_fma_f64 v[10:11], -v[2:3], v[8:9], 1.0
	v_fmac_f64_e32 v[8:9], v[8:9], v[10:11]
	v_div_scale_f64 v[10:11], vcc, 1.0, v[4:5], 1.0
	v_mul_f64 v[12:13], v[10:11], v[8:9]
	v_fma_f64 v[2:3], -v[2:3], v[12:13], v[10:11]
	s_nop 1
	v_div_fmas_f64 v[2:3], v[2:3], v[8:9], v[12:13]
	v_div_fixup_f64 v[8:9], v[2:3], v[4:5], 1.0
	v_mul_f64 v[6:7], v[6:7], v[8:9]
	v_xor_b32_e32 v9, 0x80000000, v9
	v_xor_b32_e32 v11, 0x80000000, v7
	v_mov_b32_e32 v10, v6
                                        ; implicit-def: $vgpr2_vgpr3
.LBB12_15:
	s_andn2_saveexec_b64 s[6:7], s[6:7]
	s_cbranch_execz .LBB12_17
; %bb.16:
	v_div_scale_f64 v[6:7], s[8:9], v[2:3], v[2:3], v[4:5]
	v_rcp_f64_e32 v[8:9], v[6:7]
	v_div_scale_f64 v[10:11], vcc, v[4:5], v[2:3], v[4:5]
	v_fma_f64 v[12:13], -v[6:7], v[8:9], 1.0
	v_fmac_f64_e32 v[8:9], v[8:9], v[12:13]
	v_fma_f64 v[12:13], -v[6:7], v[8:9], 1.0
	v_fmac_f64_e32 v[8:9], v[8:9], v[12:13]
	v_mul_f64 v[12:13], v[10:11], v[8:9]
	v_fma_f64 v[6:7], -v[6:7], v[12:13], v[10:11]
	v_div_fmas_f64 v[6:7], v[6:7], v[8:9], v[12:13]
	v_div_fixup_f64 v[8:9], v[6:7], v[2:3], v[4:5]
	v_fmac_f64_e32 v[2:3], v[4:5], v[8:9]
	v_div_scale_f64 v[4:5], s[8:9], v[2:3], v[2:3], 1.0
	v_rcp_f64_e32 v[6:7], v[4:5]
	s_nop 0
	v_fma_f64 v[10:11], -v[4:5], v[6:7], 1.0
	v_fmac_f64_e32 v[6:7], v[6:7], v[10:11]
	v_fma_f64 v[10:11], -v[4:5], v[6:7], 1.0
	v_fmac_f64_e32 v[6:7], v[6:7], v[10:11]
	v_div_scale_f64 v[10:11], vcc, 1.0, v[2:3], 1.0
	v_mul_f64 v[12:13], v[10:11], v[6:7]
	v_fma_f64 v[4:5], -v[4:5], v[12:13], v[10:11]
	s_nop 1
	v_div_fmas_f64 v[4:5], v[4:5], v[6:7], v[12:13]
	v_div_fixup_f64 v[6:7], v[4:5], v[2:3], 1.0
	v_xor_b32_e32 v11, 0x80000000, v7
	v_mov_b32_e32 v10, v6
	v_mul_f64 v[8:9], v[8:9], -v[6:7]
.LBB12_17:
	s_or_b64 exec, exec, s[6:7]
	scratch_store_dwordx4 v15, v[6:9], off
	scratch_load_dwordx4 v[2:5], off, s19
	v_xor_b32_e32 v13, 0x80000000, v9
	v_mov_b32_e32 v12, v8
	v_add_u32_e32 v6, 0xd0, v14
	ds_write_b128 v14, v[10:13]
	s_waitcnt vmcnt(0)
	ds_write_b128 v14, v[2:5] offset:208
	s_waitcnt lgkmcnt(0)
	; wave barrier
	s_and_saveexec_b64 s[6:7], s[2:3]
	s_cbranch_execz .LBB12_19
; %bb.18:
	scratch_load_dwordx4 v[2:5], v15, off
	ds_read_b128 v[8:11], v6
	v_mov_b32_e32 v7, 0
	ds_read_b128 v[42:45], v7 offset:16
	s_waitcnt vmcnt(0) lgkmcnt(1)
	v_mul_f64 v[12:13], v[10:11], v[4:5]
	v_mul_f64 v[4:5], v[8:9], v[4:5]
	v_fma_f64 v[8:9], v[8:9], v[2:3], -v[12:13]
	v_fmac_f64_e32 v[4:5], v[10:11], v[2:3]
	v_add_f64 v[2:3], v[8:9], 0
	v_add_f64 v[8:9], v[4:5], 0
	s_waitcnt lgkmcnt(0)
	v_mul_f64 v[10:11], v[8:9], v[44:45]
	v_mul_f64 v[4:5], v[2:3], v[44:45]
	v_fma_f64 v[2:3], v[2:3], v[42:43], -v[10:11]
	v_fmac_f64_e32 v[4:5], v[8:9], v[42:43]
	scratch_store_dwordx4 off, v[2:5], off offset:16
.LBB12_19:
	s_or_b64 exec, exec, s[6:7]
	; wave barrier
	scratch_load_dwordx4 v[2:5], off, s14
	v_cmp_gt_u32_e32 vcc, 2, v1
	s_waitcnt vmcnt(0)
	ds_write_b128 v6, v[2:5]
	s_waitcnt lgkmcnt(0)
	; wave barrier
	s_and_saveexec_b64 s[6:7], vcc
	s_cbranch_execz .LBB12_23
; %bb.20:
	scratch_load_dwordx4 v[2:5], v15, off
	ds_read_b128 v[8:11], v6
	s_waitcnt vmcnt(0) lgkmcnt(0)
	v_mul_f64 v[12:13], v[10:11], v[4:5]
	v_mul_f64 v[42:43], v[8:9], v[4:5]
	v_fma_f64 v[4:5], v[8:9], v[2:3], -v[12:13]
	v_fmac_f64_e32 v[42:43], v[10:11], v[2:3]
	v_add_f64 v[4:5], v[4:5], 0
	v_add_f64 v[2:3], v[42:43], 0
	s_and_saveexec_b64 s[8:9], s[2:3]
	s_cbranch_execz .LBB12_22
; %bb.21:
	scratch_load_dwordx4 v[8:11], off, off offset:16
	v_mov_b32_e32 v7, 0
	ds_read_b128 v[42:45], v7 offset:224
	s_waitcnt vmcnt(0) lgkmcnt(0)
	v_mul_f64 v[12:13], v[42:43], v[10:11]
	v_mul_f64 v[10:11], v[44:45], v[10:11]
	v_fmac_f64_e32 v[12:13], v[44:45], v[8:9]
	v_fma_f64 v[8:9], v[42:43], v[8:9], -v[10:11]
	v_add_f64 v[2:3], v[2:3], v[12:13]
	v_add_f64 v[4:5], v[4:5], v[8:9]
.LBB12_22:
	s_or_b64 exec, exec, s[8:9]
	v_mov_b32_e32 v7, 0
	ds_read_b128 v[8:11], v7 offset:32
	s_waitcnt lgkmcnt(0)
	v_mul_f64 v[42:43], v[2:3], v[10:11]
	v_mul_f64 v[12:13], v[4:5], v[10:11]
	v_fma_f64 v[10:11], v[4:5], v[8:9], -v[42:43]
	v_fmac_f64_e32 v[12:13], v[2:3], v[8:9]
	scratch_store_dwordx4 off, v[10:13], off offset:32
.LBB12_23:
	s_or_b64 exec, exec, s[6:7]
	; wave barrier
	scratch_load_dwordx4 v[2:5], off, s15
	v_cmp_gt_u32_e32 vcc, 3, v1
	v_add_u32_e32 v7, -1, v1
	s_waitcnt vmcnt(0)
	ds_write_b128 v6, v[2:5]
	s_waitcnt lgkmcnt(0)
	; wave barrier
	s_and_saveexec_b64 s[2:3], vcc
	s_cbranch_execz .LBB12_27
; %bb.24:
	v_add_u32_e32 v8, -1, v1
	v_add_u32_e32 v9, 0xd0, v14
	v_mov_b32_e32 v10, v14
	v_mov_b64_e32 v[2:3], 0
	s_mov_b64 s[6:7], 0
	v_mov_b64_e32 v[4:5], 0
.LBB12_25:                              ; =>This Inner Loop Header: Depth=1
	scratch_load_dwordx4 v[42:45], v10, off
	ds_read_b128 v[46:49], v9
	v_add_u32_e32 v8, 1, v8
	v_cmp_lt_u32_e32 vcc, 1, v8
	v_add_u32_e32 v9, 16, v9
	v_add_u32_e32 v10, 16, v10
	s_or_b64 s[6:7], vcc, s[6:7]
	s_waitcnt vmcnt(0) lgkmcnt(0)
	v_mul_f64 v[12:13], v[48:49], v[44:45]
	v_mul_f64 v[44:45], v[46:47], v[44:45]
	v_fma_f64 v[12:13], v[46:47], v[42:43], -v[12:13]
	v_fmac_f64_e32 v[44:45], v[48:49], v[42:43]
	v_add_f64 v[4:5], v[4:5], v[12:13]
	v_add_f64 v[2:3], v[2:3], v[44:45]
	s_andn2_b64 exec, exec, s[6:7]
	s_cbranch_execnz .LBB12_25
; %bb.26:
	s_or_b64 exec, exec, s[6:7]
	v_mov_b32_e32 v8, 0
	ds_read_b128 v[8:11], v8 offset:48
	s_waitcnt lgkmcnt(0)
	v_mul_f64 v[42:43], v[2:3], v[10:11]
	v_mul_f64 v[12:13], v[4:5], v[10:11]
	v_fma_f64 v[10:11], v[4:5], v[8:9], -v[42:43]
	v_fmac_f64_e32 v[12:13], v[2:3], v[8:9]
	scratch_store_dwordx4 off, v[10:13], off offset:48
.LBB12_27:
	s_or_b64 exec, exec, s[2:3]
	; wave barrier
	scratch_load_dwordx4 v[2:5], off, s17
	v_cmp_gt_u32_e32 vcc, 4, v1
	s_waitcnt vmcnt(0)
	ds_write_b128 v6, v[2:5]
	s_waitcnt lgkmcnt(0)
	; wave barrier
	s_and_saveexec_b64 s[2:3], vcc
	s_cbranch_execz .LBB12_31
; %bb.28:
	v_add_u32_e32 v8, -1, v1
	v_add_u32_e32 v9, 0xd0, v14
	v_mov_b32_e32 v10, v14
	v_mov_b64_e32 v[2:3], 0
	s_mov_b64 s[6:7], 0
	v_mov_b64_e32 v[4:5], 0
.LBB12_29:                              ; =>This Inner Loop Header: Depth=1
	scratch_load_dwordx4 v[42:45], v10, off
	ds_read_b128 v[46:49], v9
	v_add_u32_e32 v8, 1, v8
	v_cmp_lt_u32_e32 vcc, 2, v8
	v_add_u32_e32 v9, 16, v9
	v_add_u32_e32 v10, 16, v10
	s_or_b64 s[6:7], vcc, s[6:7]
	s_waitcnt vmcnt(0) lgkmcnt(0)
	v_mul_f64 v[12:13], v[48:49], v[44:45]
	v_mul_f64 v[44:45], v[46:47], v[44:45]
	v_fma_f64 v[12:13], v[46:47], v[42:43], -v[12:13]
	v_fmac_f64_e32 v[44:45], v[48:49], v[42:43]
	v_add_f64 v[4:5], v[4:5], v[12:13]
	v_add_f64 v[2:3], v[2:3], v[44:45]
	s_andn2_b64 exec, exec, s[6:7]
	s_cbranch_execnz .LBB12_29
; %bb.30:
	s_or_b64 exec, exec, s[6:7]
	v_mov_b32_e32 v8, 0
	ds_read_b128 v[8:11], v8 offset:64
	s_waitcnt lgkmcnt(0)
	v_mul_f64 v[42:43], v[2:3], v[10:11]
	v_mul_f64 v[12:13], v[4:5], v[10:11]
	v_fma_f64 v[10:11], v[4:5], v[8:9], -v[42:43]
	v_fmac_f64_e32 v[12:13], v[2:3], v[8:9]
	scratch_store_dwordx4 off, v[10:13], off offset:64
.LBB12_31:
	s_or_b64 exec, exec, s[2:3]
	; wave barrier
	scratch_load_dwordx4 v[2:5], off, s24
	v_cmp_gt_u32_e32 vcc, 5, v1
	;; [unrolled: 45-line block ×8, first 2 shown]
	s_waitcnt vmcnt(0)
	ds_write_b128 v6, v[2:5]
	s_waitcnt lgkmcnt(0)
	; wave barrier
	s_and_saveexec_b64 s[2:3], vcc
	s_cbranch_execz .LBB12_59
; %bb.56:
	v_add_u32_e32 v8, -1, v1
	v_add_u32_e32 v9, 0xd0, v14
	v_mov_b32_e32 v10, v14
	v_mov_b64_e32 v[2:3], 0
	s_mov_b64 s[6:7], 0
	v_mov_b64_e32 v[4:5], 0
.LBB12_57:                              ; =>This Inner Loop Header: Depth=1
	scratch_load_dwordx4 v[42:45], v10, off
	ds_read_b128 v[46:49], v9
	v_add_u32_e32 v8, 1, v8
	v_cmp_lt_u32_e32 vcc, 9, v8
	v_add_u32_e32 v9, 16, v9
	v_add_u32_e32 v10, 16, v10
	s_or_b64 s[6:7], vcc, s[6:7]
	s_waitcnt vmcnt(0) lgkmcnt(0)
	v_mul_f64 v[12:13], v[48:49], v[44:45]
	v_mul_f64 v[44:45], v[46:47], v[44:45]
	v_fma_f64 v[12:13], v[46:47], v[42:43], -v[12:13]
	v_fmac_f64_e32 v[44:45], v[48:49], v[42:43]
	v_add_f64 v[4:5], v[4:5], v[12:13]
	v_add_f64 v[2:3], v[2:3], v[44:45]
	s_andn2_b64 exec, exec, s[6:7]
	s_cbranch_execnz .LBB12_57
; %bb.58:
	s_or_b64 exec, exec, s[6:7]
	v_mov_b32_e32 v8, 0
	ds_read_b128 v[8:11], v8 offset:176
	s_waitcnt lgkmcnt(0)
	v_mul_f64 v[42:43], v[2:3], v[10:11]
	v_mul_f64 v[12:13], v[4:5], v[10:11]
	v_fma_f64 v[10:11], v[4:5], v[8:9], -v[42:43]
	v_fmac_f64_e32 v[12:13], v[2:3], v[8:9]
	scratch_store_dwordx4 off, v[10:13], off offset:176
.LBB12_59:
	s_or_b64 exec, exec, s[2:3]
	; wave barrier
	scratch_load_dwordx4 v[2:5], off, s29
	v_cmp_ne_u32_e32 vcc, 12, v1
	s_waitcnt vmcnt(0)
	ds_write_b128 v6, v[2:5]
	s_waitcnt lgkmcnt(0)
	; wave barrier
	s_and_saveexec_b64 s[2:3], vcc
	s_cbranch_execz .LBB12_63
; %bb.60:
	v_add_u32_e32 v6, 0xd0, v14
	v_mov_b32_e32 v8, v14
	v_mov_b64_e32 v[2:3], 0
	s_mov_b64 s[6:7], 0
	v_mov_b64_e32 v[4:5], 0
.LBB12_61:                              ; =>This Inner Loop Header: Depth=1
	scratch_load_dwordx4 v[10:13], v8, off
	ds_read_b128 v[42:45], v6
	v_add_u32_e32 v7, 1, v7
	v_cmp_lt_u32_e32 vcc, 10, v7
	v_add_u32_e32 v6, 16, v6
	v_add_u32_e32 v8, 16, v8
	s_or_b64 s[6:7], vcc, s[6:7]
	s_waitcnt vmcnt(0) lgkmcnt(0)
	v_mul_f64 v[14:15], v[44:45], v[12:13]
	v_mul_f64 v[12:13], v[42:43], v[12:13]
	v_fma_f64 v[14:15], v[42:43], v[10:11], -v[14:15]
	v_fmac_f64_e32 v[12:13], v[44:45], v[10:11]
	v_add_f64 v[4:5], v[4:5], v[14:15]
	v_add_f64 v[2:3], v[2:3], v[12:13]
	s_andn2_b64 exec, exec, s[6:7]
	s_cbranch_execnz .LBB12_61
; %bb.62:
	s_or_b64 exec, exec, s[6:7]
	v_mov_b32_e32 v6, 0
	ds_read_b128 v[6:9], v6 offset:192
	s_waitcnt lgkmcnt(0)
	v_mul_f64 v[12:13], v[2:3], v[8:9]
	v_mul_f64 v[10:11], v[4:5], v[8:9]
	v_fma_f64 v[8:9], v[4:5], v[6:7], -v[12:13]
	v_fmac_f64_e32 v[10:11], v[2:3], v[6:7]
	scratch_store_dwordx4 off, v[8:11], off offset:192
.LBB12_63:
	s_or_b64 exec, exec, s[2:3]
	s_mov_b64 s[6:7], -1
	; wave barrier
.LBB12_64:
	s_and_b64 vcc, exec, s[6:7]
	s_cbranch_vccz .LBB12_66
; %bb.65:
	s_lshl_b64 s[2:3], s[4:5], 2
	s_add_u32 s2, s10, s2
	s_addc_u32 s3, s11, s3
	v_mov_b32_e32 v2, 0
	global_load_dword v2, v2, s[2:3]
	s_waitcnt vmcnt(0)
	v_cmp_ne_u32_e32 vcc, 0, v2
	s_cbranch_vccz .LBB12_67
.LBB12_66:
	s_endpgm
.LBB12_67:
	v_mov_b32_e32 v2, 0xd0
	v_lshl_add_u32 v42, v1, 4, v2
	v_cmp_eq_u32_e32 vcc, 12, v1
	s_and_saveexec_b64 s[2:3], vcc
	s_cbranch_execz .LBB12_69
; %bb.68:
	scratch_load_dwordx4 v[2:5], off, s28
	v_mov_b32_e32 v6, 0
	v_mov_b32_e32 v7, v6
	v_mov_b32_e32 v8, v6
	v_mov_b32_e32 v9, v6
	scratch_store_dwordx4 off, v[6:9], off offset:176
	s_waitcnt vmcnt(1)
	ds_write_b128 v42, v[2:5]
.LBB12_69:
	s_or_b64 exec, exec, s[2:3]
	s_waitcnt lgkmcnt(0)
	; wave barrier
	scratch_load_dwordx4 v[4:7], off, off offset:192
	scratch_load_dwordx4 v[8:11], off, off offset:176
	v_mov_b32_e32 v2, 0
	ds_read_b128 v[12:15], v2 offset:400
	v_cmp_lt_u32_e32 vcc, 10, v1
	s_waitcnt vmcnt(1) lgkmcnt(0)
	v_mul_f64 v[44:45], v[12:13], v[6:7]
	v_mul_f64 v[6:7], v[14:15], v[6:7]
	v_fmac_f64_e32 v[44:45], v[14:15], v[4:5]
	v_fma_f64 v[4:5], v[12:13], v[4:5], -v[6:7]
	v_add_f64 v[6:7], v[44:45], 0
	v_add_f64 v[4:5], v[4:5], 0
	s_waitcnt vmcnt(0)
	v_add_f64 v[4:5], v[8:9], -v[4:5]
	v_add_f64 v[6:7], v[10:11], -v[6:7]
	scratch_store_dwordx4 off, v[4:7], off offset:176
	s_and_saveexec_b64 s[2:3], vcc
	s_cbranch_execz .LBB12_71
; %bb.70:
	scratch_load_dwordx4 v[6:9], off, s25
	v_mov_b32_e32 v3, v2
	v_mov_b32_e32 v4, v2
	;; [unrolled: 1-line block ×3, first 2 shown]
	scratch_store_dwordx4 off, v[2:5], off offset:160
	s_waitcnt vmcnt(1)
	ds_write_b128 v42, v[6:9]
.LBB12_71:
	s_or_b64 exec, exec, s[2:3]
	s_waitcnt lgkmcnt(0)
	; wave barrier
	scratch_load_dwordx4 v[4:7], off, off offset:176
	scratch_load_dwordx4 v[8:11], off, off offset:192
	;; [unrolled: 1-line block ×3, first 2 shown]
	ds_read_b128 v[44:47], v2 offset:384
	ds_read_b128 v[48:51], v2 offset:400
	v_cmp_lt_u32_e32 vcc, 9, v1
	s_waitcnt vmcnt(2) lgkmcnt(1)
	v_mul_f64 v[2:3], v[44:45], v[6:7]
	v_mul_f64 v[6:7], v[46:47], v[6:7]
	s_waitcnt vmcnt(1) lgkmcnt(0)
	v_mul_f64 v[52:53], v[48:49], v[10:11]
	v_mul_f64 v[10:11], v[50:51], v[10:11]
	v_fmac_f64_e32 v[2:3], v[46:47], v[4:5]
	v_fma_f64 v[4:5], v[44:45], v[4:5], -v[6:7]
	v_fmac_f64_e32 v[52:53], v[50:51], v[8:9]
	v_fma_f64 v[6:7], v[48:49], v[8:9], -v[10:11]
	v_add_f64 v[2:3], v[2:3], 0
	v_add_f64 v[4:5], v[4:5], 0
	;; [unrolled: 1-line block ×4, first 2 shown]
	s_waitcnt vmcnt(0)
	v_add_f64 v[2:3], v[12:13], -v[2:3]
	v_add_f64 v[4:5], v[14:15], -v[8:9]
	scratch_store_dwordx4 off, v[2:5], off offset:160
	s_and_saveexec_b64 s[2:3], vcc
	s_cbranch_execz .LBB12_73
; %bb.72:
	scratch_load_dwordx4 v[2:5], off, s18
	v_mov_b32_e32 v6, 0
	v_mov_b32_e32 v7, v6
	;; [unrolled: 1-line block ×4, first 2 shown]
	scratch_store_dwordx4 off, v[6:9], off offset:144
	s_waitcnt vmcnt(1)
	ds_write_b128 v42, v[2:5]
.LBB12_73:
	s_or_b64 exec, exec, s[2:3]
	s_waitcnt lgkmcnt(0)
	; wave barrier
	scratch_load_dwordx4 v[4:7], off, off offset:160
	scratch_load_dwordx4 v[8:11], off, off offset:176
	;; [unrolled: 1-line block ×4, first 2 shown]
	v_mov_b32_e32 v2, 0
	ds_read_b128 v[48:51], v2 offset:368
	ds_read_b128 v[52:55], v2 offset:384
	;; [unrolled: 1-line block ×3, first 2 shown]
	v_cmp_lt_u32_e32 vcc, 8, v1
	s_waitcnt vmcnt(3) lgkmcnt(2)
	v_mul_f64 v[60:61], v[48:49], v[6:7]
	v_mul_f64 v[6:7], v[50:51], v[6:7]
	s_waitcnt vmcnt(2) lgkmcnt(1)
	v_mul_f64 v[62:63], v[52:53], v[10:11]
	v_mul_f64 v[10:11], v[54:55], v[10:11]
	v_fmac_f64_e32 v[60:61], v[50:51], v[4:5]
	v_fma_f64 v[4:5], v[48:49], v[4:5], -v[6:7]
	s_waitcnt vmcnt(1) lgkmcnt(0)
	v_mul_f64 v[64:65], v[56:57], v[14:15]
	v_mul_f64 v[14:15], v[58:59], v[14:15]
	v_fmac_f64_e32 v[62:63], v[54:55], v[8:9]
	v_fma_f64 v[6:7], v[52:53], v[8:9], -v[10:11]
	v_add_f64 v[10:11], v[60:61], 0
	v_add_f64 v[4:5], v[4:5], 0
	v_fmac_f64_e32 v[64:65], v[58:59], v[12:13]
	v_fma_f64 v[8:9], v[56:57], v[12:13], -v[14:15]
	v_add_f64 v[10:11], v[10:11], v[62:63]
	v_add_f64 v[4:5], v[4:5], v[6:7]
	;; [unrolled: 1-line block ×4, first 2 shown]
	s_waitcnt vmcnt(0)
	v_add_f64 v[4:5], v[44:45], -v[4:5]
	v_add_f64 v[6:7], v[46:47], -v[6:7]
	scratch_store_dwordx4 off, v[4:7], off offset:144
	s_and_saveexec_b64 s[2:3], vcc
	s_cbranch_execz .LBB12_75
; %bb.74:
	scratch_load_dwordx4 v[6:9], off, s16
	v_mov_b32_e32 v3, v2
	v_mov_b32_e32 v4, v2
	;; [unrolled: 1-line block ×3, first 2 shown]
	scratch_store_dwordx4 off, v[2:5], off offset:128
	s_waitcnt vmcnt(1)
	ds_write_b128 v42, v[6:9]
.LBB12_75:
	s_or_b64 exec, exec, s[2:3]
	s_waitcnt lgkmcnt(0)
	; wave barrier
	scratch_load_dwordx4 v[4:7], off, off offset:144
	scratch_load_dwordx4 v[8:11], off, off offset:160
	scratch_load_dwordx4 v[12:15], off, off offset:176
	scratch_load_dwordx4 v[44:47], off, off offset:192
	scratch_load_dwordx4 v[48:51], off, off offset:128
	ds_read_b128 v[52:55], v2 offset:352
	ds_read_b128 v[56:59], v2 offset:368
	;; [unrolled: 1-line block ×4, first 2 shown]
	v_cmp_lt_u32_e32 vcc, 7, v1
	s_waitcnt vmcnt(4) lgkmcnt(3)
	v_mul_f64 v[2:3], v[52:53], v[6:7]
	v_mul_f64 v[6:7], v[54:55], v[6:7]
	s_waitcnt vmcnt(3) lgkmcnt(2)
	v_mul_f64 v[68:69], v[56:57], v[10:11]
	v_mul_f64 v[10:11], v[58:59], v[10:11]
	v_fmac_f64_e32 v[2:3], v[54:55], v[4:5]
	v_fma_f64 v[4:5], v[52:53], v[4:5], -v[6:7]
	s_waitcnt vmcnt(2) lgkmcnt(1)
	v_mul_f64 v[70:71], v[60:61], v[14:15]
	v_mul_f64 v[14:15], v[62:63], v[14:15]
	v_fmac_f64_e32 v[68:69], v[58:59], v[8:9]
	v_fma_f64 v[6:7], v[56:57], v[8:9], -v[10:11]
	v_add_f64 v[2:3], v[2:3], 0
	v_add_f64 v[4:5], v[4:5], 0
	s_waitcnt vmcnt(1) lgkmcnt(0)
	v_mul_f64 v[72:73], v[64:65], v[46:47]
	v_mul_f64 v[46:47], v[66:67], v[46:47]
	v_fmac_f64_e32 v[70:71], v[62:63], v[12:13]
	v_fma_f64 v[8:9], v[60:61], v[12:13], -v[14:15]
	v_add_f64 v[2:3], v[2:3], v[68:69]
	v_add_f64 v[4:5], v[4:5], v[6:7]
	v_fmac_f64_e32 v[72:73], v[66:67], v[44:45]
	v_fma_f64 v[10:11], v[64:65], v[44:45], -v[46:47]
	v_add_f64 v[2:3], v[2:3], v[70:71]
	v_add_f64 v[4:5], v[4:5], v[8:9]
	v_add_f64 v[6:7], v[2:3], v[72:73]
	v_add_f64 v[2:3], v[4:5], v[10:11]
	s_waitcnt vmcnt(0)
	v_add_f64 v[2:3], v[48:49], -v[2:3]
	v_add_f64 v[4:5], v[50:51], -v[6:7]
	scratch_store_dwordx4 off, v[2:5], off offset:128
	s_and_saveexec_b64 s[2:3], vcc
	s_cbranch_execz .LBB12_77
; %bb.76:
	scratch_load_dwordx4 v[2:5], off, s27
	v_mov_b32_e32 v6, 0
	v_mov_b32_e32 v7, v6
	;; [unrolled: 1-line block ×4, first 2 shown]
	scratch_store_dwordx4 off, v[6:9], off offset:112
	s_waitcnt vmcnt(1)
	ds_write_b128 v42, v[2:5]
.LBB12_77:
	s_or_b64 exec, exec, s[2:3]
	s_waitcnt lgkmcnt(0)
	; wave barrier
	scratch_load_dwordx4 v[4:7], off, off offset:128
	scratch_load_dwordx4 v[8:11], off, off offset:144
	;; [unrolled: 1-line block ×6, first 2 shown]
	v_mov_b32_e32 v2, 0
	ds_read_b128 v[56:59], v2 offset:336
	ds_read_b128 v[60:63], v2 offset:352
	;; [unrolled: 1-line block ×5, first 2 shown]
	v_cmp_lt_u32_e32 vcc, 6, v1
	s_waitcnt vmcnt(5) lgkmcnt(4)
	v_mul_f64 v[76:77], v[56:57], v[6:7]
	v_mul_f64 v[6:7], v[58:59], v[6:7]
	s_waitcnt vmcnt(4) lgkmcnt(3)
	v_mul_f64 v[78:79], v[60:61], v[10:11]
	s_waitcnt vmcnt(3) lgkmcnt(2)
	v_mul_f64 v[80:81], v[64:65], v[14:15]
	v_mul_f64 v[10:11], v[62:63], v[10:11]
	;; [unrolled: 1-line block ×3, first 2 shown]
	v_fmac_f64_e32 v[76:77], v[58:59], v[4:5]
	v_fma_f64 v[4:5], v[56:57], v[4:5], -v[6:7]
	v_fmac_f64_e32 v[78:79], v[62:63], v[8:9]
	v_fma_f64 v[6:7], v[60:61], v[8:9], -v[10:11]
	v_fma_f64 v[8:9], v[64:65], v[12:13], -v[14:15]
	v_add_f64 v[14:15], v[76:77], 0
	v_add_f64 v[4:5], v[4:5], 0
	s_waitcnt vmcnt(2) lgkmcnt(1)
	v_mul_f64 v[82:83], v[68:69], v[46:47]
	v_mul_f64 v[46:47], v[70:71], v[46:47]
	v_fmac_f64_e32 v[80:81], v[66:67], v[12:13]
	v_add_f64 v[14:15], v[14:15], v[78:79]
	v_add_f64 v[4:5], v[4:5], v[6:7]
	s_waitcnt vmcnt(1) lgkmcnt(0)
	v_mul_f64 v[84:85], v[72:73], v[50:51]
	v_mul_f64 v[50:51], v[74:75], v[50:51]
	v_fmac_f64_e32 v[82:83], v[70:71], v[44:45]
	v_fma_f64 v[10:11], v[68:69], v[44:45], -v[46:47]
	v_add_f64 v[6:7], v[14:15], v[80:81]
	v_add_f64 v[4:5], v[4:5], v[8:9]
	v_fmac_f64_e32 v[84:85], v[74:75], v[48:49]
	v_fma_f64 v[12:13], v[72:73], v[48:49], -v[50:51]
	v_add_f64 v[6:7], v[6:7], v[82:83]
	v_add_f64 v[4:5], v[4:5], v[10:11]
	;; [unrolled: 1-line block ×4, first 2 shown]
	s_waitcnt vmcnt(0)
	v_add_f64 v[4:5], v[52:53], -v[4:5]
	v_add_f64 v[6:7], v[54:55], -v[6:7]
	scratch_store_dwordx4 off, v[4:7], off offset:112
	s_and_saveexec_b64 s[2:3], vcc
	s_cbranch_execz .LBB12_79
; %bb.78:
	scratch_load_dwordx4 v[6:9], off, s26
	v_mov_b32_e32 v3, v2
	v_mov_b32_e32 v4, v2
	;; [unrolled: 1-line block ×3, first 2 shown]
	scratch_store_dwordx4 off, v[2:5], off offset:96
	s_waitcnt vmcnt(1)
	ds_write_b128 v42, v[6:9]
.LBB12_79:
	s_or_b64 exec, exec, s[2:3]
	s_waitcnt lgkmcnt(0)
	; wave barrier
	scratch_load_dwordx4 v[4:7], off, off offset:112
	scratch_load_dwordx4 v[8:11], off, off offset:128
	scratch_load_dwordx4 v[12:15], off, off offset:144
	scratch_load_dwordx4 v[44:47], off, off offset:160
	scratch_load_dwordx4 v[48:51], off, off offset:176
	scratch_load_dwordx4 v[52:55], off, off offset:192
	scratch_load_dwordx4 v[56:59], off, off offset:96
	ds_read_b128 v[60:63], v2 offset:320
	ds_read_b128 v[64:67], v2 offset:336
	ds_read_b128 v[68:71], v2 offset:352
	ds_read_b128 v[72:75], v2 offset:368
	ds_read_b128 v[76:79], v2 offset:384
	ds_read_b128 v[80:83], v2 offset:400
	v_cmp_lt_u32_e32 vcc, 5, v1
	s_waitcnt vmcnt(6) lgkmcnt(5)
	v_mul_f64 v[2:3], v[60:61], v[6:7]
	v_mul_f64 v[6:7], v[62:63], v[6:7]
	s_waitcnt vmcnt(5) lgkmcnt(4)
	v_mul_f64 v[84:85], v[64:65], v[10:11]
	v_mul_f64 v[10:11], v[66:67], v[10:11]
	v_fmac_f64_e32 v[2:3], v[62:63], v[4:5]
	v_fma_f64 v[4:5], v[60:61], v[4:5], -v[6:7]
	s_waitcnt vmcnt(4) lgkmcnt(3)
	v_mul_f64 v[86:87], v[68:69], v[14:15]
	v_mul_f64 v[14:15], v[70:71], v[14:15]
	v_fmac_f64_e32 v[84:85], v[66:67], v[8:9]
	v_fma_f64 v[6:7], v[64:65], v[8:9], -v[10:11]
	v_add_f64 v[2:3], v[2:3], 0
	v_add_f64 v[4:5], v[4:5], 0
	s_waitcnt vmcnt(3) lgkmcnt(2)
	v_mul_f64 v[88:89], v[72:73], v[46:47]
	v_mul_f64 v[46:47], v[74:75], v[46:47]
	v_fmac_f64_e32 v[86:87], v[70:71], v[12:13]
	v_fma_f64 v[8:9], v[68:69], v[12:13], -v[14:15]
	v_add_f64 v[2:3], v[2:3], v[84:85]
	v_add_f64 v[4:5], v[4:5], v[6:7]
	;; [unrolled: 7-line block ×4, first 2 shown]
	v_fmac_f64_e32 v[92:93], v[82:83], v[52:53]
	v_fma_f64 v[14:15], v[80:81], v[52:53], -v[54:55]
	v_add_f64 v[2:3], v[2:3], v[90:91]
	v_add_f64 v[4:5], v[4:5], v[12:13]
	;; [unrolled: 1-line block ×4, first 2 shown]
	s_waitcnt vmcnt(0)
	v_add_f64 v[2:3], v[56:57], -v[2:3]
	v_add_f64 v[4:5], v[58:59], -v[6:7]
	scratch_store_dwordx4 off, v[2:5], off offset:96
	s_and_saveexec_b64 s[2:3], vcc
	s_cbranch_execz .LBB12_81
; %bb.80:
	scratch_load_dwordx4 v[2:5], off, s24
	v_mov_b32_e32 v6, 0
	v_mov_b32_e32 v7, v6
	;; [unrolled: 1-line block ×4, first 2 shown]
	scratch_store_dwordx4 off, v[6:9], off offset:80
	s_waitcnt vmcnt(1)
	ds_write_b128 v42, v[2:5]
.LBB12_81:
	s_or_b64 exec, exec, s[2:3]
	s_waitcnt lgkmcnt(0)
	; wave barrier
	scratch_load_dwordx4 v[4:7], off, off offset:96
	scratch_load_dwordx4 v[8:11], off, off offset:112
	;; [unrolled: 1-line block ×8, first 2 shown]
	v_mov_b32_e32 v2, 0
	ds_read_b128 v[64:67], v2 offset:304
	ds_read_b128 v[68:71], v2 offset:320
	;; [unrolled: 1-line block ×7, first 2 shown]
	v_cmp_lt_u32_e32 vcc, 4, v1
	s_waitcnt vmcnt(7) lgkmcnt(6)
	v_mul_f64 v[92:93], v[64:65], v[6:7]
	v_mul_f64 v[6:7], v[66:67], v[6:7]
	s_waitcnt vmcnt(6) lgkmcnt(5)
	v_mul_f64 v[94:95], v[68:69], v[10:11]
	s_waitcnt vmcnt(4) lgkmcnt(3)
	v_mul_f64 v[98:99], v[76:77], v[46:47]
	v_mul_f64 v[10:11], v[70:71], v[10:11]
	;; [unrolled: 1-line block ×3, first 2 shown]
	v_fmac_f64_e32 v[92:93], v[66:67], v[4:5]
	v_fma_f64 v[4:5], v[64:65], v[4:5], -v[6:7]
	v_mul_f64 v[96:97], v[72:73], v[14:15]
	v_mul_f64 v[14:15], v[74:75], v[14:15]
	v_fmac_f64_e32 v[94:95], v[70:71], v[8:9]
	v_fma_f64 v[6:7], v[68:69], v[8:9], -v[10:11]
	v_fma_f64 v[10:11], v[76:77], v[44:45], -v[46:47]
	v_add_f64 v[46:47], v[92:93], 0
	v_add_f64 v[4:5], v[4:5], 0
	v_fmac_f64_e32 v[96:97], v[74:75], v[12:13]
	v_fma_f64 v[8:9], v[72:73], v[12:13], -v[14:15]
	v_add_f64 v[46:47], v[46:47], v[94:95]
	v_add_f64 v[4:5], v[4:5], v[6:7]
	s_waitcnt vmcnt(3) lgkmcnt(2)
	v_mul_f64 v[100:101], v[80:81], v[50:51]
	v_mul_f64 v[50:51], v[82:83], v[50:51]
	v_fmac_f64_e32 v[98:99], v[78:79], v[44:45]
	v_add_f64 v[6:7], v[46:47], v[96:97]
	v_add_f64 v[4:5], v[4:5], v[8:9]
	s_waitcnt vmcnt(2) lgkmcnt(1)
	v_mul_f64 v[102:103], v[84:85], v[54:55]
	v_mul_f64 v[54:55], v[86:87], v[54:55]
	v_fmac_f64_e32 v[100:101], v[82:83], v[48:49]
	v_fma_f64 v[12:13], v[80:81], v[48:49], -v[50:51]
	v_add_f64 v[6:7], v[6:7], v[98:99]
	v_add_f64 v[4:5], v[4:5], v[10:11]
	s_waitcnt vmcnt(1) lgkmcnt(0)
	v_mul_f64 v[104:105], v[88:89], v[58:59]
	v_mul_f64 v[58:59], v[90:91], v[58:59]
	v_fmac_f64_e32 v[102:103], v[86:87], v[52:53]
	v_fma_f64 v[14:15], v[84:85], v[52:53], -v[54:55]
	v_add_f64 v[6:7], v[6:7], v[100:101]
	v_add_f64 v[4:5], v[4:5], v[12:13]
	v_fmac_f64_e32 v[104:105], v[90:91], v[56:57]
	v_fma_f64 v[44:45], v[88:89], v[56:57], -v[58:59]
	v_add_f64 v[6:7], v[6:7], v[102:103]
	v_add_f64 v[4:5], v[4:5], v[14:15]
	;; [unrolled: 1-line block ×4, first 2 shown]
	s_waitcnt vmcnt(0)
	v_add_f64 v[4:5], v[60:61], -v[4:5]
	v_add_f64 v[6:7], v[62:63], -v[6:7]
	scratch_store_dwordx4 off, v[4:7], off offset:80
	s_and_saveexec_b64 s[2:3], vcc
	s_cbranch_execz .LBB12_83
; %bb.82:
	scratch_load_dwordx4 v[6:9], off, s17
	v_mov_b32_e32 v3, v2
	v_mov_b32_e32 v4, v2
	v_mov_b32_e32 v5, v2
	scratch_store_dwordx4 off, v[2:5], off offset:64
	s_waitcnt vmcnt(1)
	ds_write_b128 v42, v[6:9]
.LBB12_83:
	s_or_b64 exec, exec, s[2:3]
	s_waitcnt lgkmcnt(0)
	; wave barrier
	scratch_load_dwordx4 v[4:7], off, off offset:80
	scratch_load_dwordx4 v[8:11], off, off offset:96
	;; [unrolled: 1-line block ×9, first 2 shown]
	ds_read_b128 v[68:71], v2 offset:288
	ds_read_b128 v[72:75], v2 offset:304
	;; [unrolled: 1-line block ×8, first 2 shown]
	v_cmp_lt_u32_e32 vcc, 3, v1
	s_waitcnt vmcnt(8) lgkmcnt(7)
	v_mul_f64 v[2:3], v[68:69], v[6:7]
	v_mul_f64 v[6:7], v[70:71], v[6:7]
	s_waitcnt vmcnt(7) lgkmcnt(6)
	v_mul_f64 v[100:101], v[72:73], v[10:11]
	v_mul_f64 v[10:11], v[74:75], v[10:11]
	v_fmac_f64_e32 v[2:3], v[70:71], v[4:5]
	v_fma_f64 v[4:5], v[68:69], v[4:5], -v[6:7]
	s_waitcnt vmcnt(6) lgkmcnt(5)
	v_mul_f64 v[102:103], v[76:77], v[14:15]
	v_mul_f64 v[14:15], v[78:79], v[14:15]
	v_fmac_f64_e32 v[100:101], v[74:75], v[8:9]
	v_fma_f64 v[6:7], v[72:73], v[8:9], -v[10:11]
	v_add_f64 v[2:3], v[2:3], 0
	v_add_f64 v[4:5], v[4:5], 0
	s_waitcnt vmcnt(5) lgkmcnt(4)
	v_mul_f64 v[104:105], v[80:81], v[46:47]
	v_mul_f64 v[46:47], v[82:83], v[46:47]
	v_fmac_f64_e32 v[102:103], v[78:79], v[12:13]
	v_fma_f64 v[8:9], v[76:77], v[12:13], -v[14:15]
	v_add_f64 v[2:3], v[2:3], v[100:101]
	v_add_f64 v[4:5], v[4:5], v[6:7]
	;; [unrolled: 7-line block ×6, first 2 shown]
	v_fmac_f64_e32 v[112:113], v[98:99], v[60:61]
	v_fma_f64 v[46:47], v[96:97], v[60:61], -v[62:63]
	v_add_f64 v[2:3], v[2:3], v[110:111]
	v_add_f64 v[4:5], v[4:5], v[44:45]
	;; [unrolled: 1-line block ×4, first 2 shown]
	s_waitcnt vmcnt(0)
	v_add_f64 v[2:3], v[64:65], -v[2:3]
	v_add_f64 v[4:5], v[66:67], -v[6:7]
	scratch_store_dwordx4 off, v[2:5], off offset:64
	s_and_saveexec_b64 s[2:3], vcc
	s_cbranch_execz .LBB12_85
; %bb.84:
	scratch_load_dwordx4 v[2:5], off, s15
	v_mov_b32_e32 v6, 0
	v_mov_b32_e32 v7, v6
	;; [unrolled: 1-line block ×4, first 2 shown]
	scratch_store_dwordx4 off, v[6:9], off offset:48
	s_waitcnt vmcnt(1)
	ds_write_b128 v42, v[2:5]
.LBB12_85:
	s_or_b64 exec, exec, s[2:3]
	s_waitcnt lgkmcnt(0)
	; wave barrier
	scratch_load_dwordx4 v[4:7], off, off offset:64
	scratch_load_dwordx4 v[8:11], off, off offset:80
	;; [unrolled: 1-line block ×10, first 2 shown]
	v_mov_b32_e32 v2, 0
	ds_read_b128 v[72:75], v2 offset:272
	ds_read_b128 v[76:79], v2 offset:288
	;; [unrolled: 1-line block ×9, first 2 shown]
	v_cmp_lt_u32_e32 vcc, 2, v1
	s_waitcnt vmcnt(9) lgkmcnt(8)
	v_mul_f64 v[108:109], v[72:73], v[6:7]
	v_mul_f64 v[6:7], v[74:75], v[6:7]
	s_waitcnt vmcnt(8) lgkmcnt(7)
	v_mul_f64 v[110:111], v[76:77], v[10:11]
	s_waitcnt vmcnt(7) lgkmcnt(6)
	;; [unrolled: 2-line block ×3, first 2 shown]
	v_mul_f64 v[116:117], v[88:89], v[50:51]
	v_mul_f64 v[10:11], v[78:79], v[10:11]
	;; [unrolled: 1-line block ×4, first 2 shown]
	v_fmac_f64_e32 v[108:109], v[74:75], v[4:5]
	v_fma_f64 v[4:5], v[72:73], v[4:5], -v[6:7]
	v_fmac_f64_e32 v[110:111], v[78:79], v[8:9]
	v_fmac_f64_e32 v[112:113], v[82:83], v[12:13]
	v_fma_f64 v[6:7], v[76:77], v[8:9], -v[10:11]
	v_fma_f64 v[8:9], v[80:81], v[12:13], -v[14:15]
	;; [unrolled: 1-line block ×3, first 2 shown]
	v_add_f64 v[50:51], v[108:109], 0
	v_add_f64 v[4:5], v[4:5], 0
	v_mul_f64 v[114:115], v[84:85], v[46:47]
	v_mul_f64 v[46:47], v[86:87], v[46:47]
	v_add_f64 v[50:51], v[50:51], v[110:111]
	v_add_f64 v[4:5], v[4:5], v[6:7]
	v_fmac_f64_e32 v[114:115], v[86:87], v[44:45]
	v_fma_f64 v[10:11], v[84:85], v[44:45], -v[46:47]
	v_add_f64 v[6:7], v[50:51], v[112:113]
	v_add_f64 v[4:5], v[4:5], v[8:9]
	s_waitcnt vmcnt(4) lgkmcnt(3)
	v_mul_f64 v[118:119], v[92:93], v[54:55]
	v_mul_f64 v[54:55], v[94:95], v[54:55]
	v_fmac_f64_e32 v[116:117], v[90:91], v[48:49]
	v_add_f64 v[6:7], v[6:7], v[114:115]
	v_add_f64 v[4:5], v[4:5], v[10:11]
	s_waitcnt vmcnt(3) lgkmcnt(2)
	v_mul_f64 v[120:121], v[96:97], v[58:59]
	v_mul_f64 v[58:59], v[98:99], v[58:59]
	v_fmac_f64_e32 v[118:119], v[94:95], v[52:53]
	v_fma_f64 v[14:15], v[92:93], v[52:53], -v[54:55]
	v_add_f64 v[6:7], v[6:7], v[116:117]
	v_add_f64 v[4:5], v[4:5], v[12:13]
	s_waitcnt vmcnt(2) lgkmcnt(1)
	v_mul_f64 v[122:123], v[100:101], v[62:63]
	v_mul_f64 v[62:63], v[102:103], v[62:63]
	v_fmac_f64_e32 v[120:121], v[98:99], v[56:57]
	v_fma_f64 v[44:45], v[96:97], v[56:57], -v[58:59]
	v_add_f64 v[6:7], v[6:7], v[118:119]
	v_add_f64 v[4:5], v[4:5], v[14:15]
	s_waitcnt vmcnt(1) lgkmcnt(0)
	v_mul_f64 v[124:125], v[104:105], v[66:67]
	v_mul_f64 v[66:67], v[106:107], v[66:67]
	v_fmac_f64_e32 v[122:123], v[102:103], v[60:61]
	v_fma_f64 v[46:47], v[100:101], v[60:61], -v[62:63]
	v_add_f64 v[6:7], v[6:7], v[120:121]
	v_add_f64 v[4:5], v[4:5], v[44:45]
	v_fmac_f64_e32 v[124:125], v[106:107], v[64:65]
	v_fma_f64 v[48:49], v[104:105], v[64:65], -v[66:67]
	v_add_f64 v[6:7], v[6:7], v[122:123]
	v_add_f64 v[4:5], v[4:5], v[46:47]
	;; [unrolled: 1-line block ×4, first 2 shown]
	s_waitcnt vmcnt(0)
	v_add_f64 v[4:5], v[68:69], -v[4:5]
	v_add_f64 v[6:7], v[70:71], -v[6:7]
	scratch_store_dwordx4 off, v[4:7], off offset:48
	s_and_saveexec_b64 s[2:3], vcc
	s_cbranch_execz .LBB12_87
; %bb.86:
	scratch_load_dwordx4 v[6:9], off, s14
	v_mov_b32_e32 v3, v2
	v_mov_b32_e32 v4, v2
	;; [unrolled: 1-line block ×3, first 2 shown]
	scratch_store_dwordx4 off, v[2:5], off offset:32
	s_waitcnt vmcnt(1)
	ds_write_b128 v42, v[6:9]
.LBB12_87:
	s_or_b64 exec, exec, s[2:3]
	s_waitcnt lgkmcnt(0)
	; wave barrier
	scratch_load_dwordx4 v[4:7], off, off offset:48
	scratch_load_dwordx4 v[8:11], off, off offset:64
	scratch_load_dwordx4 v[12:15], off, off offset:80
	scratch_load_dwordx4 v[44:47], off, off offset:96
	scratch_load_dwordx4 v[48:51], off, off offset:112
	scratch_load_dwordx4 v[52:55], off, off offset:128
	scratch_load_dwordx4 v[56:59], off, off offset:144
	scratch_load_dwordx4 v[60:63], off, off offset:160
	scratch_load_dwordx4 v[64:67], off, off offset:176
	scratch_load_dwordx4 v[68:71], off, off offset:192
	scratch_load_dwordx4 v[72:75], off, off offset:32
	ds_read_b128 v[76:79], v2 offset:256
	ds_read_b128 v[80:83], v2 offset:272
	;; [unrolled: 1-line block ×10, first 2 shown]
	v_cmp_lt_u32_e32 vcc, 1, v1
	s_waitcnt vmcnt(10) lgkmcnt(9)
	v_mul_f64 v[2:3], v[76:77], v[6:7]
	v_mul_f64 v[6:7], v[78:79], v[6:7]
	s_waitcnt vmcnt(9) lgkmcnt(8)
	v_mul_f64 v[116:117], v[80:81], v[10:11]
	v_mul_f64 v[10:11], v[82:83], v[10:11]
	v_fmac_f64_e32 v[2:3], v[78:79], v[4:5]
	v_fma_f64 v[4:5], v[76:77], v[4:5], -v[6:7]
	s_waitcnt vmcnt(8) lgkmcnt(7)
	v_mul_f64 v[118:119], v[84:85], v[14:15]
	v_mul_f64 v[14:15], v[86:87], v[14:15]
	v_fmac_f64_e32 v[116:117], v[82:83], v[8:9]
	v_fma_f64 v[6:7], v[80:81], v[8:9], -v[10:11]
	v_add_f64 v[2:3], v[2:3], 0
	v_add_f64 v[4:5], v[4:5], 0
	s_waitcnt vmcnt(7) lgkmcnt(6)
	v_mul_f64 v[120:121], v[88:89], v[46:47]
	v_mul_f64 v[46:47], v[90:91], v[46:47]
	v_fmac_f64_e32 v[118:119], v[86:87], v[12:13]
	v_fma_f64 v[8:9], v[84:85], v[12:13], -v[14:15]
	v_add_f64 v[2:3], v[2:3], v[116:117]
	v_add_f64 v[4:5], v[4:5], v[6:7]
	;; [unrolled: 7-line block ×8, first 2 shown]
	v_fmac_f64_e32 v[132:133], v[114:115], v[68:69]
	v_fma_f64 v[50:51], v[112:113], v[68:69], -v[70:71]
	v_add_f64 v[2:3], v[2:3], v[130:131]
	v_add_f64 v[4:5], v[4:5], v[48:49]
	;; [unrolled: 1-line block ×4, first 2 shown]
	s_waitcnt vmcnt(0)
	v_add_f64 v[2:3], v[72:73], -v[2:3]
	v_add_f64 v[4:5], v[74:75], -v[6:7]
	scratch_store_dwordx4 off, v[2:5], off offset:32
	s_and_saveexec_b64 s[2:3], vcc
	s_cbranch_execz .LBB12_89
; %bb.88:
	scratch_load_dwordx4 v[2:5], off, s19
	v_mov_b32_e32 v6, 0
	v_mov_b32_e32 v7, v6
	v_mov_b32_e32 v8, v6
	v_mov_b32_e32 v9, v6
	scratch_store_dwordx4 off, v[6:9], off offset:16
	s_waitcnt vmcnt(1)
	ds_write_b128 v42, v[2:5]
.LBB12_89:
	s_or_b64 exec, exec, s[2:3]
	s_waitcnt lgkmcnt(0)
	; wave barrier
	scratch_load_dwordx4 v[4:7], off, off offset:32
	scratch_load_dwordx4 v[8:11], off, off offset:48
	;; [unrolled: 1-line block ×12, first 2 shown]
	v_mov_b32_e32 v2, 0
	ds_read_b128 v[80:83], v2 offset:240
	ds_read_b128 v[84:87], v2 offset:256
	;; [unrolled: 1-line block ×11, first 2 shown]
	v_cmp_ne_u32_e32 vcc, 0, v1
	s_waitcnt vmcnt(11) lgkmcnt(10)
	v_mul_f64 v[124:125], v[80:81], v[6:7]
	v_mul_f64 v[6:7], v[82:83], v[6:7]
	s_waitcnt vmcnt(10) lgkmcnt(9)
	v_mul_f64 v[126:127], v[84:85], v[10:11]
	s_waitcnt vmcnt(9) lgkmcnt(8)
	v_mul_f64 v[128:129], v[88:89], v[14:15]
	v_mul_f64 v[10:11], v[86:87], v[10:11]
	s_waitcnt vmcnt(6) lgkmcnt(5)
	v_mul_f64 v[134:135], v[100:101], v[54:55]
	v_mul_f64 v[14:15], v[90:91], v[14:15]
	;; [unrolled: 1-line block ×3, first 2 shown]
	v_fmac_f64_e32 v[124:125], v[82:83], v[4:5]
	v_fma_f64 v[4:5], v[80:81], v[4:5], -v[6:7]
	v_fmac_f64_e32 v[126:127], v[86:87], v[8:9]
	v_fma_f64 v[6:7], v[84:85], v[8:9], -v[10:11]
	v_fma_f64 v[8:9], v[88:89], v[12:13], -v[14:15]
	;; [unrolled: 1-line block ×3, first 2 shown]
	v_add_f64 v[54:55], v[124:125], 0
	v_add_f64 v[4:5], v[4:5], 0
	v_mul_f64 v[130:131], v[92:93], v[46:47]
	v_mul_f64 v[46:47], v[94:95], v[46:47]
	v_fmac_f64_e32 v[128:129], v[90:91], v[12:13]
	v_add_f64 v[54:55], v[54:55], v[126:127]
	v_add_f64 v[4:5], v[4:5], v[6:7]
	v_mul_f64 v[132:133], v[96:97], v[50:51]
	v_mul_f64 v[50:51], v[98:99], v[50:51]
	v_fmac_f64_e32 v[130:131], v[94:95], v[44:45]
	v_fma_f64 v[10:11], v[92:93], v[44:45], -v[46:47]
	v_add_f64 v[6:7], v[54:55], v[128:129]
	v_add_f64 v[4:5], v[4:5], v[8:9]
	v_fmac_f64_e32 v[132:133], v[98:99], v[48:49]
	v_fma_f64 v[12:13], v[96:97], v[48:49], -v[50:51]
	v_add_f64 v[6:7], v[6:7], v[130:131]
	v_add_f64 v[4:5], v[4:5], v[10:11]
	s_waitcnt vmcnt(5) lgkmcnt(4)
	v_mul_f64 v[136:137], v[104:105], v[58:59]
	v_mul_f64 v[58:59], v[106:107], v[58:59]
	v_fmac_f64_e32 v[134:135], v[102:103], v[52:53]
	v_add_f64 v[6:7], v[6:7], v[132:133]
	v_add_f64 v[4:5], v[4:5], v[12:13]
	s_waitcnt vmcnt(4) lgkmcnt(3)
	v_mul_f64 v[138:139], v[108:109], v[62:63]
	v_mul_f64 v[62:63], v[110:111], v[62:63]
	v_fmac_f64_e32 v[136:137], v[106:107], v[56:57]
	v_fma_f64 v[44:45], v[104:105], v[56:57], -v[58:59]
	v_add_f64 v[6:7], v[6:7], v[134:135]
	v_add_f64 v[4:5], v[4:5], v[14:15]
	s_waitcnt vmcnt(3) lgkmcnt(2)
	v_mul_f64 v[140:141], v[112:113], v[66:67]
	v_mul_f64 v[66:67], v[114:115], v[66:67]
	v_fmac_f64_e32 v[138:139], v[110:111], v[60:61]
	v_fma_f64 v[46:47], v[108:109], v[60:61], -v[62:63]
	;; [unrolled: 7-line block ×4, first 2 shown]
	v_add_f64 v[6:7], v[6:7], v[140:141]
	v_add_f64 v[4:5], v[4:5], v[48:49]
	v_fmac_f64_e32 v[144:145], v[122:123], v[72:73]
	v_fma_f64 v[52:53], v[120:121], v[72:73], -v[74:75]
	v_add_f64 v[6:7], v[6:7], v[142:143]
	v_add_f64 v[4:5], v[4:5], v[50:51]
	;; [unrolled: 1-line block ×4, first 2 shown]
	s_waitcnt vmcnt(0)
	v_add_f64 v[4:5], v[76:77], -v[4:5]
	v_add_f64 v[6:7], v[78:79], -v[6:7]
	scratch_store_dwordx4 off, v[4:7], off offset:16
	s_and_saveexec_b64 s[2:3], vcc
	s_cbranch_execz .LBB12_91
; %bb.90:
	scratch_load_dwordx4 v[6:9], off, off
	v_mov_b32_e32 v3, v2
	v_mov_b32_e32 v4, v2
	;; [unrolled: 1-line block ×3, first 2 shown]
	scratch_store_dwordx4 off, v[2:5], off
	s_waitcnt vmcnt(1)
	ds_write_b128 v42, v[6:9]
.LBB12_91:
	s_or_b64 exec, exec, s[2:3]
	s_waitcnt lgkmcnt(0)
	; wave barrier
	scratch_load_dwordx4 v[4:7], off, off offset:16
	scratch_load_dwordx4 v[8:11], off, off offset:32
	;; [unrolled: 1-line block ×12, first 2 shown]
	ds_read_b128 v[78:81], v2 offset:224
	ds_read_b128 v[82:85], v2 offset:240
	;; [unrolled: 1-line block ×4, first 2 shown]
	scratch_load_dwordx4 v[94:97], off, off
	ds_read_b128 v[98:101], v2 offset:288
	ds_read_b128 v[102:105], v2 offset:304
	;; [unrolled: 1-line block ×8, first 2 shown]
	s_and_b64 vcc, exec, s[22:23]
	s_waitcnt vmcnt(12) lgkmcnt(11)
	v_mul_f64 v[2:3], v[78:79], v[6:7]
	s_waitcnt vmcnt(11) lgkmcnt(10)
	v_mul_f64 v[130:131], v[82:83], v[10:11]
	v_fmac_f64_e32 v[2:3], v[80:81], v[4:5]
	s_waitcnt vmcnt(10) lgkmcnt(9)
	v_mul_f64 v[132:133], v[86:87], v[14:15]
	v_mul_f64 v[6:7], v[80:81], v[6:7]
	v_fmac_f64_e32 v[130:131], v[84:85], v[8:9]
	v_add_f64 v[2:3], v[2:3], 0
	s_waitcnt vmcnt(9) lgkmcnt(8)
	v_mul_f64 v[134:135], v[90:91], v[44:45]
	v_mul_f64 v[10:11], v[84:85], v[10:11]
	v_fma_f64 v[4:5], v[78:79], v[4:5], -v[6:7]
	v_fmac_f64_e32 v[132:133], v[88:89], v[12:13]
	v_add_f64 v[2:3], v[2:3], v[130:131]
	s_waitcnt vmcnt(8) lgkmcnt(7)
	v_mul_f64 v[136:137], v[98:99], v[48:49]
	v_mul_f64 v[14:15], v[88:89], v[14:15]
	v_fma_f64 v[6:7], v[82:83], v[8:9], -v[10:11]
	v_fmac_f64_e32 v[134:135], v[92:93], v[42:43]
	v_add_f64 v[4:5], v[4:5], 0
	v_add_f64 v[2:3], v[2:3], v[132:133]
	s_waitcnt vmcnt(7) lgkmcnt(6)
	v_mul_f64 v[138:139], v[102:103], v[52:53]
	v_mul_f64 v[44:45], v[92:93], v[44:45]
	v_fma_f64 v[8:9], v[86:87], v[12:13], -v[14:15]
	v_fmac_f64_e32 v[136:137], v[100:101], v[46:47]
	v_add_f64 v[4:5], v[4:5], v[6:7]
	;; [unrolled: 7-line block ×3, first 2 shown]
	v_add_f64 v[2:3], v[2:3], v[136:137]
	s_waitcnt vmcnt(5) lgkmcnt(4)
	v_mul_f64 v[142:143], v[110:111], v[60:61]
	v_mul_f64 v[52:53], v[104:105], v[52:53]
	v_fmac_f64_e32 v[140:141], v[108:109], v[54:55]
	v_fma_f64 v[12:13], v[98:99], v[46:47], -v[48:49]
	v_add_f64 v[4:5], v[4:5], v[10:11]
	v_add_f64 v[2:3], v[2:3], v[138:139]
	s_waitcnt vmcnt(4) lgkmcnt(3)
	v_mul_f64 v[144:145], v[114:115], v[64:65]
	v_mul_f64 v[56:57], v[108:109], v[56:57]
	v_fmac_f64_e32 v[142:143], v[112:113], v[58:59]
	v_fma_f64 v[14:15], v[102:103], v[50:51], -v[52:53]
	v_add_f64 v[4:5], v[4:5], v[12:13]
	v_add_f64 v[2:3], v[2:3], v[140:141]
	s_waitcnt vmcnt(3) lgkmcnt(2)
	v_mul_f64 v[146:147], v[118:119], v[68:69]
	v_mul_f64 v[60:61], v[112:113], v[60:61]
	v_fmac_f64_e32 v[144:145], v[116:117], v[62:63]
	v_fma_f64 v[42:43], v[106:107], v[54:55], -v[56:57]
	v_add_f64 v[4:5], v[4:5], v[14:15]
	v_add_f64 v[2:3], v[2:3], v[142:143]
	s_waitcnt vmcnt(2) lgkmcnt(1)
	v_mul_f64 v[148:149], v[122:123], v[72:73]
	v_mul_f64 v[64:65], v[116:117], v[64:65]
	v_fmac_f64_e32 v[146:147], v[120:121], v[66:67]
	v_fma_f64 v[44:45], v[110:111], v[58:59], -v[60:61]
	v_add_f64 v[4:5], v[4:5], v[42:43]
	v_add_f64 v[2:3], v[2:3], v[144:145]
	s_waitcnt vmcnt(1) lgkmcnt(0)
	v_mul_f64 v[150:151], v[126:127], v[76:77]
	v_mul_f64 v[68:69], v[120:121], v[68:69]
	v_fmac_f64_e32 v[148:149], v[124:125], v[70:71]
	v_fma_f64 v[46:47], v[114:115], v[62:63], -v[64:65]
	v_add_f64 v[4:5], v[4:5], v[44:45]
	v_add_f64 v[2:3], v[2:3], v[146:147]
	v_mul_f64 v[72:73], v[124:125], v[72:73]
	v_fmac_f64_e32 v[150:151], v[128:129], v[74:75]
	v_fma_f64 v[48:49], v[118:119], v[66:67], -v[68:69]
	v_add_f64 v[4:5], v[4:5], v[46:47]
	v_add_f64 v[2:3], v[2:3], v[148:149]
	v_add_f64 v[4:5], v[4:5], v[48:49]
	v_add_f64 v[6:7], v[2:3], v[150:151]
	v_fma_f64 v[2:3], v[122:123], v[70:71], -v[72:73]
	v_add_f64 v[2:3], v[4:5], v[2:3]
	v_mul_f64 v[4:5], v[128:129], v[76:77]
	v_fma_f64 v[4:5], v[126:127], v[74:75], -v[4:5]
	v_add_f64 v[2:3], v[2:3], v[4:5]
	s_waitcnt vmcnt(0)
	v_add_f64 v[2:3], v[94:95], -v[2:3]
	v_add_f64 v[4:5], v[96:97], -v[6:7]
	scratch_store_dwordx4 off, v[2:5], off
	s_cbranch_vccz .LBB12_116
; %bb.92:
	s_nop 0
	v_mov_b32_e32 v2, 0
	global_load_dword v3, v2, s[20:21] offset:44
	s_load_dwordx2 s[2:3], s[0:1], 0x4
	v_bfe_u32 v4, v0, 10, 10
	v_bfe_u32 v0, v0, 20, 10
	s_waitcnt lgkmcnt(0)
	s_lshr_b32 s0, s2, 16
	s_mul_i32 s0, s0, s3
	v_mul_u32_u24_e32 v1, s0, v1
	v_mul_u32_u24_e32 v4, s3, v4
	v_add3_u32 v0, v1, v4, v0
	v_mov_b32_e32 v1, 0x1a8
	v_lshl_add_u32 v0, v0, 4, v1
	s_waitcnt vmcnt(0)
	v_readfirstlane_b32 s0, v3
	s_add_i32 s0, s0, -1
	s_cmp_lg_u32 s0, 11
	s_cbranch_scc0 .LBB12_94
; %bb.93:
	s_lshl_b32 s0, s0, 4
	scratch_load_dwordx4 v[4:7], off, s28
	scratch_load_dwordx4 v[8:11], off, s0
	s_waitcnt vmcnt(1)
	ds_write2_b64 v0, v[4:5], v[6:7] offset1:1
	s_waitcnt vmcnt(0)
	scratch_store_dwordx4 off, v[8:11], s28
	scratch_store_dwordx4 off, v[4:7], s0
.LBB12_94:
	global_load_dword v1, v2, s[20:21] offset:40
	s_waitcnt vmcnt(0)
	v_readfirstlane_b32 s0, v1
	s_add_i32 s0, s0, -1
	s_cmp_eq_u32 s0, 10
	s_cbranch_scc1 .LBB12_96
; %bb.95:
	s_lshl_b32 s0, s0, 4
	scratch_load_dwordx4 v[2:5], off, s25
	scratch_load_dwordx4 v[6:9], off, s0
	s_waitcnt vmcnt(1)
	ds_write2_b64 v0, v[2:3], v[4:5] offset1:1
	s_waitcnt vmcnt(0)
	scratch_store_dwordx4 off, v[6:9], s25
	scratch_store_dwordx4 off, v[2:5], s0
.LBB12_96:
	v_mov_b32_e32 v1, 0
	global_load_dword v2, v1, s[20:21] offset:36
	s_waitcnt vmcnt(0)
	v_readfirstlane_b32 s0, v2
	s_add_i32 s0, s0, -1
	s_cmp_eq_u32 s0, 9
	s_cbranch_scc1 .LBB12_98
; %bb.97:
	s_lshl_b32 s0, s0, 4
	scratch_load_dwordx4 v[2:5], off, s18
	scratch_load_dwordx4 v[6:9], off, s0
	s_waitcnt vmcnt(1)
	ds_write2_b64 v0, v[2:3], v[4:5] offset1:1
	s_waitcnt vmcnt(0)
	scratch_store_dwordx4 off, v[6:9], s18
	scratch_store_dwordx4 off, v[2:5], s0
.LBB12_98:
	global_load_dword v1, v1, s[20:21] offset:32
	s_waitcnt vmcnt(0)
	v_readfirstlane_b32 s0, v1
	s_add_i32 s0, s0, -1
	s_cmp_eq_u32 s0, 8
	s_cbranch_scc1 .LBB12_100
; %bb.99:
	s_lshl_b32 s0, s0, 4
	scratch_load_dwordx4 v[2:5], off, s16
	scratch_load_dwordx4 v[6:9], off, s0
	s_waitcnt vmcnt(1)
	ds_write2_b64 v0, v[2:3], v[4:5] offset1:1
	s_waitcnt vmcnt(0)
	scratch_store_dwordx4 off, v[6:9], s16
	scratch_store_dwordx4 off, v[2:5], s0
.LBB12_100:
	v_mov_b32_e32 v1, 0
	global_load_dword v2, v1, s[20:21] offset:28
	s_waitcnt vmcnt(0)
	v_readfirstlane_b32 s0, v2
	s_add_i32 s0, s0, -1
	s_cmp_eq_u32 s0, 7
	s_cbranch_scc1 .LBB12_102
; %bb.101:
	s_lshl_b32 s0, s0, 4
	scratch_load_dwordx4 v[2:5], off, s27
	scratch_load_dwordx4 v[6:9], off, s0
	s_waitcnt vmcnt(1)
	ds_write2_b64 v0, v[2:3], v[4:5] offset1:1
	s_waitcnt vmcnt(0)
	scratch_store_dwordx4 off, v[6:9], s27
	scratch_store_dwordx4 off, v[2:5], s0
.LBB12_102:
	global_load_dword v1, v1, s[20:21] offset:24
	s_waitcnt vmcnt(0)
	v_readfirstlane_b32 s0, v1
	s_add_i32 s0, s0, -1
	s_cmp_eq_u32 s0, 6
	s_cbranch_scc1 .LBB12_104
; %bb.103:
	s_lshl_b32 s0, s0, 4
	scratch_load_dwordx4 v[2:5], off, s26
	scratch_load_dwordx4 v[6:9], off, s0
	s_waitcnt vmcnt(1)
	ds_write2_b64 v0, v[2:3], v[4:5] offset1:1
	s_waitcnt vmcnt(0)
	scratch_store_dwordx4 off, v[6:9], s26
	scratch_store_dwordx4 off, v[2:5], s0
.LBB12_104:
	v_mov_b32_e32 v1, 0
	global_load_dword v2, v1, s[20:21] offset:20
	s_waitcnt vmcnt(0)
	v_readfirstlane_b32 s0, v2
	s_add_i32 s0, s0, -1
	s_cmp_eq_u32 s0, 5
	s_cbranch_scc1 .LBB12_106
; %bb.105:
	s_lshl_b32 s0, s0, 4
	scratch_load_dwordx4 v[2:5], off, s24
	scratch_load_dwordx4 v[6:9], off, s0
	s_waitcnt vmcnt(1)
	ds_write2_b64 v0, v[2:3], v[4:5] offset1:1
	s_waitcnt vmcnt(0)
	scratch_store_dwordx4 off, v[6:9], s24
	scratch_store_dwordx4 off, v[2:5], s0
.LBB12_106:
	global_load_dword v1, v1, s[20:21] offset:16
	s_waitcnt vmcnt(0)
	v_readfirstlane_b32 s0, v1
	s_add_i32 s0, s0, -1
	s_cmp_eq_u32 s0, 4
	s_cbranch_scc1 .LBB12_108
; %bb.107:
	s_lshl_b32 s0, s0, 4
	scratch_load_dwordx4 v[2:5], off, s17
	scratch_load_dwordx4 v[6:9], off, s0
	s_waitcnt vmcnt(1)
	ds_write2_b64 v0, v[2:3], v[4:5] offset1:1
	s_waitcnt vmcnt(0)
	scratch_store_dwordx4 off, v[6:9], s17
	scratch_store_dwordx4 off, v[2:5], s0
.LBB12_108:
	v_mov_b32_e32 v1, 0
	global_load_dword v2, v1, s[20:21] offset:12
	s_waitcnt vmcnt(0)
	v_readfirstlane_b32 s0, v2
	s_add_i32 s0, s0, -1
	s_cmp_eq_u32 s0, 3
	s_cbranch_scc1 .LBB12_110
; %bb.109:
	s_lshl_b32 s0, s0, 4
	scratch_load_dwordx4 v[2:5], off, s15
	scratch_load_dwordx4 v[6:9], off, s0
	s_waitcnt vmcnt(1)
	ds_write2_b64 v0, v[2:3], v[4:5] offset1:1
	s_waitcnt vmcnt(0)
	scratch_store_dwordx4 off, v[6:9], s15
	scratch_store_dwordx4 off, v[2:5], s0
.LBB12_110:
	global_load_dword v1, v1, s[20:21] offset:8
	s_waitcnt vmcnt(0)
	v_readfirstlane_b32 s0, v1
	s_add_i32 s0, s0, -1
	s_cmp_eq_u32 s0, 2
	s_cbranch_scc1 .LBB12_112
; %bb.111:
	s_lshl_b32 s0, s0, 4
	scratch_load_dwordx4 v[2:5], off, s14
	scratch_load_dwordx4 v[6:9], off, s0
	s_waitcnt vmcnt(1)
	ds_write2_b64 v0, v[2:3], v[4:5] offset1:1
	s_waitcnt vmcnt(0)
	scratch_store_dwordx4 off, v[6:9], s14
	scratch_store_dwordx4 off, v[2:5], s0
.LBB12_112:
	v_mov_b32_e32 v1, 0
	global_load_dword v2, v1, s[20:21] offset:4
	s_waitcnt vmcnt(0)
	v_readfirstlane_b32 s0, v2
	s_add_i32 s0, s0, -1
	s_cmp_eq_u32 s0, 1
	s_cbranch_scc1 .LBB12_114
; %bb.113:
	s_lshl_b32 s0, s0, 4
	scratch_load_dwordx4 v[2:5], off, s19
	scratch_load_dwordx4 v[6:9], off, s0
	s_waitcnt vmcnt(1)
	ds_write2_b64 v0, v[2:3], v[4:5] offset1:1
	s_waitcnt vmcnt(0)
	scratch_store_dwordx4 off, v[6:9], s19
	scratch_store_dwordx4 off, v[2:5], s0
.LBB12_114:
	global_load_dword v1, v1, s[20:21]
	s_waitcnt vmcnt(0)
	v_readfirstlane_b32 s0, v1
	s_add_i32 s0, s0, -1
	s_cmp_eq_u32 s0, 0
	s_cbranch_scc1 .LBB12_116
; %bb.115:
	s_lshl_b32 s0, s0, 4
	scratch_load_dwordx4 v[2:5], off, off
	scratch_load_dwordx4 v[6:9], off, s0
	s_waitcnt vmcnt(1)
	ds_write2_b64 v0, v[2:3], v[4:5] offset1:1
	s_waitcnt vmcnt(0)
	scratch_store_dwordx4 off, v[6:9], off
	scratch_store_dwordx4 off, v[2:5], s0
.LBB12_116:
	scratch_load_dwordx4 v[0:3], off, off
	s_nop 0
	scratch_load_dwordx4 v[4:7], off, s19
	scratch_load_dwordx4 v[8:11], off, s14
	;; [unrolled: 1-line block ×12, first 2 shown]
	s_waitcnt vmcnt(12)
	global_store_dwordx4 v[16:17], v[0:3], off
	s_waitcnt vmcnt(12)
	global_store_dwordx4 v[18:19], v[4:7], off
	;; [unrolled: 2-line block ×13, first 2 shown]
	s_endpgm
	.section	.rodata,"a",@progbits
	.p2align	6, 0x0
	.amdhsa_kernel _ZN9rocsolver6v33100L18getri_kernel_smallILi13E19rocblas_complex_numIdEPS3_EEvT1_iilPiilS6_bb
		.amdhsa_group_segment_fixed_size 1448
		.amdhsa_private_segment_fixed_size 224
		.amdhsa_kernarg_size 60
		.amdhsa_user_sgpr_count 4
		.amdhsa_user_sgpr_dispatch_ptr 1
		.amdhsa_user_sgpr_queue_ptr 0
		.amdhsa_user_sgpr_kernarg_segment_ptr 1
		.amdhsa_user_sgpr_dispatch_id 0
		.amdhsa_user_sgpr_kernarg_preload_length 0
		.amdhsa_user_sgpr_kernarg_preload_offset 0
		.amdhsa_user_sgpr_private_segment_size 0
		.amdhsa_uses_dynamic_stack 0
		.amdhsa_enable_private_segment 1
		.amdhsa_system_sgpr_workgroup_id_x 1
		.amdhsa_system_sgpr_workgroup_id_y 0
		.amdhsa_system_sgpr_workgroup_id_z 0
		.amdhsa_system_sgpr_workgroup_info 0
		.amdhsa_system_vgpr_workitem_id 2
		.amdhsa_next_free_vgpr 152
		.amdhsa_next_free_sgpr 30
		.amdhsa_accum_offset 152
		.amdhsa_reserve_vcc 1
		.amdhsa_float_round_mode_32 0
		.amdhsa_float_round_mode_16_64 0
		.amdhsa_float_denorm_mode_32 3
		.amdhsa_float_denorm_mode_16_64 3
		.amdhsa_dx10_clamp 1
		.amdhsa_ieee_mode 1
		.amdhsa_fp16_overflow 0
		.amdhsa_tg_split 0
		.amdhsa_exception_fp_ieee_invalid_op 0
		.amdhsa_exception_fp_denorm_src 0
		.amdhsa_exception_fp_ieee_div_zero 0
		.amdhsa_exception_fp_ieee_overflow 0
		.amdhsa_exception_fp_ieee_underflow 0
		.amdhsa_exception_fp_ieee_inexact 0
		.amdhsa_exception_int_div_zero 0
	.end_amdhsa_kernel
	.section	.text._ZN9rocsolver6v33100L18getri_kernel_smallILi13E19rocblas_complex_numIdEPS3_EEvT1_iilPiilS6_bb,"axG",@progbits,_ZN9rocsolver6v33100L18getri_kernel_smallILi13E19rocblas_complex_numIdEPS3_EEvT1_iilPiilS6_bb,comdat
.Lfunc_end12:
	.size	_ZN9rocsolver6v33100L18getri_kernel_smallILi13E19rocblas_complex_numIdEPS3_EEvT1_iilPiilS6_bb, .Lfunc_end12-_ZN9rocsolver6v33100L18getri_kernel_smallILi13E19rocblas_complex_numIdEPS3_EEvT1_iilPiilS6_bb
                                        ; -- End function
	.set _ZN9rocsolver6v33100L18getri_kernel_smallILi13E19rocblas_complex_numIdEPS3_EEvT1_iilPiilS6_bb.num_vgpr, 152
	.set _ZN9rocsolver6v33100L18getri_kernel_smallILi13E19rocblas_complex_numIdEPS3_EEvT1_iilPiilS6_bb.num_agpr, 0
	.set _ZN9rocsolver6v33100L18getri_kernel_smallILi13E19rocblas_complex_numIdEPS3_EEvT1_iilPiilS6_bb.numbered_sgpr, 30
	.set _ZN9rocsolver6v33100L18getri_kernel_smallILi13E19rocblas_complex_numIdEPS3_EEvT1_iilPiilS6_bb.num_named_barrier, 0
	.set _ZN9rocsolver6v33100L18getri_kernel_smallILi13E19rocblas_complex_numIdEPS3_EEvT1_iilPiilS6_bb.private_seg_size, 224
	.set _ZN9rocsolver6v33100L18getri_kernel_smallILi13E19rocblas_complex_numIdEPS3_EEvT1_iilPiilS6_bb.uses_vcc, 1
	.set _ZN9rocsolver6v33100L18getri_kernel_smallILi13E19rocblas_complex_numIdEPS3_EEvT1_iilPiilS6_bb.uses_flat_scratch, 0
	.set _ZN9rocsolver6v33100L18getri_kernel_smallILi13E19rocblas_complex_numIdEPS3_EEvT1_iilPiilS6_bb.has_dyn_sized_stack, 0
	.set _ZN9rocsolver6v33100L18getri_kernel_smallILi13E19rocblas_complex_numIdEPS3_EEvT1_iilPiilS6_bb.has_recursion, 0
	.set _ZN9rocsolver6v33100L18getri_kernel_smallILi13E19rocblas_complex_numIdEPS3_EEvT1_iilPiilS6_bb.has_indirect_call, 0
	.section	.AMDGPU.csdata,"",@progbits
; Kernel info:
; codeLenInByte = 11568
; TotalNumSgprs: 36
; NumVgprs: 152
; NumAgprs: 0
; TotalNumVgprs: 152
; ScratchSize: 224
; MemoryBound: 0
; FloatMode: 240
; IeeeMode: 1
; LDSByteSize: 1448 bytes/workgroup (compile time only)
; SGPRBlocks: 4
; VGPRBlocks: 18
; NumSGPRsForWavesPerEU: 36
; NumVGPRsForWavesPerEU: 152
; AccumOffset: 152
; Occupancy: 3
; WaveLimiterHint : 1
; COMPUTE_PGM_RSRC2:SCRATCH_EN: 1
; COMPUTE_PGM_RSRC2:USER_SGPR: 4
; COMPUTE_PGM_RSRC2:TRAP_HANDLER: 0
; COMPUTE_PGM_RSRC2:TGID_X_EN: 1
; COMPUTE_PGM_RSRC2:TGID_Y_EN: 0
; COMPUTE_PGM_RSRC2:TGID_Z_EN: 0
; COMPUTE_PGM_RSRC2:TIDIG_COMP_CNT: 2
; COMPUTE_PGM_RSRC3_GFX90A:ACCUM_OFFSET: 37
; COMPUTE_PGM_RSRC3_GFX90A:TG_SPLIT: 0
	.section	.text._ZN9rocsolver6v33100L18getri_kernel_smallILi14E19rocblas_complex_numIdEPS3_EEvT1_iilPiilS6_bb,"axG",@progbits,_ZN9rocsolver6v33100L18getri_kernel_smallILi14E19rocblas_complex_numIdEPS3_EEvT1_iilPiilS6_bb,comdat
	.globl	_ZN9rocsolver6v33100L18getri_kernel_smallILi14E19rocblas_complex_numIdEPS3_EEvT1_iilPiilS6_bb ; -- Begin function _ZN9rocsolver6v33100L18getri_kernel_smallILi14E19rocblas_complex_numIdEPS3_EEvT1_iilPiilS6_bb
	.p2align	8
	.type	_ZN9rocsolver6v33100L18getri_kernel_smallILi14E19rocblas_complex_numIdEPS3_EEvT1_iilPiilS6_bb,@function
_ZN9rocsolver6v33100L18getri_kernel_smallILi14E19rocblas_complex_numIdEPS3_EEvT1_iilPiilS6_bb: ; @_ZN9rocsolver6v33100L18getri_kernel_smallILi14E19rocblas_complex_numIdEPS3_EEvT1_iilPiilS6_bb
; %bb.0:
	v_and_b32_e32 v1, 0x3ff, v0
	v_cmp_gt_u32_e32 vcc, 14, v1
	s_and_saveexec_b64 s[6:7], vcc
	s_cbranch_execz .LBB13_70
; %bb.1:
	s_load_dword s6, s[2:3], 0x38
	s_load_dwordx4 s[16:19], s[2:3], 0x10
	s_load_dwordx4 s[8:11], s[2:3], 0x28
                                        ; implicit-def: $sgpr20_sgpr21
	s_waitcnt lgkmcnt(0)
	s_bitcmp1_b32 s6, 8
	s_cselect_b64 s[22:23], -1, 0
	s_ashr_i32 s5, s4, 31
	s_bfe_u32 s6, s6, 0x10008
	s_cmp_eq_u32 s6, 0
	s_cbranch_scc1 .LBB13_3
; %bb.2:
	s_load_dword s6, s[2:3], 0x20
	s_mul_i32 s7, s8, s5
	s_mul_hi_u32 s12, s8, s4
	s_mul_i32 s9, s9, s4
	s_add_i32 s12, s12, s7
	s_add_i32 s9, s12, s9
	s_mul_i32 s8, s8, s4
	s_waitcnt lgkmcnt(0)
	s_ashr_i32 s7, s6, 31
	s_lshl_b64 s[8:9], s[8:9], 2
	s_add_u32 s8, s18, s8
	s_addc_u32 s9, s19, s9
	s_lshl_b64 s[6:7], s[6:7], 2
	s_add_u32 s20, s8, s6
	s_addc_u32 s21, s9, s7
.LBB13_3:
	s_load_dwordx4 s[12:15], s[2:3], 0x0
	s_load_dword s6, s[2:3], 0x38
	s_mul_i32 s7, s16, s5
	s_mul_hi_u32 s8, s16, s4
	s_add_i32 s7, s8, s7
	s_mul_i32 s8, s17, s4
	s_add_i32 s9, s7, s8
	s_mul_i32 s8, s16, s4
	s_waitcnt lgkmcnt(0)
	s_ashr_i32 s3, s14, 31
	s_lshl_b64 s[8:9], s[8:9], 4
	s_mov_b32 s2, s14
	s_add_u32 s7, s12, s8
	s_addc_u32 s8, s13, s9
	s_lshl_b64 s[2:3], s[2:3], 4
	s_add_u32 s2, s7, s2
	s_addc_u32 s3, s8, s3
	s_add_i32 s7, s15, s15
	v_add_u32_e32 v22, s7, v1
	v_add_u32_e32 v24, s15, v22
	;; [unrolled: 1-line block ×5, first 2 shown]
	v_ashrrev_i32_e32 v23, 31, v22
	v_ashrrev_i32_e32 v25, 31, v24
	;; [unrolled: 1-line block ×5, first 2 shown]
	v_lshl_add_u64 v[20:21], v[22:23], 4, s[2:3]
	v_lshl_add_u64 v[22:23], v[24:25], 4, s[2:3]
	v_lshl_add_u64 v[24:25], v[26:27], 4, s[2:3]
	v_lshl_add_u64 v[26:27], v[28:29], 4, s[2:3]
	v_lshl_add_u64 v[28:29], v[30:31], 4, s[2:3]
	v_add_u32_e32 v30, s15, v30
	v_add_u32_e32 v32, s15, v30
	;; [unrolled: 1-line block ×6, first 2 shown]
	v_lshlrev_b32_e32 v14, 4, v1
	v_mov_b32_e32 v15, 0
	v_add_u32_e32 v42, s15, v40
	v_lshl_add_u64 v[16:17], s[2:3], 0, v[14:15]
	s_ashr_i32 s9, s15, 31
	s_mov_b32 s8, s15
	v_ashrrev_i32_e32 v31, 31, v30
	v_ashrrev_i32_e32 v35, 31, v34
	;; [unrolled: 1-line block ×5, first 2 shown]
	v_lshl_add_u64 v[18:19], s[8:9], 4, v[16:17]
	v_lshl_add_u64 v[30:31], v[30:31], 4, s[2:3]
	v_ashrrev_i32_e32 v33, 31, v32
	v_lshl_add_u64 v[34:35], v[34:35], 4, s[2:3]
	v_ashrrev_i32_e32 v37, 31, v36
	v_lshl_add_u64 v[38:39], v[38:39], 4, s[2:3]
	v_lshl_add_u64 v[40:41], v[40:41], 4, s[2:3]
	;; [unrolled: 1-line block ×3, first 2 shown]
	global_load_dwordx4 v[2:5], v14, s[2:3]
	global_load_dwordx4 v[6:9], v[18:19], off
	global_load_dwordx4 v[10:13], v[20:21], off
	;; [unrolled: 1-line block ×6, first 2 shown]
	v_lshl_add_u64 v[32:33], v[32:33], 4, s[2:3]
	global_load_dwordx4 v[60:63], v[30:31], off
	global_load_dwordx4 v[64:67], v[32:33], off
	v_lshl_add_u64 v[36:37], v[36:37], 4, s[2:3]
	global_load_dwordx4 v[68:71], v[34:35], off
	global_load_dwordx4 v[72:75], v[36:37], off
	;; [unrolled: 1-line block ×5, first 2 shown]
	s_movk_i32 s19, 0x50
	s_movk_i32 s26, 0x60
	;; [unrolled: 1-line block ×7, first 2 shown]
	s_mov_b32 s24, 16
	s_mov_b32 s14, 32
	;; [unrolled: 1-line block ×4, first 2 shown]
	s_movk_i32 s29, 0xc0
	s_movk_i32 s30, 0xd0
	s_bitcmp0_b32 s6, 0
	s_mov_b64 s[6:7], -1
	s_waitcnt vmcnt(13)
	scratch_store_dwordx4 off, v[2:5], off
	s_waitcnt vmcnt(13)
	scratch_store_dwordx4 off, v[6:9], off offset:16
	s_waitcnt vmcnt(13)
	scratch_store_dwordx4 off, v[10:13], off offset:32
	s_waitcnt vmcnt(13)
	scratch_store_dwordx4 off, v[44:47], off offset:48
	s_waitcnt vmcnt(13)
	scratch_store_dwordx4 off, v[48:51], off offset:64
	s_waitcnt vmcnt(13)
	scratch_store_dwordx4 off, v[52:55], off offset:80
	s_waitcnt vmcnt(13)
	scratch_store_dwordx4 off, v[56:59], off offset:96
	s_waitcnt vmcnt(13)
	scratch_store_dwordx4 off, v[60:63], off offset:112
	s_waitcnt vmcnt(13)
	scratch_store_dwordx4 off, v[64:67], off offset:128
	s_waitcnt vmcnt(13)
	scratch_store_dwordx4 off, v[68:71], off offset:144
	s_waitcnt vmcnt(13)
	scratch_store_dwordx4 off, v[72:75], off offset:160
	s_waitcnt vmcnt(13)
	scratch_store_dwordx4 off, v[76:79], off offset:176
	s_waitcnt vmcnt(13)
	scratch_store_dwordx4 off, v[80:83], off offset:192
	s_waitcnt vmcnt(13)
	scratch_store_dwordx4 off, v[84:87], off offset:208
	s_cbranch_scc1 .LBB13_68
; %bb.4:
	v_cmp_eq_u32_e64 s[2:3], 0, v1
	s_and_saveexec_b64 s[6:7], s[2:3]
; %bb.5:
	v_mov_b32_e32 v2, 0
	ds_write_b32 v2, v2 offset:448
; %bb.6:
	s_or_b64 exec, exec, s[6:7]
	s_waitcnt lgkmcnt(0)
	; wave barrier
	scratch_load_dwordx4 v[2:5], v14, off
	s_waitcnt vmcnt(0)
	v_cmp_eq_f64_e32 vcc, 0, v[2:3]
	v_cmp_eq_f64_e64 s[6:7], 0, v[4:5]
	s_and_b64 s[6:7], vcc, s[6:7]
	s_and_saveexec_b64 s[8:9], s[6:7]
	s_cbranch_execz .LBB13_10
; %bb.7:
	v_mov_b32_e32 v2, 0
	ds_read_b32 v4, v2 offset:448
	v_add_u32_e32 v3, 1, v1
	s_waitcnt lgkmcnt(0)
	v_readfirstlane_b32 s6, v4
	s_cmp_eq_u32 s6, 0
	s_cselect_b64 s[12:13], -1, 0
	v_cmp_gt_i32_e32 vcc, s6, v3
	s_or_b64 s[12:13], s[12:13], vcc
	s_and_b64 exec, exec, s[12:13]
	s_cbranch_execz .LBB13_10
; %bb.8:
	s_mov_b64 s[12:13], 0
	v_mov_b32_e32 v4, s6
.LBB13_9:                               ; =>This Inner Loop Header: Depth=1
	ds_cmpst_rtn_b32 v4, v2, v4, v3 offset:448
	s_waitcnt lgkmcnt(0)
	v_cmp_ne_u32_e32 vcc, 0, v4
	v_cmp_le_i32_e64 s[6:7], v4, v3
	s_and_b64 s[6:7], vcc, s[6:7]
	s_and_b64 s[6:7], exec, s[6:7]
	s_or_b64 s[12:13], s[6:7], s[12:13]
	s_andn2_b64 exec, exec, s[12:13]
	s_cbranch_execnz .LBB13_9
.LBB13_10:
	s_or_b64 exec, exec, s[8:9]
	v_mov_b32_e32 v3, 0
	; wave barrier
	ds_read_b32 v2, v3 offset:448
	s_and_saveexec_b64 s[6:7], s[2:3]
	s_cbranch_execz .LBB13_12
; %bb.11:
	s_lshl_b64 s[8:9], s[4:5], 2
	s_add_u32 s8, s10, s8
	s_addc_u32 s9, s11, s9
	s_waitcnt lgkmcnt(0)
	global_store_dword v3, v2, s[8:9]
.LBB13_12:
	s_or_b64 exec, exec, s[6:7]
	s_waitcnt lgkmcnt(0)
	v_cmp_ne_u32_e32 vcc, 0, v2
	s_mov_b64 s[6:7], 0
	s_cbranch_vccnz .LBB13_68
; %bb.13:
	v_mov_b32_e32 v15, v14
	scratch_load_dwordx4 v[2:5], v15, off
                                        ; implicit-def: $vgpr6_vgpr7
                                        ; implicit-def: $vgpr10_vgpr11
	s_waitcnt vmcnt(0)
	v_cmp_ngt_f64_e64 s[6:7], |v[2:3]|, |v[4:5]|
	s_and_saveexec_b64 s[8:9], s[6:7]
	s_xor_b64 s[6:7], exec, s[8:9]
	s_cbranch_execz .LBB13_15
; %bb.14:
	v_div_scale_f64 v[6:7], s[8:9], v[4:5], v[4:5], v[2:3]
	v_rcp_f64_e32 v[8:9], v[6:7]
	v_div_scale_f64 v[10:11], vcc, v[2:3], v[4:5], v[2:3]
	v_fma_f64 v[12:13], -v[6:7], v[8:9], 1.0
	v_fmac_f64_e32 v[8:9], v[8:9], v[12:13]
	v_fma_f64 v[12:13], -v[6:7], v[8:9], 1.0
	v_fmac_f64_e32 v[8:9], v[8:9], v[12:13]
	v_mul_f64 v[12:13], v[10:11], v[8:9]
	v_fma_f64 v[6:7], -v[6:7], v[12:13], v[10:11]
	v_div_fmas_f64 v[6:7], v[6:7], v[8:9], v[12:13]
	v_div_fixup_f64 v[6:7], v[6:7], v[4:5], v[2:3]
	v_fmac_f64_e32 v[4:5], v[2:3], v[6:7]
	v_div_scale_f64 v[2:3], s[8:9], v[4:5], v[4:5], 1.0
	v_rcp_f64_e32 v[8:9], v[2:3]
	s_nop 0
	v_fma_f64 v[10:11], -v[2:3], v[8:9], 1.0
	v_fmac_f64_e32 v[8:9], v[8:9], v[10:11]
	v_fma_f64 v[10:11], -v[2:3], v[8:9], 1.0
	v_fmac_f64_e32 v[8:9], v[8:9], v[10:11]
	v_div_scale_f64 v[10:11], vcc, 1.0, v[4:5], 1.0
	v_mul_f64 v[12:13], v[10:11], v[8:9]
	v_fma_f64 v[2:3], -v[2:3], v[12:13], v[10:11]
	s_nop 1
	v_div_fmas_f64 v[2:3], v[2:3], v[8:9], v[12:13]
	v_div_fixup_f64 v[8:9], v[2:3], v[4:5], 1.0
	v_mul_f64 v[6:7], v[6:7], v[8:9]
	v_xor_b32_e32 v9, 0x80000000, v9
	v_xor_b32_e32 v11, 0x80000000, v7
	v_mov_b32_e32 v10, v6
                                        ; implicit-def: $vgpr2_vgpr3
.LBB13_15:
	s_andn2_saveexec_b64 s[6:7], s[6:7]
	s_cbranch_execz .LBB13_17
; %bb.16:
	v_div_scale_f64 v[6:7], s[8:9], v[2:3], v[2:3], v[4:5]
	v_rcp_f64_e32 v[8:9], v[6:7]
	v_div_scale_f64 v[10:11], vcc, v[4:5], v[2:3], v[4:5]
	v_fma_f64 v[12:13], -v[6:7], v[8:9], 1.0
	v_fmac_f64_e32 v[8:9], v[8:9], v[12:13]
	v_fma_f64 v[12:13], -v[6:7], v[8:9], 1.0
	v_fmac_f64_e32 v[8:9], v[8:9], v[12:13]
	v_mul_f64 v[12:13], v[10:11], v[8:9]
	v_fma_f64 v[6:7], -v[6:7], v[12:13], v[10:11]
	v_div_fmas_f64 v[6:7], v[6:7], v[8:9], v[12:13]
	v_div_fixup_f64 v[8:9], v[6:7], v[2:3], v[4:5]
	v_fmac_f64_e32 v[2:3], v[4:5], v[8:9]
	v_div_scale_f64 v[4:5], s[8:9], v[2:3], v[2:3], 1.0
	v_rcp_f64_e32 v[6:7], v[4:5]
	s_nop 0
	v_fma_f64 v[10:11], -v[4:5], v[6:7], 1.0
	v_fmac_f64_e32 v[6:7], v[6:7], v[10:11]
	v_fma_f64 v[10:11], -v[4:5], v[6:7], 1.0
	v_fmac_f64_e32 v[6:7], v[6:7], v[10:11]
	v_div_scale_f64 v[10:11], vcc, 1.0, v[2:3], 1.0
	v_mul_f64 v[12:13], v[10:11], v[6:7]
	v_fma_f64 v[4:5], -v[4:5], v[12:13], v[10:11]
	s_nop 1
	v_div_fmas_f64 v[4:5], v[4:5], v[6:7], v[12:13]
	v_div_fixup_f64 v[6:7], v[4:5], v[2:3], 1.0
	v_xor_b32_e32 v11, 0x80000000, v7
	v_mov_b32_e32 v10, v6
	v_mul_f64 v[8:9], v[8:9], -v[6:7]
.LBB13_17:
	s_or_b64 exec, exec, s[6:7]
	scratch_store_dwordx4 v15, v[6:9], off
	scratch_load_dwordx4 v[2:5], off, s24
	v_xor_b32_e32 v13, 0x80000000, v9
	v_mov_b32_e32 v12, v8
	v_add_u32_e32 v6, 0xe0, v14
	ds_write_b128 v14, v[10:13]
	s_waitcnt vmcnt(0)
	ds_write_b128 v14, v[2:5] offset:224
	s_waitcnt lgkmcnt(0)
	; wave barrier
	s_and_saveexec_b64 s[6:7], s[2:3]
	s_cbranch_execz .LBB13_19
; %bb.18:
	scratch_load_dwordx4 v[2:5], v15, off
	ds_read_b128 v[8:11], v6
	v_mov_b32_e32 v7, 0
	ds_read_b128 v[44:47], v7 offset:16
	s_waitcnt vmcnt(0) lgkmcnt(1)
	v_mul_f64 v[12:13], v[10:11], v[4:5]
	v_mul_f64 v[4:5], v[8:9], v[4:5]
	v_fma_f64 v[8:9], v[8:9], v[2:3], -v[12:13]
	v_fmac_f64_e32 v[4:5], v[10:11], v[2:3]
	v_add_f64 v[2:3], v[8:9], 0
	v_add_f64 v[8:9], v[4:5], 0
	s_waitcnt lgkmcnt(0)
	v_mul_f64 v[10:11], v[8:9], v[46:47]
	v_mul_f64 v[4:5], v[2:3], v[46:47]
	v_fma_f64 v[2:3], v[2:3], v[44:45], -v[10:11]
	v_fmac_f64_e32 v[4:5], v[8:9], v[44:45]
	scratch_store_dwordx4 off, v[2:5], off offset:16
.LBB13_19:
	s_or_b64 exec, exec, s[6:7]
	; wave barrier
	scratch_load_dwordx4 v[2:5], off, s14
	v_cmp_gt_u32_e32 vcc, 2, v1
	s_waitcnt vmcnt(0)
	ds_write_b128 v6, v[2:5]
	s_waitcnt lgkmcnt(0)
	; wave barrier
	s_and_saveexec_b64 s[6:7], vcc
	s_cbranch_execz .LBB13_23
; %bb.20:
	scratch_load_dwordx4 v[2:5], v15, off
	ds_read_b128 v[8:11], v6
	s_waitcnt vmcnt(0) lgkmcnt(0)
	v_mul_f64 v[12:13], v[10:11], v[4:5]
	v_mul_f64 v[44:45], v[8:9], v[4:5]
	v_fma_f64 v[4:5], v[8:9], v[2:3], -v[12:13]
	v_fmac_f64_e32 v[44:45], v[10:11], v[2:3]
	v_add_f64 v[4:5], v[4:5], 0
	v_add_f64 v[2:3], v[44:45], 0
	s_and_saveexec_b64 s[8:9], s[2:3]
	s_cbranch_execz .LBB13_22
; %bb.21:
	scratch_load_dwordx4 v[8:11], off, off offset:16
	v_mov_b32_e32 v7, 0
	ds_read_b128 v[44:47], v7 offset:240
	s_waitcnt vmcnt(0) lgkmcnt(0)
	v_mul_f64 v[12:13], v[44:45], v[10:11]
	v_mul_f64 v[10:11], v[46:47], v[10:11]
	v_fmac_f64_e32 v[12:13], v[46:47], v[8:9]
	v_fma_f64 v[8:9], v[44:45], v[8:9], -v[10:11]
	v_add_f64 v[2:3], v[2:3], v[12:13]
	v_add_f64 v[4:5], v[4:5], v[8:9]
.LBB13_22:
	s_or_b64 exec, exec, s[8:9]
	v_mov_b32_e32 v7, 0
	ds_read_b128 v[8:11], v7 offset:32
	s_waitcnt lgkmcnt(0)
	v_mul_f64 v[44:45], v[2:3], v[10:11]
	v_mul_f64 v[12:13], v[4:5], v[10:11]
	v_fma_f64 v[10:11], v[4:5], v[8:9], -v[44:45]
	v_fmac_f64_e32 v[12:13], v[2:3], v[8:9]
	scratch_store_dwordx4 off, v[10:13], off offset:32
.LBB13_23:
	s_or_b64 exec, exec, s[6:7]
	; wave barrier
	scratch_load_dwordx4 v[2:5], off, s15
	v_cmp_gt_u32_e32 vcc, 3, v1
	v_add_u32_e32 v7, -1, v1
	s_waitcnt vmcnt(0)
	ds_write_b128 v6, v[2:5]
	s_waitcnt lgkmcnt(0)
	; wave barrier
	s_and_saveexec_b64 s[2:3], vcc
	s_cbranch_execz .LBB13_27
; %bb.24:
	v_add_u32_e32 v8, -1, v1
	v_add_u32_e32 v9, 0xe0, v14
	v_mov_b32_e32 v10, v14
	v_mov_b64_e32 v[2:3], 0
	s_mov_b64 s[6:7], 0
	v_mov_b64_e32 v[4:5], 0
.LBB13_25:                              ; =>This Inner Loop Header: Depth=1
	scratch_load_dwordx4 v[44:47], v10, off
	ds_read_b128 v[48:51], v9
	v_add_u32_e32 v8, 1, v8
	v_cmp_lt_u32_e32 vcc, 1, v8
	v_add_u32_e32 v9, 16, v9
	v_add_u32_e32 v10, 16, v10
	s_or_b64 s[6:7], vcc, s[6:7]
	s_waitcnt vmcnt(0) lgkmcnt(0)
	v_mul_f64 v[12:13], v[50:51], v[46:47]
	v_mul_f64 v[46:47], v[48:49], v[46:47]
	v_fma_f64 v[12:13], v[48:49], v[44:45], -v[12:13]
	v_fmac_f64_e32 v[46:47], v[50:51], v[44:45]
	v_add_f64 v[4:5], v[4:5], v[12:13]
	v_add_f64 v[2:3], v[2:3], v[46:47]
	s_andn2_b64 exec, exec, s[6:7]
	s_cbranch_execnz .LBB13_25
; %bb.26:
	s_or_b64 exec, exec, s[6:7]
	v_mov_b32_e32 v8, 0
	ds_read_b128 v[8:11], v8 offset:48
	s_waitcnt lgkmcnt(0)
	v_mul_f64 v[44:45], v[2:3], v[10:11]
	v_mul_f64 v[12:13], v[4:5], v[10:11]
	v_fma_f64 v[10:11], v[4:5], v[8:9], -v[44:45]
	v_fmac_f64_e32 v[12:13], v[2:3], v[8:9]
	scratch_store_dwordx4 off, v[10:13], off offset:48
.LBB13_27:
	s_or_b64 exec, exec, s[2:3]
	; wave barrier
	scratch_load_dwordx4 v[2:5], off, s17
	v_cmp_gt_u32_e32 vcc, 4, v1
	s_waitcnt vmcnt(0)
	ds_write_b128 v6, v[2:5]
	s_waitcnt lgkmcnt(0)
	; wave barrier
	s_and_saveexec_b64 s[2:3], vcc
	s_cbranch_execz .LBB13_31
; %bb.28:
	v_add_u32_e32 v8, -1, v1
	v_add_u32_e32 v9, 0xe0, v14
	v_mov_b32_e32 v10, v14
	v_mov_b64_e32 v[2:3], 0
	s_mov_b64 s[6:7], 0
	v_mov_b64_e32 v[4:5], 0
.LBB13_29:                              ; =>This Inner Loop Header: Depth=1
	scratch_load_dwordx4 v[44:47], v10, off
	ds_read_b128 v[48:51], v9
	v_add_u32_e32 v8, 1, v8
	v_cmp_lt_u32_e32 vcc, 2, v8
	v_add_u32_e32 v9, 16, v9
	v_add_u32_e32 v10, 16, v10
	s_or_b64 s[6:7], vcc, s[6:7]
	s_waitcnt vmcnt(0) lgkmcnt(0)
	v_mul_f64 v[12:13], v[50:51], v[46:47]
	v_mul_f64 v[46:47], v[48:49], v[46:47]
	v_fma_f64 v[12:13], v[48:49], v[44:45], -v[12:13]
	v_fmac_f64_e32 v[46:47], v[50:51], v[44:45]
	v_add_f64 v[4:5], v[4:5], v[12:13]
	v_add_f64 v[2:3], v[2:3], v[46:47]
	s_andn2_b64 exec, exec, s[6:7]
	s_cbranch_execnz .LBB13_29
; %bb.30:
	s_or_b64 exec, exec, s[6:7]
	v_mov_b32_e32 v8, 0
	ds_read_b128 v[8:11], v8 offset:64
	s_waitcnt lgkmcnt(0)
	v_mul_f64 v[44:45], v[2:3], v[10:11]
	v_mul_f64 v[12:13], v[4:5], v[10:11]
	v_fma_f64 v[10:11], v[4:5], v[8:9], -v[44:45]
	v_fmac_f64_e32 v[12:13], v[2:3], v[8:9]
	scratch_store_dwordx4 off, v[10:13], off offset:64
.LBB13_31:
	s_or_b64 exec, exec, s[2:3]
	; wave barrier
	scratch_load_dwordx4 v[2:5], off, s19
	v_cmp_gt_u32_e32 vcc, 5, v1
	;; [unrolled: 45-line block ×9, first 2 shown]
	s_waitcnt vmcnt(0)
	ds_write_b128 v6, v[2:5]
	s_waitcnt lgkmcnt(0)
	; wave barrier
	s_and_saveexec_b64 s[2:3], vcc
	s_cbranch_execz .LBB13_63
; %bb.60:
	v_add_u32_e32 v8, -1, v1
	v_add_u32_e32 v9, 0xe0, v14
	v_mov_b32_e32 v10, v14
	v_mov_b64_e32 v[2:3], 0
	s_mov_b64 s[6:7], 0
	v_mov_b64_e32 v[4:5], 0
.LBB13_61:                              ; =>This Inner Loop Header: Depth=1
	scratch_load_dwordx4 v[44:47], v10, off
	ds_read_b128 v[48:51], v9
	v_add_u32_e32 v8, 1, v8
	v_cmp_lt_u32_e32 vcc, 10, v8
	v_add_u32_e32 v9, 16, v9
	v_add_u32_e32 v10, 16, v10
	s_or_b64 s[6:7], vcc, s[6:7]
	s_waitcnt vmcnt(0) lgkmcnt(0)
	v_mul_f64 v[12:13], v[50:51], v[46:47]
	v_mul_f64 v[46:47], v[48:49], v[46:47]
	v_fma_f64 v[12:13], v[48:49], v[44:45], -v[12:13]
	v_fmac_f64_e32 v[46:47], v[50:51], v[44:45]
	v_add_f64 v[4:5], v[4:5], v[12:13]
	v_add_f64 v[2:3], v[2:3], v[46:47]
	s_andn2_b64 exec, exec, s[6:7]
	s_cbranch_execnz .LBB13_61
; %bb.62:
	s_or_b64 exec, exec, s[6:7]
	v_mov_b32_e32 v8, 0
	ds_read_b128 v[8:11], v8 offset:192
	s_waitcnt lgkmcnt(0)
	v_mul_f64 v[44:45], v[2:3], v[10:11]
	v_mul_f64 v[12:13], v[4:5], v[10:11]
	v_fma_f64 v[10:11], v[4:5], v[8:9], -v[44:45]
	v_fmac_f64_e32 v[12:13], v[2:3], v[8:9]
	scratch_store_dwordx4 off, v[10:13], off offset:192
.LBB13_63:
	s_or_b64 exec, exec, s[2:3]
	; wave barrier
	scratch_load_dwordx4 v[2:5], off, s30
	v_cmp_ne_u32_e32 vcc, 13, v1
	s_waitcnt vmcnt(0)
	ds_write_b128 v6, v[2:5]
	s_waitcnt lgkmcnt(0)
	; wave barrier
	s_and_saveexec_b64 s[2:3], vcc
	s_cbranch_execz .LBB13_67
; %bb.64:
	v_add_u32_e32 v6, 0xe0, v14
	v_mov_b32_e32 v8, v14
	v_mov_b64_e32 v[2:3], 0
	s_mov_b64 s[6:7], 0
	v_mov_b64_e32 v[4:5], 0
.LBB13_65:                              ; =>This Inner Loop Header: Depth=1
	scratch_load_dwordx4 v[10:13], v8, off
	ds_read_b128 v[44:47], v6
	v_add_u32_e32 v7, 1, v7
	v_cmp_lt_u32_e32 vcc, 11, v7
	v_add_u32_e32 v6, 16, v6
	v_add_u32_e32 v8, 16, v8
	s_or_b64 s[6:7], vcc, s[6:7]
	s_waitcnt vmcnt(0) lgkmcnt(0)
	v_mul_f64 v[14:15], v[46:47], v[12:13]
	v_mul_f64 v[12:13], v[44:45], v[12:13]
	v_fma_f64 v[14:15], v[44:45], v[10:11], -v[14:15]
	v_fmac_f64_e32 v[12:13], v[46:47], v[10:11]
	v_add_f64 v[4:5], v[4:5], v[14:15]
	v_add_f64 v[2:3], v[2:3], v[12:13]
	s_andn2_b64 exec, exec, s[6:7]
	s_cbranch_execnz .LBB13_65
; %bb.66:
	s_or_b64 exec, exec, s[6:7]
	v_mov_b32_e32 v6, 0
	ds_read_b128 v[6:9], v6 offset:208
	s_waitcnt lgkmcnt(0)
	v_mul_f64 v[12:13], v[2:3], v[8:9]
	v_mul_f64 v[10:11], v[4:5], v[8:9]
	v_fma_f64 v[8:9], v[4:5], v[6:7], -v[12:13]
	v_fmac_f64_e32 v[10:11], v[2:3], v[6:7]
	scratch_store_dwordx4 off, v[8:11], off offset:208
.LBB13_67:
	s_or_b64 exec, exec, s[2:3]
	s_mov_b64 s[6:7], -1
	; wave barrier
.LBB13_68:
	s_and_b64 vcc, exec, s[6:7]
	s_cbranch_vccz .LBB13_70
; %bb.69:
	s_lshl_b64 s[2:3], s[4:5], 2
	s_add_u32 s2, s10, s2
	s_addc_u32 s3, s11, s3
	v_mov_b32_e32 v2, 0
	global_load_dword v2, v2, s[2:3]
	s_waitcnt vmcnt(0)
	v_cmp_ne_u32_e32 vcc, 0, v2
	s_cbranch_vccz .LBB13_71
.LBB13_70:
	s_endpgm
.LBB13_71:
	v_mov_b32_e32 v2, 0xe0
	v_lshl_add_u32 v44, v1, 4, v2
	v_cmp_eq_u32_e32 vcc, 13, v1
	s_and_saveexec_b64 s[2:3], vcc
	s_cbranch_execz .LBB13_73
; %bb.72:
	scratch_load_dwordx4 v[2:5], off, s29
	v_mov_b32_e32 v6, 0
	v_mov_b32_e32 v7, v6
	;; [unrolled: 1-line block ×4, first 2 shown]
	scratch_store_dwordx4 off, v[6:9], off offset:192
	s_waitcnt vmcnt(1)
	ds_write_b128 v44, v[2:5]
.LBB13_73:
	s_or_b64 exec, exec, s[2:3]
	s_waitcnt lgkmcnt(0)
	; wave barrier
	scratch_load_dwordx4 v[4:7], off, off offset:208
	scratch_load_dwordx4 v[8:11], off, off offset:192
	v_mov_b32_e32 v2, 0
	ds_read_b128 v[12:15], v2 offset:432
	v_cmp_lt_u32_e32 vcc, 11, v1
	s_waitcnt vmcnt(1) lgkmcnt(0)
	v_mul_f64 v[46:47], v[12:13], v[6:7]
	v_mul_f64 v[6:7], v[14:15], v[6:7]
	v_fmac_f64_e32 v[46:47], v[14:15], v[4:5]
	v_fma_f64 v[4:5], v[12:13], v[4:5], -v[6:7]
	v_add_f64 v[6:7], v[46:47], 0
	v_add_f64 v[4:5], v[4:5], 0
	s_waitcnt vmcnt(0)
	v_add_f64 v[4:5], v[8:9], -v[4:5]
	v_add_f64 v[6:7], v[10:11], -v[6:7]
	scratch_store_dwordx4 off, v[4:7], off offset:192
	s_and_saveexec_b64 s[2:3], vcc
	s_cbranch_execz .LBB13_75
; %bb.74:
	scratch_load_dwordx4 v[6:9], off, s27
	v_mov_b32_e32 v3, v2
	v_mov_b32_e32 v4, v2
	;; [unrolled: 1-line block ×3, first 2 shown]
	scratch_store_dwordx4 off, v[2:5], off offset:176
	s_waitcnt vmcnt(1)
	ds_write_b128 v44, v[6:9]
.LBB13_75:
	s_or_b64 exec, exec, s[2:3]
	s_waitcnt lgkmcnt(0)
	; wave barrier
	scratch_load_dwordx4 v[4:7], off, off offset:192
	scratch_load_dwordx4 v[8:11], off, off offset:208
	;; [unrolled: 1-line block ×3, first 2 shown]
	ds_read_b128 v[46:49], v2 offset:416
	ds_read_b128 v[50:53], v2 offset:432
	v_cmp_lt_u32_e32 vcc, 10, v1
	s_waitcnt vmcnt(2) lgkmcnt(1)
	v_mul_f64 v[2:3], v[46:47], v[6:7]
	v_mul_f64 v[6:7], v[48:49], v[6:7]
	s_waitcnt vmcnt(1) lgkmcnt(0)
	v_mul_f64 v[54:55], v[50:51], v[10:11]
	v_mul_f64 v[10:11], v[52:53], v[10:11]
	v_fmac_f64_e32 v[2:3], v[48:49], v[4:5]
	v_fma_f64 v[4:5], v[46:47], v[4:5], -v[6:7]
	v_fmac_f64_e32 v[54:55], v[52:53], v[8:9]
	v_fma_f64 v[6:7], v[50:51], v[8:9], -v[10:11]
	v_add_f64 v[2:3], v[2:3], 0
	v_add_f64 v[4:5], v[4:5], 0
	;; [unrolled: 1-line block ×4, first 2 shown]
	s_waitcnt vmcnt(0)
	v_add_f64 v[2:3], v[12:13], -v[2:3]
	v_add_f64 v[4:5], v[14:15], -v[8:9]
	scratch_store_dwordx4 off, v[2:5], off offset:176
	s_and_saveexec_b64 s[2:3], vcc
	s_cbranch_execz .LBB13_77
; %bb.76:
	scratch_load_dwordx4 v[2:5], off, s25
	v_mov_b32_e32 v6, 0
	v_mov_b32_e32 v7, v6
	;; [unrolled: 1-line block ×4, first 2 shown]
	scratch_store_dwordx4 off, v[6:9], off offset:160
	s_waitcnt vmcnt(1)
	ds_write_b128 v44, v[2:5]
.LBB13_77:
	s_or_b64 exec, exec, s[2:3]
	s_waitcnt lgkmcnt(0)
	; wave barrier
	scratch_load_dwordx4 v[4:7], off, off offset:176
	scratch_load_dwordx4 v[8:11], off, off offset:192
	;; [unrolled: 1-line block ×4, first 2 shown]
	v_mov_b32_e32 v2, 0
	ds_read_b128 v[50:53], v2 offset:400
	ds_read_b128 v[54:57], v2 offset:416
	;; [unrolled: 1-line block ×3, first 2 shown]
	v_cmp_lt_u32_e32 vcc, 9, v1
	s_waitcnt vmcnt(3) lgkmcnt(2)
	v_mul_f64 v[62:63], v[50:51], v[6:7]
	v_mul_f64 v[6:7], v[52:53], v[6:7]
	s_waitcnt vmcnt(2) lgkmcnt(1)
	v_mul_f64 v[64:65], v[54:55], v[10:11]
	v_mul_f64 v[10:11], v[56:57], v[10:11]
	v_fmac_f64_e32 v[62:63], v[52:53], v[4:5]
	v_fma_f64 v[4:5], v[50:51], v[4:5], -v[6:7]
	s_waitcnt vmcnt(1) lgkmcnt(0)
	v_mul_f64 v[66:67], v[58:59], v[14:15]
	v_mul_f64 v[14:15], v[60:61], v[14:15]
	v_fmac_f64_e32 v[64:65], v[56:57], v[8:9]
	v_fma_f64 v[6:7], v[54:55], v[8:9], -v[10:11]
	v_add_f64 v[10:11], v[62:63], 0
	v_add_f64 v[4:5], v[4:5], 0
	v_fmac_f64_e32 v[66:67], v[60:61], v[12:13]
	v_fma_f64 v[8:9], v[58:59], v[12:13], -v[14:15]
	v_add_f64 v[10:11], v[10:11], v[64:65]
	v_add_f64 v[4:5], v[4:5], v[6:7]
	;; [unrolled: 1-line block ×4, first 2 shown]
	s_waitcnt vmcnt(0)
	v_add_f64 v[4:5], v[46:47], -v[4:5]
	v_add_f64 v[6:7], v[48:49], -v[6:7]
	scratch_store_dwordx4 off, v[4:7], off offset:160
	s_and_saveexec_b64 s[2:3], vcc
	s_cbranch_execz .LBB13_79
; %bb.78:
	scratch_load_dwordx4 v[6:9], off, s18
	v_mov_b32_e32 v3, v2
	v_mov_b32_e32 v4, v2
	;; [unrolled: 1-line block ×3, first 2 shown]
	scratch_store_dwordx4 off, v[2:5], off offset:144
	s_waitcnt vmcnt(1)
	ds_write_b128 v44, v[6:9]
.LBB13_79:
	s_or_b64 exec, exec, s[2:3]
	s_waitcnt lgkmcnt(0)
	; wave barrier
	scratch_load_dwordx4 v[4:7], off, off offset:160
	scratch_load_dwordx4 v[8:11], off, off offset:176
	;; [unrolled: 1-line block ×5, first 2 shown]
	ds_read_b128 v[54:57], v2 offset:384
	ds_read_b128 v[58:61], v2 offset:400
	;; [unrolled: 1-line block ×4, first 2 shown]
	v_cmp_lt_u32_e32 vcc, 8, v1
	s_waitcnt vmcnt(4) lgkmcnt(3)
	v_mul_f64 v[2:3], v[54:55], v[6:7]
	v_mul_f64 v[6:7], v[56:57], v[6:7]
	s_waitcnt vmcnt(3) lgkmcnt(2)
	v_mul_f64 v[70:71], v[58:59], v[10:11]
	v_mul_f64 v[10:11], v[60:61], v[10:11]
	v_fmac_f64_e32 v[2:3], v[56:57], v[4:5]
	v_fma_f64 v[4:5], v[54:55], v[4:5], -v[6:7]
	s_waitcnt vmcnt(2) lgkmcnt(1)
	v_mul_f64 v[72:73], v[62:63], v[14:15]
	v_mul_f64 v[14:15], v[64:65], v[14:15]
	v_fmac_f64_e32 v[70:71], v[60:61], v[8:9]
	v_fma_f64 v[6:7], v[58:59], v[8:9], -v[10:11]
	v_add_f64 v[2:3], v[2:3], 0
	v_add_f64 v[4:5], v[4:5], 0
	s_waitcnt vmcnt(1) lgkmcnt(0)
	v_mul_f64 v[74:75], v[66:67], v[48:49]
	v_mul_f64 v[48:49], v[68:69], v[48:49]
	v_fmac_f64_e32 v[72:73], v[64:65], v[12:13]
	v_fma_f64 v[8:9], v[62:63], v[12:13], -v[14:15]
	v_add_f64 v[2:3], v[2:3], v[70:71]
	v_add_f64 v[4:5], v[4:5], v[6:7]
	v_fmac_f64_e32 v[74:75], v[68:69], v[46:47]
	v_fma_f64 v[10:11], v[66:67], v[46:47], -v[48:49]
	v_add_f64 v[2:3], v[2:3], v[72:73]
	v_add_f64 v[4:5], v[4:5], v[8:9]
	;; [unrolled: 1-line block ×4, first 2 shown]
	s_waitcnt vmcnt(0)
	v_add_f64 v[2:3], v[50:51], -v[2:3]
	v_add_f64 v[4:5], v[52:53], -v[6:7]
	scratch_store_dwordx4 off, v[2:5], off offset:144
	s_and_saveexec_b64 s[2:3], vcc
	s_cbranch_execz .LBB13_81
; %bb.80:
	scratch_load_dwordx4 v[2:5], off, s16
	v_mov_b32_e32 v6, 0
	v_mov_b32_e32 v7, v6
	;; [unrolled: 1-line block ×4, first 2 shown]
	scratch_store_dwordx4 off, v[6:9], off offset:128
	s_waitcnt vmcnt(1)
	ds_write_b128 v44, v[2:5]
.LBB13_81:
	s_or_b64 exec, exec, s[2:3]
	s_waitcnt lgkmcnt(0)
	; wave barrier
	scratch_load_dwordx4 v[4:7], off, off offset:144
	scratch_load_dwordx4 v[8:11], off, off offset:160
	;; [unrolled: 1-line block ×6, first 2 shown]
	v_mov_b32_e32 v2, 0
	ds_read_b128 v[58:61], v2 offset:368
	ds_read_b128 v[62:65], v2 offset:384
	;; [unrolled: 1-line block ×5, first 2 shown]
	v_cmp_lt_u32_e32 vcc, 7, v1
	s_waitcnt vmcnt(5) lgkmcnt(4)
	v_mul_f64 v[78:79], v[58:59], v[6:7]
	v_mul_f64 v[6:7], v[60:61], v[6:7]
	s_waitcnt vmcnt(4) lgkmcnt(3)
	v_mul_f64 v[80:81], v[62:63], v[10:11]
	s_waitcnt vmcnt(3) lgkmcnt(2)
	v_mul_f64 v[82:83], v[66:67], v[14:15]
	v_mul_f64 v[10:11], v[64:65], v[10:11]
	;; [unrolled: 1-line block ×3, first 2 shown]
	v_fmac_f64_e32 v[78:79], v[60:61], v[4:5]
	v_fma_f64 v[4:5], v[58:59], v[4:5], -v[6:7]
	v_fmac_f64_e32 v[80:81], v[64:65], v[8:9]
	v_fma_f64 v[6:7], v[62:63], v[8:9], -v[10:11]
	v_fma_f64 v[8:9], v[66:67], v[12:13], -v[14:15]
	v_add_f64 v[14:15], v[78:79], 0
	v_add_f64 v[4:5], v[4:5], 0
	s_waitcnt vmcnt(2) lgkmcnt(1)
	v_mul_f64 v[84:85], v[70:71], v[48:49]
	v_mul_f64 v[48:49], v[72:73], v[48:49]
	v_fmac_f64_e32 v[82:83], v[68:69], v[12:13]
	v_add_f64 v[14:15], v[14:15], v[80:81]
	v_add_f64 v[4:5], v[4:5], v[6:7]
	s_waitcnt vmcnt(1) lgkmcnt(0)
	v_mul_f64 v[86:87], v[74:75], v[52:53]
	v_mul_f64 v[52:53], v[76:77], v[52:53]
	v_fmac_f64_e32 v[84:85], v[72:73], v[46:47]
	v_fma_f64 v[10:11], v[70:71], v[46:47], -v[48:49]
	v_add_f64 v[6:7], v[14:15], v[82:83]
	v_add_f64 v[4:5], v[4:5], v[8:9]
	v_fmac_f64_e32 v[86:87], v[76:77], v[50:51]
	v_fma_f64 v[12:13], v[74:75], v[50:51], -v[52:53]
	v_add_f64 v[6:7], v[6:7], v[84:85]
	v_add_f64 v[4:5], v[4:5], v[10:11]
	v_add_f64 v[6:7], v[6:7], v[86:87]
	v_add_f64 v[4:5], v[4:5], v[12:13]
	s_waitcnt vmcnt(0)
	v_add_f64 v[4:5], v[54:55], -v[4:5]
	v_add_f64 v[6:7], v[56:57], -v[6:7]
	scratch_store_dwordx4 off, v[4:7], off offset:128
	s_and_saveexec_b64 s[2:3], vcc
	s_cbranch_execz .LBB13_83
; %bb.82:
	scratch_load_dwordx4 v[6:9], off, s28
	v_mov_b32_e32 v3, v2
	v_mov_b32_e32 v4, v2
	;; [unrolled: 1-line block ×3, first 2 shown]
	scratch_store_dwordx4 off, v[2:5], off offset:112
	s_waitcnt vmcnt(1)
	ds_write_b128 v44, v[6:9]
.LBB13_83:
	s_or_b64 exec, exec, s[2:3]
	s_waitcnt lgkmcnt(0)
	; wave barrier
	scratch_load_dwordx4 v[4:7], off, off offset:128
	scratch_load_dwordx4 v[8:11], off, off offset:144
	;; [unrolled: 1-line block ×7, first 2 shown]
	ds_read_b128 v[62:65], v2 offset:352
	ds_read_b128 v[66:69], v2 offset:368
	;; [unrolled: 1-line block ×6, first 2 shown]
	v_cmp_lt_u32_e32 vcc, 6, v1
	s_waitcnt vmcnt(6) lgkmcnt(5)
	v_mul_f64 v[2:3], v[62:63], v[6:7]
	v_mul_f64 v[6:7], v[64:65], v[6:7]
	s_waitcnt vmcnt(5) lgkmcnt(4)
	v_mul_f64 v[86:87], v[66:67], v[10:11]
	v_mul_f64 v[10:11], v[68:69], v[10:11]
	v_fmac_f64_e32 v[2:3], v[64:65], v[4:5]
	v_fma_f64 v[4:5], v[62:63], v[4:5], -v[6:7]
	s_waitcnt vmcnt(4) lgkmcnt(3)
	v_mul_f64 v[88:89], v[70:71], v[14:15]
	v_mul_f64 v[14:15], v[72:73], v[14:15]
	v_fmac_f64_e32 v[86:87], v[68:69], v[8:9]
	v_fma_f64 v[6:7], v[66:67], v[8:9], -v[10:11]
	v_add_f64 v[2:3], v[2:3], 0
	v_add_f64 v[4:5], v[4:5], 0
	s_waitcnt vmcnt(3) lgkmcnt(2)
	v_mul_f64 v[90:91], v[74:75], v[48:49]
	v_mul_f64 v[48:49], v[76:77], v[48:49]
	v_fmac_f64_e32 v[88:89], v[72:73], v[12:13]
	v_fma_f64 v[8:9], v[70:71], v[12:13], -v[14:15]
	v_add_f64 v[2:3], v[2:3], v[86:87]
	v_add_f64 v[4:5], v[4:5], v[6:7]
	;; [unrolled: 7-line block ×4, first 2 shown]
	v_fmac_f64_e32 v[94:95], v[84:85], v[54:55]
	v_fma_f64 v[14:15], v[82:83], v[54:55], -v[56:57]
	v_add_f64 v[2:3], v[2:3], v[92:93]
	v_add_f64 v[4:5], v[4:5], v[12:13]
	;; [unrolled: 1-line block ×4, first 2 shown]
	s_waitcnt vmcnt(0)
	v_add_f64 v[2:3], v[58:59], -v[2:3]
	v_add_f64 v[4:5], v[60:61], -v[6:7]
	scratch_store_dwordx4 off, v[2:5], off offset:112
	s_and_saveexec_b64 s[2:3], vcc
	s_cbranch_execz .LBB13_85
; %bb.84:
	scratch_load_dwordx4 v[2:5], off, s26
	v_mov_b32_e32 v6, 0
	v_mov_b32_e32 v7, v6
	;; [unrolled: 1-line block ×4, first 2 shown]
	scratch_store_dwordx4 off, v[6:9], off offset:96
	s_waitcnt vmcnt(1)
	ds_write_b128 v44, v[2:5]
.LBB13_85:
	s_or_b64 exec, exec, s[2:3]
	s_waitcnt lgkmcnt(0)
	; wave barrier
	scratch_load_dwordx4 v[4:7], off, off offset:112
	scratch_load_dwordx4 v[8:11], off, off offset:128
	;; [unrolled: 1-line block ×8, first 2 shown]
	v_mov_b32_e32 v2, 0
	ds_read_b128 v[66:69], v2 offset:336
	ds_read_b128 v[70:73], v2 offset:352
	;; [unrolled: 1-line block ×7, first 2 shown]
	v_cmp_lt_u32_e32 vcc, 5, v1
	s_waitcnt vmcnt(7) lgkmcnt(6)
	v_mul_f64 v[94:95], v[66:67], v[6:7]
	v_mul_f64 v[6:7], v[68:69], v[6:7]
	s_waitcnt vmcnt(6) lgkmcnt(5)
	v_mul_f64 v[96:97], v[70:71], v[10:11]
	s_waitcnt vmcnt(4) lgkmcnt(3)
	v_mul_f64 v[100:101], v[78:79], v[48:49]
	v_mul_f64 v[10:11], v[72:73], v[10:11]
	v_mul_f64 v[48:49], v[80:81], v[48:49]
	v_fmac_f64_e32 v[94:95], v[68:69], v[4:5]
	v_fma_f64 v[4:5], v[66:67], v[4:5], -v[6:7]
	v_mul_f64 v[98:99], v[74:75], v[14:15]
	v_mul_f64 v[14:15], v[76:77], v[14:15]
	v_fmac_f64_e32 v[96:97], v[72:73], v[8:9]
	v_fma_f64 v[6:7], v[70:71], v[8:9], -v[10:11]
	v_fma_f64 v[10:11], v[78:79], v[46:47], -v[48:49]
	v_add_f64 v[48:49], v[94:95], 0
	v_add_f64 v[4:5], v[4:5], 0
	v_fmac_f64_e32 v[98:99], v[76:77], v[12:13]
	v_fma_f64 v[8:9], v[74:75], v[12:13], -v[14:15]
	v_add_f64 v[48:49], v[48:49], v[96:97]
	v_add_f64 v[4:5], v[4:5], v[6:7]
	s_waitcnt vmcnt(3) lgkmcnt(2)
	v_mul_f64 v[102:103], v[82:83], v[52:53]
	v_mul_f64 v[52:53], v[84:85], v[52:53]
	v_fmac_f64_e32 v[100:101], v[80:81], v[46:47]
	v_add_f64 v[6:7], v[48:49], v[98:99]
	v_add_f64 v[4:5], v[4:5], v[8:9]
	s_waitcnt vmcnt(2) lgkmcnt(1)
	v_mul_f64 v[104:105], v[86:87], v[56:57]
	v_mul_f64 v[56:57], v[88:89], v[56:57]
	v_fmac_f64_e32 v[102:103], v[84:85], v[50:51]
	v_fma_f64 v[12:13], v[82:83], v[50:51], -v[52:53]
	v_add_f64 v[6:7], v[6:7], v[100:101]
	v_add_f64 v[4:5], v[4:5], v[10:11]
	s_waitcnt vmcnt(1) lgkmcnt(0)
	v_mul_f64 v[106:107], v[90:91], v[60:61]
	v_mul_f64 v[60:61], v[92:93], v[60:61]
	v_fmac_f64_e32 v[104:105], v[88:89], v[54:55]
	v_fma_f64 v[14:15], v[86:87], v[54:55], -v[56:57]
	v_add_f64 v[6:7], v[6:7], v[102:103]
	v_add_f64 v[4:5], v[4:5], v[12:13]
	v_fmac_f64_e32 v[106:107], v[92:93], v[58:59]
	v_fma_f64 v[46:47], v[90:91], v[58:59], -v[60:61]
	v_add_f64 v[6:7], v[6:7], v[104:105]
	v_add_f64 v[4:5], v[4:5], v[14:15]
	;; [unrolled: 1-line block ×4, first 2 shown]
	s_waitcnt vmcnt(0)
	v_add_f64 v[4:5], v[62:63], -v[4:5]
	v_add_f64 v[6:7], v[64:65], -v[6:7]
	scratch_store_dwordx4 off, v[4:7], off offset:96
	s_and_saveexec_b64 s[2:3], vcc
	s_cbranch_execz .LBB13_87
; %bb.86:
	scratch_load_dwordx4 v[6:9], off, s19
	v_mov_b32_e32 v3, v2
	v_mov_b32_e32 v4, v2
	;; [unrolled: 1-line block ×3, first 2 shown]
	scratch_store_dwordx4 off, v[2:5], off offset:80
	s_waitcnt vmcnt(1)
	ds_write_b128 v44, v[6:9]
.LBB13_87:
	s_or_b64 exec, exec, s[2:3]
	s_waitcnt lgkmcnt(0)
	; wave barrier
	scratch_load_dwordx4 v[4:7], off, off offset:96
	scratch_load_dwordx4 v[8:11], off, off offset:112
	;; [unrolled: 1-line block ×9, first 2 shown]
	ds_read_b128 v[70:73], v2 offset:320
	ds_read_b128 v[74:77], v2 offset:336
	;; [unrolled: 1-line block ×8, first 2 shown]
	v_cmp_lt_u32_e32 vcc, 4, v1
	s_waitcnt vmcnt(8) lgkmcnt(7)
	v_mul_f64 v[2:3], v[70:71], v[6:7]
	v_mul_f64 v[6:7], v[72:73], v[6:7]
	s_waitcnt vmcnt(7) lgkmcnt(6)
	v_mul_f64 v[102:103], v[74:75], v[10:11]
	v_mul_f64 v[10:11], v[76:77], v[10:11]
	v_fmac_f64_e32 v[2:3], v[72:73], v[4:5]
	v_fma_f64 v[4:5], v[70:71], v[4:5], -v[6:7]
	s_waitcnt vmcnt(6) lgkmcnt(5)
	v_mul_f64 v[104:105], v[78:79], v[14:15]
	v_mul_f64 v[14:15], v[80:81], v[14:15]
	v_fmac_f64_e32 v[102:103], v[76:77], v[8:9]
	v_fma_f64 v[6:7], v[74:75], v[8:9], -v[10:11]
	v_add_f64 v[2:3], v[2:3], 0
	v_add_f64 v[4:5], v[4:5], 0
	s_waitcnt vmcnt(5) lgkmcnt(4)
	v_mul_f64 v[106:107], v[82:83], v[48:49]
	v_mul_f64 v[48:49], v[84:85], v[48:49]
	v_fmac_f64_e32 v[104:105], v[80:81], v[12:13]
	v_fma_f64 v[8:9], v[78:79], v[12:13], -v[14:15]
	v_add_f64 v[2:3], v[2:3], v[102:103]
	v_add_f64 v[4:5], v[4:5], v[6:7]
	;; [unrolled: 7-line block ×6, first 2 shown]
	v_fmac_f64_e32 v[114:115], v[100:101], v[62:63]
	v_fma_f64 v[48:49], v[98:99], v[62:63], -v[64:65]
	v_add_f64 v[2:3], v[2:3], v[112:113]
	v_add_f64 v[4:5], v[4:5], v[46:47]
	v_add_f64 v[6:7], v[2:3], v[114:115]
	v_add_f64 v[2:3], v[4:5], v[48:49]
	s_waitcnt vmcnt(0)
	v_add_f64 v[2:3], v[66:67], -v[2:3]
	v_add_f64 v[4:5], v[68:69], -v[6:7]
	scratch_store_dwordx4 off, v[2:5], off offset:80
	s_and_saveexec_b64 s[2:3], vcc
	s_cbranch_execz .LBB13_89
; %bb.88:
	scratch_load_dwordx4 v[2:5], off, s17
	v_mov_b32_e32 v6, 0
	v_mov_b32_e32 v7, v6
	;; [unrolled: 1-line block ×4, first 2 shown]
	scratch_store_dwordx4 off, v[6:9], off offset:64
	s_waitcnt vmcnt(1)
	ds_write_b128 v44, v[2:5]
.LBB13_89:
	s_or_b64 exec, exec, s[2:3]
	s_waitcnt lgkmcnt(0)
	; wave barrier
	scratch_load_dwordx4 v[4:7], off, off offset:80
	scratch_load_dwordx4 v[8:11], off, off offset:96
	;; [unrolled: 1-line block ×10, first 2 shown]
	v_mov_b32_e32 v2, 0
	ds_read_b128 v[74:77], v2 offset:304
	ds_read_b128 v[78:81], v2 offset:320
	;; [unrolled: 1-line block ×9, first 2 shown]
	v_cmp_lt_u32_e32 vcc, 3, v1
	s_waitcnt vmcnt(9) lgkmcnt(8)
	v_mul_f64 v[110:111], v[74:75], v[6:7]
	v_mul_f64 v[6:7], v[76:77], v[6:7]
	s_waitcnt vmcnt(8) lgkmcnt(7)
	v_mul_f64 v[112:113], v[78:79], v[10:11]
	s_waitcnt vmcnt(7) lgkmcnt(6)
	;; [unrolled: 2-line block ×3, first 2 shown]
	v_mul_f64 v[118:119], v[90:91], v[52:53]
	v_mul_f64 v[10:11], v[80:81], v[10:11]
	;; [unrolled: 1-line block ×4, first 2 shown]
	v_fmac_f64_e32 v[110:111], v[76:77], v[4:5]
	v_fma_f64 v[4:5], v[74:75], v[4:5], -v[6:7]
	v_fmac_f64_e32 v[112:113], v[80:81], v[8:9]
	v_fmac_f64_e32 v[114:115], v[84:85], v[12:13]
	v_fma_f64 v[6:7], v[78:79], v[8:9], -v[10:11]
	v_fma_f64 v[8:9], v[82:83], v[12:13], -v[14:15]
	;; [unrolled: 1-line block ×3, first 2 shown]
	v_add_f64 v[52:53], v[110:111], 0
	v_add_f64 v[4:5], v[4:5], 0
	v_mul_f64 v[116:117], v[86:87], v[48:49]
	v_mul_f64 v[48:49], v[88:89], v[48:49]
	v_add_f64 v[52:53], v[52:53], v[112:113]
	v_add_f64 v[4:5], v[4:5], v[6:7]
	v_fmac_f64_e32 v[116:117], v[88:89], v[46:47]
	v_fma_f64 v[10:11], v[86:87], v[46:47], -v[48:49]
	v_add_f64 v[6:7], v[52:53], v[114:115]
	v_add_f64 v[4:5], v[4:5], v[8:9]
	s_waitcnt vmcnt(4) lgkmcnt(3)
	v_mul_f64 v[120:121], v[94:95], v[56:57]
	v_mul_f64 v[56:57], v[96:97], v[56:57]
	v_fmac_f64_e32 v[118:119], v[92:93], v[50:51]
	v_add_f64 v[6:7], v[6:7], v[116:117]
	v_add_f64 v[4:5], v[4:5], v[10:11]
	s_waitcnt vmcnt(3) lgkmcnt(2)
	v_mul_f64 v[122:123], v[98:99], v[60:61]
	v_mul_f64 v[60:61], v[100:101], v[60:61]
	v_fmac_f64_e32 v[120:121], v[96:97], v[54:55]
	v_fma_f64 v[14:15], v[94:95], v[54:55], -v[56:57]
	v_add_f64 v[6:7], v[6:7], v[118:119]
	v_add_f64 v[4:5], v[4:5], v[12:13]
	s_waitcnt vmcnt(2) lgkmcnt(1)
	v_mul_f64 v[124:125], v[102:103], v[64:65]
	v_mul_f64 v[64:65], v[104:105], v[64:65]
	v_fmac_f64_e32 v[122:123], v[100:101], v[58:59]
	v_fma_f64 v[46:47], v[98:99], v[58:59], -v[60:61]
	;; [unrolled: 7-line block ×3, first 2 shown]
	v_add_f64 v[6:7], v[6:7], v[122:123]
	v_add_f64 v[4:5], v[4:5], v[46:47]
	v_fmac_f64_e32 v[126:127], v[108:109], v[66:67]
	v_fma_f64 v[50:51], v[106:107], v[66:67], -v[68:69]
	v_add_f64 v[6:7], v[6:7], v[124:125]
	v_add_f64 v[4:5], v[4:5], v[48:49]
	;; [unrolled: 1-line block ×4, first 2 shown]
	s_waitcnt vmcnt(0)
	v_add_f64 v[4:5], v[70:71], -v[4:5]
	v_add_f64 v[6:7], v[72:73], -v[6:7]
	scratch_store_dwordx4 off, v[4:7], off offset:64
	s_and_saveexec_b64 s[2:3], vcc
	s_cbranch_execz .LBB13_91
; %bb.90:
	scratch_load_dwordx4 v[6:9], off, s15
	v_mov_b32_e32 v3, v2
	v_mov_b32_e32 v4, v2
	;; [unrolled: 1-line block ×3, first 2 shown]
	scratch_store_dwordx4 off, v[2:5], off offset:48
	s_waitcnt vmcnt(1)
	ds_write_b128 v44, v[6:9]
.LBB13_91:
	s_or_b64 exec, exec, s[2:3]
	s_waitcnt lgkmcnt(0)
	; wave barrier
	scratch_load_dwordx4 v[4:7], off, off offset:64
	scratch_load_dwordx4 v[8:11], off, off offset:80
	scratch_load_dwordx4 v[12:15], off, off offset:96
	scratch_load_dwordx4 v[46:49], off, off offset:112
	scratch_load_dwordx4 v[50:53], off, off offset:128
	scratch_load_dwordx4 v[54:57], off, off offset:144
	scratch_load_dwordx4 v[58:61], off, off offset:160
	scratch_load_dwordx4 v[62:65], off, off offset:176
	scratch_load_dwordx4 v[66:69], off, off offset:192
	scratch_load_dwordx4 v[70:73], off, off offset:208
	scratch_load_dwordx4 v[74:77], off, off offset:48
	ds_read_b128 v[78:81], v2 offset:288
	ds_read_b128 v[82:85], v2 offset:304
	;; [unrolled: 1-line block ×10, first 2 shown]
	v_cmp_lt_u32_e32 vcc, 2, v1
	s_waitcnt vmcnt(10) lgkmcnt(9)
	v_mul_f64 v[2:3], v[78:79], v[6:7]
	v_mul_f64 v[6:7], v[80:81], v[6:7]
	s_waitcnt vmcnt(9) lgkmcnt(8)
	v_mul_f64 v[118:119], v[82:83], v[10:11]
	v_mul_f64 v[10:11], v[84:85], v[10:11]
	v_fmac_f64_e32 v[2:3], v[80:81], v[4:5]
	v_fma_f64 v[4:5], v[78:79], v[4:5], -v[6:7]
	s_waitcnt vmcnt(8) lgkmcnt(7)
	v_mul_f64 v[120:121], v[86:87], v[14:15]
	v_mul_f64 v[14:15], v[88:89], v[14:15]
	v_fmac_f64_e32 v[118:119], v[84:85], v[8:9]
	v_fma_f64 v[6:7], v[82:83], v[8:9], -v[10:11]
	v_add_f64 v[2:3], v[2:3], 0
	v_add_f64 v[4:5], v[4:5], 0
	s_waitcnt vmcnt(7) lgkmcnt(6)
	v_mul_f64 v[122:123], v[90:91], v[48:49]
	v_mul_f64 v[48:49], v[92:93], v[48:49]
	v_fmac_f64_e32 v[120:121], v[88:89], v[12:13]
	v_fma_f64 v[8:9], v[86:87], v[12:13], -v[14:15]
	v_add_f64 v[2:3], v[2:3], v[118:119]
	v_add_f64 v[4:5], v[4:5], v[6:7]
	;; [unrolled: 7-line block ×8, first 2 shown]
	v_fmac_f64_e32 v[134:135], v[116:117], v[70:71]
	v_fma_f64 v[52:53], v[114:115], v[70:71], -v[72:73]
	v_add_f64 v[2:3], v[2:3], v[132:133]
	v_add_f64 v[4:5], v[4:5], v[50:51]
	;; [unrolled: 1-line block ×4, first 2 shown]
	s_waitcnt vmcnt(0)
	v_add_f64 v[2:3], v[74:75], -v[2:3]
	v_add_f64 v[4:5], v[76:77], -v[6:7]
	scratch_store_dwordx4 off, v[2:5], off offset:48
	s_and_saveexec_b64 s[2:3], vcc
	s_cbranch_execz .LBB13_93
; %bb.92:
	scratch_load_dwordx4 v[2:5], off, s14
	v_mov_b32_e32 v6, 0
	v_mov_b32_e32 v7, v6
	;; [unrolled: 1-line block ×4, first 2 shown]
	scratch_store_dwordx4 off, v[6:9], off offset:32
	s_waitcnt vmcnt(1)
	ds_write_b128 v44, v[2:5]
.LBB13_93:
	s_or_b64 exec, exec, s[2:3]
	s_waitcnt lgkmcnt(0)
	; wave barrier
	scratch_load_dwordx4 v[4:7], off, off offset:48
	scratch_load_dwordx4 v[8:11], off, off offset:64
	;; [unrolled: 1-line block ×12, first 2 shown]
	v_mov_b32_e32 v2, 0
	ds_read_b128 v[82:85], v2 offset:272
	ds_read_b128 v[86:89], v2 offset:288
	;; [unrolled: 1-line block ×11, first 2 shown]
	v_cmp_lt_u32_e32 vcc, 1, v1
	s_waitcnt vmcnt(11) lgkmcnt(10)
	v_mul_f64 v[126:127], v[82:83], v[6:7]
	v_mul_f64 v[6:7], v[84:85], v[6:7]
	s_waitcnt vmcnt(10) lgkmcnt(9)
	v_mul_f64 v[128:129], v[86:87], v[10:11]
	s_waitcnt vmcnt(9) lgkmcnt(8)
	v_mul_f64 v[130:131], v[90:91], v[14:15]
	v_mul_f64 v[10:11], v[88:89], v[10:11]
	s_waitcnt vmcnt(6) lgkmcnt(5)
	v_mul_f64 v[136:137], v[102:103], v[56:57]
	v_mul_f64 v[14:15], v[92:93], v[14:15]
	v_mul_f64 v[56:57], v[104:105], v[56:57]
	v_fmac_f64_e32 v[126:127], v[84:85], v[4:5]
	v_fma_f64 v[4:5], v[82:83], v[4:5], -v[6:7]
	v_fmac_f64_e32 v[128:129], v[88:89], v[8:9]
	v_fma_f64 v[6:7], v[86:87], v[8:9], -v[10:11]
	v_fma_f64 v[8:9], v[90:91], v[12:13], -v[14:15]
	;; [unrolled: 1-line block ×3, first 2 shown]
	v_add_f64 v[56:57], v[126:127], 0
	v_add_f64 v[4:5], v[4:5], 0
	v_mul_f64 v[132:133], v[94:95], v[48:49]
	v_mul_f64 v[48:49], v[96:97], v[48:49]
	v_fmac_f64_e32 v[130:131], v[92:93], v[12:13]
	v_add_f64 v[56:57], v[56:57], v[128:129]
	v_add_f64 v[4:5], v[4:5], v[6:7]
	v_mul_f64 v[134:135], v[98:99], v[52:53]
	v_mul_f64 v[52:53], v[100:101], v[52:53]
	v_fmac_f64_e32 v[132:133], v[96:97], v[46:47]
	v_fma_f64 v[10:11], v[94:95], v[46:47], -v[48:49]
	v_add_f64 v[6:7], v[56:57], v[130:131]
	v_add_f64 v[4:5], v[4:5], v[8:9]
	v_fmac_f64_e32 v[134:135], v[100:101], v[50:51]
	v_fma_f64 v[12:13], v[98:99], v[50:51], -v[52:53]
	v_add_f64 v[6:7], v[6:7], v[132:133]
	v_add_f64 v[4:5], v[4:5], v[10:11]
	s_waitcnt vmcnt(5) lgkmcnt(4)
	v_mul_f64 v[138:139], v[106:107], v[60:61]
	v_mul_f64 v[60:61], v[108:109], v[60:61]
	v_fmac_f64_e32 v[136:137], v[104:105], v[54:55]
	v_add_f64 v[6:7], v[6:7], v[134:135]
	v_add_f64 v[4:5], v[4:5], v[12:13]
	s_waitcnt vmcnt(4) lgkmcnt(3)
	v_mul_f64 v[140:141], v[110:111], v[64:65]
	v_mul_f64 v[64:65], v[112:113], v[64:65]
	v_fmac_f64_e32 v[138:139], v[108:109], v[58:59]
	v_fma_f64 v[46:47], v[106:107], v[58:59], -v[60:61]
	v_add_f64 v[6:7], v[6:7], v[136:137]
	v_add_f64 v[4:5], v[4:5], v[14:15]
	s_waitcnt vmcnt(3) lgkmcnt(2)
	v_mul_f64 v[142:143], v[114:115], v[68:69]
	v_mul_f64 v[68:69], v[116:117], v[68:69]
	v_fmac_f64_e32 v[140:141], v[112:113], v[62:63]
	v_fma_f64 v[48:49], v[110:111], v[62:63], -v[64:65]
	;; [unrolled: 7-line block ×4, first 2 shown]
	v_add_f64 v[6:7], v[6:7], v[142:143]
	v_add_f64 v[4:5], v[4:5], v[50:51]
	v_fmac_f64_e32 v[146:147], v[124:125], v[74:75]
	v_fma_f64 v[54:55], v[122:123], v[74:75], -v[76:77]
	v_add_f64 v[6:7], v[6:7], v[144:145]
	v_add_f64 v[4:5], v[4:5], v[52:53]
	;; [unrolled: 1-line block ×4, first 2 shown]
	s_waitcnt vmcnt(0)
	v_add_f64 v[4:5], v[78:79], -v[4:5]
	v_add_f64 v[6:7], v[80:81], -v[6:7]
	scratch_store_dwordx4 off, v[4:7], off offset:32
	s_and_saveexec_b64 s[2:3], vcc
	s_cbranch_execz .LBB13_95
; %bb.94:
	scratch_load_dwordx4 v[6:9], off, s24
	v_mov_b32_e32 v3, v2
	v_mov_b32_e32 v4, v2
	v_mov_b32_e32 v5, v2
	scratch_store_dwordx4 off, v[2:5], off offset:16
	s_waitcnt vmcnt(1)
	ds_write_b128 v44, v[6:9]
.LBB13_95:
	s_or_b64 exec, exec, s[2:3]
	s_waitcnt lgkmcnt(0)
	; wave barrier
	scratch_load_dwordx4 v[4:7], off, off offset:32
	scratch_load_dwordx4 v[8:11], off, off offset:48
	;; [unrolled: 1-line block ×12, first 2 shown]
	ds_read_b128 v[82:85], v2 offset:256
	ds_read_b128 v[86:89], v2 offset:272
	;; [unrolled: 1-line block ×4, first 2 shown]
	scratch_load_dwordx4 v[98:101], off, off offset:16
	ds_read_b128 v[102:105], v2 offset:320
	ds_read_b128 v[106:109], v2 offset:336
	;; [unrolled: 1-line block ×8, first 2 shown]
	v_cmp_ne_u32_e32 vcc, 0, v1
	s_waitcnt vmcnt(12) lgkmcnt(11)
	v_mul_f64 v[2:3], v[82:83], v[6:7]
	s_waitcnt vmcnt(11) lgkmcnt(10)
	v_mul_f64 v[134:135], v[86:87], v[10:11]
	v_fmac_f64_e32 v[2:3], v[84:85], v[4:5]
	s_waitcnt vmcnt(10) lgkmcnt(9)
	v_mul_f64 v[136:137], v[90:91], v[14:15]
	v_mul_f64 v[6:7], v[84:85], v[6:7]
	v_fmac_f64_e32 v[134:135], v[88:89], v[8:9]
	v_add_f64 v[2:3], v[2:3], 0
	s_waitcnt vmcnt(9) lgkmcnt(8)
	v_mul_f64 v[138:139], v[94:95], v[48:49]
	v_mul_f64 v[10:11], v[88:89], v[10:11]
	v_fma_f64 v[4:5], v[82:83], v[4:5], -v[6:7]
	v_fmac_f64_e32 v[136:137], v[92:93], v[12:13]
	v_add_f64 v[2:3], v[2:3], v[134:135]
	s_waitcnt vmcnt(8) lgkmcnt(7)
	v_mul_f64 v[140:141], v[102:103], v[52:53]
	v_mul_f64 v[14:15], v[92:93], v[14:15]
	v_fma_f64 v[6:7], v[86:87], v[8:9], -v[10:11]
	v_fmac_f64_e32 v[138:139], v[96:97], v[46:47]
	v_add_f64 v[4:5], v[4:5], 0
	v_add_f64 v[2:3], v[2:3], v[136:137]
	s_waitcnt vmcnt(7) lgkmcnt(6)
	v_mul_f64 v[142:143], v[106:107], v[56:57]
	v_mul_f64 v[48:49], v[96:97], v[48:49]
	v_fma_f64 v[8:9], v[90:91], v[12:13], -v[14:15]
	v_fmac_f64_e32 v[140:141], v[104:105], v[50:51]
	v_add_f64 v[4:5], v[4:5], v[6:7]
	;; [unrolled: 7-line block ×3, first 2 shown]
	v_add_f64 v[2:3], v[2:3], v[140:141]
	s_waitcnt vmcnt(5) lgkmcnt(4)
	v_mul_f64 v[146:147], v[114:115], v[64:65]
	v_mul_f64 v[56:57], v[108:109], v[56:57]
	v_fmac_f64_e32 v[144:145], v[112:113], v[58:59]
	v_fma_f64 v[12:13], v[102:103], v[50:51], -v[52:53]
	v_add_f64 v[4:5], v[4:5], v[10:11]
	v_add_f64 v[2:3], v[2:3], v[142:143]
	s_waitcnt vmcnt(4) lgkmcnt(3)
	v_mul_f64 v[148:149], v[118:119], v[68:69]
	v_mul_f64 v[60:61], v[112:113], v[60:61]
	v_fmac_f64_e32 v[146:147], v[116:117], v[62:63]
	v_fma_f64 v[14:15], v[106:107], v[54:55], -v[56:57]
	v_add_f64 v[4:5], v[4:5], v[12:13]
	;; [unrolled: 7-line block ×5, first 2 shown]
	v_add_f64 v[2:3], v[2:3], v[150:151]
	v_mul_f64 v[76:77], v[128:129], v[76:77]
	v_fmac_f64_e32 v[154:155], v[132:133], v[78:79]
	v_fma_f64 v[52:53], v[122:123], v[70:71], -v[72:73]
	v_add_f64 v[4:5], v[4:5], v[50:51]
	v_add_f64 v[2:3], v[2:3], v[152:153]
	;; [unrolled: 1-line block ×4, first 2 shown]
	v_fma_f64 v[2:3], v[126:127], v[74:75], -v[76:77]
	v_add_f64 v[2:3], v[4:5], v[2:3]
	v_mul_f64 v[4:5], v[132:133], v[80:81]
	v_fma_f64 v[4:5], v[130:131], v[78:79], -v[4:5]
	v_add_f64 v[2:3], v[2:3], v[4:5]
	s_waitcnt vmcnt(0)
	v_add_f64 v[2:3], v[98:99], -v[2:3]
	v_add_f64 v[4:5], v[100:101], -v[6:7]
	scratch_store_dwordx4 off, v[2:5], off offset:16
	s_and_saveexec_b64 s[2:3], vcc
	s_cbranch_execz .LBB13_97
; %bb.96:
	scratch_load_dwordx4 v[2:5], off, off
	v_mov_b32_e32 v6, 0
	v_mov_b32_e32 v7, v6
	;; [unrolled: 1-line block ×4, first 2 shown]
	scratch_store_dwordx4 off, v[6:9], off
	s_waitcnt vmcnt(1)
	ds_write_b128 v44, v[2:5]
.LBB13_97:
	s_or_b64 exec, exec, s[2:3]
	s_waitcnt lgkmcnt(0)
	; wave barrier
	scratch_load_dwordx4 v[2:5], off, off offset:16
	scratch_load_dwordx4 v[8:11], off, off offset:32
	;; [unrolled: 1-line block ×13, first 2 shown]
	scratch_load_dwordx4 v[84:87], off, off
	v_mov_b32_e32 v6, 0
	ds_read_b128 v[88:91], v6 offset:240
	ds_read_b128 v[92:95], v6 offset:256
	;; [unrolled: 1-line block ×13, first 2 shown]
	s_and_b64 vcc, exec, s[22:23]
	s_waitcnt vmcnt(13) lgkmcnt(12)
	v_mul_f64 v[140:141], v[88:89], v[4:5]
	v_mul_f64 v[4:5], v[90:91], v[4:5]
	s_waitcnt vmcnt(12) lgkmcnt(11)
	v_mul_f64 v[142:143], v[92:93], v[10:11]
	v_mul_f64 v[10:11], v[94:95], v[10:11]
	v_fmac_f64_e32 v[140:141], v[90:91], v[2:3]
	v_fma_f64 v[2:3], v[88:89], v[2:3], -v[4:5]
	s_waitcnt vmcnt(11) lgkmcnt(10)
	v_mul_f64 v[144:145], v[96:97], v[14:15]
	v_mul_f64 v[14:15], v[98:99], v[14:15]
	v_fma_f64 v[4:5], v[92:93], v[8:9], -v[10:11]
	v_add_f64 v[2:3], v[2:3], 0
	s_waitcnt vmcnt(10) lgkmcnt(9)
	v_mul_f64 v[146:147], v[100:101], v[46:47]
	v_mul_f64 v[46:47], v[102:103], v[46:47]
	v_fmac_f64_e32 v[142:143], v[94:95], v[8:9]
	v_fma_f64 v[8:9], v[96:97], v[12:13], -v[14:15]
	v_add_f64 v[2:3], v[2:3], v[4:5]
	s_waitcnt vmcnt(9) lgkmcnt(8)
	v_mul_f64 v[148:149], v[104:105], v[50:51]
	v_mul_f64 v[50:51], v[106:107], v[50:51]
	v_fma_f64 v[10:11], v[100:101], v[44:45], -v[46:47]
	v_add_f64 v[2:3], v[2:3], v[8:9]
	s_waitcnt vmcnt(8) lgkmcnt(7)
	v_mul_f64 v[150:151], v[108:109], v[54:55]
	v_mul_f64 v[54:55], v[110:111], v[54:55]
	v_fmac_f64_e32 v[144:145], v[98:99], v[12:13]
	v_fma_f64 v[12:13], v[104:105], v[48:49], -v[50:51]
	v_add_f64 v[50:51], v[140:141], 0
	v_add_f64 v[2:3], v[2:3], v[10:11]
	s_waitcnt vmcnt(7) lgkmcnt(6)
	v_mul_f64 v[152:153], v[112:113], v[58:59]
	v_mul_f64 v[58:59], v[114:115], v[58:59]
	v_fma_f64 v[14:15], v[108:109], v[52:53], -v[54:55]
	v_add_f64 v[50:51], v[50:51], v[142:143]
	v_add_f64 v[2:3], v[2:3], v[12:13]
	s_waitcnt vmcnt(6) lgkmcnt(5)
	v_mul_f64 v[154:155], v[116:117], v[62:63]
	v_mul_f64 v[62:63], v[118:119], v[62:63]
	v_fmac_f64_e32 v[146:147], v[102:103], v[44:45]
	v_fma_f64 v[44:45], v[112:113], v[56:57], -v[58:59]
	v_add_f64 v[4:5], v[50:51], v[144:145]
	v_add_f64 v[2:3], v[2:3], v[14:15]
	s_waitcnt vmcnt(5) lgkmcnt(4)
	v_mul_f64 v[156:157], v[120:121], v[66:67]
	v_mul_f64 v[66:67], v[122:123], v[66:67]
	v_fmac_f64_e32 v[148:149], v[106:107], v[48:49]
	v_fma_f64 v[46:47], v[116:117], v[60:61], -v[62:63]
	v_add_f64 v[4:5], v[4:5], v[146:147]
	v_add_f64 v[2:3], v[2:3], v[44:45]
	v_fmac_f64_e32 v[150:151], v[110:111], v[52:53]
	v_fma_f64 v[48:49], v[120:121], v[64:65], -v[66:67]
	v_add_f64 v[4:5], v[4:5], v[148:149]
	v_add_f64 v[2:3], v[2:3], v[46:47]
	s_waitcnt vmcnt(4) lgkmcnt(3)
	v_mul_f64 v[8:9], v[126:127], v[70:71]
	v_fmac_f64_e32 v[152:153], v[114:115], v[56:57]
	v_add_f64 v[4:5], v[4:5], v[150:151]
	v_add_f64 v[2:3], v[2:3], v[48:49]
	v_fma_f64 v[8:9], v[124:125], v[68:69], -v[8:9]
	v_fmac_f64_e32 v[154:155], v[118:119], v[60:61]
	v_add_f64 v[4:5], v[4:5], v[152:153]
	v_add_f64 v[2:3], v[2:3], v[8:9]
	s_waitcnt vmcnt(3) lgkmcnt(2)
	v_mul_f64 v[8:9], v[130:131], v[74:75]
	v_mul_f64 v[158:159], v[124:125], v[70:71]
	v_fmac_f64_e32 v[156:157], v[122:123], v[64:65]
	v_add_f64 v[4:5], v[4:5], v[154:155]
	v_fma_f64 v[8:9], v[128:129], v[72:73], -v[8:9]
	v_mul_f64 v[160:161], v[128:129], v[74:75]
	v_fmac_f64_e32 v[158:159], v[126:127], v[68:69]
	v_add_f64 v[4:5], v[4:5], v[156:157]
	v_add_f64 v[2:3], v[2:3], v[8:9]
	s_waitcnt vmcnt(2) lgkmcnt(1)
	v_mul_f64 v[8:9], v[134:135], v[78:79]
	v_mul_f64 v[162:163], v[132:133], v[78:79]
	v_fmac_f64_e32 v[160:161], v[130:131], v[72:73]
	v_add_f64 v[4:5], v[4:5], v[158:159]
	v_fma_f64 v[8:9], v[132:133], v[76:77], -v[8:9]
	s_waitcnt vmcnt(1) lgkmcnt(0)
	v_mul_f64 v[164:165], v[136:137], v[82:83]
	v_fmac_f64_e32 v[162:163], v[134:135], v[76:77]
	v_add_f64 v[4:5], v[4:5], v[160:161]
	v_add_f64 v[2:3], v[2:3], v[8:9]
	v_mul_f64 v[8:9], v[138:139], v[82:83]
	v_fmac_f64_e32 v[164:165], v[138:139], v[80:81]
	v_add_f64 v[4:5], v[4:5], v[162:163]
	v_fma_f64 v[8:9], v[136:137], v[80:81], -v[8:9]
	v_add_f64 v[4:5], v[4:5], v[164:165]
	v_add_f64 v[2:3], v[2:3], v[8:9]
	s_waitcnt vmcnt(0)
	v_add_f64 v[2:3], v[84:85], -v[2:3]
	v_add_f64 v[4:5], v[86:87], -v[4:5]
	scratch_store_dwordx4 off, v[2:5], off
	s_cbranch_vccz .LBB13_124
; %bb.98:
	global_load_dword v2, v6, s[20:21] offset:48
	s_load_dwordx2 s[2:3], s[0:1], 0x4
	v_bfe_u32 v3, v0, 10, 10
	v_bfe_u32 v0, v0, 20, 10
	s_waitcnt lgkmcnt(0)
	s_lshr_b32 s0, s2, 16
	s_mul_i32 s0, s0, s3
	v_mul_u32_u24_e32 v1, s0, v1
	v_mul_u32_u24_e32 v3, s3, v3
	v_add3_u32 v0, v1, v3, v0
	v_mov_b32_e32 v1, 0x1c8
	v_lshl_add_u32 v0, v0, 4, v1
	s_waitcnt vmcnt(0)
	v_readfirstlane_b32 s0, v2
	s_add_i32 s0, s0, -1
	s_cmp_lg_u32 s0, 12
	s_cbranch_scc0 .LBB13_100
; %bb.99:
	s_lshl_b32 s0, s0, 4
	scratch_load_dwordx4 v[2:5], off, s29
	scratch_load_dwordx4 v[6:9], off, s0
	s_waitcnt vmcnt(1)
	ds_write2_b64 v0, v[2:3], v[4:5] offset1:1
	s_waitcnt vmcnt(0)
	scratch_store_dwordx4 off, v[6:9], s29
	scratch_store_dwordx4 off, v[2:5], s0
.LBB13_100:
	v_mov_b32_e32 v1, 0
	global_load_dword v2, v1, s[20:21] offset:44
	s_waitcnt vmcnt(0)
	v_readfirstlane_b32 s0, v2
	s_add_i32 s0, s0, -1
	s_cmp_eq_u32 s0, 11
	s_cbranch_scc1 .LBB13_102
; %bb.101:
	s_lshl_b32 s0, s0, 4
	scratch_load_dwordx4 v[2:5], off, s27
	scratch_load_dwordx4 v[6:9], off, s0
	s_waitcnt vmcnt(1)
	ds_write2_b64 v0, v[2:3], v[4:5] offset1:1
	s_waitcnt vmcnt(0)
	scratch_store_dwordx4 off, v[6:9], s27
	scratch_store_dwordx4 off, v[2:5], s0
.LBB13_102:
	global_load_dword v1, v1, s[20:21] offset:40
	s_waitcnt vmcnt(0)
	v_readfirstlane_b32 s0, v1
	s_add_i32 s0, s0, -1
	s_cmp_eq_u32 s0, 10
	s_cbranch_scc1 .LBB13_104
; %bb.103:
	s_lshl_b32 s0, s0, 4
	scratch_load_dwordx4 v[2:5], off, s25
	scratch_load_dwordx4 v[6:9], off, s0
	s_waitcnt vmcnt(1)
	ds_write2_b64 v0, v[2:3], v[4:5] offset1:1
	s_waitcnt vmcnt(0)
	scratch_store_dwordx4 off, v[6:9], s25
	scratch_store_dwordx4 off, v[2:5], s0
.LBB13_104:
	v_mov_b32_e32 v1, 0
	global_load_dword v2, v1, s[20:21] offset:36
	s_waitcnt vmcnt(0)
	v_readfirstlane_b32 s0, v2
	s_add_i32 s0, s0, -1
	s_cmp_eq_u32 s0, 9
	s_cbranch_scc1 .LBB13_106
; %bb.105:
	s_lshl_b32 s0, s0, 4
	scratch_load_dwordx4 v[2:5], off, s18
	scratch_load_dwordx4 v[6:9], off, s0
	s_waitcnt vmcnt(1)
	ds_write2_b64 v0, v[2:3], v[4:5] offset1:1
	s_waitcnt vmcnt(0)
	scratch_store_dwordx4 off, v[6:9], s18
	scratch_store_dwordx4 off, v[2:5], s0
.LBB13_106:
	global_load_dword v1, v1, s[20:21] offset:32
	s_waitcnt vmcnt(0)
	v_readfirstlane_b32 s0, v1
	s_add_i32 s0, s0, -1
	s_cmp_eq_u32 s0, 8
	s_cbranch_scc1 .LBB13_108
; %bb.107:
	s_lshl_b32 s0, s0, 4
	scratch_load_dwordx4 v[2:5], off, s16
	scratch_load_dwordx4 v[6:9], off, s0
	s_waitcnt vmcnt(1)
	ds_write2_b64 v0, v[2:3], v[4:5] offset1:1
	s_waitcnt vmcnt(0)
	scratch_store_dwordx4 off, v[6:9], s16
	scratch_store_dwordx4 off, v[2:5], s0
.LBB13_108:
	;; [unrolled: 33-line block ×5, first 2 shown]
	v_mov_b32_e32 v1, 0
	global_load_dword v2, v1, s[20:21] offset:4
	s_waitcnt vmcnt(0)
	v_readfirstlane_b32 s0, v2
	s_add_i32 s0, s0, -1
	s_cmp_eq_u32 s0, 1
	s_cbranch_scc1 .LBB13_122
; %bb.121:
	s_lshl_b32 s0, s0, 4
	scratch_load_dwordx4 v[2:5], off, s24
	scratch_load_dwordx4 v[6:9], off, s0
	s_waitcnt vmcnt(1)
	ds_write2_b64 v0, v[2:3], v[4:5] offset1:1
	s_waitcnt vmcnt(0)
	scratch_store_dwordx4 off, v[6:9], s24
	scratch_store_dwordx4 off, v[2:5], s0
.LBB13_122:
	global_load_dword v1, v1, s[20:21]
	s_waitcnt vmcnt(0)
	v_readfirstlane_b32 s0, v1
	s_add_i32 s0, s0, -1
	s_cmp_eq_u32 s0, 0
	s_cbranch_scc1 .LBB13_124
; %bb.123:
	s_lshl_b32 s0, s0, 4
	scratch_load_dwordx4 v[2:5], off, off
	scratch_load_dwordx4 v[6:9], off, s0
	s_waitcnt vmcnt(1)
	ds_write2_b64 v0, v[2:3], v[4:5] offset1:1
	s_waitcnt vmcnt(0)
	scratch_store_dwordx4 off, v[6:9], off
	scratch_store_dwordx4 off, v[2:5], s0
.LBB13_124:
	scratch_load_dwordx4 v[0:3], off, off
	s_nop 0
	scratch_load_dwordx4 v[4:7], off, s24
	scratch_load_dwordx4 v[8:11], off, s14
	;; [unrolled: 1-line block ×13, first 2 shown]
	s_waitcnt vmcnt(13)
	global_store_dwordx4 v[16:17], v[0:3], off
	s_waitcnt vmcnt(13)
	global_store_dwordx4 v[18:19], v[4:7], off
	;; [unrolled: 2-line block ×14, first 2 shown]
	s_endpgm
	.section	.rodata,"a",@progbits
	.p2align	6, 0x0
	.amdhsa_kernel _ZN9rocsolver6v33100L18getri_kernel_smallILi14E19rocblas_complex_numIdEPS3_EEvT1_iilPiilS6_bb
		.amdhsa_group_segment_fixed_size 1480
		.amdhsa_private_segment_fixed_size 240
		.amdhsa_kernarg_size 60
		.amdhsa_user_sgpr_count 4
		.amdhsa_user_sgpr_dispatch_ptr 1
		.amdhsa_user_sgpr_queue_ptr 0
		.amdhsa_user_sgpr_kernarg_segment_ptr 1
		.amdhsa_user_sgpr_dispatch_id 0
		.amdhsa_user_sgpr_kernarg_preload_length 0
		.amdhsa_user_sgpr_kernarg_preload_offset 0
		.amdhsa_user_sgpr_private_segment_size 0
		.amdhsa_uses_dynamic_stack 0
		.amdhsa_enable_private_segment 1
		.amdhsa_system_sgpr_workgroup_id_x 1
		.amdhsa_system_sgpr_workgroup_id_y 0
		.amdhsa_system_sgpr_workgroup_id_z 0
		.amdhsa_system_sgpr_workgroup_info 0
		.amdhsa_system_vgpr_workitem_id 2
		.amdhsa_next_free_vgpr 166
		.amdhsa_next_free_sgpr 31
		.amdhsa_accum_offset 168
		.amdhsa_reserve_vcc 1
		.amdhsa_float_round_mode_32 0
		.amdhsa_float_round_mode_16_64 0
		.amdhsa_float_denorm_mode_32 3
		.amdhsa_float_denorm_mode_16_64 3
		.amdhsa_dx10_clamp 1
		.amdhsa_ieee_mode 1
		.amdhsa_fp16_overflow 0
		.amdhsa_tg_split 0
		.amdhsa_exception_fp_ieee_invalid_op 0
		.amdhsa_exception_fp_denorm_src 0
		.amdhsa_exception_fp_ieee_div_zero 0
		.amdhsa_exception_fp_ieee_overflow 0
		.amdhsa_exception_fp_ieee_underflow 0
		.amdhsa_exception_fp_ieee_inexact 0
		.amdhsa_exception_int_div_zero 0
	.end_amdhsa_kernel
	.section	.text._ZN9rocsolver6v33100L18getri_kernel_smallILi14E19rocblas_complex_numIdEPS3_EEvT1_iilPiilS6_bb,"axG",@progbits,_ZN9rocsolver6v33100L18getri_kernel_smallILi14E19rocblas_complex_numIdEPS3_EEvT1_iilPiilS6_bb,comdat
.Lfunc_end13:
	.size	_ZN9rocsolver6v33100L18getri_kernel_smallILi14E19rocblas_complex_numIdEPS3_EEvT1_iilPiilS6_bb, .Lfunc_end13-_ZN9rocsolver6v33100L18getri_kernel_smallILi14E19rocblas_complex_numIdEPS3_EEvT1_iilPiilS6_bb
                                        ; -- End function
	.set _ZN9rocsolver6v33100L18getri_kernel_smallILi14E19rocblas_complex_numIdEPS3_EEvT1_iilPiilS6_bb.num_vgpr, 166
	.set _ZN9rocsolver6v33100L18getri_kernel_smallILi14E19rocblas_complex_numIdEPS3_EEvT1_iilPiilS6_bb.num_agpr, 0
	.set _ZN9rocsolver6v33100L18getri_kernel_smallILi14E19rocblas_complex_numIdEPS3_EEvT1_iilPiilS6_bb.numbered_sgpr, 31
	.set _ZN9rocsolver6v33100L18getri_kernel_smallILi14E19rocblas_complex_numIdEPS3_EEvT1_iilPiilS6_bb.num_named_barrier, 0
	.set _ZN9rocsolver6v33100L18getri_kernel_smallILi14E19rocblas_complex_numIdEPS3_EEvT1_iilPiilS6_bb.private_seg_size, 240
	.set _ZN9rocsolver6v33100L18getri_kernel_smallILi14E19rocblas_complex_numIdEPS3_EEvT1_iilPiilS6_bb.uses_vcc, 1
	.set _ZN9rocsolver6v33100L18getri_kernel_smallILi14E19rocblas_complex_numIdEPS3_EEvT1_iilPiilS6_bb.uses_flat_scratch, 0
	.set _ZN9rocsolver6v33100L18getri_kernel_smallILi14E19rocblas_complex_numIdEPS3_EEvT1_iilPiilS6_bb.has_dyn_sized_stack, 0
	.set _ZN9rocsolver6v33100L18getri_kernel_smallILi14E19rocblas_complex_numIdEPS3_EEvT1_iilPiilS6_bb.has_recursion, 0
	.set _ZN9rocsolver6v33100L18getri_kernel_smallILi14E19rocblas_complex_numIdEPS3_EEvT1_iilPiilS6_bb.has_indirect_call, 0
	.section	.AMDGPU.csdata,"",@progbits
; Kernel info:
; codeLenInByte = 12856
; TotalNumSgprs: 37
; NumVgprs: 166
; NumAgprs: 0
; TotalNumVgprs: 166
; ScratchSize: 240
; MemoryBound: 0
; FloatMode: 240
; IeeeMode: 1
; LDSByteSize: 1480 bytes/workgroup (compile time only)
; SGPRBlocks: 4
; VGPRBlocks: 20
; NumSGPRsForWavesPerEU: 37
; NumVGPRsForWavesPerEU: 166
; AccumOffset: 168
; Occupancy: 3
; WaveLimiterHint : 1
; COMPUTE_PGM_RSRC2:SCRATCH_EN: 1
; COMPUTE_PGM_RSRC2:USER_SGPR: 4
; COMPUTE_PGM_RSRC2:TRAP_HANDLER: 0
; COMPUTE_PGM_RSRC2:TGID_X_EN: 1
; COMPUTE_PGM_RSRC2:TGID_Y_EN: 0
; COMPUTE_PGM_RSRC2:TGID_Z_EN: 0
; COMPUTE_PGM_RSRC2:TIDIG_COMP_CNT: 2
; COMPUTE_PGM_RSRC3_GFX90A:ACCUM_OFFSET: 41
; COMPUTE_PGM_RSRC3_GFX90A:TG_SPLIT: 0
	.section	.text._ZN9rocsolver6v33100L18getri_kernel_smallILi15E19rocblas_complex_numIdEPS3_EEvT1_iilPiilS6_bb,"axG",@progbits,_ZN9rocsolver6v33100L18getri_kernel_smallILi15E19rocblas_complex_numIdEPS3_EEvT1_iilPiilS6_bb,comdat
	.globl	_ZN9rocsolver6v33100L18getri_kernel_smallILi15E19rocblas_complex_numIdEPS3_EEvT1_iilPiilS6_bb ; -- Begin function _ZN9rocsolver6v33100L18getri_kernel_smallILi15E19rocblas_complex_numIdEPS3_EEvT1_iilPiilS6_bb
	.p2align	8
	.type	_ZN9rocsolver6v33100L18getri_kernel_smallILi15E19rocblas_complex_numIdEPS3_EEvT1_iilPiilS6_bb,@function
_ZN9rocsolver6v33100L18getri_kernel_smallILi15E19rocblas_complex_numIdEPS3_EEvT1_iilPiilS6_bb: ; @_ZN9rocsolver6v33100L18getri_kernel_smallILi15E19rocblas_complex_numIdEPS3_EEvT1_iilPiilS6_bb
; %bb.0:
	v_and_b32_e32 v1, 0x3ff, v0
	v_cmp_gt_u32_e32 vcc, 15, v1
	s_and_saveexec_b64 s[6:7], vcc
	s_cbranch_execz .LBB14_74
; %bb.1:
	s_load_dword s6, s[2:3], 0x38
	s_load_dwordx4 s[16:19], s[2:3], 0x10
	s_load_dwordx4 s[8:11], s[2:3], 0x28
                                        ; implicit-def: $sgpr20_sgpr21
	s_waitcnt lgkmcnt(0)
	s_bitcmp1_b32 s6, 8
	s_cselect_b64 s[22:23], -1, 0
	s_ashr_i32 s5, s4, 31
	s_bfe_u32 s6, s6, 0x10008
	s_cmp_eq_u32 s6, 0
	s_cbranch_scc1 .LBB14_3
; %bb.2:
	s_load_dword s6, s[2:3], 0x20
	s_mul_i32 s7, s8, s5
	s_mul_hi_u32 s12, s8, s4
	s_mul_i32 s9, s9, s4
	s_add_i32 s12, s12, s7
	s_add_i32 s9, s12, s9
	s_mul_i32 s8, s8, s4
	s_waitcnt lgkmcnt(0)
	s_ashr_i32 s7, s6, 31
	s_lshl_b64 s[8:9], s[8:9], 2
	s_add_u32 s8, s18, s8
	s_addc_u32 s9, s19, s9
	s_lshl_b64 s[6:7], s[6:7], 2
	s_add_u32 s20, s8, s6
	s_addc_u32 s21, s9, s7
.LBB14_3:
	s_load_dwordx4 s[12:15], s[2:3], 0x0
	s_load_dword s6, s[2:3], 0x38
	s_mul_i32 s7, s16, s5
	s_mul_hi_u32 s8, s16, s4
	s_add_i32 s7, s8, s7
	s_mul_i32 s8, s17, s4
	s_add_i32 s9, s7, s8
	s_mul_i32 s8, s16, s4
	s_waitcnt lgkmcnt(0)
	s_ashr_i32 s3, s14, 31
	s_lshl_b64 s[8:9], s[8:9], 4
	s_mov_b32 s2, s14
	s_add_u32 s7, s12, s8
	s_addc_u32 s8, s13, s9
	s_lshl_b64 s[2:3], s[2:3], 4
	s_add_u32 s2, s7, s2
	s_addc_u32 s3, s8, s3
	s_add_i32 s7, s15, s15
	v_add_u32_e32 v22, s7, v1
	v_add_u32_e32 v24, s15, v22
	;; [unrolled: 1-line block ×7, first 2 shown]
	v_ashrrev_i32_e32 v23, 31, v22
	v_ashrrev_i32_e32 v25, 31, v24
	v_ashrrev_i32_e32 v27, 31, v26
	v_ashrrev_i32_e32 v29, 31, v28
	v_ashrrev_i32_e32 v31, 31, v30
	v_ashrrev_i32_e32 v33, 31, v32
	v_ashrrev_i32_e32 v35, 31, v34
	v_lshl_add_u64 v[20:21], v[22:23], 4, s[2:3]
	v_lshl_add_u64 v[22:23], v[24:25], 4, s[2:3]
	;; [unrolled: 1-line block ×7, first 2 shown]
	v_add_u32_e32 v34, s15, v34
	v_add_u32_e32 v36, s15, v34
	;; [unrolled: 1-line block ×5, first 2 shown]
	v_lshlrev_b32_e32 v14, 4, v1
	v_mov_b32_e32 v15, 0
	v_add_u32_e32 v44, s15, v42
	v_lshl_add_u64 v[16:17], s[2:3], 0, v[14:15]
	s_ashr_i32 s9, s15, 31
	s_mov_b32 s8, s15
	v_ashrrev_i32_e32 v35, 31, v34
	v_ashrrev_i32_e32 v37, 31, v36
	;; [unrolled: 1-line block ×6, first 2 shown]
	v_lshl_add_u64 v[18:19], s[8:9], 4, v[16:17]
	v_lshl_add_u64 v[34:35], v[34:35], 4, s[2:3]
	;; [unrolled: 1-line block ×7, first 2 shown]
	global_load_dwordx4 v[2:5], v14, s[2:3]
	global_load_dwordx4 v[6:9], v[18:19], off
	global_load_dwordx4 v[10:13], v[20:21], off
	;; [unrolled: 1-line block ×14, first 2 shown]
	s_movk_i32 s19, 0x50
	s_movk_i32 s25, 0x60
	s_movk_i32 s26, 0x70
	s_movk_i32 s16, 0x80
	s_movk_i32 s18, 0x90
	s_mov_b32 s24, 16
	s_mov_b32 s14, 32
	s_mov_b32 s15, 48
	s_mov_b32 s17, 64
	s_movk_i32 s27, 0xa0
	s_movk_i32 s28, 0xb0
	;; [unrolled: 1-line block ×5, first 2 shown]
	s_bitcmp0_b32 s6, 0
	s_mov_b64 s[6:7], -1
	s_waitcnt vmcnt(14)
	scratch_store_dwordx4 off, v[2:5], off
	s_waitcnt vmcnt(14)
	scratch_store_dwordx4 off, v[6:9], off offset:16
	s_waitcnt vmcnt(14)
	scratch_store_dwordx4 off, v[10:13], off offset:32
	;; [unrolled: 2-line block ×14, first 2 shown]
	s_cbranch_scc1 .LBB14_72
; %bb.4:
	v_cmp_eq_u32_e64 s[2:3], 0, v1
	s_and_saveexec_b64 s[6:7], s[2:3]
; %bb.5:
	v_mov_b32_e32 v2, 0
	ds_write_b32 v2, v2 offset:480
; %bb.6:
	s_or_b64 exec, exec, s[6:7]
	s_waitcnt lgkmcnt(0)
	; wave barrier
	scratch_load_dwordx4 v[2:5], v14, off
	s_waitcnt vmcnt(0)
	v_cmp_eq_f64_e32 vcc, 0, v[2:3]
	v_cmp_eq_f64_e64 s[6:7], 0, v[4:5]
	s_and_b64 s[6:7], vcc, s[6:7]
	s_and_saveexec_b64 s[8:9], s[6:7]
	s_cbranch_execz .LBB14_10
; %bb.7:
	v_mov_b32_e32 v2, 0
	ds_read_b32 v4, v2 offset:480
	v_add_u32_e32 v3, 1, v1
	s_waitcnt lgkmcnt(0)
	v_readfirstlane_b32 s6, v4
	s_cmp_eq_u32 s6, 0
	s_cselect_b64 s[12:13], -1, 0
	v_cmp_gt_i32_e32 vcc, s6, v3
	s_or_b64 s[12:13], s[12:13], vcc
	s_and_b64 exec, exec, s[12:13]
	s_cbranch_execz .LBB14_10
; %bb.8:
	s_mov_b64 s[12:13], 0
	v_mov_b32_e32 v4, s6
.LBB14_9:                               ; =>This Inner Loop Header: Depth=1
	ds_cmpst_rtn_b32 v4, v2, v4, v3 offset:480
	s_waitcnt lgkmcnt(0)
	v_cmp_ne_u32_e32 vcc, 0, v4
	v_cmp_le_i32_e64 s[6:7], v4, v3
	s_and_b64 s[6:7], vcc, s[6:7]
	s_and_b64 s[6:7], exec, s[6:7]
	s_or_b64 s[12:13], s[6:7], s[12:13]
	s_andn2_b64 exec, exec, s[12:13]
	s_cbranch_execnz .LBB14_9
.LBB14_10:
	s_or_b64 exec, exec, s[8:9]
	v_mov_b32_e32 v3, 0
	; wave barrier
	ds_read_b32 v2, v3 offset:480
	s_and_saveexec_b64 s[6:7], s[2:3]
	s_cbranch_execz .LBB14_12
; %bb.11:
	s_lshl_b64 s[8:9], s[4:5], 2
	s_add_u32 s8, s10, s8
	s_addc_u32 s9, s11, s9
	s_waitcnt lgkmcnt(0)
	global_store_dword v3, v2, s[8:9]
.LBB14_12:
	s_or_b64 exec, exec, s[6:7]
	s_waitcnt lgkmcnt(0)
	v_cmp_ne_u32_e32 vcc, 0, v2
	s_mov_b64 s[6:7], 0
	s_cbranch_vccnz .LBB14_72
; %bb.13:
	v_mov_b32_e32 v15, v14
	scratch_load_dwordx4 v[2:5], v15, off
                                        ; implicit-def: $vgpr6_vgpr7
                                        ; implicit-def: $vgpr10_vgpr11
	s_waitcnt vmcnt(0)
	v_cmp_ngt_f64_e64 s[6:7], |v[2:3]|, |v[4:5]|
	s_and_saveexec_b64 s[8:9], s[6:7]
	s_xor_b64 s[6:7], exec, s[8:9]
	s_cbranch_execz .LBB14_15
; %bb.14:
	v_div_scale_f64 v[6:7], s[8:9], v[4:5], v[4:5], v[2:3]
	v_rcp_f64_e32 v[8:9], v[6:7]
	v_div_scale_f64 v[10:11], vcc, v[2:3], v[4:5], v[2:3]
	v_fma_f64 v[12:13], -v[6:7], v[8:9], 1.0
	v_fmac_f64_e32 v[8:9], v[8:9], v[12:13]
	v_fma_f64 v[12:13], -v[6:7], v[8:9], 1.0
	v_fmac_f64_e32 v[8:9], v[8:9], v[12:13]
	v_mul_f64 v[12:13], v[10:11], v[8:9]
	v_fma_f64 v[6:7], -v[6:7], v[12:13], v[10:11]
	v_div_fmas_f64 v[6:7], v[6:7], v[8:9], v[12:13]
	v_div_fixup_f64 v[6:7], v[6:7], v[4:5], v[2:3]
	v_fmac_f64_e32 v[4:5], v[2:3], v[6:7]
	v_div_scale_f64 v[2:3], s[8:9], v[4:5], v[4:5], 1.0
	v_rcp_f64_e32 v[8:9], v[2:3]
	s_nop 0
	v_fma_f64 v[10:11], -v[2:3], v[8:9], 1.0
	v_fmac_f64_e32 v[8:9], v[8:9], v[10:11]
	v_fma_f64 v[10:11], -v[2:3], v[8:9], 1.0
	v_fmac_f64_e32 v[8:9], v[8:9], v[10:11]
	v_div_scale_f64 v[10:11], vcc, 1.0, v[4:5], 1.0
	v_mul_f64 v[12:13], v[10:11], v[8:9]
	v_fma_f64 v[2:3], -v[2:3], v[12:13], v[10:11]
	s_nop 1
	v_div_fmas_f64 v[2:3], v[2:3], v[8:9], v[12:13]
	v_div_fixup_f64 v[8:9], v[2:3], v[4:5], 1.0
	v_mul_f64 v[6:7], v[6:7], v[8:9]
	v_xor_b32_e32 v9, 0x80000000, v9
	v_xor_b32_e32 v11, 0x80000000, v7
	v_mov_b32_e32 v10, v6
                                        ; implicit-def: $vgpr2_vgpr3
.LBB14_15:
	s_andn2_saveexec_b64 s[6:7], s[6:7]
	s_cbranch_execz .LBB14_17
; %bb.16:
	v_div_scale_f64 v[6:7], s[8:9], v[2:3], v[2:3], v[4:5]
	v_rcp_f64_e32 v[8:9], v[6:7]
	v_div_scale_f64 v[10:11], vcc, v[4:5], v[2:3], v[4:5]
	v_fma_f64 v[12:13], -v[6:7], v[8:9], 1.0
	v_fmac_f64_e32 v[8:9], v[8:9], v[12:13]
	v_fma_f64 v[12:13], -v[6:7], v[8:9], 1.0
	v_fmac_f64_e32 v[8:9], v[8:9], v[12:13]
	v_mul_f64 v[12:13], v[10:11], v[8:9]
	v_fma_f64 v[6:7], -v[6:7], v[12:13], v[10:11]
	v_div_fmas_f64 v[6:7], v[6:7], v[8:9], v[12:13]
	v_div_fixup_f64 v[8:9], v[6:7], v[2:3], v[4:5]
	v_fmac_f64_e32 v[2:3], v[4:5], v[8:9]
	v_div_scale_f64 v[4:5], s[8:9], v[2:3], v[2:3], 1.0
	v_rcp_f64_e32 v[6:7], v[4:5]
	s_nop 0
	v_fma_f64 v[10:11], -v[4:5], v[6:7], 1.0
	v_fmac_f64_e32 v[6:7], v[6:7], v[10:11]
	v_fma_f64 v[10:11], -v[4:5], v[6:7], 1.0
	v_fmac_f64_e32 v[6:7], v[6:7], v[10:11]
	v_div_scale_f64 v[10:11], vcc, 1.0, v[2:3], 1.0
	v_mul_f64 v[12:13], v[10:11], v[6:7]
	v_fma_f64 v[4:5], -v[4:5], v[12:13], v[10:11]
	s_nop 1
	v_div_fmas_f64 v[4:5], v[4:5], v[6:7], v[12:13]
	v_div_fixup_f64 v[6:7], v[4:5], v[2:3], 1.0
	v_xor_b32_e32 v11, 0x80000000, v7
	v_mov_b32_e32 v10, v6
	v_mul_f64 v[8:9], v[8:9], -v[6:7]
.LBB14_17:
	s_or_b64 exec, exec, s[6:7]
	scratch_store_dwordx4 v15, v[6:9], off
	scratch_load_dwordx4 v[2:5], off, s24
	v_xor_b32_e32 v13, 0x80000000, v9
	v_mov_b32_e32 v12, v8
	v_add_u32_e32 v6, 0xf0, v14
	ds_write_b128 v14, v[10:13]
	s_waitcnt vmcnt(0)
	ds_write_b128 v14, v[2:5] offset:240
	s_waitcnt lgkmcnt(0)
	; wave barrier
	s_and_saveexec_b64 s[6:7], s[2:3]
	s_cbranch_execz .LBB14_19
; %bb.18:
	scratch_load_dwordx4 v[2:5], v15, off
	ds_read_b128 v[8:11], v6
	v_mov_b32_e32 v7, 0
	ds_read_b128 v[46:49], v7 offset:16
	s_waitcnt vmcnt(0) lgkmcnt(1)
	v_mul_f64 v[12:13], v[10:11], v[4:5]
	v_mul_f64 v[4:5], v[8:9], v[4:5]
	v_fma_f64 v[8:9], v[8:9], v[2:3], -v[12:13]
	v_fmac_f64_e32 v[4:5], v[10:11], v[2:3]
	v_add_f64 v[2:3], v[8:9], 0
	v_add_f64 v[8:9], v[4:5], 0
	s_waitcnt lgkmcnt(0)
	v_mul_f64 v[10:11], v[8:9], v[48:49]
	v_mul_f64 v[4:5], v[2:3], v[48:49]
	v_fma_f64 v[2:3], v[2:3], v[46:47], -v[10:11]
	v_fmac_f64_e32 v[4:5], v[8:9], v[46:47]
	scratch_store_dwordx4 off, v[2:5], off offset:16
.LBB14_19:
	s_or_b64 exec, exec, s[6:7]
	; wave barrier
	scratch_load_dwordx4 v[2:5], off, s14
	v_cmp_gt_u32_e32 vcc, 2, v1
	s_waitcnt vmcnt(0)
	ds_write_b128 v6, v[2:5]
	s_waitcnt lgkmcnt(0)
	; wave barrier
	s_and_saveexec_b64 s[6:7], vcc
	s_cbranch_execz .LBB14_23
; %bb.20:
	scratch_load_dwordx4 v[2:5], v15, off
	ds_read_b128 v[8:11], v6
	s_waitcnt vmcnt(0) lgkmcnt(0)
	v_mul_f64 v[12:13], v[10:11], v[4:5]
	v_mul_f64 v[46:47], v[8:9], v[4:5]
	v_fma_f64 v[4:5], v[8:9], v[2:3], -v[12:13]
	v_fmac_f64_e32 v[46:47], v[10:11], v[2:3]
	v_add_f64 v[4:5], v[4:5], 0
	v_add_f64 v[2:3], v[46:47], 0
	s_and_saveexec_b64 s[8:9], s[2:3]
	s_cbranch_execz .LBB14_22
; %bb.21:
	scratch_load_dwordx4 v[8:11], off, off offset:16
	v_mov_b32_e32 v7, 0
	ds_read_b128 v[46:49], v7 offset:256
	s_waitcnt vmcnt(0) lgkmcnt(0)
	v_mul_f64 v[12:13], v[46:47], v[10:11]
	v_mul_f64 v[10:11], v[48:49], v[10:11]
	v_fmac_f64_e32 v[12:13], v[48:49], v[8:9]
	v_fma_f64 v[8:9], v[46:47], v[8:9], -v[10:11]
	v_add_f64 v[2:3], v[2:3], v[12:13]
	v_add_f64 v[4:5], v[4:5], v[8:9]
.LBB14_22:
	s_or_b64 exec, exec, s[8:9]
	v_mov_b32_e32 v7, 0
	ds_read_b128 v[8:11], v7 offset:32
	s_waitcnt lgkmcnt(0)
	v_mul_f64 v[46:47], v[2:3], v[10:11]
	v_mul_f64 v[12:13], v[4:5], v[10:11]
	v_fma_f64 v[10:11], v[4:5], v[8:9], -v[46:47]
	v_fmac_f64_e32 v[12:13], v[2:3], v[8:9]
	scratch_store_dwordx4 off, v[10:13], off offset:32
.LBB14_23:
	s_or_b64 exec, exec, s[6:7]
	; wave barrier
	scratch_load_dwordx4 v[2:5], off, s15
	v_cmp_gt_u32_e32 vcc, 3, v1
	v_add_u32_e32 v7, -1, v1
	s_waitcnt vmcnt(0)
	ds_write_b128 v6, v[2:5]
	s_waitcnt lgkmcnt(0)
	; wave barrier
	s_and_saveexec_b64 s[2:3], vcc
	s_cbranch_execz .LBB14_27
; %bb.24:
	v_add_u32_e32 v8, -1, v1
	v_add_u32_e32 v9, 0xf0, v14
	v_mov_b32_e32 v10, v14
	v_mov_b64_e32 v[2:3], 0
	s_mov_b64 s[6:7], 0
	v_mov_b64_e32 v[4:5], 0
.LBB14_25:                              ; =>This Inner Loop Header: Depth=1
	scratch_load_dwordx4 v[46:49], v10, off
	ds_read_b128 v[50:53], v9
	v_add_u32_e32 v8, 1, v8
	v_cmp_lt_u32_e32 vcc, 1, v8
	v_add_u32_e32 v9, 16, v9
	v_add_u32_e32 v10, 16, v10
	s_or_b64 s[6:7], vcc, s[6:7]
	s_waitcnt vmcnt(0) lgkmcnt(0)
	v_mul_f64 v[12:13], v[52:53], v[48:49]
	v_mul_f64 v[48:49], v[50:51], v[48:49]
	v_fma_f64 v[12:13], v[50:51], v[46:47], -v[12:13]
	v_fmac_f64_e32 v[48:49], v[52:53], v[46:47]
	v_add_f64 v[4:5], v[4:5], v[12:13]
	v_add_f64 v[2:3], v[2:3], v[48:49]
	s_andn2_b64 exec, exec, s[6:7]
	s_cbranch_execnz .LBB14_25
; %bb.26:
	s_or_b64 exec, exec, s[6:7]
	v_mov_b32_e32 v8, 0
	ds_read_b128 v[8:11], v8 offset:48
	s_waitcnt lgkmcnt(0)
	v_mul_f64 v[46:47], v[2:3], v[10:11]
	v_mul_f64 v[12:13], v[4:5], v[10:11]
	v_fma_f64 v[10:11], v[4:5], v[8:9], -v[46:47]
	v_fmac_f64_e32 v[12:13], v[2:3], v[8:9]
	scratch_store_dwordx4 off, v[10:13], off offset:48
.LBB14_27:
	s_or_b64 exec, exec, s[2:3]
	; wave barrier
	scratch_load_dwordx4 v[2:5], off, s17
	v_cmp_gt_u32_e32 vcc, 4, v1
	s_waitcnt vmcnt(0)
	ds_write_b128 v6, v[2:5]
	s_waitcnt lgkmcnt(0)
	; wave barrier
	s_and_saveexec_b64 s[2:3], vcc
	s_cbranch_execz .LBB14_31
; %bb.28:
	v_add_u32_e32 v8, -1, v1
	v_add_u32_e32 v9, 0xf0, v14
	v_mov_b32_e32 v10, v14
	v_mov_b64_e32 v[2:3], 0
	s_mov_b64 s[6:7], 0
	v_mov_b64_e32 v[4:5], 0
.LBB14_29:                              ; =>This Inner Loop Header: Depth=1
	scratch_load_dwordx4 v[46:49], v10, off
	ds_read_b128 v[50:53], v9
	v_add_u32_e32 v8, 1, v8
	v_cmp_lt_u32_e32 vcc, 2, v8
	v_add_u32_e32 v9, 16, v9
	v_add_u32_e32 v10, 16, v10
	s_or_b64 s[6:7], vcc, s[6:7]
	s_waitcnt vmcnt(0) lgkmcnt(0)
	v_mul_f64 v[12:13], v[52:53], v[48:49]
	v_mul_f64 v[48:49], v[50:51], v[48:49]
	v_fma_f64 v[12:13], v[50:51], v[46:47], -v[12:13]
	v_fmac_f64_e32 v[48:49], v[52:53], v[46:47]
	v_add_f64 v[4:5], v[4:5], v[12:13]
	v_add_f64 v[2:3], v[2:3], v[48:49]
	s_andn2_b64 exec, exec, s[6:7]
	s_cbranch_execnz .LBB14_29
; %bb.30:
	s_or_b64 exec, exec, s[6:7]
	v_mov_b32_e32 v8, 0
	ds_read_b128 v[8:11], v8 offset:64
	s_waitcnt lgkmcnt(0)
	v_mul_f64 v[46:47], v[2:3], v[10:11]
	v_mul_f64 v[12:13], v[4:5], v[10:11]
	v_fma_f64 v[10:11], v[4:5], v[8:9], -v[46:47]
	v_fmac_f64_e32 v[12:13], v[2:3], v[8:9]
	scratch_store_dwordx4 off, v[10:13], off offset:64
.LBB14_31:
	s_or_b64 exec, exec, s[2:3]
	; wave barrier
	scratch_load_dwordx4 v[2:5], off, s19
	v_cmp_gt_u32_e32 vcc, 5, v1
	s_waitcnt vmcnt(0)
	ds_write_b128 v6, v[2:5]
	s_waitcnt lgkmcnt(0)
	; wave barrier
	s_and_saveexec_b64 s[2:3], vcc
	s_cbranch_execz .LBB14_35
; %bb.32:
	v_add_u32_e32 v8, -1, v1
	v_add_u32_e32 v9, 0xf0, v14
	v_mov_b32_e32 v10, v14
	v_mov_b64_e32 v[2:3], 0
	s_mov_b64 s[6:7], 0
	v_mov_b64_e32 v[4:5], 0
.LBB14_33:                              ; =>This Inner Loop Header: Depth=1
	scratch_load_dwordx4 v[46:49], v10, off
	ds_read_b128 v[50:53], v9
	v_add_u32_e32 v8, 1, v8
	v_cmp_lt_u32_e32 vcc, 3, v8
	v_add_u32_e32 v9, 16, v9
	v_add_u32_e32 v10, 16, v10
	s_or_b64 s[6:7], vcc, s[6:7]
	s_waitcnt vmcnt(0) lgkmcnt(0)
	v_mul_f64 v[12:13], v[52:53], v[48:49]
	v_mul_f64 v[48:49], v[50:51], v[48:49]
	v_fma_f64 v[12:13], v[50:51], v[46:47], -v[12:13]
	v_fmac_f64_e32 v[48:49], v[52:53], v[46:47]
	v_add_f64 v[4:5], v[4:5], v[12:13]
	v_add_f64 v[2:3], v[2:3], v[48:49]
	s_andn2_b64 exec, exec, s[6:7]
	s_cbranch_execnz .LBB14_33
; %bb.34:
	s_or_b64 exec, exec, s[6:7]
	v_mov_b32_e32 v8, 0
	ds_read_b128 v[8:11], v8 offset:80
	s_waitcnt lgkmcnt(0)
	v_mul_f64 v[46:47], v[2:3], v[10:11]
	v_mul_f64 v[12:13], v[4:5], v[10:11]
	v_fma_f64 v[10:11], v[4:5], v[8:9], -v[46:47]
	v_fmac_f64_e32 v[12:13], v[2:3], v[8:9]
	scratch_store_dwordx4 off, v[10:13], off offset:80
.LBB14_35:
	s_or_b64 exec, exec, s[2:3]
	; wave barrier
	scratch_load_dwordx4 v[2:5], off, s25
	v_cmp_gt_u32_e32 vcc, 6, v1
	s_waitcnt vmcnt(0)
	ds_write_b128 v6, v[2:5]
	s_waitcnt lgkmcnt(0)
	; wave barrier
	s_and_saveexec_b64 s[2:3], vcc
	s_cbranch_execz .LBB14_39
; %bb.36:
	v_add_u32_e32 v8, -1, v1
	v_add_u32_e32 v9, 0xf0, v14
	v_mov_b32_e32 v10, v14
	v_mov_b64_e32 v[2:3], 0
	s_mov_b64 s[6:7], 0
	v_mov_b64_e32 v[4:5], 0
.LBB14_37:                              ; =>This Inner Loop Header: Depth=1
	scratch_load_dwordx4 v[46:49], v10, off
	ds_read_b128 v[50:53], v9
	v_add_u32_e32 v8, 1, v8
	v_cmp_lt_u32_e32 vcc, 4, v8
	v_add_u32_e32 v9, 16, v9
	v_add_u32_e32 v10, 16, v10
	s_or_b64 s[6:7], vcc, s[6:7]
	s_waitcnt vmcnt(0) lgkmcnt(0)
	v_mul_f64 v[12:13], v[52:53], v[48:49]
	v_mul_f64 v[48:49], v[50:51], v[48:49]
	v_fma_f64 v[12:13], v[50:51], v[46:47], -v[12:13]
	v_fmac_f64_e32 v[48:49], v[52:53], v[46:47]
	v_add_f64 v[4:5], v[4:5], v[12:13]
	v_add_f64 v[2:3], v[2:3], v[48:49]
	s_andn2_b64 exec, exec, s[6:7]
	s_cbranch_execnz .LBB14_37
; %bb.38:
	s_or_b64 exec, exec, s[6:7]
	v_mov_b32_e32 v8, 0
	ds_read_b128 v[8:11], v8 offset:96
	s_waitcnt lgkmcnt(0)
	v_mul_f64 v[46:47], v[2:3], v[10:11]
	v_mul_f64 v[12:13], v[4:5], v[10:11]
	v_fma_f64 v[10:11], v[4:5], v[8:9], -v[46:47]
	v_fmac_f64_e32 v[12:13], v[2:3], v[8:9]
	scratch_store_dwordx4 off, v[10:13], off offset:96
.LBB14_39:
	s_or_b64 exec, exec, s[2:3]
	; wave barrier
	scratch_load_dwordx4 v[2:5], off, s26
	v_cmp_gt_u32_e32 vcc, 7, v1
	s_waitcnt vmcnt(0)
	ds_write_b128 v6, v[2:5]
	s_waitcnt lgkmcnt(0)
	; wave barrier
	s_and_saveexec_b64 s[2:3], vcc
	s_cbranch_execz .LBB14_43
; %bb.40:
	v_add_u32_e32 v8, -1, v1
	v_add_u32_e32 v9, 0xf0, v14
	v_mov_b32_e32 v10, v14
	v_mov_b64_e32 v[2:3], 0
	s_mov_b64 s[6:7], 0
	v_mov_b64_e32 v[4:5], 0
.LBB14_41:                              ; =>This Inner Loop Header: Depth=1
	scratch_load_dwordx4 v[46:49], v10, off
	ds_read_b128 v[50:53], v9
	v_add_u32_e32 v8, 1, v8
	v_cmp_lt_u32_e32 vcc, 5, v8
	v_add_u32_e32 v9, 16, v9
	v_add_u32_e32 v10, 16, v10
	s_or_b64 s[6:7], vcc, s[6:7]
	s_waitcnt vmcnt(0) lgkmcnt(0)
	v_mul_f64 v[12:13], v[52:53], v[48:49]
	v_mul_f64 v[48:49], v[50:51], v[48:49]
	v_fma_f64 v[12:13], v[50:51], v[46:47], -v[12:13]
	v_fmac_f64_e32 v[48:49], v[52:53], v[46:47]
	v_add_f64 v[4:5], v[4:5], v[12:13]
	v_add_f64 v[2:3], v[2:3], v[48:49]
	s_andn2_b64 exec, exec, s[6:7]
	s_cbranch_execnz .LBB14_41
; %bb.42:
	s_or_b64 exec, exec, s[6:7]
	v_mov_b32_e32 v8, 0
	ds_read_b128 v[8:11], v8 offset:112
	s_waitcnt lgkmcnt(0)
	v_mul_f64 v[46:47], v[2:3], v[10:11]
	v_mul_f64 v[12:13], v[4:5], v[10:11]
	v_fma_f64 v[10:11], v[4:5], v[8:9], -v[46:47]
	v_fmac_f64_e32 v[12:13], v[2:3], v[8:9]
	scratch_store_dwordx4 off, v[10:13], off offset:112
.LBB14_43:
	s_or_b64 exec, exec, s[2:3]
	; wave barrier
	scratch_load_dwordx4 v[2:5], off, s16
	v_cmp_gt_u32_e32 vcc, 8, v1
	s_waitcnt vmcnt(0)
	ds_write_b128 v6, v[2:5]
	s_waitcnt lgkmcnt(0)
	; wave barrier
	s_and_saveexec_b64 s[2:3], vcc
	s_cbranch_execz .LBB14_47
; %bb.44:
	v_add_u32_e32 v8, -1, v1
	v_add_u32_e32 v9, 0xf0, v14
	v_mov_b32_e32 v10, v14
	v_mov_b64_e32 v[2:3], 0
	s_mov_b64 s[6:7], 0
	v_mov_b64_e32 v[4:5], 0
.LBB14_45:                              ; =>This Inner Loop Header: Depth=1
	scratch_load_dwordx4 v[46:49], v10, off
	ds_read_b128 v[50:53], v9
	v_add_u32_e32 v8, 1, v8
	v_cmp_lt_u32_e32 vcc, 6, v8
	v_add_u32_e32 v9, 16, v9
	v_add_u32_e32 v10, 16, v10
	s_or_b64 s[6:7], vcc, s[6:7]
	s_waitcnt vmcnt(0) lgkmcnt(0)
	v_mul_f64 v[12:13], v[52:53], v[48:49]
	v_mul_f64 v[48:49], v[50:51], v[48:49]
	v_fma_f64 v[12:13], v[50:51], v[46:47], -v[12:13]
	v_fmac_f64_e32 v[48:49], v[52:53], v[46:47]
	v_add_f64 v[4:5], v[4:5], v[12:13]
	v_add_f64 v[2:3], v[2:3], v[48:49]
	s_andn2_b64 exec, exec, s[6:7]
	s_cbranch_execnz .LBB14_45
; %bb.46:
	s_or_b64 exec, exec, s[6:7]
	v_mov_b32_e32 v8, 0
	ds_read_b128 v[8:11], v8 offset:128
	s_waitcnt lgkmcnt(0)
	v_mul_f64 v[46:47], v[2:3], v[10:11]
	v_mul_f64 v[12:13], v[4:5], v[10:11]
	v_fma_f64 v[10:11], v[4:5], v[8:9], -v[46:47]
	v_fmac_f64_e32 v[12:13], v[2:3], v[8:9]
	scratch_store_dwordx4 off, v[10:13], off offset:128
.LBB14_47:
	s_or_b64 exec, exec, s[2:3]
	; wave barrier
	scratch_load_dwordx4 v[2:5], off, s18
	v_cmp_gt_u32_e32 vcc, 9, v1
	s_waitcnt vmcnt(0)
	ds_write_b128 v6, v[2:5]
	s_waitcnt lgkmcnt(0)
	; wave barrier
	s_and_saveexec_b64 s[2:3], vcc
	s_cbranch_execz .LBB14_51
; %bb.48:
	v_add_u32_e32 v8, -1, v1
	v_add_u32_e32 v9, 0xf0, v14
	v_mov_b32_e32 v10, v14
	v_mov_b64_e32 v[2:3], 0
	s_mov_b64 s[6:7], 0
	v_mov_b64_e32 v[4:5], 0
.LBB14_49:                              ; =>This Inner Loop Header: Depth=1
	scratch_load_dwordx4 v[46:49], v10, off
	ds_read_b128 v[50:53], v9
	v_add_u32_e32 v8, 1, v8
	v_cmp_lt_u32_e32 vcc, 7, v8
	v_add_u32_e32 v9, 16, v9
	v_add_u32_e32 v10, 16, v10
	s_or_b64 s[6:7], vcc, s[6:7]
	s_waitcnt vmcnt(0) lgkmcnt(0)
	v_mul_f64 v[12:13], v[52:53], v[48:49]
	v_mul_f64 v[48:49], v[50:51], v[48:49]
	v_fma_f64 v[12:13], v[50:51], v[46:47], -v[12:13]
	v_fmac_f64_e32 v[48:49], v[52:53], v[46:47]
	v_add_f64 v[4:5], v[4:5], v[12:13]
	v_add_f64 v[2:3], v[2:3], v[48:49]
	s_andn2_b64 exec, exec, s[6:7]
	s_cbranch_execnz .LBB14_49
; %bb.50:
	s_or_b64 exec, exec, s[6:7]
	v_mov_b32_e32 v8, 0
	ds_read_b128 v[8:11], v8 offset:144
	s_waitcnt lgkmcnt(0)
	v_mul_f64 v[46:47], v[2:3], v[10:11]
	v_mul_f64 v[12:13], v[4:5], v[10:11]
	v_fma_f64 v[10:11], v[4:5], v[8:9], -v[46:47]
	v_fmac_f64_e32 v[12:13], v[2:3], v[8:9]
	scratch_store_dwordx4 off, v[10:13], off offset:144
.LBB14_51:
	s_or_b64 exec, exec, s[2:3]
	; wave barrier
	scratch_load_dwordx4 v[2:5], off, s27
	v_cmp_gt_u32_e32 vcc, 10, v1
	s_waitcnt vmcnt(0)
	ds_write_b128 v6, v[2:5]
	s_waitcnt lgkmcnt(0)
	; wave barrier
	s_and_saveexec_b64 s[2:3], vcc
	s_cbranch_execz .LBB14_55
; %bb.52:
	v_add_u32_e32 v8, -1, v1
	v_add_u32_e32 v9, 0xf0, v14
	v_mov_b32_e32 v10, v14
	v_mov_b64_e32 v[2:3], 0
	s_mov_b64 s[6:7], 0
	v_mov_b64_e32 v[4:5], 0
.LBB14_53:                              ; =>This Inner Loop Header: Depth=1
	scratch_load_dwordx4 v[46:49], v10, off
	ds_read_b128 v[50:53], v9
	v_add_u32_e32 v8, 1, v8
	v_cmp_lt_u32_e32 vcc, 8, v8
	v_add_u32_e32 v9, 16, v9
	v_add_u32_e32 v10, 16, v10
	s_or_b64 s[6:7], vcc, s[6:7]
	s_waitcnt vmcnt(0) lgkmcnt(0)
	v_mul_f64 v[12:13], v[52:53], v[48:49]
	v_mul_f64 v[48:49], v[50:51], v[48:49]
	v_fma_f64 v[12:13], v[50:51], v[46:47], -v[12:13]
	v_fmac_f64_e32 v[48:49], v[52:53], v[46:47]
	v_add_f64 v[4:5], v[4:5], v[12:13]
	v_add_f64 v[2:3], v[2:3], v[48:49]
	s_andn2_b64 exec, exec, s[6:7]
	s_cbranch_execnz .LBB14_53
; %bb.54:
	s_or_b64 exec, exec, s[6:7]
	v_mov_b32_e32 v8, 0
	ds_read_b128 v[8:11], v8 offset:160
	s_waitcnt lgkmcnt(0)
	v_mul_f64 v[46:47], v[2:3], v[10:11]
	v_mul_f64 v[12:13], v[4:5], v[10:11]
	v_fma_f64 v[10:11], v[4:5], v[8:9], -v[46:47]
	v_fmac_f64_e32 v[12:13], v[2:3], v[8:9]
	scratch_store_dwordx4 off, v[10:13], off offset:160
.LBB14_55:
	s_or_b64 exec, exec, s[2:3]
	; wave barrier
	scratch_load_dwordx4 v[2:5], off, s28
	v_cmp_gt_u32_e32 vcc, 11, v1
	s_waitcnt vmcnt(0)
	ds_write_b128 v6, v[2:5]
	s_waitcnt lgkmcnt(0)
	; wave barrier
	s_and_saveexec_b64 s[2:3], vcc
	s_cbranch_execz .LBB14_59
; %bb.56:
	v_add_u32_e32 v8, -1, v1
	v_add_u32_e32 v9, 0xf0, v14
	v_mov_b32_e32 v10, v14
	v_mov_b64_e32 v[2:3], 0
	s_mov_b64 s[6:7], 0
	v_mov_b64_e32 v[4:5], 0
.LBB14_57:                              ; =>This Inner Loop Header: Depth=1
	scratch_load_dwordx4 v[46:49], v10, off
	ds_read_b128 v[50:53], v9
	v_add_u32_e32 v8, 1, v8
	v_cmp_lt_u32_e32 vcc, 9, v8
	v_add_u32_e32 v9, 16, v9
	v_add_u32_e32 v10, 16, v10
	s_or_b64 s[6:7], vcc, s[6:7]
	s_waitcnt vmcnt(0) lgkmcnt(0)
	v_mul_f64 v[12:13], v[52:53], v[48:49]
	v_mul_f64 v[48:49], v[50:51], v[48:49]
	v_fma_f64 v[12:13], v[50:51], v[46:47], -v[12:13]
	v_fmac_f64_e32 v[48:49], v[52:53], v[46:47]
	v_add_f64 v[4:5], v[4:5], v[12:13]
	v_add_f64 v[2:3], v[2:3], v[48:49]
	s_andn2_b64 exec, exec, s[6:7]
	s_cbranch_execnz .LBB14_57
; %bb.58:
	s_or_b64 exec, exec, s[6:7]
	v_mov_b32_e32 v8, 0
	ds_read_b128 v[8:11], v8 offset:176
	s_waitcnt lgkmcnt(0)
	v_mul_f64 v[46:47], v[2:3], v[10:11]
	v_mul_f64 v[12:13], v[4:5], v[10:11]
	v_fma_f64 v[10:11], v[4:5], v[8:9], -v[46:47]
	v_fmac_f64_e32 v[12:13], v[2:3], v[8:9]
	scratch_store_dwordx4 off, v[10:13], off offset:176
.LBB14_59:
	s_or_b64 exec, exec, s[2:3]
	; wave barrier
	scratch_load_dwordx4 v[2:5], off, s29
	v_cmp_gt_u32_e32 vcc, 12, v1
	s_waitcnt vmcnt(0)
	ds_write_b128 v6, v[2:5]
	s_waitcnt lgkmcnt(0)
	; wave barrier
	s_and_saveexec_b64 s[2:3], vcc
	s_cbranch_execz .LBB14_63
; %bb.60:
	v_add_u32_e32 v8, -1, v1
	v_add_u32_e32 v9, 0xf0, v14
	v_mov_b32_e32 v10, v14
	v_mov_b64_e32 v[2:3], 0
	s_mov_b64 s[6:7], 0
	v_mov_b64_e32 v[4:5], 0
.LBB14_61:                              ; =>This Inner Loop Header: Depth=1
	scratch_load_dwordx4 v[46:49], v10, off
	ds_read_b128 v[50:53], v9
	v_add_u32_e32 v8, 1, v8
	v_cmp_lt_u32_e32 vcc, 10, v8
	v_add_u32_e32 v9, 16, v9
	v_add_u32_e32 v10, 16, v10
	s_or_b64 s[6:7], vcc, s[6:7]
	s_waitcnt vmcnt(0) lgkmcnt(0)
	v_mul_f64 v[12:13], v[52:53], v[48:49]
	v_mul_f64 v[48:49], v[50:51], v[48:49]
	v_fma_f64 v[12:13], v[50:51], v[46:47], -v[12:13]
	v_fmac_f64_e32 v[48:49], v[52:53], v[46:47]
	v_add_f64 v[4:5], v[4:5], v[12:13]
	v_add_f64 v[2:3], v[2:3], v[48:49]
	s_andn2_b64 exec, exec, s[6:7]
	s_cbranch_execnz .LBB14_61
; %bb.62:
	s_or_b64 exec, exec, s[6:7]
	v_mov_b32_e32 v8, 0
	ds_read_b128 v[8:11], v8 offset:192
	s_waitcnt lgkmcnt(0)
	v_mul_f64 v[46:47], v[2:3], v[10:11]
	v_mul_f64 v[12:13], v[4:5], v[10:11]
	v_fma_f64 v[10:11], v[4:5], v[8:9], -v[46:47]
	v_fmac_f64_e32 v[12:13], v[2:3], v[8:9]
	scratch_store_dwordx4 off, v[10:13], off offset:192
.LBB14_63:
	s_or_b64 exec, exec, s[2:3]
	; wave barrier
	scratch_load_dwordx4 v[2:5], off, s30
	v_cmp_gt_u32_e32 vcc, 13, v1
	s_waitcnt vmcnt(0)
	ds_write_b128 v6, v[2:5]
	s_waitcnt lgkmcnt(0)
	; wave barrier
	s_and_saveexec_b64 s[2:3], vcc
	s_cbranch_execz .LBB14_67
; %bb.64:
	v_add_u32_e32 v8, -1, v1
	v_add_u32_e32 v9, 0xf0, v14
	v_mov_b32_e32 v10, v14
	v_mov_b64_e32 v[2:3], 0
	s_mov_b64 s[6:7], 0
	v_mov_b64_e32 v[4:5], 0
.LBB14_65:                              ; =>This Inner Loop Header: Depth=1
	scratch_load_dwordx4 v[46:49], v10, off
	ds_read_b128 v[50:53], v9
	v_add_u32_e32 v8, 1, v8
	v_cmp_lt_u32_e32 vcc, 11, v8
	v_add_u32_e32 v9, 16, v9
	v_add_u32_e32 v10, 16, v10
	s_or_b64 s[6:7], vcc, s[6:7]
	s_waitcnt vmcnt(0) lgkmcnt(0)
	v_mul_f64 v[12:13], v[52:53], v[48:49]
	v_mul_f64 v[48:49], v[50:51], v[48:49]
	v_fma_f64 v[12:13], v[50:51], v[46:47], -v[12:13]
	v_fmac_f64_e32 v[48:49], v[52:53], v[46:47]
	v_add_f64 v[4:5], v[4:5], v[12:13]
	v_add_f64 v[2:3], v[2:3], v[48:49]
	s_andn2_b64 exec, exec, s[6:7]
	s_cbranch_execnz .LBB14_65
; %bb.66:
	s_or_b64 exec, exec, s[6:7]
	v_mov_b32_e32 v8, 0
	ds_read_b128 v[8:11], v8 offset:208
	s_waitcnt lgkmcnt(0)
	v_mul_f64 v[46:47], v[2:3], v[10:11]
	v_mul_f64 v[12:13], v[4:5], v[10:11]
	v_fma_f64 v[10:11], v[4:5], v[8:9], -v[46:47]
	v_fmac_f64_e32 v[12:13], v[2:3], v[8:9]
	scratch_store_dwordx4 off, v[10:13], off offset:208
.LBB14_67:
	s_or_b64 exec, exec, s[2:3]
	; wave barrier
	scratch_load_dwordx4 v[2:5], off, s31
	v_cmp_ne_u32_e32 vcc, 14, v1
	s_waitcnt vmcnt(0)
	ds_write_b128 v6, v[2:5]
	s_waitcnt lgkmcnt(0)
	; wave barrier
	s_and_saveexec_b64 s[2:3], vcc
	s_cbranch_execz .LBB14_71
; %bb.68:
	v_add_u32_e32 v6, 0xf0, v14
	v_mov_b32_e32 v8, v14
	v_mov_b64_e32 v[2:3], 0
	s_mov_b64 s[6:7], 0
	v_mov_b64_e32 v[4:5], 0
.LBB14_69:                              ; =>This Inner Loop Header: Depth=1
	scratch_load_dwordx4 v[10:13], v8, off
	ds_read_b128 v[46:49], v6
	v_add_u32_e32 v7, 1, v7
	v_cmp_lt_u32_e32 vcc, 12, v7
	v_add_u32_e32 v6, 16, v6
	v_add_u32_e32 v8, 16, v8
	s_or_b64 s[6:7], vcc, s[6:7]
	s_waitcnt vmcnt(0) lgkmcnt(0)
	v_mul_f64 v[14:15], v[48:49], v[12:13]
	v_mul_f64 v[12:13], v[46:47], v[12:13]
	v_fma_f64 v[14:15], v[46:47], v[10:11], -v[14:15]
	v_fmac_f64_e32 v[12:13], v[48:49], v[10:11]
	v_add_f64 v[4:5], v[4:5], v[14:15]
	v_add_f64 v[2:3], v[2:3], v[12:13]
	s_andn2_b64 exec, exec, s[6:7]
	s_cbranch_execnz .LBB14_69
; %bb.70:
	s_or_b64 exec, exec, s[6:7]
	v_mov_b32_e32 v6, 0
	ds_read_b128 v[6:9], v6 offset:224
	s_waitcnt lgkmcnt(0)
	v_mul_f64 v[12:13], v[2:3], v[8:9]
	v_mul_f64 v[10:11], v[4:5], v[8:9]
	v_fma_f64 v[8:9], v[4:5], v[6:7], -v[12:13]
	v_fmac_f64_e32 v[10:11], v[2:3], v[6:7]
	scratch_store_dwordx4 off, v[8:11], off offset:224
.LBB14_71:
	s_or_b64 exec, exec, s[2:3]
	s_mov_b64 s[6:7], -1
	; wave barrier
.LBB14_72:
	s_and_b64 vcc, exec, s[6:7]
	s_cbranch_vccz .LBB14_74
; %bb.73:
	s_lshl_b64 s[2:3], s[4:5], 2
	s_add_u32 s2, s10, s2
	s_addc_u32 s3, s11, s3
	v_mov_b32_e32 v2, 0
	global_load_dword v2, v2, s[2:3]
	s_waitcnt vmcnt(0)
	v_cmp_ne_u32_e32 vcc, 0, v2
	s_cbranch_vccz .LBB14_75
.LBB14_74:
	s_endpgm
.LBB14_75:
	v_mov_b32_e32 v2, 0xf0
	v_lshl_add_u32 v46, v1, 4, v2
	v_cmp_eq_u32_e32 vcc, 14, v1
	s_and_saveexec_b64 s[2:3], vcc
	s_cbranch_execz .LBB14_77
; %bb.76:
	scratch_load_dwordx4 v[2:5], off, s30
	v_mov_b32_e32 v6, 0
	v_mov_b32_e32 v7, v6
	;; [unrolled: 1-line block ×4, first 2 shown]
	scratch_store_dwordx4 off, v[6:9], off offset:208
	s_waitcnt vmcnt(1)
	ds_write_b128 v46, v[2:5]
.LBB14_77:
	s_or_b64 exec, exec, s[2:3]
	s_waitcnt lgkmcnt(0)
	; wave barrier
	scratch_load_dwordx4 v[4:7], off, off offset:224
	scratch_load_dwordx4 v[8:11], off, off offset:208
	v_mov_b32_e32 v2, 0
	ds_read_b128 v[12:15], v2 offset:464
	v_cmp_lt_u32_e32 vcc, 12, v1
	s_waitcnt vmcnt(1) lgkmcnt(0)
	v_mul_f64 v[48:49], v[12:13], v[6:7]
	v_mul_f64 v[6:7], v[14:15], v[6:7]
	v_fmac_f64_e32 v[48:49], v[14:15], v[4:5]
	v_fma_f64 v[4:5], v[12:13], v[4:5], -v[6:7]
	v_add_f64 v[6:7], v[48:49], 0
	v_add_f64 v[4:5], v[4:5], 0
	s_waitcnt vmcnt(0)
	v_add_f64 v[4:5], v[8:9], -v[4:5]
	v_add_f64 v[6:7], v[10:11], -v[6:7]
	scratch_store_dwordx4 off, v[4:7], off offset:208
	s_and_saveexec_b64 s[2:3], vcc
	s_cbranch_execz .LBB14_79
; %bb.78:
	scratch_load_dwordx4 v[6:9], off, s29
	v_mov_b32_e32 v3, v2
	v_mov_b32_e32 v4, v2
	;; [unrolled: 1-line block ×3, first 2 shown]
	scratch_store_dwordx4 off, v[2:5], off offset:192
	s_waitcnt vmcnt(1)
	ds_write_b128 v46, v[6:9]
.LBB14_79:
	s_or_b64 exec, exec, s[2:3]
	s_waitcnt lgkmcnt(0)
	; wave barrier
	scratch_load_dwordx4 v[4:7], off, off offset:208
	scratch_load_dwordx4 v[8:11], off, off offset:224
	;; [unrolled: 1-line block ×3, first 2 shown]
	ds_read_b128 v[48:51], v2 offset:448
	ds_read_b128 v[52:55], v2 offset:464
	v_cmp_lt_u32_e32 vcc, 11, v1
	s_waitcnt vmcnt(2) lgkmcnt(1)
	v_mul_f64 v[2:3], v[48:49], v[6:7]
	v_mul_f64 v[6:7], v[50:51], v[6:7]
	s_waitcnt vmcnt(1) lgkmcnt(0)
	v_mul_f64 v[56:57], v[52:53], v[10:11]
	v_mul_f64 v[10:11], v[54:55], v[10:11]
	v_fmac_f64_e32 v[2:3], v[50:51], v[4:5]
	v_fma_f64 v[4:5], v[48:49], v[4:5], -v[6:7]
	v_fmac_f64_e32 v[56:57], v[54:55], v[8:9]
	v_fma_f64 v[6:7], v[52:53], v[8:9], -v[10:11]
	v_add_f64 v[2:3], v[2:3], 0
	v_add_f64 v[4:5], v[4:5], 0
	;; [unrolled: 1-line block ×4, first 2 shown]
	s_waitcnt vmcnt(0)
	v_add_f64 v[2:3], v[12:13], -v[2:3]
	v_add_f64 v[4:5], v[14:15], -v[8:9]
	scratch_store_dwordx4 off, v[2:5], off offset:192
	s_and_saveexec_b64 s[2:3], vcc
	s_cbranch_execz .LBB14_81
; %bb.80:
	scratch_load_dwordx4 v[2:5], off, s28
	v_mov_b32_e32 v6, 0
	v_mov_b32_e32 v7, v6
	v_mov_b32_e32 v8, v6
	v_mov_b32_e32 v9, v6
	scratch_store_dwordx4 off, v[6:9], off offset:176
	s_waitcnt vmcnt(1)
	ds_write_b128 v46, v[2:5]
.LBB14_81:
	s_or_b64 exec, exec, s[2:3]
	s_waitcnt lgkmcnt(0)
	; wave barrier
	scratch_load_dwordx4 v[4:7], off, off offset:192
	scratch_load_dwordx4 v[8:11], off, off offset:208
	;; [unrolled: 1-line block ×4, first 2 shown]
	v_mov_b32_e32 v2, 0
	ds_read_b128 v[52:55], v2 offset:432
	ds_read_b128 v[56:59], v2 offset:448
	;; [unrolled: 1-line block ×3, first 2 shown]
	v_cmp_lt_u32_e32 vcc, 10, v1
	s_waitcnt vmcnt(3) lgkmcnt(2)
	v_mul_f64 v[64:65], v[52:53], v[6:7]
	v_mul_f64 v[6:7], v[54:55], v[6:7]
	s_waitcnt vmcnt(2) lgkmcnt(1)
	v_mul_f64 v[66:67], v[56:57], v[10:11]
	v_mul_f64 v[10:11], v[58:59], v[10:11]
	v_fmac_f64_e32 v[64:65], v[54:55], v[4:5]
	v_fma_f64 v[4:5], v[52:53], v[4:5], -v[6:7]
	s_waitcnt vmcnt(1) lgkmcnt(0)
	v_mul_f64 v[68:69], v[60:61], v[14:15]
	v_mul_f64 v[14:15], v[62:63], v[14:15]
	v_fmac_f64_e32 v[66:67], v[58:59], v[8:9]
	v_fma_f64 v[6:7], v[56:57], v[8:9], -v[10:11]
	v_add_f64 v[10:11], v[64:65], 0
	v_add_f64 v[4:5], v[4:5], 0
	v_fmac_f64_e32 v[68:69], v[62:63], v[12:13]
	v_fma_f64 v[8:9], v[60:61], v[12:13], -v[14:15]
	v_add_f64 v[10:11], v[10:11], v[66:67]
	v_add_f64 v[4:5], v[4:5], v[6:7]
	;; [unrolled: 1-line block ×4, first 2 shown]
	s_waitcnt vmcnt(0)
	v_add_f64 v[4:5], v[48:49], -v[4:5]
	v_add_f64 v[6:7], v[50:51], -v[6:7]
	scratch_store_dwordx4 off, v[4:7], off offset:176
	s_and_saveexec_b64 s[2:3], vcc
	s_cbranch_execz .LBB14_83
; %bb.82:
	scratch_load_dwordx4 v[6:9], off, s27
	v_mov_b32_e32 v3, v2
	v_mov_b32_e32 v4, v2
	v_mov_b32_e32 v5, v2
	scratch_store_dwordx4 off, v[2:5], off offset:160
	s_waitcnt vmcnt(1)
	ds_write_b128 v46, v[6:9]
.LBB14_83:
	s_or_b64 exec, exec, s[2:3]
	s_waitcnt lgkmcnt(0)
	; wave barrier
	scratch_load_dwordx4 v[4:7], off, off offset:176
	scratch_load_dwordx4 v[8:11], off, off offset:192
	;; [unrolled: 1-line block ×5, first 2 shown]
	ds_read_b128 v[56:59], v2 offset:416
	ds_read_b128 v[60:63], v2 offset:432
	;; [unrolled: 1-line block ×4, first 2 shown]
	v_cmp_lt_u32_e32 vcc, 9, v1
	s_waitcnt vmcnt(4) lgkmcnt(3)
	v_mul_f64 v[2:3], v[56:57], v[6:7]
	v_mul_f64 v[6:7], v[58:59], v[6:7]
	s_waitcnt vmcnt(3) lgkmcnt(2)
	v_mul_f64 v[72:73], v[60:61], v[10:11]
	v_mul_f64 v[10:11], v[62:63], v[10:11]
	v_fmac_f64_e32 v[2:3], v[58:59], v[4:5]
	v_fma_f64 v[4:5], v[56:57], v[4:5], -v[6:7]
	s_waitcnt vmcnt(2) lgkmcnt(1)
	v_mul_f64 v[74:75], v[64:65], v[14:15]
	v_mul_f64 v[14:15], v[66:67], v[14:15]
	v_fmac_f64_e32 v[72:73], v[62:63], v[8:9]
	v_fma_f64 v[6:7], v[60:61], v[8:9], -v[10:11]
	v_add_f64 v[2:3], v[2:3], 0
	v_add_f64 v[4:5], v[4:5], 0
	s_waitcnt vmcnt(1) lgkmcnt(0)
	v_mul_f64 v[76:77], v[68:69], v[50:51]
	v_mul_f64 v[50:51], v[70:71], v[50:51]
	v_fmac_f64_e32 v[74:75], v[66:67], v[12:13]
	v_fma_f64 v[8:9], v[64:65], v[12:13], -v[14:15]
	v_add_f64 v[2:3], v[2:3], v[72:73]
	v_add_f64 v[4:5], v[4:5], v[6:7]
	v_fmac_f64_e32 v[76:77], v[70:71], v[48:49]
	v_fma_f64 v[10:11], v[68:69], v[48:49], -v[50:51]
	v_add_f64 v[2:3], v[2:3], v[74:75]
	v_add_f64 v[4:5], v[4:5], v[8:9]
	;; [unrolled: 1-line block ×4, first 2 shown]
	s_waitcnt vmcnt(0)
	v_add_f64 v[2:3], v[52:53], -v[2:3]
	v_add_f64 v[4:5], v[54:55], -v[6:7]
	scratch_store_dwordx4 off, v[2:5], off offset:160
	s_and_saveexec_b64 s[2:3], vcc
	s_cbranch_execz .LBB14_85
; %bb.84:
	scratch_load_dwordx4 v[2:5], off, s18
	v_mov_b32_e32 v6, 0
	v_mov_b32_e32 v7, v6
	;; [unrolled: 1-line block ×4, first 2 shown]
	scratch_store_dwordx4 off, v[6:9], off offset:144
	s_waitcnt vmcnt(1)
	ds_write_b128 v46, v[2:5]
.LBB14_85:
	s_or_b64 exec, exec, s[2:3]
	s_waitcnt lgkmcnt(0)
	; wave barrier
	scratch_load_dwordx4 v[4:7], off, off offset:160
	scratch_load_dwordx4 v[8:11], off, off offset:176
	;; [unrolled: 1-line block ×6, first 2 shown]
	v_mov_b32_e32 v2, 0
	ds_read_b128 v[60:63], v2 offset:400
	ds_read_b128 v[64:67], v2 offset:416
	;; [unrolled: 1-line block ×5, first 2 shown]
	v_cmp_lt_u32_e32 vcc, 8, v1
	s_waitcnt vmcnt(5) lgkmcnt(4)
	v_mul_f64 v[80:81], v[60:61], v[6:7]
	v_mul_f64 v[6:7], v[62:63], v[6:7]
	s_waitcnt vmcnt(4) lgkmcnt(3)
	v_mul_f64 v[82:83], v[64:65], v[10:11]
	s_waitcnt vmcnt(3) lgkmcnt(2)
	v_mul_f64 v[84:85], v[68:69], v[14:15]
	v_mul_f64 v[10:11], v[66:67], v[10:11]
	;; [unrolled: 1-line block ×3, first 2 shown]
	v_fmac_f64_e32 v[80:81], v[62:63], v[4:5]
	v_fma_f64 v[4:5], v[60:61], v[4:5], -v[6:7]
	v_fmac_f64_e32 v[82:83], v[66:67], v[8:9]
	v_fma_f64 v[6:7], v[64:65], v[8:9], -v[10:11]
	v_fma_f64 v[8:9], v[68:69], v[12:13], -v[14:15]
	v_add_f64 v[14:15], v[80:81], 0
	v_add_f64 v[4:5], v[4:5], 0
	s_waitcnt vmcnt(2) lgkmcnt(1)
	v_mul_f64 v[86:87], v[72:73], v[50:51]
	v_mul_f64 v[50:51], v[74:75], v[50:51]
	v_fmac_f64_e32 v[84:85], v[70:71], v[12:13]
	v_add_f64 v[14:15], v[14:15], v[82:83]
	v_add_f64 v[4:5], v[4:5], v[6:7]
	s_waitcnt vmcnt(1) lgkmcnt(0)
	v_mul_f64 v[88:89], v[76:77], v[54:55]
	v_mul_f64 v[54:55], v[78:79], v[54:55]
	v_fmac_f64_e32 v[86:87], v[74:75], v[48:49]
	v_fma_f64 v[10:11], v[72:73], v[48:49], -v[50:51]
	v_add_f64 v[6:7], v[14:15], v[84:85]
	v_add_f64 v[4:5], v[4:5], v[8:9]
	v_fmac_f64_e32 v[88:89], v[78:79], v[52:53]
	v_fma_f64 v[12:13], v[76:77], v[52:53], -v[54:55]
	v_add_f64 v[6:7], v[6:7], v[86:87]
	v_add_f64 v[4:5], v[4:5], v[10:11]
	;; [unrolled: 1-line block ×4, first 2 shown]
	s_waitcnt vmcnt(0)
	v_add_f64 v[4:5], v[56:57], -v[4:5]
	v_add_f64 v[6:7], v[58:59], -v[6:7]
	scratch_store_dwordx4 off, v[4:7], off offset:144
	s_and_saveexec_b64 s[2:3], vcc
	s_cbranch_execz .LBB14_87
; %bb.86:
	scratch_load_dwordx4 v[6:9], off, s16
	v_mov_b32_e32 v3, v2
	v_mov_b32_e32 v4, v2
	;; [unrolled: 1-line block ×3, first 2 shown]
	scratch_store_dwordx4 off, v[2:5], off offset:128
	s_waitcnt vmcnt(1)
	ds_write_b128 v46, v[6:9]
.LBB14_87:
	s_or_b64 exec, exec, s[2:3]
	s_waitcnt lgkmcnt(0)
	; wave barrier
	scratch_load_dwordx4 v[4:7], off, off offset:144
	scratch_load_dwordx4 v[8:11], off, off offset:160
	;; [unrolled: 1-line block ×7, first 2 shown]
	ds_read_b128 v[64:67], v2 offset:384
	ds_read_b128 v[68:71], v2 offset:400
	;; [unrolled: 1-line block ×6, first 2 shown]
	v_cmp_lt_u32_e32 vcc, 7, v1
	s_waitcnt vmcnt(6) lgkmcnt(5)
	v_mul_f64 v[2:3], v[64:65], v[6:7]
	v_mul_f64 v[6:7], v[66:67], v[6:7]
	s_waitcnt vmcnt(5) lgkmcnt(4)
	v_mul_f64 v[88:89], v[68:69], v[10:11]
	v_mul_f64 v[10:11], v[70:71], v[10:11]
	v_fmac_f64_e32 v[2:3], v[66:67], v[4:5]
	v_fma_f64 v[4:5], v[64:65], v[4:5], -v[6:7]
	s_waitcnt vmcnt(4) lgkmcnt(3)
	v_mul_f64 v[90:91], v[72:73], v[14:15]
	v_mul_f64 v[14:15], v[74:75], v[14:15]
	v_fmac_f64_e32 v[88:89], v[70:71], v[8:9]
	v_fma_f64 v[6:7], v[68:69], v[8:9], -v[10:11]
	v_add_f64 v[2:3], v[2:3], 0
	v_add_f64 v[4:5], v[4:5], 0
	s_waitcnt vmcnt(3) lgkmcnt(2)
	v_mul_f64 v[92:93], v[76:77], v[50:51]
	v_mul_f64 v[50:51], v[78:79], v[50:51]
	v_fmac_f64_e32 v[90:91], v[74:75], v[12:13]
	v_fma_f64 v[8:9], v[72:73], v[12:13], -v[14:15]
	v_add_f64 v[2:3], v[2:3], v[88:89]
	v_add_f64 v[4:5], v[4:5], v[6:7]
	;; [unrolled: 7-line block ×4, first 2 shown]
	v_fmac_f64_e32 v[96:97], v[86:87], v[56:57]
	v_fma_f64 v[14:15], v[84:85], v[56:57], -v[58:59]
	v_add_f64 v[2:3], v[2:3], v[94:95]
	v_add_f64 v[4:5], v[4:5], v[12:13]
	;; [unrolled: 1-line block ×4, first 2 shown]
	s_waitcnt vmcnt(0)
	v_add_f64 v[2:3], v[60:61], -v[2:3]
	v_add_f64 v[4:5], v[62:63], -v[6:7]
	scratch_store_dwordx4 off, v[2:5], off offset:128
	s_and_saveexec_b64 s[2:3], vcc
	s_cbranch_execz .LBB14_89
; %bb.88:
	scratch_load_dwordx4 v[2:5], off, s26
	v_mov_b32_e32 v6, 0
	v_mov_b32_e32 v7, v6
	;; [unrolled: 1-line block ×4, first 2 shown]
	scratch_store_dwordx4 off, v[6:9], off offset:112
	s_waitcnt vmcnt(1)
	ds_write_b128 v46, v[2:5]
.LBB14_89:
	s_or_b64 exec, exec, s[2:3]
	s_waitcnt lgkmcnt(0)
	; wave barrier
	scratch_load_dwordx4 v[4:7], off, off offset:128
	scratch_load_dwordx4 v[8:11], off, off offset:144
	;; [unrolled: 1-line block ×8, first 2 shown]
	v_mov_b32_e32 v2, 0
	ds_read_b128 v[68:71], v2 offset:368
	ds_read_b128 v[72:75], v2 offset:384
	;; [unrolled: 1-line block ×7, first 2 shown]
	v_cmp_lt_u32_e32 vcc, 6, v1
	s_waitcnt vmcnt(7) lgkmcnt(6)
	v_mul_f64 v[96:97], v[68:69], v[6:7]
	v_mul_f64 v[6:7], v[70:71], v[6:7]
	s_waitcnt vmcnt(6) lgkmcnt(5)
	v_mul_f64 v[98:99], v[72:73], v[10:11]
	s_waitcnt vmcnt(4) lgkmcnt(3)
	v_mul_f64 v[102:103], v[80:81], v[50:51]
	v_mul_f64 v[10:11], v[74:75], v[10:11]
	;; [unrolled: 1-line block ×3, first 2 shown]
	v_fmac_f64_e32 v[96:97], v[70:71], v[4:5]
	v_fma_f64 v[4:5], v[68:69], v[4:5], -v[6:7]
	v_mul_f64 v[100:101], v[76:77], v[14:15]
	v_mul_f64 v[14:15], v[78:79], v[14:15]
	v_fmac_f64_e32 v[98:99], v[74:75], v[8:9]
	v_fma_f64 v[6:7], v[72:73], v[8:9], -v[10:11]
	v_fma_f64 v[10:11], v[80:81], v[48:49], -v[50:51]
	v_add_f64 v[50:51], v[96:97], 0
	v_add_f64 v[4:5], v[4:5], 0
	v_fmac_f64_e32 v[100:101], v[78:79], v[12:13]
	v_fma_f64 v[8:9], v[76:77], v[12:13], -v[14:15]
	v_add_f64 v[50:51], v[50:51], v[98:99]
	v_add_f64 v[4:5], v[4:5], v[6:7]
	s_waitcnt vmcnt(3) lgkmcnt(2)
	v_mul_f64 v[104:105], v[84:85], v[54:55]
	v_mul_f64 v[54:55], v[86:87], v[54:55]
	v_fmac_f64_e32 v[102:103], v[82:83], v[48:49]
	v_add_f64 v[6:7], v[50:51], v[100:101]
	v_add_f64 v[4:5], v[4:5], v[8:9]
	s_waitcnt vmcnt(2) lgkmcnt(1)
	v_mul_f64 v[106:107], v[88:89], v[58:59]
	v_mul_f64 v[58:59], v[90:91], v[58:59]
	v_fmac_f64_e32 v[104:105], v[86:87], v[52:53]
	v_fma_f64 v[12:13], v[84:85], v[52:53], -v[54:55]
	v_add_f64 v[6:7], v[6:7], v[102:103]
	v_add_f64 v[4:5], v[4:5], v[10:11]
	s_waitcnt vmcnt(1) lgkmcnt(0)
	v_mul_f64 v[108:109], v[92:93], v[62:63]
	v_mul_f64 v[62:63], v[94:95], v[62:63]
	v_fmac_f64_e32 v[106:107], v[90:91], v[56:57]
	v_fma_f64 v[14:15], v[88:89], v[56:57], -v[58:59]
	v_add_f64 v[6:7], v[6:7], v[104:105]
	v_add_f64 v[4:5], v[4:5], v[12:13]
	v_fmac_f64_e32 v[108:109], v[94:95], v[60:61]
	v_fma_f64 v[48:49], v[92:93], v[60:61], -v[62:63]
	v_add_f64 v[6:7], v[6:7], v[106:107]
	v_add_f64 v[4:5], v[4:5], v[14:15]
	;; [unrolled: 1-line block ×4, first 2 shown]
	s_waitcnt vmcnt(0)
	v_add_f64 v[4:5], v[64:65], -v[4:5]
	v_add_f64 v[6:7], v[66:67], -v[6:7]
	scratch_store_dwordx4 off, v[4:7], off offset:112
	s_and_saveexec_b64 s[2:3], vcc
	s_cbranch_execz .LBB14_91
; %bb.90:
	scratch_load_dwordx4 v[6:9], off, s25
	v_mov_b32_e32 v3, v2
	v_mov_b32_e32 v4, v2
	;; [unrolled: 1-line block ×3, first 2 shown]
	scratch_store_dwordx4 off, v[2:5], off offset:96
	s_waitcnt vmcnt(1)
	ds_write_b128 v46, v[6:9]
.LBB14_91:
	s_or_b64 exec, exec, s[2:3]
	s_waitcnt lgkmcnt(0)
	; wave barrier
	scratch_load_dwordx4 v[4:7], off, off offset:112
	scratch_load_dwordx4 v[8:11], off, off offset:128
	;; [unrolled: 1-line block ×9, first 2 shown]
	ds_read_b128 v[72:75], v2 offset:352
	ds_read_b128 v[76:79], v2 offset:368
	;; [unrolled: 1-line block ×8, first 2 shown]
	v_cmp_lt_u32_e32 vcc, 5, v1
	s_waitcnt vmcnt(8) lgkmcnt(7)
	v_mul_f64 v[2:3], v[72:73], v[6:7]
	v_mul_f64 v[6:7], v[74:75], v[6:7]
	s_waitcnt vmcnt(7) lgkmcnt(6)
	v_mul_f64 v[104:105], v[76:77], v[10:11]
	v_mul_f64 v[10:11], v[78:79], v[10:11]
	v_fmac_f64_e32 v[2:3], v[74:75], v[4:5]
	v_fma_f64 v[4:5], v[72:73], v[4:5], -v[6:7]
	s_waitcnt vmcnt(6) lgkmcnt(5)
	v_mul_f64 v[106:107], v[80:81], v[14:15]
	v_mul_f64 v[14:15], v[82:83], v[14:15]
	v_fmac_f64_e32 v[104:105], v[78:79], v[8:9]
	v_fma_f64 v[6:7], v[76:77], v[8:9], -v[10:11]
	v_add_f64 v[2:3], v[2:3], 0
	v_add_f64 v[4:5], v[4:5], 0
	s_waitcnt vmcnt(5) lgkmcnt(4)
	v_mul_f64 v[108:109], v[84:85], v[50:51]
	v_mul_f64 v[50:51], v[86:87], v[50:51]
	v_fmac_f64_e32 v[106:107], v[82:83], v[12:13]
	v_fma_f64 v[8:9], v[80:81], v[12:13], -v[14:15]
	v_add_f64 v[2:3], v[2:3], v[104:105]
	v_add_f64 v[4:5], v[4:5], v[6:7]
	;; [unrolled: 7-line block ×6, first 2 shown]
	v_fmac_f64_e32 v[116:117], v[102:103], v[64:65]
	v_fma_f64 v[50:51], v[100:101], v[64:65], -v[66:67]
	v_add_f64 v[2:3], v[2:3], v[114:115]
	v_add_f64 v[4:5], v[4:5], v[48:49]
	;; [unrolled: 1-line block ×4, first 2 shown]
	s_waitcnt vmcnt(0)
	v_add_f64 v[2:3], v[68:69], -v[2:3]
	v_add_f64 v[4:5], v[70:71], -v[6:7]
	scratch_store_dwordx4 off, v[2:5], off offset:96
	s_and_saveexec_b64 s[2:3], vcc
	s_cbranch_execz .LBB14_93
; %bb.92:
	scratch_load_dwordx4 v[2:5], off, s19
	v_mov_b32_e32 v6, 0
	v_mov_b32_e32 v7, v6
	;; [unrolled: 1-line block ×4, first 2 shown]
	scratch_store_dwordx4 off, v[6:9], off offset:80
	s_waitcnt vmcnt(1)
	ds_write_b128 v46, v[2:5]
.LBB14_93:
	s_or_b64 exec, exec, s[2:3]
	v_mov_b32_e32 v2, 0
	s_waitcnt lgkmcnt(0)
	; wave barrier
	ds_read_b128 v[4:7], v2 offset:336
	ds_read_b128 v[8:11], v2 offset:352
	ds_read_b128 v[12:15], v2 offset:368
	ds_read_b128 v[48:51], v2 offset:384
	scratch_load_dwordx4 v[52:55], off, off offset:96
	scratch_load_dwordx4 v[72:75], off, off offset:160
	;; [unrolled: 1-line block ×3, first 2 shown]
	v_cmp_lt_u32_e32 vcc, 4, v1
	scratch_load_dwordx4 v[80:83], off, off offset:176
	scratch_load_dwordx4 v[88:91], off, off offset:192
	;; [unrolled: 1-line block ×3, first 2 shown]
	s_waitcnt vmcnt(5) lgkmcnt(3)
	v_mul_f64 v[56:57], v[4:5], v[54:55]
	v_fmac_f64_e32 v[56:57], v[6:7], v[52:53]
	v_add_f64 v[60:61], v[56:57], 0
	scratch_load_dwordx4 v[56:59], off, off offset:112
	v_mul_f64 v[6:7], v[6:7], v[54:55]
	v_fma_f64 v[4:5], v[4:5], v[52:53], -v[6:7]
	v_add_f64 v[4:5], v[4:5], 0
	s_waitcnt vmcnt(0) lgkmcnt(2)
	v_mul_f64 v[62:63], v[8:9], v[58:59]
	v_fmac_f64_e32 v[62:63], v[10:11], v[56:57]
	v_add_f64 v[64:65], v[60:61], v[62:63]
	scratch_load_dwordx4 v[60:63], off, off offset:128
	v_mul_f64 v[6:7], v[10:11], v[58:59]
	v_fma_f64 v[6:7], v[8:9], v[56:57], -v[6:7]
	v_add_f64 v[4:5], v[4:5], v[6:7]
	;; [unrolled: 8-line block ×3, first 2 shown]
	s_waitcnt vmcnt(0) lgkmcnt(0)
	v_mul_f64 v[70:71], v[48:49], v[66:67]
	v_fmac_f64_e32 v[70:71], v[50:51], v[64:65]
	v_add_f64 v[76:77], v[68:69], v[70:71]
	ds_read_b128 v[68:71], v2 offset:400
	v_mul_f64 v[6:7], v[50:51], v[66:67]
	v_fma_f64 v[6:7], v[48:49], v[64:65], -v[6:7]
	v_add_f64 v[4:5], v[4:5], v[6:7]
	s_waitcnt lgkmcnt(0)
	v_mul_f64 v[78:79], v[68:69], v[74:75]
	v_fmac_f64_e32 v[78:79], v[70:71], v[72:73]
	v_add_f64 v[84:85], v[76:77], v[78:79]
	ds_read_b128 v[76:79], v2 offset:416
	v_mul_f64 v[6:7], v[70:71], v[74:75]
	v_fma_f64 v[6:7], v[68:69], v[72:73], -v[6:7]
	v_add_f64 v[4:5], v[4:5], v[6:7]
	s_waitcnt lgkmcnt(0)
	;; [unrolled: 8-line block ×5, first 2 shown]
	v_mul_f64 v[6:7], v[102:103], v[106:107]
	v_fma_f64 v[6:7], v[100:101], v[104:105], -v[6:7]
	v_add_f64 v[8:9], v[4:5], v[6:7]
	scratch_load_dwordx4 v[4:7], off, off offset:80
	v_mul_f64 v[110:111], v[100:101], v[106:107]
	v_fmac_f64_e32 v[110:111], v[102:103], v[104:105]
	v_add_f64 v[108:109], v[108:109], v[110:111]
	s_waitcnt vmcnt(0)
	v_add_f64 v[4:5], v[4:5], -v[8:9]
	v_add_f64 v[6:7], v[6:7], -v[108:109]
	scratch_store_dwordx4 off, v[4:7], off offset:80
	s_and_saveexec_b64 s[2:3], vcc
	s_cbranch_execz .LBB14_95
; %bb.94:
	scratch_load_dwordx4 v[6:9], off, s17
	v_mov_b32_e32 v3, v2
	v_mov_b32_e32 v4, v2
	;; [unrolled: 1-line block ×3, first 2 shown]
	scratch_store_dwordx4 off, v[2:5], off offset:64
	s_waitcnt vmcnt(1)
	ds_write_b128 v46, v[6:9]
.LBB14_95:
	s_or_b64 exec, exec, s[2:3]
	s_waitcnt lgkmcnt(0)
	; wave barrier
	scratch_load_dwordx4 v[4:7], off, off offset:80
	scratch_load_dwordx4 v[8:11], off, off offset:96
	;; [unrolled: 1-line block ×11, first 2 shown]
	ds_read_b128 v[80:83], v2 offset:320
	ds_read_b128 v[84:87], v2 offset:336
	;; [unrolled: 1-line block ×10, first 2 shown]
	v_cmp_lt_u32_e32 vcc, 3, v1
	s_waitcnt vmcnt(10) lgkmcnt(9)
	v_mul_f64 v[2:3], v[80:81], v[6:7]
	v_mul_f64 v[6:7], v[82:83], v[6:7]
	s_waitcnt vmcnt(9) lgkmcnt(8)
	v_mul_f64 v[120:121], v[84:85], v[10:11]
	v_mul_f64 v[10:11], v[86:87], v[10:11]
	v_fmac_f64_e32 v[2:3], v[82:83], v[4:5]
	v_fma_f64 v[4:5], v[80:81], v[4:5], -v[6:7]
	s_waitcnt vmcnt(8) lgkmcnt(7)
	v_mul_f64 v[122:123], v[88:89], v[14:15]
	v_mul_f64 v[14:15], v[90:91], v[14:15]
	v_fmac_f64_e32 v[120:121], v[86:87], v[8:9]
	v_fma_f64 v[6:7], v[84:85], v[8:9], -v[10:11]
	v_add_f64 v[2:3], v[2:3], 0
	v_add_f64 v[4:5], v[4:5], 0
	s_waitcnt vmcnt(7) lgkmcnt(6)
	v_mul_f64 v[124:125], v[92:93], v[50:51]
	v_mul_f64 v[50:51], v[94:95], v[50:51]
	v_fmac_f64_e32 v[122:123], v[90:91], v[12:13]
	v_fma_f64 v[8:9], v[88:89], v[12:13], -v[14:15]
	v_add_f64 v[2:3], v[2:3], v[120:121]
	v_add_f64 v[4:5], v[4:5], v[6:7]
	;; [unrolled: 7-line block ×8, first 2 shown]
	v_fmac_f64_e32 v[136:137], v[118:119], v[72:73]
	v_fma_f64 v[54:55], v[116:117], v[72:73], -v[74:75]
	v_add_f64 v[2:3], v[2:3], v[134:135]
	v_add_f64 v[4:5], v[4:5], v[52:53]
	;; [unrolled: 1-line block ×4, first 2 shown]
	s_waitcnt vmcnt(0)
	v_add_f64 v[2:3], v[76:77], -v[2:3]
	v_add_f64 v[4:5], v[78:79], -v[6:7]
	scratch_store_dwordx4 off, v[2:5], off offset:64
	s_and_saveexec_b64 s[2:3], vcc
	s_cbranch_execz .LBB14_97
; %bb.96:
	scratch_load_dwordx4 v[2:5], off, s15
	v_mov_b32_e32 v6, 0
	v_mov_b32_e32 v7, v6
	;; [unrolled: 1-line block ×4, first 2 shown]
	scratch_store_dwordx4 off, v[6:9], off offset:48
	s_waitcnt vmcnt(1)
	ds_write_b128 v46, v[2:5]
.LBB14_97:
	s_or_b64 exec, exec, s[2:3]
	s_waitcnt lgkmcnt(0)
	; wave barrier
	scratch_load_dwordx4 v[4:7], off, off offset:64
	scratch_load_dwordx4 v[8:11], off, off offset:80
	;; [unrolled: 1-line block ×12, first 2 shown]
	v_mov_b32_e32 v2, 0
	ds_read_b128 v[84:87], v2 offset:304
	ds_read_b128 v[88:91], v2 offset:320
	;; [unrolled: 1-line block ×11, first 2 shown]
	v_cmp_lt_u32_e32 vcc, 2, v1
	s_waitcnt vmcnt(11) lgkmcnt(10)
	v_mul_f64 v[128:129], v[84:85], v[6:7]
	v_mul_f64 v[6:7], v[86:87], v[6:7]
	s_waitcnt vmcnt(10) lgkmcnt(9)
	v_mul_f64 v[130:131], v[88:89], v[10:11]
	s_waitcnt vmcnt(9) lgkmcnt(8)
	v_mul_f64 v[132:133], v[92:93], v[14:15]
	v_mul_f64 v[10:11], v[90:91], v[10:11]
	s_waitcnt vmcnt(6) lgkmcnt(5)
	v_mul_f64 v[138:139], v[104:105], v[58:59]
	v_mul_f64 v[14:15], v[94:95], v[14:15]
	;; [unrolled: 1-line block ×3, first 2 shown]
	v_fmac_f64_e32 v[128:129], v[86:87], v[4:5]
	v_fma_f64 v[4:5], v[84:85], v[4:5], -v[6:7]
	v_fmac_f64_e32 v[130:131], v[90:91], v[8:9]
	v_fma_f64 v[6:7], v[88:89], v[8:9], -v[10:11]
	v_fma_f64 v[8:9], v[92:93], v[12:13], -v[14:15]
	;; [unrolled: 1-line block ×3, first 2 shown]
	v_add_f64 v[58:59], v[128:129], 0
	v_add_f64 v[4:5], v[4:5], 0
	v_mul_f64 v[134:135], v[96:97], v[50:51]
	v_mul_f64 v[50:51], v[98:99], v[50:51]
	v_fmac_f64_e32 v[132:133], v[94:95], v[12:13]
	v_add_f64 v[58:59], v[58:59], v[130:131]
	v_add_f64 v[4:5], v[4:5], v[6:7]
	v_mul_f64 v[136:137], v[100:101], v[54:55]
	v_mul_f64 v[54:55], v[102:103], v[54:55]
	v_fmac_f64_e32 v[134:135], v[98:99], v[48:49]
	v_fma_f64 v[10:11], v[96:97], v[48:49], -v[50:51]
	v_add_f64 v[6:7], v[58:59], v[132:133]
	v_add_f64 v[4:5], v[4:5], v[8:9]
	v_fmac_f64_e32 v[136:137], v[102:103], v[52:53]
	v_fma_f64 v[12:13], v[100:101], v[52:53], -v[54:55]
	v_add_f64 v[6:7], v[6:7], v[134:135]
	v_add_f64 v[4:5], v[4:5], v[10:11]
	s_waitcnt vmcnt(5) lgkmcnt(4)
	v_mul_f64 v[140:141], v[108:109], v[62:63]
	v_mul_f64 v[62:63], v[110:111], v[62:63]
	v_fmac_f64_e32 v[138:139], v[106:107], v[56:57]
	v_add_f64 v[6:7], v[6:7], v[136:137]
	v_add_f64 v[4:5], v[4:5], v[12:13]
	s_waitcnt vmcnt(4) lgkmcnt(3)
	v_mul_f64 v[142:143], v[112:113], v[66:67]
	v_mul_f64 v[66:67], v[114:115], v[66:67]
	v_fmac_f64_e32 v[140:141], v[110:111], v[60:61]
	v_fma_f64 v[48:49], v[108:109], v[60:61], -v[62:63]
	v_add_f64 v[6:7], v[6:7], v[138:139]
	v_add_f64 v[4:5], v[4:5], v[14:15]
	s_waitcnt vmcnt(3) lgkmcnt(2)
	v_mul_f64 v[144:145], v[116:117], v[70:71]
	v_mul_f64 v[70:71], v[118:119], v[70:71]
	v_fmac_f64_e32 v[142:143], v[114:115], v[64:65]
	v_fma_f64 v[50:51], v[112:113], v[64:65], -v[66:67]
	;; [unrolled: 7-line block ×4, first 2 shown]
	v_add_f64 v[6:7], v[6:7], v[144:145]
	v_add_f64 v[4:5], v[4:5], v[52:53]
	v_fmac_f64_e32 v[148:149], v[126:127], v[76:77]
	v_fma_f64 v[56:57], v[124:125], v[76:77], -v[78:79]
	v_add_f64 v[6:7], v[6:7], v[146:147]
	v_add_f64 v[4:5], v[4:5], v[54:55]
	;; [unrolled: 1-line block ×4, first 2 shown]
	s_waitcnt vmcnt(0)
	v_add_f64 v[4:5], v[80:81], -v[4:5]
	v_add_f64 v[6:7], v[82:83], -v[6:7]
	scratch_store_dwordx4 off, v[4:7], off offset:48
	s_and_saveexec_b64 s[2:3], vcc
	s_cbranch_execz .LBB14_99
; %bb.98:
	scratch_load_dwordx4 v[6:9], off, s14
	v_mov_b32_e32 v3, v2
	v_mov_b32_e32 v4, v2
	;; [unrolled: 1-line block ×3, first 2 shown]
	scratch_store_dwordx4 off, v[2:5], off offset:32
	s_waitcnt vmcnt(1)
	ds_write_b128 v46, v[6:9]
.LBB14_99:
	s_or_b64 exec, exec, s[2:3]
	s_waitcnt lgkmcnt(0)
	; wave barrier
	scratch_load_dwordx4 v[4:7], off, off offset:48
	scratch_load_dwordx4 v[8:11], off, off offset:64
	;; [unrolled: 1-line block ×12, first 2 shown]
	ds_read_b128 v[84:87], v2 offset:288
	ds_read_b128 v[88:91], v2 offset:304
	;; [unrolled: 1-line block ×4, first 2 shown]
	scratch_load_dwordx4 v[100:103], off, off offset:32
	ds_read_b128 v[104:107], v2 offset:352
	ds_read_b128 v[108:111], v2 offset:368
	;; [unrolled: 1-line block ×8, first 2 shown]
	v_cmp_lt_u32_e32 vcc, 1, v1
	s_waitcnt vmcnt(12) lgkmcnt(11)
	v_mul_f64 v[2:3], v[84:85], v[6:7]
	s_waitcnt vmcnt(11) lgkmcnt(10)
	v_mul_f64 v[136:137], v[88:89], v[10:11]
	v_fmac_f64_e32 v[2:3], v[86:87], v[4:5]
	s_waitcnt vmcnt(10) lgkmcnt(9)
	v_mul_f64 v[138:139], v[92:93], v[14:15]
	v_mul_f64 v[6:7], v[86:87], v[6:7]
	v_fmac_f64_e32 v[136:137], v[90:91], v[8:9]
	v_add_f64 v[2:3], v[2:3], 0
	s_waitcnt vmcnt(9) lgkmcnt(8)
	v_mul_f64 v[140:141], v[96:97], v[50:51]
	v_mul_f64 v[10:11], v[90:91], v[10:11]
	v_fma_f64 v[4:5], v[84:85], v[4:5], -v[6:7]
	v_fmac_f64_e32 v[138:139], v[94:95], v[12:13]
	v_add_f64 v[2:3], v[2:3], v[136:137]
	s_waitcnt vmcnt(8) lgkmcnt(7)
	v_mul_f64 v[142:143], v[104:105], v[54:55]
	v_mul_f64 v[14:15], v[94:95], v[14:15]
	v_fma_f64 v[6:7], v[88:89], v[8:9], -v[10:11]
	v_fmac_f64_e32 v[140:141], v[98:99], v[48:49]
	v_add_f64 v[4:5], v[4:5], 0
	v_add_f64 v[2:3], v[2:3], v[138:139]
	s_waitcnt vmcnt(7) lgkmcnt(6)
	v_mul_f64 v[144:145], v[108:109], v[58:59]
	v_mul_f64 v[50:51], v[98:99], v[50:51]
	v_fma_f64 v[8:9], v[92:93], v[12:13], -v[14:15]
	v_fmac_f64_e32 v[142:143], v[106:107], v[52:53]
	v_add_f64 v[4:5], v[4:5], v[6:7]
	;; [unrolled: 7-line block ×3, first 2 shown]
	v_add_f64 v[2:3], v[2:3], v[142:143]
	s_waitcnt vmcnt(5) lgkmcnt(4)
	v_mul_f64 v[148:149], v[116:117], v[66:67]
	v_mul_f64 v[58:59], v[110:111], v[58:59]
	v_fmac_f64_e32 v[146:147], v[114:115], v[60:61]
	v_fma_f64 v[12:13], v[104:105], v[52:53], -v[54:55]
	v_add_f64 v[4:5], v[4:5], v[10:11]
	v_add_f64 v[2:3], v[2:3], v[144:145]
	s_waitcnt vmcnt(4) lgkmcnt(3)
	v_mul_f64 v[150:151], v[120:121], v[70:71]
	v_mul_f64 v[62:63], v[114:115], v[62:63]
	v_fmac_f64_e32 v[148:149], v[118:119], v[64:65]
	v_fma_f64 v[14:15], v[108:109], v[56:57], -v[58:59]
	v_add_f64 v[4:5], v[4:5], v[12:13]
	;; [unrolled: 7-line block ×5, first 2 shown]
	v_add_f64 v[2:3], v[2:3], v[152:153]
	v_mul_f64 v[78:79], v[130:131], v[78:79]
	v_fmac_f64_e32 v[156:157], v[134:135], v[80:81]
	v_fma_f64 v[54:55], v[124:125], v[72:73], -v[74:75]
	v_add_f64 v[4:5], v[4:5], v[52:53]
	v_add_f64 v[2:3], v[2:3], v[154:155]
	;; [unrolled: 1-line block ×4, first 2 shown]
	v_fma_f64 v[2:3], v[128:129], v[76:77], -v[78:79]
	v_add_f64 v[2:3], v[4:5], v[2:3]
	v_mul_f64 v[4:5], v[134:135], v[82:83]
	v_fma_f64 v[4:5], v[132:133], v[80:81], -v[4:5]
	v_add_f64 v[2:3], v[2:3], v[4:5]
	s_waitcnt vmcnt(0)
	v_add_f64 v[2:3], v[100:101], -v[2:3]
	v_add_f64 v[4:5], v[102:103], -v[6:7]
	scratch_store_dwordx4 off, v[2:5], off offset:32
	s_and_saveexec_b64 s[2:3], vcc
	s_cbranch_execz .LBB14_101
; %bb.100:
	scratch_load_dwordx4 v[2:5], off, s24
	v_mov_b32_e32 v6, 0
	v_mov_b32_e32 v7, v6
	;; [unrolled: 1-line block ×4, first 2 shown]
	scratch_store_dwordx4 off, v[6:9], off offset:16
	s_waitcnt vmcnt(1)
	ds_write_b128 v46, v[2:5]
.LBB14_101:
	s_or_b64 exec, exec, s[2:3]
	v_mov_b32_e32 v2, 0
	s_waitcnt lgkmcnt(0)
	; wave barrier
	ds_read_b128 v[4:7], v2 offset:272
	ds_read_b128 v[8:11], v2 offset:288
	;; [unrolled: 1-line block ×4, first 2 shown]
	scratch_load_dwordx4 v[52:55], off, off offset:32
	scratch_load_dwordx4 v[72:75], off, off offset:96
	;; [unrolled: 1-line block ×7, first 2 shown]
	v_cmp_ne_u32_e32 vcc, 0, v1
	scratch_load_dwordx4 v[80:83], off, off offset:112
	scratch_load_dwordx4 v[88:91], off, off offset:128
	scratch_load_dwordx4 v[96:99], off, off offset:144
	s_waitcnt vmcnt(9) lgkmcnt(3)
	v_mul_f64 v[56:57], v[4:5], v[54:55]
	v_fmac_f64_e32 v[56:57], v[6:7], v[52:53]
	v_add_f64 v[60:61], v[56:57], 0
	scratch_load_dwordx4 v[56:59], off, off offset:48
	v_mul_f64 v[6:7], v[6:7], v[54:55]
	v_fma_f64 v[4:5], v[4:5], v[52:53], -v[6:7]
	v_add_f64 v[4:5], v[4:5], 0
	s_waitcnt vmcnt(0) lgkmcnt(2)
	v_mul_f64 v[62:63], v[8:9], v[58:59]
	v_fmac_f64_e32 v[62:63], v[10:11], v[56:57]
	v_add_f64 v[64:65], v[60:61], v[62:63]
	scratch_load_dwordx4 v[60:63], off, off offset:64
	v_mul_f64 v[6:7], v[10:11], v[58:59]
	v_fma_f64 v[6:7], v[8:9], v[56:57], -v[6:7]
	v_add_f64 v[4:5], v[4:5], v[6:7]
	;; [unrolled: 8-line block ×3, first 2 shown]
	s_waitcnt vmcnt(0) lgkmcnt(0)
	v_mul_f64 v[70:71], v[48:49], v[66:67]
	v_fmac_f64_e32 v[70:71], v[50:51], v[64:65]
	v_add_f64 v[76:77], v[68:69], v[70:71]
	ds_read_b128 v[68:71], v2 offset:336
	v_mul_f64 v[6:7], v[50:51], v[66:67]
	v_fma_f64 v[6:7], v[48:49], v[64:65], -v[6:7]
	v_add_f64 v[4:5], v[4:5], v[6:7]
	s_waitcnt lgkmcnt(0)
	v_mul_f64 v[78:79], v[68:69], v[74:75]
	v_fmac_f64_e32 v[78:79], v[70:71], v[72:73]
	v_add_f64 v[84:85], v[76:77], v[78:79]
	ds_read_b128 v[76:79], v2 offset:352
	v_mul_f64 v[6:7], v[70:71], v[74:75]
	v_fma_f64 v[6:7], v[68:69], v[72:73], -v[6:7]
	v_add_f64 v[4:5], v[4:5], v[6:7]
	s_waitcnt lgkmcnt(0)
	;; [unrolled: 8-line block ×9, first 2 shown]
	v_mul_f64 v[6:7], v[134:135], v[138:139]
	v_fma_f64 v[6:7], v[132:133], v[136:137], -v[6:7]
	v_add_f64 v[8:9], v[4:5], v[6:7]
	scratch_load_dwordx4 v[4:7], off, off offset:16
	v_mul_f64 v[142:143], v[132:133], v[138:139]
	v_fmac_f64_e32 v[142:143], v[134:135], v[136:137]
	v_add_f64 v[140:141], v[140:141], v[142:143]
	s_waitcnt vmcnt(0)
	v_add_f64 v[4:5], v[4:5], -v[8:9]
	v_add_f64 v[6:7], v[6:7], -v[140:141]
	scratch_store_dwordx4 off, v[4:7], off offset:16
	s_and_saveexec_b64 s[2:3], vcc
	s_cbranch_execz .LBB14_103
; %bb.102:
	scratch_load_dwordx4 v[6:9], off, off
	v_mov_b32_e32 v3, v2
	v_mov_b32_e32 v4, v2
	;; [unrolled: 1-line block ×3, first 2 shown]
	scratch_store_dwordx4 off, v[2:5], off
	s_waitcnt vmcnt(1)
	ds_write_b128 v46, v[6:9]
.LBB14_103:
	s_or_b64 exec, exec, s[2:3]
	s_waitcnt lgkmcnt(0)
	; wave barrier
	ds_read_b128 v[4:7], v2 offset:256
	ds_read_b128 v[8:11], v2 offset:272
	;; [unrolled: 1-line block ×4, first 2 shown]
	scratch_load_dwordx4 v[50:53], off, off offset:16
	scratch_load_dwordx4 v[70:73], off, off offset:80
	;; [unrolled: 1-line block ×8, first 2 shown]
	s_and_b64 vcc, exec, s[22:23]
	scratch_load_dwordx4 v[78:81], off, off offset:96
	scratch_load_dwordx4 v[86:89], off, off offset:112
	;; [unrolled: 1-line block ×3, first 2 shown]
	s_waitcnt vmcnt(10) lgkmcnt(3)
	v_mul_f64 v[54:55], v[4:5], v[52:53]
	v_fmac_f64_e32 v[54:55], v[6:7], v[50:51]
	v_add_f64 v[58:59], v[54:55], 0
	scratch_load_dwordx4 v[54:57], off, off offset:32
	s_waitcnt vmcnt(0) lgkmcnt(2)
	v_mul_f64 v[60:61], v[8:9], v[56:57]
	v_fmac_f64_e32 v[60:61], v[10:11], v[54:55]
	v_add_f64 v[62:63], v[58:59], v[60:61]
	scratch_load_dwordx4 v[58:61], off, off offset:48
	;; [unrolled: 5-line block ×3, first 2 shown]
	s_waitcnt vmcnt(0) lgkmcnt(0)
	v_mul_f64 v[68:69], v[46:47], v[64:65]
	v_fmac_f64_e32 v[68:69], v[48:49], v[62:63]
	v_add_f64 v[74:75], v[66:67], v[68:69]
	ds_read_b128 v[66:69], v2 offset:320
	s_waitcnt lgkmcnt(0)
	v_mul_f64 v[76:77], v[66:67], v[72:73]
	v_fmac_f64_e32 v[76:77], v[68:69], v[70:71]
	v_add_f64 v[82:83], v[74:75], v[76:77]
	ds_read_b128 v[74:77], v2 offset:336
	s_waitcnt lgkmcnt(0)
	v_mul_f64 v[84:85], v[74:75], v[80:81]
	v_fmac_f64_e32 v[84:85], v[76:77], v[78:79]
	v_add_f64 v[90:91], v[82:83], v[84:85]
	ds_read_b128 v[82:85], v2 offset:352
	s_waitcnt lgkmcnt(0)
	v_mul_f64 v[92:93], v[82:83], v[88:89]
	v_fmac_f64_e32 v[92:93], v[84:85], v[86:87]
	v_add_f64 v[98:99], v[90:91], v[92:93]
	ds_read_b128 v[90:93], v2 offset:368
	s_waitcnt lgkmcnt(0)
	v_mul_f64 v[100:101], v[90:91], v[96:97]
	v_fmac_f64_e32 v[100:101], v[92:93], v[94:95]
	v_add_f64 v[106:107], v[98:99], v[100:101]
	ds_read_b128 v[98:101], v2 offset:384
	s_waitcnt lgkmcnt(0)
	v_mul_f64 v[108:109], v[98:99], v[104:105]
	v_fmac_f64_e32 v[108:109], v[100:101], v[102:103]
	v_add_f64 v[114:115], v[106:107], v[108:109]
	ds_read_b128 v[106:109], v2 offset:400
	s_waitcnt lgkmcnt(0)
	v_mul_f64 v[116:117], v[106:107], v[112:113]
	v_fmac_f64_e32 v[116:117], v[108:109], v[110:111]
	v_add_f64 v[122:123], v[114:115], v[116:117]
	ds_read_b128 v[114:117], v2 offset:416
	s_waitcnt lgkmcnt(0)
	v_mul_f64 v[124:125], v[114:115], v[120:121]
	v_fmac_f64_e32 v[124:125], v[116:117], v[118:119]
	v_add_f64 v[130:131], v[122:123], v[124:125]
	ds_read_b128 v[122:125], v2 offset:432
	s_waitcnt lgkmcnt(0)
	v_mul_f64 v[132:133], v[122:123], v[128:129]
	v_fmac_f64_e32 v[132:133], v[124:125], v[126:127]
	v_add_f64 v[138:139], v[130:131], v[132:133]
	ds_read_b128 v[130:133], v2 offset:448
	s_waitcnt lgkmcnt(0)
	v_mul_f64 v[140:141], v[130:131], v[136:137]
	v_fmac_f64_e32 v[140:141], v[132:133], v[134:135]
	v_add_f64 v[146:147], v[138:139], v[140:141]
	ds_read_b128 v[138:141], v2 offset:464
	s_waitcnt lgkmcnt(0)
	v_mul_f64 v[2:3], v[138:139], v[144:145]
	v_fmac_f64_e32 v[2:3], v[140:141], v[142:143]
	v_add_f64 v[146:147], v[146:147], v[2:3]
	v_mul_f64 v[2:3], v[6:7], v[52:53]
	v_fma_f64 v[2:3], v[4:5], v[50:51], -v[2:3]
	v_mul_f64 v[4:5], v[10:11], v[56:57]
	v_add_f64 v[2:3], v[2:3], 0
	v_fma_f64 v[4:5], v[8:9], v[54:55], -v[4:5]
	v_add_f64 v[2:3], v[2:3], v[4:5]
	v_mul_f64 v[4:5], v[14:15], v[60:61]
	v_fma_f64 v[4:5], v[12:13], v[58:59], -v[4:5]
	v_add_f64 v[2:3], v[2:3], v[4:5]
	v_mul_f64 v[4:5], v[48:49], v[64:65]
	;; [unrolled: 3-line block ×12, first 2 shown]
	v_fma_f64 v[4:5], v[138:139], v[142:143], -v[4:5]
	v_add_f64 v[6:7], v[2:3], v[4:5]
	scratch_load_dwordx4 v[2:5], off, off
	s_waitcnt vmcnt(0)
	v_add_f64 v[2:3], v[2:3], -v[6:7]
	v_add_f64 v[4:5], v[4:5], -v[146:147]
	scratch_store_dwordx4 off, v[2:5], off
	s_cbranch_vccz .LBB14_132
; %bb.104:
	s_nop 0
	v_mov_b32_e32 v2, 0
	global_load_dword v3, v2, s[20:21] offset:52
	s_load_dwordx2 s[2:3], s[0:1], 0x4
	v_bfe_u32 v4, v0, 10, 10
	v_bfe_u32 v0, v0, 20, 10
	s_waitcnt lgkmcnt(0)
	s_lshr_b32 s0, s2, 16
	s_mul_i32 s0, s0, s3
	v_mul_u32_u24_e32 v1, s0, v1
	v_mul_u32_u24_e32 v4, s3, v4
	v_add3_u32 v0, v1, v4, v0
	v_mov_b32_e32 v1, 0x1e8
	v_lshl_add_u32 v0, v0, 4, v1
	s_waitcnt vmcnt(0)
	v_readfirstlane_b32 s0, v3
	s_add_i32 s0, s0, -1
	s_cmp_lg_u32 s0, 13
	s_cbranch_scc0 .LBB14_106
; %bb.105:
	s_lshl_b32 s0, s0, 4
	scratch_load_dwordx4 v[4:7], off, s30
	scratch_load_dwordx4 v[8:11], off, s0
	s_waitcnt vmcnt(1)
	ds_write2_b64 v0, v[4:5], v[6:7] offset1:1
	s_waitcnt vmcnt(0)
	scratch_store_dwordx4 off, v[8:11], s30
	scratch_store_dwordx4 off, v[4:7], s0
.LBB14_106:
	global_load_dword v1, v2, s[20:21] offset:48
	s_waitcnt vmcnt(0)
	v_readfirstlane_b32 s0, v1
	s_add_i32 s0, s0, -1
	s_cmp_eq_u32 s0, 12
	s_cbranch_scc1 .LBB14_108
; %bb.107:
	s_lshl_b32 s0, s0, 4
	scratch_load_dwordx4 v[2:5], off, s29
	scratch_load_dwordx4 v[6:9], off, s0
	s_waitcnt vmcnt(1)
	ds_write2_b64 v0, v[2:3], v[4:5] offset1:1
	s_waitcnt vmcnt(0)
	scratch_store_dwordx4 off, v[6:9], s29
	scratch_store_dwordx4 off, v[2:5], s0
.LBB14_108:
	v_mov_b32_e32 v1, 0
	global_load_dword v2, v1, s[20:21] offset:44
	s_waitcnt vmcnt(0)
	v_readfirstlane_b32 s0, v2
	s_add_i32 s0, s0, -1
	s_cmp_eq_u32 s0, 11
	s_cbranch_scc1 .LBB14_110
; %bb.109:
	s_lshl_b32 s0, s0, 4
	scratch_load_dwordx4 v[2:5], off, s28
	scratch_load_dwordx4 v[6:9], off, s0
	s_waitcnt vmcnt(1)
	ds_write2_b64 v0, v[2:3], v[4:5] offset1:1
	s_waitcnt vmcnt(0)
	scratch_store_dwordx4 off, v[6:9], s28
	scratch_store_dwordx4 off, v[2:5], s0
.LBB14_110:
	global_load_dword v1, v1, s[20:21] offset:40
	s_waitcnt vmcnt(0)
	v_readfirstlane_b32 s0, v1
	s_add_i32 s0, s0, -1
	s_cmp_eq_u32 s0, 10
	s_cbranch_scc1 .LBB14_112
; %bb.111:
	s_lshl_b32 s0, s0, 4
	scratch_load_dwordx4 v[2:5], off, s27
	scratch_load_dwordx4 v[6:9], off, s0
	s_waitcnt vmcnt(1)
	ds_write2_b64 v0, v[2:3], v[4:5] offset1:1
	s_waitcnt vmcnt(0)
	scratch_store_dwordx4 off, v[6:9], s27
	scratch_store_dwordx4 off, v[2:5], s0
.LBB14_112:
	v_mov_b32_e32 v1, 0
	global_load_dword v2, v1, s[20:21] offset:36
	s_waitcnt vmcnt(0)
	v_readfirstlane_b32 s0, v2
	s_add_i32 s0, s0, -1
	s_cmp_eq_u32 s0, 9
	s_cbranch_scc1 .LBB14_114
; %bb.113:
	s_lshl_b32 s0, s0, 4
	scratch_load_dwordx4 v[2:5], off, s18
	scratch_load_dwordx4 v[6:9], off, s0
	s_waitcnt vmcnt(1)
	ds_write2_b64 v0, v[2:3], v[4:5] offset1:1
	s_waitcnt vmcnt(0)
	scratch_store_dwordx4 off, v[6:9], s18
	scratch_store_dwordx4 off, v[2:5], s0
.LBB14_114:
	;; [unrolled: 33-line block ×6, first 2 shown]
	global_load_dword v1, v1, s[20:21]
	s_waitcnt vmcnt(0)
	v_readfirstlane_b32 s0, v1
	s_add_i32 s0, s0, -1
	s_cmp_eq_u32 s0, 0
	s_cbranch_scc1 .LBB14_132
; %bb.131:
	s_lshl_b32 s0, s0, 4
	scratch_load_dwordx4 v[2:5], off, off
	scratch_load_dwordx4 v[6:9], off, s0
	s_waitcnt vmcnt(1)
	ds_write2_b64 v0, v[2:3], v[4:5] offset1:1
	s_waitcnt vmcnt(0)
	scratch_store_dwordx4 off, v[6:9], off
	scratch_store_dwordx4 off, v[2:5], s0
.LBB14_132:
	scratch_load_dwordx4 v[0:3], off, off
	s_nop 0
	scratch_load_dwordx4 v[4:7], off, s24
	scratch_load_dwordx4 v[8:11], off, s14
	;; [unrolled: 1-line block ×14, first 2 shown]
	s_waitcnt vmcnt(14)
	global_store_dwordx4 v[16:17], v[0:3], off
	s_waitcnt vmcnt(14)
	global_store_dwordx4 v[18:19], v[4:7], off
	;; [unrolled: 2-line block ×15, first 2 shown]
	s_endpgm
	.section	.rodata,"a",@progbits
	.p2align	6, 0x0
	.amdhsa_kernel _ZN9rocsolver6v33100L18getri_kernel_smallILi15E19rocblas_complex_numIdEPS3_EEvT1_iilPiilS6_bb
		.amdhsa_group_segment_fixed_size 1512
		.amdhsa_private_segment_fixed_size 256
		.amdhsa_kernarg_size 60
		.amdhsa_user_sgpr_count 4
		.amdhsa_user_sgpr_dispatch_ptr 1
		.amdhsa_user_sgpr_queue_ptr 0
		.amdhsa_user_sgpr_kernarg_segment_ptr 1
		.amdhsa_user_sgpr_dispatch_id 0
		.amdhsa_user_sgpr_kernarg_preload_length 0
		.amdhsa_user_sgpr_kernarg_preload_offset 0
		.amdhsa_user_sgpr_private_segment_size 0
		.amdhsa_uses_dynamic_stack 0
		.amdhsa_enable_private_segment 1
		.amdhsa_system_sgpr_workgroup_id_x 1
		.amdhsa_system_sgpr_workgroup_id_y 0
		.amdhsa_system_sgpr_workgroup_id_z 0
		.amdhsa_system_sgpr_workgroup_info 0
		.amdhsa_system_vgpr_workitem_id 2
		.amdhsa_next_free_vgpr 158
		.amdhsa_next_free_sgpr 32
		.amdhsa_accum_offset 160
		.amdhsa_reserve_vcc 1
		.amdhsa_float_round_mode_32 0
		.amdhsa_float_round_mode_16_64 0
		.amdhsa_float_denorm_mode_32 3
		.amdhsa_float_denorm_mode_16_64 3
		.amdhsa_dx10_clamp 1
		.amdhsa_ieee_mode 1
		.amdhsa_fp16_overflow 0
		.amdhsa_tg_split 0
		.amdhsa_exception_fp_ieee_invalid_op 0
		.amdhsa_exception_fp_denorm_src 0
		.amdhsa_exception_fp_ieee_div_zero 0
		.amdhsa_exception_fp_ieee_overflow 0
		.amdhsa_exception_fp_ieee_underflow 0
		.amdhsa_exception_fp_ieee_inexact 0
		.amdhsa_exception_int_div_zero 0
	.end_amdhsa_kernel
	.section	.text._ZN9rocsolver6v33100L18getri_kernel_smallILi15E19rocblas_complex_numIdEPS3_EEvT1_iilPiilS6_bb,"axG",@progbits,_ZN9rocsolver6v33100L18getri_kernel_smallILi15E19rocblas_complex_numIdEPS3_EEvT1_iilPiilS6_bb,comdat
.Lfunc_end14:
	.size	_ZN9rocsolver6v33100L18getri_kernel_smallILi15E19rocblas_complex_numIdEPS3_EEvT1_iilPiilS6_bb, .Lfunc_end14-_ZN9rocsolver6v33100L18getri_kernel_smallILi15E19rocblas_complex_numIdEPS3_EEvT1_iilPiilS6_bb
                                        ; -- End function
	.set _ZN9rocsolver6v33100L18getri_kernel_smallILi15E19rocblas_complex_numIdEPS3_EEvT1_iilPiilS6_bb.num_vgpr, 158
	.set _ZN9rocsolver6v33100L18getri_kernel_smallILi15E19rocblas_complex_numIdEPS3_EEvT1_iilPiilS6_bb.num_agpr, 0
	.set _ZN9rocsolver6v33100L18getri_kernel_smallILi15E19rocblas_complex_numIdEPS3_EEvT1_iilPiilS6_bb.numbered_sgpr, 32
	.set _ZN9rocsolver6v33100L18getri_kernel_smallILi15E19rocblas_complex_numIdEPS3_EEvT1_iilPiilS6_bb.num_named_barrier, 0
	.set _ZN9rocsolver6v33100L18getri_kernel_smallILi15E19rocblas_complex_numIdEPS3_EEvT1_iilPiilS6_bb.private_seg_size, 256
	.set _ZN9rocsolver6v33100L18getri_kernel_smallILi15E19rocblas_complex_numIdEPS3_EEvT1_iilPiilS6_bb.uses_vcc, 1
	.set _ZN9rocsolver6v33100L18getri_kernel_smallILi15E19rocblas_complex_numIdEPS3_EEvT1_iilPiilS6_bb.uses_flat_scratch, 0
	.set _ZN9rocsolver6v33100L18getri_kernel_smallILi15E19rocblas_complex_numIdEPS3_EEvT1_iilPiilS6_bb.has_dyn_sized_stack, 0
	.set _ZN9rocsolver6v33100L18getri_kernel_smallILi15E19rocblas_complex_numIdEPS3_EEvT1_iilPiilS6_bb.has_recursion, 0
	.set _ZN9rocsolver6v33100L18getri_kernel_smallILi15E19rocblas_complex_numIdEPS3_EEvT1_iilPiilS6_bb.has_indirect_call, 0
	.section	.AMDGPU.csdata,"",@progbits
; Kernel info:
; codeLenInByte = 14216
; TotalNumSgprs: 38
; NumVgprs: 158
; NumAgprs: 0
; TotalNumVgprs: 158
; ScratchSize: 256
; MemoryBound: 0
; FloatMode: 240
; IeeeMode: 1
; LDSByteSize: 1512 bytes/workgroup (compile time only)
; SGPRBlocks: 4
; VGPRBlocks: 19
; NumSGPRsForWavesPerEU: 38
; NumVGPRsForWavesPerEU: 158
; AccumOffset: 160
; Occupancy: 3
; WaveLimiterHint : 1
; COMPUTE_PGM_RSRC2:SCRATCH_EN: 1
; COMPUTE_PGM_RSRC2:USER_SGPR: 4
; COMPUTE_PGM_RSRC2:TRAP_HANDLER: 0
; COMPUTE_PGM_RSRC2:TGID_X_EN: 1
; COMPUTE_PGM_RSRC2:TGID_Y_EN: 0
; COMPUTE_PGM_RSRC2:TGID_Z_EN: 0
; COMPUTE_PGM_RSRC2:TIDIG_COMP_CNT: 2
; COMPUTE_PGM_RSRC3_GFX90A:ACCUM_OFFSET: 39
; COMPUTE_PGM_RSRC3_GFX90A:TG_SPLIT: 0
	.section	.text._ZN9rocsolver6v33100L18getri_kernel_smallILi16E19rocblas_complex_numIdEPS3_EEvT1_iilPiilS6_bb,"axG",@progbits,_ZN9rocsolver6v33100L18getri_kernel_smallILi16E19rocblas_complex_numIdEPS3_EEvT1_iilPiilS6_bb,comdat
	.globl	_ZN9rocsolver6v33100L18getri_kernel_smallILi16E19rocblas_complex_numIdEPS3_EEvT1_iilPiilS6_bb ; -- Begin function _ZN9rocsolver6v33100L18getri_kernel_smallILi16E19rocblas_complex_numIdEPS3_EEvT1_iilPiilS6_bb
	.p2align	8
	.type	_ZN9rocsolver6v33100L18getri_kernel_smallILi16E19rocblas_complex_numIdEPS3_EEvT1_iilPiilS6_bb,@function
_ZN9rocsolver6v33100L18getri_kernel_smallILi16E19rocblas_complex_numIdEPS3_EEvT1_iilPiilS6_bb: ; @_ZN9rocsolver6v33100L18getri_kernel_smallILi16E19rocblas_complex_numIdEPS3_EEvT1_iilPiilS6_bb
; %bb.0:
	v_and_b32_e32 v1, 0x3ff, v0
	v_cmp_gt_u32_e32 vcc, 16, v1
	s_and_saveexec_b64 s[6:7], vcc
	s_cbranch_execz .LBB15_78
; %bb.1:
	s_load_dword s6, s[2:3], 0x38
	s_load_dwordx4 s[16:19], s[2:3], 0x10
	s_load_dwordx4 s[8:11], s[2:3], 0x28
                                        ; implicit-def: $sgpr20_sgpr21
	s_waitcnt lgkmcnt(0)
	s_bitcmp1_b32 s6, 8
	s_cselect_b64 s[22:23], -1, 0
	s_ashr_i32 s5, s4, 31
	s_bfe_u32 s6, s6, 0x10008
	s_cmp_eq_u32 s6, 0
	s_cbranch_scc1 .LBB15_3
; %bb.2:
	s_load_dword s6, s[2:3], 0x20
	s_mul_i32 s7, s8, s5
	s_mul_hi_u32 s12, s8, s4
	s_mul_i32 s9, s9, s4
	s_add_i32 s12, s12, s7
	s_add_i32 s9, s12, s9
	s_mul_i32 s8, s8, s4
	s_waitcnt lgkmcnt(0)
	s_ashr_i32 s7, s6, 31
	s_lshl_b64 s[8:9], s[8:9], 2
	s_add_u32 s8, s18, s8
	s_addc_u32 s9, s19, s9
	s_lshl_b64 s[6:7], s[6:7], 2
	s_add_u32 s20, s8, s6
	s_addc_u32 s21, s9, s7
.LBB15_3:
	s_load_dwordx4 s[12:15], s[2:3], 0x0
	s_load_dword s6, s[2:3], 0x38
	s_mul_i32 s7, s16, s5
	s_mul_hi_u32 s8, s16, s4
	s_add_i32 s7, s8, s7
	s_mul_i32 s8, s17, s4
	s_add_i32 s9, s7, s8
	s_mul_i32 s8, s16, s4
	s_waitcnt lgkmcnt(0)
	s_ashr_i32 s3, s14, 31
	s_lshl_b64 s[8:9], s[8:9], 4
	s_mov_b32 s2, s14
	s_add_u32 s7, s12, s8
	s_addc_u32 s8, s13, s9
	s_lshl_b64 s[2:3], s[2:3], 4
	s_add_u32 s2, s7, s2
	s_addc_u32 s3, s8, s3
	s_add_i32 s7, s15, s15
	v_add_u32_e32 v6, s7, v1
	v_add_u32_e32 v16, s15, v6
	;; [unrolled: 1-line block ×8, first 2 shown]
	v_ashrrev_i32_e32 v37, 31, v36
	v_lshl_add_u64 v[56:57], v[36:37], 4, s[2:3]
	v_add_u32_e32 v36, s15, v36
	v_ashrrev_i32_e32 v37, 31, v36
	v_add_u32_e32 v60, s15, v36
	v_lshl_add_u64 v[58:59], v[36:37], 4, s[2:3]
	v_add_u32_e32 v36, s15, v60
	v_ashrrev_i32_e32 v37, 31, v36
	v_add_u32_e32 v64, s15, v36
	v_lshl_add_u64 v[62:63], v[36:37], 4, s[2:3]
	v_add_u32_e32 v36, s15, v64
	v_lshlrev_b32_e32 v14, 4, v1
	v_mov_b32_e32 v15, 0
	v_add_u32_e32 v68, s15, v36
	v_lshl_add_u64 v[38:39], s[2:3], 0, v[14:15]
	s_ashr_i32 s9, s15, 31
	s_mov_b32 s8, s15
	v_ashrrev_i32_e32 v17, 31, v16
	v_ashrrev_i32_e32 v25, 31, v24
	;; [unrolled: 1-line block ×7, first 2 shown]
	v_lshl_add_u64 v[40:41], s[8:9], 4, v[38:39]
	v_ashrrev_i32_e32 v7, 31, v6
	v_lshl_add_u64 v[44:45], v[16:17], 4, s[2:3]
	v_ashrrev_i32_e32 v19, 31, v18
	;; [unrolled: 2-line block ×4, first 2 shown]
	v_lshl_add_u64 v[60:61], v[60:61], 4, s[2:3]
	v_lshl_add_u64 v[64:65], v[64:65], 4, s[2:3]
	;; [unrolled: 1-line block ×4, first 2 shown]
	global_load_dwordx4 v[2:5], v14, s[2:3]
	v_lshl_add_u64 v[42:43], v[6:7], 4, s[2:3]
	global_load_dwordx4 v[6:9], v[40:41], off
	global_load_dwordx4 v[10:13], v[42:43], off
	v_lshl_add_u64 v[46:47], v[18:19], 4, s[2:3]
	global_load_dwordx4 v[16:19], v[44:45], off
	global_load_dwordx4 v[20:23], v[46:47], off
	;; [unrolled: 3-line block ×4, first 2 shown]
	global_load_dwordx4 v[74:77], v[56:57], off
	global_load_dwordx4 v[78:81], v[58:59], off
	;; [unrolled: 1-line block ×7, first 2 shown]
	s_movk_i32 s17, 0x50
	s_movk_i32 s19, 0x60
	;; [unrolled: 1-line block ×3, first 2 shown]
	s_mov_b32 s18, 16
	s_mov_b32 s14, 32
	;; [unrolled: 1-line block ×4, first 2 shown]
	s_movk_i32 s25, 0x80
	s_movk_i32 s26, 0x90
	s_movk_i32 s27, 0xa0
	s_movk_i32 s28, 0xb0
	s_movk_i32 s29, 0xc0
	s_movk_i32 s31, 0xd0
	s_movk_i32 s33, 0xe0
	s_movk_i32 s30, 0xf0
	s_bitcmp0_b32 s6, 0
	s_mov_b64 s[6:7], -1
	s_waitcnt vmcnt(15)
	scratch_store_dwordx4 off, v[2:5], off
	s_waitcnt vmcnt(15)
	scratch_store_dwordx4 off, v[6:9], off offset:16
	s_waitcnt vmcnt(15)
	scratch_store_dwordx4 off, v[10:13], off offset:32
	;; [unrolled: 2-line block ×15, first 2 shown]
	s_cbranch_scc1 .LBB15_76
; %bb.4:
	v_cmp_eq_u32_e64 s[2:3], 0, v1
	s_and_saveexec_b64 s[6:7], s[2:3]
; %bb.5:
	v_mov_b32_e32 v2, 0
	ds_write_b32 v2, v2 offset:512
; %bb.6:
	s_or_b64 exec, exec, s[6:7]
	s_waitcnt lgkmcnt(0)
	; wave barrier
	scratch_load_dwordx4 v[2:5], v14, off
	s_waitcnt vmcnt(0)
	v_cmp_eq_f64_e32 vcc, 0, v[2:3]
	v_cmp_eq_f64_e64 s[6:7], 0, v[4:5]
	s_and_b64 s[6:7], vcc, s[6:7]
	s_and_saveexec_b64 s[8:9], s[6:7]
	s_cbranch_execz .LBB15_10
; %bb.7:
	v_mov_b32_e32 v2, 0
	ds_read_b32 v4, v2 offset:512
	v_add_u32_e32 v3, 1, v1
	s_waitcnt lgkmcnt(0)
	v_readfirstlane_b32 s6, v4
	s_cmp_eq_u32 s6, 0
	s_cselect_b64 s[12:13], -1, 0
	v_cmp_gt_i32_e32 vcc, s6, v3
	s_or_b64 s[12:13], s[12:13], vcc
	s_and_b64 exec, exec, s[12:13]
	s_cbranch_execz .LBB15_10
; %bb.8:
	s_mov_b64 s[12:13], 0
	v_mov_b32_e32 v4, s6
.LBB15_9:                               ; =>This Inner Loop Header: Depth=1
	ds_cmpst_rtn_b32 v4, v2, v4, v3 offset:512
	s_waitcnt lgkmcnt(0)
	v_cmp_ne_u32_e32 vcc, 0, v4
	v_cmp_le_i32_e64 s[6:7], v4, v3
	s_and_b64 s[6:7], vcc, s[6:7]
	s_and_b64 s[6:7], exec, s[6:7]
	s_or_b64 s[12:13], s[6:7], s[12:13]
	s_andn2_b64 exec, exec, s[12:13]
	s_cbranch_execnz .LBB15_9
.LBB15_10:
	s_or_b64 exec, exec, s[8:9]
	v_mov_b32_e32 v3, 0
	; wave barrier
	ds_read_b32 v2, v3 offset:512
	s_and_saveexec_b64 s[6:7], s[2:3]
	s_cbranch_execz .LBB15_12
; %bb.11:
	s_lshl_b64 s[8:9], s[4:5], 2
	s_add_u32 s8, s10, s8
	s_addc_u32 s9, s11, s9
	s_waitcnt lgkmcnt(0)
	global_store_dword v3, v2, s[8:9]
.LBB15_12:
	s_or_b64 exec, exec, s[6:7]
	s_waitcnt lgkmcnt(0)
	v_cmp_ne_u32_e32 vcc, 0, v2
	s_mov_b64 s[6:7], 0
	s_cbranch_vccnz .LBB15_76
; %bb.13:
	v_mov_b32_e32 v15, v14
	scratch_load_dwordx4 v[2:5], v15, off
                                        ; implicit-def: $vgpr6_vgpr7
                                        ; implicit-def: $vgpr10_vgpr11
	s_waitcnt vmcnt(0)
	v_cmp_ngt_f64_e64 s[6:7], |v[2:3]|, |v[4:5]|
	s_and_saveexec_b64 s[8:9], s[6:7]
	s_xor_b64 s[6:7], exec, s[8:9]
	s_cbranch_execz .LBB15_15
; %bb.14:
	v_div_scale_f64 v[6:7], s[8:9], v[4:5], v[4:5], v[2:3]
	v_rcp_f64_e32 v[8:9], v[6:7]
	v_div_scale_f64 v[10:11], vcc, v[2:3], v[4:5], v[2:3]
	v_fma_f64 v[12:13], -v[6:7], v[8:9], 1.0
	v_fmac_f64_e32 v[8:9], v[8:9], v[12:13]
	v_fma_f64 v[12:13], -v[6:7], v[8:9], 1.0
	v_fmac_f64_e32 v[8:9], v[8:9], v[12:13]
	v_mul_f64 v[12:13], v[10:11], v[8:9]
	v_fma_f64 v[6:7], -v[6:7], v[12:13], v[10:11]
	v_div_fmas_f64 v[6:7], v[6:7], v[8:9], v[12:13]
	v_div_fixup_f64 v[6:7], v[6:7], v[4:5], v[2:3]
	v_fmac_f64_e32 v[4:5], v[2:3], v[6:7]
	v_div_scale_f64 v[2:3], s[8:9], v[4:5], v[4:5], 1.0
	v_rcp_f64_e32 v[8:9], v[2:3]
	s_nop 0
	v_fma_f64 v[10:11], -v[2:3], v[8:9], 1.0
	v_fmac_f64_e32 v[8:9], v[8:9], v[10:11]
	v_fma_f64 v[10:11], -v[2:3], v[8:9], 1.0
	v_fmac_f64_e32 v[8:9], v[8:9], v[10:11]
	v_div_scale_f64 v[10:11], vcc, 1.0, v[4:5], 1.0
	v_mul_f64 v[12:13], v[10:11], v[8:9]
	v_fma_f64 v[2:3], -v[2:3], v[12:13], v[10:11]
	s_nop 1
	v_div_fmas_f64 v[2:3], v[2:3], v[8:9], v[12:13]
	v_div_fixup_f64 v[8:9], v[2:3], v[4:5], 1.0
	v_mul_f64 v[6:7], v[6:7], v[8:9]
	v_xor_b32_e32 v9, 0x80000000, v9
	v_xor_b32_e32 v11, 0x80000000, v7
	v_mov_b32_e32 v10, v6
                                        ; implicit-def: $vgpr2_vgpr3
.LBB15_15:
	s_andn2_saveexec_b64 s[6:7], s[6:7]
	s_cbranch_execz .LBB15_17
; %bb.16:
	v_div_scale_f64 v[6:7], s[8:9], v[2:3], v[2:3], v[4:5]
	v_rcp_f64_e32 v[8:9], v[6:7]
	v_div_scale_f64 v[10:11], vcc, v[4:5], v[2:3], v[4:5]
	v_fma_f64 v[12:13], -v[6:7], v[8:9], 1.0
	v_fmac_f64_e32 v[8:9], v[8:9], v[12:13]
	v_fma_f64 v[12:13], -v[6:7], v[8:9], 1.0
	v_fmac_f64_e32 v[8:9], v[8:9], v[12:13]
	v_mul_f64 v[12:13], v[10:11], v[8:9]
	v_fma_f64 v[6:7], -v[6:7], v[12:13], v[10:11]
	v_div_fmas_f64 v[6:7], v[6:7], v[8:9], v[12:13]
	v_div_fixup_f64 v[8:9], v[6:7], v[2:3], v[4:5]
	v_fmac_f64_e32 v[2:3], v[4:5], v[8:9]
	v_div_scale_f64 v[4:5], s[8:9], v[2:3], v[2:3], 1.0
	v_rcp_f64_e32 v[6:7], v[4:5]
	s_nop 0
	v_fma_f64 v[10:11], -v[4:5], v[6:7], 1.0
	v_fmac_f64_e32 v[6:7], v[6:7], v[10:11]
	v_fma_f64 v[10:11], -v[4:5], v[6:7], 1.0
	v_fmac_f64_e32 v[6:7], v[6:7], v[10:11]
	v_div_scale_f64 v[10:11], vcc, 1.0, v[2:3], 1.0
	v_mul_f64 v[12:13], v[10:11], v[6:7]
	v_fma_f64 v[4:5], -v[4:5], v[12:13], v[10:11]
	s_nop 1
	v_div_fmas_f64 v[4:5], v[4:5], v[6:7], v[12:13]
	v_div_fixup_f64 v[6:7], v[4:5], v[2:3], 1.0
	v_xor_b32_e32 v11, 0x80000000, v7
	v_mov_b32_e32 v10, v6
	v_mul_f64 v[8:9], v[8:9], -v[6:7]
.LBB15_17:
	s_or_b64 exec, exec, s[6:7]
	scratch_store_dwordx4 v15, v[6:9], off
	scratch_load_dwordx4 v[2:5], off, s18
	v_xor_b32_e32 v13, 0x80000000, v9
	v_mov_b32_e32 v12, v8
	v_add_u32_e32 v6, 0x100, v14
	ds_write_b128 v14, v[10:13]
	s_waitcnt vmcnt(0)
	ds_write_b128 v14, v[2:5] offset:256
	s_waitcnt lgkmcnt(0)
	; wave barrier
	s_and_saveexec_b64 s[6:7], s[2:3]
	s_cbranch_execz .LBB15_19
; %bb.18:
	scratch_load_dwordx4 v[2:5], v15, off
	ds_read_b128 v[8:11], v6
	v_mov_b32_e32 v7, 0
	ds_read_b128 v[16:19], v7 offset:16
	s_waitcnt vmcnt(0) lgkmcnt(1)
	v_mul_f64 v[12:13], v[10:11], v[4:5]
	v_mul_f64 v[4:5], v[8:9], v[4:5]
	v_fma_f64 v[8:9], v[8:9], v[2:3], -v[12:13]
	v_fmac_f64_e32 v[4:5], v[10:11], v[2:3]
	v_add_f64 v[2:3], v[8:9], 0
	v_add_f64 v[8:9], v[4:5], 0
	s_waitcnt lgkmcnt(0)
	v_mul_f64 v[10:11], v[8:9], v[18:19]
	v_mul_f64 v[4:5], v[2:3], v[18:19]
	v_fma_f64 v[2:3], v[2:3], v[16:17], -v[10:11]
	v_fmac_f64_e32 v[4:5], v[8:9], v[16:17]
	scratch_store_dwordx4 off, v[2:5], off offset:16
.LBB15_19:
	s_or_b64 exec, exec, s[6:7]
	; wave barrier
	scratch_load_dwordx4 v[2:5], off, s14
	v_cmp_gt_u32_e32 vcc, 2, v1
	s_waitcnt vmcnt(0)
	ds_write_b128 v6, v[2:5]
	s_waitcnt lgkmcnt(0)
	; wave barrier
	s_and_saveexec_b64 s[6:7], vcc
	s_cbranch_execz .LBB15_23
; %bb.20:
	scratch_load_dwordx4 v[2:5], v15, off
	ds_read_b128 v[8:11], v6
	s_waitcnt vmcnt(0) lgkmcnt(0)
	v_mul_f64 v[12:13], v[10:11], v[4:5]
	v_mul_f64 v[16:17], v[8:9], v[4:5]
	v_fma_f64 v[4:5], v[8:9], v[2:3], -v[12:13]
	v_fmac_f64_e32 v[16:17], v[10:11], v[2:3]
	v_add_f64 v[4:5], v[4:5], 0
	v_add_f64 v[2:3], v[16:17], 0
	s_and_saveexec_b64 s[8:9], s[2:3]
	s_cbranch_execz .LBB15_22
; %bb.21:
	scratch_load_dwordx4 v[8:11], off, off offset:16
	v_mov_b32_e32 v7, 0
	ds_read_b128 v[16:19], v7 offset:272
	s_waitcnt vmcnt(0) lgkmcnt(0)
	v_mul_f64 v[12:13], v[16:17], v[10:11]
	v_mul_f64 v[10:11], v[18:19], v[10:11]
	v_fmac_f64_e32 v[12:13], v[18:19], v[8:9]
	v_fma_f64 v[8:9], v[16:17], v[8:9], -v[10:11]
	v_add_f64 v[2:3], v[2:3], v[12:13]
	v_add_f64 v[4:5], v[4:5], v[8:9]
.LBB15_22:
	s_or_b64 exec, exec, s[8:9]
	v_mov_b32_e32 v7, 0
	ds_read_b128 v[8:11], v7 offset:32
	s_waitcnt lgkmcnt(0)
	v_mul_f64 v[16:17], v[2:3], v[10:11]
	v_mul_f64 v[12:13], v[4:5], v[10:11]
	v_fma_f64 v[10:11], v[4:5], v[8:9], -v[16:17]
	v_fmac_f64_e32 v[12:13], v[2:3], v[8:9]
	scratch_store_dwordx4 off, v[10:13], off offset:32
.LBB15_23:
	s_or_b64 exec, exec, s[6:7]
	; wave barrier
	scratch_load_dwordx4 v[2:5], off, s15
	v_cmp_gt_u32_e32 vcc, 3, v1
	v_add_u32_e32 v7, -1, v1
	s_waitcnt vmcnt(0)
	ds_write_b128 v6, v[2:5]
	s_waitcnt lgkmcnt(0)
	; wave barrier
	s_and_saveexec_b64 s[2:3], vcc
	s_cbranch_execz .LBB15_27
; %bb.24:
	v_add_u32_e32 v8, -1, v1
	v_add_u32_e32 v9, 0x100, v14
	v_mov_b32_e32 v10, v14
	v_mov_b64_e32 v[2:3], 0
	s_mov_b64 s[6:7], 0
	v_mov_b64_e32 v[4:5], 0
.LBB15_25:                              ; =>This Inner Loop Header: Depth=1
	scratch_load_dwordx4 v[16:19], v10, off
	ds_read_b128 v[20:23], v9
	v_add_u32_e32 v8, 1, v8
	v_cmp_lt_u32_e32 vcc, 1, v8
	v_add_u32_e32 v9, 16, v9
	v_add_u32_e32 v10, 16, v10
	s_or_b64 s[6:7], vcc, s[6:7]
	s_waitcnt vmcnt(0) lgkmcnt(0)
	v_mul_f64 v[12:13], v[22:23], v[18:19]
	v_mul_f64 v[18:19], v[20:21], v[18:19]
	v_fma_f64 v[12:13], v[20:21], v[16:17], -v[12:13]
	v_fmac_f64_e32 v[18:19], v[22:23], v[16:17]
	v_add_f64 v[4:5], v[4:5], v[12:13]
	v_add_f64 v[2:3], v[2:3], v[18:19]
	s_andn2_b64 exec, exec, s[6:7]
	s_cbranch_execnz .LBB15_25
; %bb.26:
	s_or_b64 exec, exec, s[6:7]
	v_mov_b32_e32 v8, 0
	ds_read_b128 v[8:11], v8 offset:48
	s_waitcnt lgkmcnt(0)
	v_mul_f64 v[16:17], v[2:3], v[10:11]
	v_mul_f64 v[12:13], v[4:5], v[10:11]
	v_fma_f64 v[10:11], v[4:5], v[8:9], -v[16:17]
	v_fmac_f64_e32 v[12:13], v[2:3], v[8:9]
	scratch_store_dwordx4 off, v[10:13], off offset:48
.LBB15_27:
	s_or_b64 exec, exec, s[2:3]
	; wave barrier
	scratch_load_dwordx4 v[2:5], off, s16
	v_cmp_gt_u32_e32 vcc, 4, v1
	s_waitcnt vmcnt(0)
	ds_write_b128 v6, v[2:5]
	s_waitcnt lgkmcnt(0)
	; wave barrier
	s_and_saveexec_b64 s[2:3], vcc
	s_cbranch_execz .LBB15_31
; %bb.28:
	v_add_u32_e32 v8, -1, v1
	v_add_u32_e32 v9, 0x100, v14
	v_mov_b32_e32 v10, v14
	v_mov_b64_e32 v[2:3], 0
	s_mov_b64 s[6:7], 0
	v_mov_b64_e32 v[4:5], 0
.LBB15_29:                              ; =>This Inner Loop Header: Depth=1
	scratch_load_dwordx4 v[16:19], v10, off
	ds_read_b128 v[20:23], v9
	v_add_u32_e32 v8, 1, v8
	v_cmp_lt_u32_e32 vcc, 2, v8
	v_add_u32_e32 v9, 16, v9
	v_add_u32_e32 v10, 16, v10
	s_or_b64 s[6:7], vcc, s[6:7]
	s_waitcnt vmcnt(0) lgkmcnt(0)
	v_mul_f64 v[12:13], v[22:23], v[18:19]
	v_mul_f64 v[18:19], v[20:21], v[18:19]
	v_fma_f64 v[12:13], v[20:21], v[16:17], -v[12:13]
	v_fmac_f64_e32 v[18:19], v[22:23], v[16:17]
	v_add_f64 v[4:5], v[4:5], v[12:13]
	v_add_f64 v[2:3], v[2:3], v[18:19]
	s_andn2_b64 exec, exec, s[6:7]
	s_cbranch_execnz .LBB15_29
; %bb.30:
	s_or_b64 exec, exec, s[6:7]
	v_mov_b32_e32 v8, 0
	ds_read_b128 v[8:11], v8 offset:64
	s_waitcnt lgkmcnt(0)
	v_mul_f64 v[16:17], v[2:3], v[10:11]
	v_mul_f64 v[12:13], v[4:5], v[10:11]
	v_fma_f64 v[10:11], v[4:5], v[8:9], -v[16:17]
	v_fmac_f64_e32 v[12:13], v[2:3], v[8:9]
	scratch_store_dwordx4 off, v[10:13], off offset:64
.LBB15_31:
	s_or_b64 exec, exec, s[2:3]
	; wave barrier
	scratch_load_dwordx4 v[2:5], off, s17
	v_cmp_gt_u32_e32 vcc, 5, v1
	s_waitcnt vmcnt(0)
	ds_write_b128 v6, v[2:5]
	s_waitcnt lgkmcnt(0)
	; wave barrier
	s_and_saveexec_b64 s[2:3], vcc
	s_cbranch_execz .LBB15_35
; %bb.32:
	v_add_u32_e32 v8, -1, v1
	v_add_u32_e32 v9, 0x100, v14
	v_mov_b32_e32 v10, v14
	v_mov_b64_e32 v[2:3], 0
	s_mov_b64 s[6:7], 0
	v_mov_b64_e32 v[4:5], 0
.LBB15_33:                              ; =>This Inner Loop Header: Depth=1
	scratch_load_dwordx4 v[16:19], v10, off
	ds_read_b128 v[20:23], v9
	v_add_u32_e32 v8, 1, v8
	v_cmp_lt_u32_e32 vcc, 3, v8
	v_add_u32_e32 v9, 16, v9
	v_add_u32_e32 v10, 16, v10
	s_or_b64 s[6:7], vcc, s[6:7]
	s_waitcnt vmcnt(0) lgkmcnt(0)
	v_mul_f64 v[12:13], v[22:23], v[18:19]
	v_mul_f64 v[18:19], v[20:21], v[18:19]
	v_fma_f64 v[12:13], v[20:21], v[16:17], -v[12:13]
	v_fmac_f64_e32 v[18:19], v[22:23], v[16:17]
	v_add_f64 v[4:5], v[4:5], v[12:13]
	v_add_f64 v[2:3], v[2:3], v[18:19]
	s_andn2_b64 exec, exec, s[6:7]
	s_cbranch_execnz .LBB15_33
; %bb.34:
	s_or_b64 exec, exec, s[6:7]
	v_mov_b32_e32 v8, 0
	ds_read_b128 v[8:11], v8 offset:80
	s_waitcnt lgkmcnt(0)
	v_mul_f64 v[16:17], v[2:3], v[10:11]
	v_mul_f64 v[12:13], v[4:5], v[10:11]
	v_fma_f64 v[10:11], v[4:5], v[8:9], -v[16:17]
	v_fmac_f64_e32 v[12:13], v[2:3], v[8:9]
	scratch_store_dwordx4 off, v[10:13], off offset:80
.LBB15_35:
	s_or_b64 exec, exec, s[2:3]
	; wave barrier
	scratch_load_dwordx4 v[2:5], off, s19
	v_cmp_gt_u32_e32 vcc, 6, v1
	s_waitcnt vmcnt(0)
	ds_write_b128 v6, v[2:5]
	s_waitcnt lgkmcnt(0)
	; wave barrier
	s_and_saveexec_b64 s[2:3], vcc
	s_cbranch_execz .LBB15_39
; %bb.36:
	v_add_u32_e32 v8, -1, v1
	v_add_u32_e32 v9, 0x100, v14
	v_mov_b32_e32 v10, v14
	v_mov_b64_e32 v[2:3], 0
	s_mov_b64 s[6:7], 0
	v_mov_b64_e32 v[4:5], 0
.LBB15_37:                              ; =>This Inner Loop Header: Depth=1
	scratch_load_dwordx4 v[16:19], v10, off
	ds_read_b128 v[20:23], v9
	v_add_u32_e32 v8, 1, v8
	v_cmp_lt_u32_e32 vcc, 4, v8
	v_add_u32_e32 v9, 16, v9
	v_add_u32_e32 v10, 16, v10
	s_or_b64 s[6:7], vcc, s[6:7]
	s_waitcnt vmcnt(0) lgkmcnt(0)
	v_mul_f64 v[12:13], v[22:23], v[18:19]
	v_mul_f64 v[18:19], v[20:21], v[18:19]
	v_fma_f64 v[12:13], v[20:21], v[16:17], -v[12:13]
	v_fmac_f64_e32 v[18:19], v[22:23], v[16:17]
	v_add_f64 v[4:5], v[4:5], v[12:13]
	v_add_f64 v[2:3], v[2:3], v[18:19]
	s_andn2_b64 exec, exec, s[6:7]
	s_cbranch_execnz .LBB15_37
; %bb.38:
	s_or_b64 exec, exec, s[6:7]
	v_mov_b32_e32 v8, 0
	ds_read_b128 v[8:11], v8 offset:96
	s_waitcnt lgkmcnt(0)
	v_mul_f64 v[16:17], v[2:3], v[10:11]
	v_mul_f64 v[12:13], v[4:5], v[10:11]
	v_fma_f64 v[10:11], v[4:5], v[8:9], -v[16:17]
	v_fmac_f64_e32 v[12:13], v[2:3], v[8:9]
	scratch_store_dwordx4 off, v[10:13], off offset:96
.LBB15_39:
	s_or_b64 exec, exec, s[2:3]
	; wave barrier
	scratch_load_dwordx4 v[2:5], off, s24
	v_cmp_gt_u32_e32 vcc, 7, v1
	s_waitcnt vmcnt(0)
	ds_write_b128 v6, v[2:5]
	s_waitcnt lgkmcnt(0)
	; wave barrier
	s_and_saveexec_b64 s[2:3], vcc
	s_cbranch_execz .LBB15_43
; %bb.40:
	v_add_u32_e32 v8, -1, v1
	v_add_u32_e32 v9, 0x100, v14
	v_mov_b32_e32 v10, v14
	v_mov_b64_e32 v[2:3], 0
	s_mov_b64 s[6:7], 0
	v_mov_b64_e32 v[4:5], 0
.LBB15_41:                              ; =>This Inner Loop Header: Depth=1
	scratch_load_dwordx4 v[16:19], v10, off
	ds_read_b128 v[20:23], v9
	v_add_u32_e32 v8, 1, v8
	v_cmp_lt_u32_e32 vcc, 5, v8
	v_add_u32_e32 v9, 16, v9
	v_add_u32_e32 v10, 16, v10
	s_or_b64 s[6:7], vcc, s[6:7]
	s_waitcnt vmcnt(0) lgkmcnt(0)
	v_mul_f64 v[12:13], v[22:23], v[18:19]
	v_mul_f64 v[18:19], v[20:21], v[18:19]
	v_fma_f64 v[12:13], v[20:21], v[16:17], -v[12:13]
	v_fmac_f64_e32 v[18:19], v[22:23], v[16:17]
	v_add_f64 v[4:5], v[4:5], v[12:13]
	v_add_f64 v[2:3], v[2:3], v[18:19]
	s_andn2_b64 exec, exec, s[6:7]
	s_cbranch_execnz .LBB15_41
; %bb.42:
	s_or_b64 exec, exec, s[6:7]
	v_mov_b32_e32 v8, 0
	ds_read_b128 v[8:11], v8 offset:112
	s_waitcnt lgkmcnt(0)
	v_mul_f64 v[16:17], v[2:3], v[10:11]
	v_mul_f64 v[12:13], v[4:5], v[10:11]
	v_fma_f64 v[10:11], v[4:5], v[8:9], -v[16:17]
	v_fmac_f64_e32 v[12:13], v[2:3], v[8:9]
	scratch_store_dwordx4 off, v[10:13], off offset:112
.LBB15_43:
	s_or_b64 exec, exec, s[2:3]
	; wave barrier
	scratch_load_dwordx4 v[2:5], off, s25
	v_cmp_gt_u32_e32 vcc, 8, v1
	s_waitcnt vmcnt(0)
	ds_write_b128 v6, v[2:5]
	s_waitcnt lgkmcnt(0)
	; wave barrier
	s_and_saveexec_b64 s[2:3], vcc
	s_cbranch_execz .LBB15_47
; %bb.44:
	v_add_u32_e32 v8, -1, v1
	v_add_u32_e32 v9, 0x100, v14
	v_mov_b32_e32 v10, v14
	v_mov_b64_e32 v[2:3], 0
	s_mov_b64 s[6:7], 0
	v_mov_b64_e32 v[4:5], 0
.LBB15_45:                              ; =>This Inner Loop Header: Depth=1
	scratch_load_dwordx4 v[16:19], v10, off
	ds_read_b128 v[20:23], v9
	v_add_u32_e32 v8, 1, v8
	v_cmp_lt_u32_e32 vcc, 6, v8
	v_add_u32_e32 v9, 16, v9
	v_add_u32_e32 v10, 16, v10
	s_or_b64 s[6:7], vcc, s[6:7]
	s_waitcnt vmcnt(0) lgkmcnt(0)
	v_mul_f64 v[12:13], v[22:23], v[18:19]
	v_mul_f64 v[18:19], v[20:21], v[18:19]
	v_fma_f64 v[12:13], v[20:21], v[16:17], -v[12:13]
	v_fmac_f64_e32 v[18:19], v[22:23], v[16:17]
	v_add_f64 v[4:5], v[4:5], v[12:13]
	v_add_f64 v[2:3], v[2:3], v[18:19]
	s_andn2_b64 exec, exec, s[6:7]
	s_cbranch_execnz .LBB15_45
; %bb.46:
	s_or_b64 exec, exec, s[6:7]
	v_mov_b32_e32 v8, 0
	ds_read_b128 v[8:11], v8 offset:128
	s_waitcnt lgkmcnt(0)
	v_mul_f64 v[16:17], v[2:3], v[10:11]
	v_mul_f64 v[12:13], v[4:5], v[10:11]
	v_fma_f64 v[10:11], v[4:5], v[8:9], -v[16:17]
	v_fmac_f64_e32 v[12:13], v[2:3], v[8:9]
	scratch_store_dwordx4 off, v[10:13], off offset:128
.LBB15_47:
	s_or_b64 exec, exec, s[2:3]
	; wave barrier
	scratch_load_dwordx4 v[2:5], off, s26
	v_cmp_gt_u32_e32 vcc, 9, v1
	s_waitcnt vmcnt(0)
	ds_write_b128 v6, v[2:5]
	s_waitcnt lgkmcnt(0)
	; wave barrier
	s_and_saveexec_b64 s[2:3], vcc
	s_cbranch_execz .LBB15_51
; %bb.48:
	v_add_u32_e32 v8, -1, v1
	v_add_u32_e32 v9, 0x100, v14
	v_mov_b32_e32 v10, v14
	v_mov_b64_e32 v[2:3], 0
	s_mov_b64 s[6:7], 0
	v_mov_b64_e32 v[4:5], 0
.LBB15_49:                              ; =>This Inner Loop Header: Depth=1
	scratch_load_dwordx4 v[16:19], v10, off
	ds_read_b128 v[20:23], v9
	v_add_u32_e32 v8, 1, v8
	v_cmp_lt_u32_e32 vcc, 7, v8
	v_add_u32_e32 v9, 16, v9
	v_add_u32_e32 v10, 16, v10
	s_or_b64 s[6:7], vcc, s[6:7]
	s_waitcnt vmcnt(0) lgkmcnt(0)
	v_mul_f64 v[12:13], v[22:23], v[18:19]
	v_mul_f64 v[18:19], v[20:21], v[18:19]
	v_fma_f64 v[12:13], v[20:21], v[16:17], -v[12:13]
	v_fmac_f64_e32 v[18:19], v[22:23], v[16:17]
	v_add_f64 v[4:5], v[4:5], v[12:13]
	v_add_f64 v[2:3], v[2:3], v[18:19]
	s_andn2_b64 exec, exec, s[6:7]
	s_cbranch_execnz .LBB15_49
; %bb.50:
	s_or_b64 exec, exec, s[6:7]
	v_mov_b32_e32 v8, 0
	ds_read_b128 v[8:11], v8 offset:144
	s_waitcnt lgkmcnt(0)
	v_mul_f64 v[16:17], v[2:3], v[10:11]
	v_mul_f64 v[12:13], v[4:5], v[10:11]
	v_fma_f64 v[10:11], v[4:5], v[8:9], -v[16:17]
	v_fmac_f64_e32 v[12:13], v[2:3], v[8:9]
	scratch_store_dwordx4 off, v[10:13], off offset:144
.LBB15_51:
	s_or_b64 exec, exec, s[2:3]
	; wave barrier
	scratch_load_dwordx4 v[2:5], off, s27
	v_cmp_gt_u32_e32 vcc, 10, v1
	s_waitcnt vmcnt(0)
	ds_write_b128 v6, v[2:5]
	s_waitcnt lgkmcnt(0)
	; wave barrier
	s_and_saveexec_b64 s[2:3], vcc
	s_cbranch_execz .LBB15_55
; %bb.52:
	v_add_u32_e32 v8, -1, v1
	v_add_u32_e32 v9, 0x100, v14
	v_mov_b32_e32 v10, v14
	v_mov_b64_e32 v[2:3], 0
	s_mov_b64 s[6:7], 0
	v_mov_b64_e32 v[4:5], 0
.LBB15_53:                              ; =>This Inner Loop Header: Depth=1
	scratch_load_dwordx4 v[16:19], v10, off
	ds_read_b128 v[20:23], v9
	v_add_u32_e32 v8, 1, v8
	v_cmp_lt_u32_e32 vcc, 8, v8
	v_add_u32_e32 v9, 16, v9
	v_add_u32_e32 v10, 16, v10
	s_or_b64 s[6:7], vcc, s[6:7]
	s_waitcnt vmcnt(0) lgkmcnt(0)
	v_mul_f64 v[12:13], v[22:23], v[18:19]
	v_mul_f64 v[18:19], v[20:21], v[18:19]
	v_fma_f64 v[12:13], v[20:21], v[16:17], -v[12:13]
	v_fmac_f64_e32 v[18:19], v[22:23], v[16:17]
	v_add_f64 v[4:5], v[4:5], v[12:13]
	v_add_f64 v[2:3], v[2:3], v[18:19]
	s_andn2_b64 exec, exec, s[6:7]
	s_cbranch_execnz .LBB15_53
; %bb.54:
	s_or_b64 exec, exec, s[6:7]
	v_mov_b32_e32 v8, 0
	ds_read_b128 v[8:11], v8 offset:160
	s_waitcnt lgkmcnt(0)
	v_mul_f64 v[16:17], v[2:3], v[10:11]
	v_mul_f64 v[12:13], v[4:5], v[10:11]
	v_fma_f64 v[10:11], v[4:5], v[8:9], -v[16:17]
	v_fmac_f64_e32 v[12:13], v[2:3], v[8:9]
	scratch_store_dwordx4 off, v[10:13], off offset:160
.LBB15_55:
	s_or_b64 exec, exec, s[2:3]
	; wave barrier
	scratch_load_dwordx4 v[2:5], off, s28
	v_cmp_gt_u32_e32 vcc, 11, v1
	s_waitcnt vmcnt(0)
	ds_write_b128 v6, v[2:5]
	s_waitcnt lgkmcnt(0)
	; wave barrier
	s_and_saveexec_b64 s[2:3], vcc
	s_cbranch_execz .LBB15_59
; %bb.56:
	v_add_u32_e32 v8, -1, v1
	v_add_u32_e32 v9, 0x100, v14
	v_mov_b32_e32 v10, v14
	v_mov_b64_e32 v[2:3], 0
	s_mov_b64 s[6:7], 0
	v_mov_b64_e32 v[4:5], 0
.LBB15_57:                              ; =>This Inner Loop Header: Depth=1
	scratch_load_dwordx4 v[16:19], v10, off
	ds_read_b128 v[20:23], v9
	v_add_u32_e32 v8, 1, v8
	v_cmp_lt_u32_e32 vcc, 9, v8
	v_add_u32_e32 v9, 16, v9
	v_add_u32_e32 v10, 16, v10
	s_or_b64 s[6:7], vcc, s[6:7]
	s_waitcnt vmcnt(0) lgkmcnt(0)
	v_mul_f64 v[12:13], v[22:23], v[18:19]
	v_mul_f64 v[18:19], v[20:21], v[18:19]
	v_fma_f64 v[12:13], v[20:21], v[16:17], -v[12:13]
	v_fmac_f64_e32 v[18:19], v[22:23], v[16:17]
	v_add_f64 v[4:5], v[4:5], v[12:13]
	v_add_f64 v[2:3], v[2:3], v[18:19]
	s_andn2_b64 exec, exec, s[6:7]
	s_cbranch_execnz .LBB15_57
; %bb.58:
	s_or_b64 exec, exec, s[6:7]
	v_mov_b32_e32 v8, 0
	ds_read_b128 v[8:11], v8 offset:176
	s_waitcnt lgkmcnt(0)
	v_mul_f64 v[16:17], v[2:3], v[10:11]
	v_mul_f64 v[12:13], v[4:5], v[10:11]
	v_fma_f64 v[10:11], v[4:5], v[8:9], -v[16:17]
	v_fmac_f64_e32 v[12:13], v[2:3], v[8:9]
	scratch_store_dwordx4 off, v[10:13], off offset:176
.LBB15_59:
	s_or_b64 exec, exec, s[2:3]
	; wave barrier
	scratch_load_dwordx4 v[2:5], off, s29
	v_cmp_gt_u32_e32 vcc, 12, v1
	s_waitcnt vmcnt(0)
	ds_write_b128 v6, v[2:5]
	s_waitcnt lgkmcnt(0)
	; wave barrier
	s_and_saveexec_b64 s[2:3], vcc
	s_cbranch_execz .LBB15_63
; %bb.60:
	v_add_u32_e32 v8, -1, v1
	v_add_u32_e32 v9, 0x100, v14
	v_mov_b32_e32 v10, v14
	v_mov_b64_e32 v[2:3], 0
	s_mov_b64 s[6:7], 0
	v_mov_b64_e32 v[4:5], 0
.LBB15_61:                              ; =>This Inner Loop Header: Depth=1
	scratch_load_dwordx4 v[16:19], v10, off
	ds_read_b128 v[20:23], v9
	v_add_u32_e32 v8, 1, v8
	v_cmp_lt_u32_e32 vcc, 10, v8
	v_add_u32_e32 v9, 16, v9
	v_add_u32_e32 v10, 16, v10
	s_or_b64 s[6:7], vcc, s[6:7]
	s_waitcnt vmcnt(0) lgkmcnt(0)
	v_mul_f64 v[12:13], v[22:23], v[18:19]
	v_mul_f64 v[18:19], v[20:21], v[18:19]
	v_fma_f64 v[12:13], v[20:21], v[16:17], -v[12:13]
	v_fmac_f64_e32 v[18:19], v[22:23], v[16:17]
	v_add_f64 v[4:5], v[4:5], v[12:13]
	v_add_f64 v[2:3], v[2:3], v[18:19]
	s_andn2_b64 exec, exec, s[6:7]
	s_cbranch_execnz .LBB15_61
; %bb.62:
	s_or_b64 exec, exec, s[6:7]
	v_mov_b32_e32 v8, 0
	ds_read_b128 v[8:11], v8 offset:192
	s_waitcnt lgkmcnt(0)
	v_mul_f64 v[16:17], v[2:3], v[10:11]
	v_mul_f64 v[12:13], v[4:5], v[10:11]
	v_fma_f64 v[10:11], v[4:5], v[8:9], -v[16:17]
	v_fmac_f64_e32 v[12:13], v[2:3], v[8:9]
	scratch_store_dwordx4 off, v[10:13], off offset:192
.LBB15_63:
	s_or_b64 exec, exec, s[2:3]
	; wave barrier
	scratch_load_dwordx4 v[2:5], off, s31
	v_cmp_gt_u32_e32 vcc, 13, v1
	s_waitcnt vmcnt(0)
	ds_write_b128 v6, v[2:5]
	s_waitcnt lgkmcnt(0)
	; wave barrier
	s_and_saveexec_b64 s[2:3], vcc
	s_cbranch_execz .LBB15_67
; %bb.64:
	v_add_u32_e32 v8, -1, v1
	v_add_u32_e32 v9, 0x100, v14
	v_mov_b32_e32 v10, v14
	v_mov_b64_e32 v[2:3], 0
	s_mov_b64 s[6:7], 0
	v_mov_b64_e32 v[4:5], 0
.LBB15_65:                              ; =>This Inner Loop Header: Depth=1
	scratch_load_dwordx4 v[16:19], v10, off
	ds_read_b128 v[20:23], v9
	v_add_u32_e32 v8, 1, v8
	v_cmp_lt_u32_e32 vcc, 11, v8
	v_add_u32_e32 v9, 16, v9
	v_add_u32_e32 v10, 16, v10
	s_or_b64 s[6:7], vcc, s[6:7]
	s_waitcnt vmcnt(0) lgkmcnt(0)
	v_mul_f64 v[12:13], v[22:23], v[18:19]
	v_mul_f64 v[18:19], v[20:21], v[18:19]
	v_fma_f64 v[12:13], v[20:21], v[16:17], -v[12:13]
	v_fmac_f64_e32 v[18:19], v[22:23], v[16:17]
	v_add_f64 v[4:5], v[4:5], v[12:13]
	v_add_f64 v[2:3], v[2:3], v[18:19]
	s_andn2_b64 exec, exec, s[6:7]
	s_cbranch_execnz .LBB15_65
; %bb.66:
	s_or_b64 exec, exec, s[6:7]
	v_mov_b32_e32 v8, 0
	ds_read_b128 v[8:11], v8 offset:208
	s_waitcnt lgkmcnt(0)
	v_mul_f64 v[16:17], v[2:3], v[10:11]
	v_mul_f64 v[12:13], v[4:5], v[10:11]
	v_fma_f64 v[10:11], v[4:5], v[8:9], -v[16:17]
	v_fmac_f64_e32 v[12:13], v[2:3], v[8:9]
	scratch_store_dwordx4 off, v[10:13], off offset:208
.LBB15_67:
	s_or_b64 exec, exec, s[2:3]
	; wave barrier
	scratch_load_dwordx4 v[2:5], off, s33
	v_cmp_gt_u32_e32 vcc, 14, v1
	s_waitcnt vmcnt(0)
	ds_write_b128 v6, v[2:5]
	s_waitcnt lgkmcnt(0)
	; wave barrier
	s_and_saveexec_b64 s[2:3], vcc
	s_cbranch_execz .LBB15_71
; %bb.68:
	v_add_u32_e32 v8, -1, v1
	v_add_u32_e32 v9, 0x100, v14
	v_mov_b32_e32 v10, v14
	v_mov_b64_e32 v[2:3], 0
	s_mov_b64 s[6:7], 0
	v_mov_b64_e32 v[4:5], 0
.LBB15_69:                              ; =>This Inner Loop Header: Depth=1
	scratch_load_dwordx4 v[16:19], v10, off
	ds_read_b128 v[20:23], v9
	v_add_u32_e32 v8, 1, v8
	v_cmp_lt_u32_e32 vcc, 12, v8
	v_add_u32_e32 v9, 16, v9
	v_add_u32_e32 v10, 16, v10
	s_or_b64 s[6:7], vcc, s[6:7]
	s_waitcnt vmcnt(0) lgkmcnt(0)
	v_mul_f64 v[12:13], v[22:23], v[18:19]
	v_mul_f64 v[18:19], v[20:21], v[18:19]
	v_fma_f64 v[12:13], v[20:21], v[16:17], -v[12:13]
	v_fmac_f64_e32 v[18:19], v[22:23], v[16:17]
	v_add_f64 v[4:5], v[4:5], v[12:13]
	v_add_f64 v[2:3], v[2:3], v[18:19]
	s_andn2_b64 exec, exec, s[6:7]
	s_cbranch_execnz .LBB15_69
; %bb.70:
	s_or_b64 exec, exec, s[6:7]
	v_mov_b32_e32 v8, 0
	ds_read_b128 v[8:11], v8 offset:224
	s_waitcnt lgkmcnt(0)
	v_mul_f64 v[16:17], v[2:3], v[10:11]
	v_mul_f64 v[12:13], v[4:5], v[10:11]
	v_fma_f64 v[10:11], v[4:5], v[8:9], -v[16:17]
	v_fmac_f64_e32 v[12:13], v[2:3], v[8:9]
	scratch_store_dwordx4 off, v[10:13], off offset:224
.LBB15_71:
	s_or_b64 exec, exec, s[2:3]
	; wave barrier
	scratch_load_dwordx4 v[2:5], off, s30
	v_cmp_ne_u32_e32 vcc, 15, v1
	s_waitcnt vmcnt(0)
	ds_write_b128 v6, v[2:5]
	s_waitcnt lgkmcnt(0)
	; wave barrier
	s_and_saveexec_b64 s[2:3], vcc
	s_cbranch_execz .LBB15_75
; %bb.72:
	v_add_u32_e32 v6, 0x100, v14
	v_mov_b32_e32 v8, v14
	v_mov_b64_e32 v[2:3], 0
	s_mov_b64 s[6:7], 0
	v_mov_b64_e32 v[4:5], 0
.LBB15_73:                              ; =>This Inner Loop Header: Depth=1
	scratch_load_dwordx4 v[10:13], v8, off
	ds_read_b128 v[14:17], v6
	v_add_u32_e32 v7, 1, v7
	v_cmp_lt_u32_e32 vcc, 13, v7
	v_add_u32_e32 v6, 16, v6
	v_add_u32_e32 v8, 16, v8
	s_or_b64 s[6:7], vcc, s[6:7]
	s_waitcnt vmcnt(0) lgkmcnt(0)
	v_mul_f64 v[18:19], v[16:17], v[12:13]
	v_mul_f64 v[12:13], v[14:15], v[12:13]
	v_fma_f64 v[14:15], v[14:15], v[10:11], -v[18:19]
	v_fmac_f64_e32 v[12:13], v[16:17], v[10:11]
	v_add_f64 v[4:5], v[4:5], v[14:15]
	v_add_f64 v[2:3], v[2:3], v[12:13]
	s_andn2_b64 exec, exec, s[6:7]
	s_cbranch_execnz .LBB15_73
; %bb.74:
	s_or_b64 exec, exec, s[6:7]
	v_mov_b32_e32 v6, 0
	ds_read_b128 v[6:9], v6 offset:240
	s_waitcnt lgkmcnt(0)
	v_mul_f64 v[12:13], v[2:3], v[8:9]
	v_mul_f64 v[10:11], v[4:5], v[8:9]
	v_fma_f64 v[8:9], v[4:5], v[6:7], -v[12:13]
	v_fmac_f64_e32 v[10:11], v[2:3], v[6:7]
	scratch_store_dwordx4 off, v[8:11], off offset:240
.LBB15_75:
	s_or_b64 exec, exec, s[2:3]
	s_mov_b64 s[6:7], -1
	; wave barrier
.LBB15_76:
	s_and_b64 vcc, exec, s[6:7]
	s_cbranch_vccz .LBB15_78
; %bb.77:
	s_lshl_b64 s[2:3], s[4:5], 2
	s_add_u32 s2, s10, s2
	s_addc_u32 s3, s11, s3
	v_mov_b32_e32 v2, 0
	global_load_dword v2, v2, s[2:3]
	s_waitcnt vmcnt(0)
	v_cmp_ne_u32_e32 vcc, 0, v2
	s_cbranch_vccz .LBB15_79
.LBB15_78:
	s_endpgm
.LBB15_79:
	v_mov_b32_e32 v2, 0x100
	v_lshl_add_u32 v8, v1, 4, v2
	v_cmp_eq_u32_e32 vcc, 15, v1
	s_and_saveexec_b64 s[2:3], vcc
	s_cbranch_execz .LBB15_81
; %bb.80:
	scratch_load_dwordx4 v[2:5], off, s33
	v_mov_b32_e32 v10, 0
	v_mov_b32_e32 v11, v10
	;; [unrolled: 1-line block ×4, first 2 shown]
	scratch_store_dwordx4 off, v[10:13], off offset:224
	s_waitcnt vmcnt(1)
	ds_write_b128 v8, v[2:5]
.LBB15_81:
	s_or_b64 exec, exec, s[2:3]
	s_waitcnt lgkmcnt(0)
	; wave barrier
	scratch_load_dwordx4 v[4:7], off, off offset:240
	scratch_load_dwordx4 v[10:13], off, off offset:224
	v_mov_b32_e32 v2, 0
	ds_read_b128 v[14:17], v2 offset:496
	v_cmp_lt_u32_e32 vcc, 13, v1
	s_waitcnt vmcnt(1) lgkmcnt(0)
	v_mul_f64 v[18:19], v[14:15], v[6:7]
	v_mul_f64 v[6:7], v[16:17], v[6:7]
	v_fmac_f64_e32 v[18:19], v[16:17], v[4:5]
	v_fma_f64 v[4:5], v[14:15], v[4:5], -v[6:7]
	v_add_f64 v[6:7], v[18:19], 0
	v_add_f64 v[4:5], v[4:5], 0
	s_waitcnt vmcnt(0)
	v_add_f64 v[4:5], v[10:11], -v[4:5]
	v_add_f64 v[6:7], v[12:13], -v[6:7]
	scratch_store_dwordx4 off, v[4:7], off offset:224
	s_and_saveexec_b64 s[2:3], vcc
	s_cbranch_execz .LBB15_83
; %bb.82:
	scratch_load_dwordx4 v[10:13], off, s31
	v_mov_b32_e32 v3, v2
	v_mov_b32_e32 v4, v2
	;; [unrolled: 1-line block ×3, first 2 shown]
	scratch_store_dwordx4 off, v[2:5], off offset:208
	s_waitcnt vmcnt(1)
	ds_write_b128 v8, v[10:13]
.LBB15_83:
	s_or_b64 exec, exec, s[2:3]
	s_waitcnt lgkmcnt(0)
	; wave barrier
	scratch_load_dwordx4 v[4:7], off, off offset:224
	scratch_load_dwordx4 v[10:13], off, off offset:240
	;; [unrolled: 1-line block ×3, first 2 shown]
	ds_read_b128 v[18:21], v2 offset:480
	ds_read_b128 v[22:25], v2 offset:496
	v_cmp_lt_u32_e32 vcc, 12, v1
	s_waitcnt vmcnt(2) lgkmcnt(1)
	v_mul_f64 v[2:3], v[18:19], v[6:7]
	v_mul_f64 v[6:7], v[20:21], v[6:7]
	s_waitcnt vmcnt(1) lgkmcnt(0)
	v_mul_f64 v[26:27], v[22:23], v[12:13]
	v_mul_f64 v[12:13], v[24:25], v[12:13]
	v_fmac_f64_e32 v[2:3], v[20:21], v[4:5]
	v_fma_f64 v[4:5], v[18:19], v[4:5], -v[6:7]
	v_fmac_f64_e32 v[26:27], v[24:25], v[10:11]
	v_fma_f64 v[6:7], v[22:23], v[10:11], -v[12:13]
	v_add_f64 v[2:3], v[2:3], 0
	v_add_f64 v[4:5], v[4:5], 0
	;; [unrolled: 1-line block ×4, first 2 shown]
	s_waitcnt vmcnt(0)
	v_add_f64 v[2:3], v[14:15], -v[2:3]
	v_add_f64 v[4:5], v[16:17], -v[10:11]
	scratch_store_dwordx4 off, v[2:5], off offset:208
	s_and_saveexec_b64 s[2:3], vcc
	s_cbranch_execz .LBB15_85
; %bb.84:
	scratch_load_dwordx4 v[2:5], off, s29
	v_mov_b32_e32 v10, 0
	v_mov_b32_e32 v11, v10
	;; [unrolled: 1-line block ×4, first 2 shown]
	scratch_store_dwordx4 off, v[10:13], off offset:192
	s_waitcnt vmcnt(1)
	ds_write_b128 v8, v[2:5]
.LBB15_85:
	s_or_b64 exec, exec, s[2:3]
	s_waitcnt lgkmcnt(0)
	; wave barrier
	scratch_load_dwordx4 v[4:7], off, off offset:208
	scratch_load_dwordx4 v[10:13], off, off offset:224
	scratch_load_dwordx4 v[14:17], off, off offset:240
	scratch_load_dwordx4 v[18:21], off, off offset:192
	v_mov_b32_e32 v2, 0
	ds_read_b128 v[22:25], v2 offset:464
	ds_read_b128 v[26:29], v2 offset:480
	;; [unrolled: 1-line block ×3, first 2 shown]
	v_cmp_lt_u32_e32 vcc, 11, v1
	s_waitcnt vmcnt(3) lgkmcnt(2)
	v_mul_f64 v[34:35], v[22:23], v[6:7]
	v_mul_f64 v[6:7], v[24:25], v[6:7]
	s_waitcnt vmcnt(2) lgkmcnt(1)
	v_mul_f64 v[36:37], v[26:27], v[12:13]
	v_mul_f64 v[12:13], v[28:29], v[12:13]
	v_fmac_f64_e32 v[34:35], v[24:25], v[4:5]
	v_fma_f64 v[4:5], v[22:23], v[4:5], -v[6:7]
	s_waitcnt vmcnt(1) lgkmcnt(0)
	v_mul_f64 v[70:71], v[30:31], v[16:17]
	v_mul_f64 v[16:17], v[32:33], v[16:17]
	v_fmac_f64_e32 v[36:37], v[28:29], v[10:11]
	v_fma_f64 v[6:7], v[26:27], v[10:11], -v[12:13]
	v_add_f64 v[12:13], v[34:35], 0
	v_add_f64 v[4:5], v[4:5], 0
	v_fmac_f64_e32 v[70:71], v[32:33], v[14:15]
	v_fma_f64 v[10:11], v[30:31], v[14:15], -v[16:17]
	v_add_f64 v[12:13], v[12:13], v[36:37]
	v_add_f64 v[4:5], v[4:5], v[6:7]
	;; [unrolled: 1-line block ×4, first 2 shown]
	s_waitcnt vmcnt(0)
	v_add_f64 v[4:5], v[18:19], -v[4:5]
	v_add_f64 v[6:7], v[20:21], -v[6:7]
	scratch_store_dwordx4 off, v[4:7], off offset:192
	s_and_saveexec_b64 s[2:3], vcc
	s_cbranch_execz .LBB15_87
; %bb.86:
	scratch_load_dwordx4 v[10:13], off, s28
	v_mov_b32_e32 v3, v2
	v_mov_b32_e32 v4, v2
	;; [unrolled: 1-line block ×3, first 2 shown]
	scratch_store_dwordx4 off, v[2:5], off offset:176
	s_waitcnt vmcnt(1)
	ds_write_b128 v8, v[10:13]
.LBB15_87:
	s_or_b64 exec, exec, s[2:3]
	s_waitcnt lgkmcnt(0)
	; wave barrier
	scratch_load_dwordx4 v[4:7], off, off offset:192
	scratch_load_dwordx4 v[10:13], off, off offset:208
	;; [unrolled: 1-line block ×5, first 2 shown]
	ds_read_b128 v[26:29], v2 offset:448
	ds_read_b128 v[30:33], v2 offset:464
	;; [unrolled: 1-line block ×4, first 2 shown]
	v_cmp_lt_u32_e32 vcc, 10, v1
	s_waitcnt vmcnt(4) lgkmcnt(3)
	v_mul_f64 v[2:3], v[26:27], v[6:7]
	v_mul_f64 v[6:7], v[28:29], v[6:7]
	s_waitcnt vmcnt(3) lgkmcnt(2)
	v_mul_f64 v[74:75], v[30:31], v[12:13]
	v_mul_f64 v[12:13], v[32:33], v[12:13]
	v_fmac_f64_e32 v[2:3], v[28:29], v[4:5]
	v_fma_f64 v[4:5], v[26:27], v[4:5], -v[6:7]
	s_waitcnt vmcnt(2) lgkmcnt(1)
	v_mul_f64 v[76:77], v[34:35], v[16:17]
	v_mul_f64 v[16:17], v[36:37], v[16:17]
	v_fmac_f64_e32 v[74:75], v[32:33], v[10:11]
	v_fma_f64 v[6:7], v[30:31], v[10:11], -v[12:13]
	v_add_f64 v[2:3], v[2:3], 0
	v_add_f64 v[4:5], v[4:5], 0
	s_waitcnt vmcnt(1) lgkmcnt(0)
	v_mul_f64 v[78:79], v[70:71], v[20:21]
	v_mul_f64 v[20:21], v[72:73], v[20:21]
	v_fmac_f64_e32 v[76:77], v[36:37], v[14:15]
	v_fma_f64 v[10:11], v[34:35], v[14:15], -v[16:17]
	v_add_f64 v[2:3], v[2:3], v[74:75]
	v_add_f64 v[4:5], v[4:5], v[6:7]
	v_fmac_f64_e32 v[78:79], v[72:73], v[18:19]
	v_fma_f64 v[12:13], v[70:71], v[18:19], -v[20:21]
	v_add_f64 v[2:3], v[2:3], v[76:77]
	v_add_f64 v[4:5], v[4:5], v[10:11]
	;; [unrolled: 1-line block ×4, first 2 shown]
	s_waitcnt vmcnt(0)
	v_add_f64 v[2:3], v[22:23], -v[2:3]
	v_add_f64 v[4:5], v[24:25], -v[6:7]
	scratch_store_dwordx4 off, v[2:5], off offset:176
	s_and_saveexec_b64 s[2:3], vcc
	s_cbranch_execz .LBB15_89
; %bb.88:
	scratch_load_dwordx4 v[2:5], off, s27
	v_mov_b32_e32 v10, 0
	v_mov_b32_e32 v11, v10
	;; [unrolled: 1-line block ×4, first 2 shown]
	scratch_store_dwordx4 off, v[10:13], off offset:160
	s_waitcnt vmcnt(1)
	ds_write_b128 v8, v[2:5]
.LBB15_89:
	s_or_b64 exec, exec, s[2:3]
	s_waitcnt lgkmcnt(0)
	; wave barrier
	scratch_load_dwordx4 v[4:7], off, off offset:176
	scratch_load_dwordx4 v[10:13], off, off offset:192
	;; [unrolled: 1-line block ×6, first 2 shown]
	v_mov_b32_e32 v2, 0
	ds_read_b128 v[30:33], v2 offset:432
	ds_read_b128 v[34:37], v2 offset:448
	;; [unrolled: 1-line block ×5, first 2 shown]
	v_cmp_lt_u32_e32 vcc, 9, v1
	s_waitcnt vmcnt(5) lgkmcnt(4)
	v_mul_f64 v[82:83], v[30:31], v[6:7]
	v_mul_f64 v[6:7], v[32:33], v[6:7]
	s_waitcnt vmcnt(4) lgkmcnt(3)
	v_mul_f64 v[84:85], v[34:35], v[12:13]
	s_waitcnt vmcnt(3) lgkmcnt(2)
	v_mul_f64 v[86:87], v[70:71], v[16:17]
	v_mul_f64 v[12:13], v[36:37], v[12:13]
	;; [unrolled: 1-line block ×3, first 2 shown]
	v_fmac_f64_e32 v[82:83], v[32:33], v[4:5]
	v_fma_f64 v[4:5], v[30:31], v[4:5], -v[6:7]
	v_fmac_f64_e32 v[84:85], v[36:37], v[10:11]
	v_fma_f64 v[6:7], v[34:35], v[10:11], -v[12:13]
	v_fma_f64 v[10:11], v[70:71], v[14:15], -v[16:17]
	v_add_f64 v[16:17], v[82:83], 0
	v_add_f64 v[4:5], v[4:5], 0
	s_waitcnt vmcnt(2) lgkmcnt(1)
	v_mul_f64 v[88:89], v[74:75], v[20:21]
	v_mul_f64 v[20:21], v[76:77], v[20:21]
	v_fmac_f64_e32 v[86:87], v[72:73], v[14:15]
	v_add_f64 v[16:17], v[16:17], v[84:85]
	v_add_f64 v[4:5], v[4:5], v[6:7]
	s_waitcnt vmcnt(1) lgkmcnt(0)
	v_mul_f64 v[90:91], v[78:79], v[24:25]
	v_mul_f64 v[24:25], v[80:81], v[24:25]
	v_fmac_f64_e32 v[88:89], v[76:77], v[18:19]
	v_fma_f64 v[12:13], v[74:75], v[18:19], -v[20:21]
	v_add_f64 v[6:7], v[16:17], v[86:87]
	v_add_f64 v[4:5], v[4:5], v[10:11]
	v_fmac_f64_e32 v[90:91], v[80:81], v[22:23]
	v_fma_f64 v[14:15], v[78:79], v[22:23], -v[24:25]
	v_add_f64 v[6:7], v[6:7], v[88:89]
	v_add_f64 v[4:5], v[4:5], v[12:13]
	v_add_f64 v[6:7], v[6:7], v[90:91]
	v_add_f64 v[4:5], v[4:5], v[14:15]
	s_waitcnt vmcnt(0)
	v_add_f64 v[4:5], v[26:27], -v[4:5]
	v_add_f64 v[6:7], v[28:29], -v[6:7]
	scratch_store_dwordx4 off, v[4:7], off offset:160
	s_and_saveexec_b64 s[2:3], vcc
	s_cbranch_execz .LBB15_91
; %bb.90:
	scratch_load_dwordx4 v[10:13], off, s26
	v_mov_b32_e32 v3, v2
	v_mov_b32_e32 v4, v2
	;; [unrolled: 1-line block ×3, first 2 shown]
	scratch_store_dwordx4 off, v[2:5], off offset:144
	s_waitcnt vmcnt(1)
	ds_write_b128 v8, v[10:13]
.LBB15_91:
	s_or_b64 exec, exec, s[2:3]
	s_waitcnt lgkmcnt(0)
	; wave barrier
	scratch_load_dwordx4 v[4:7], off, off offset:160
	scratch_load_dwordx4 v[10:13], off, off offset:176
	;; [unrolled: 1-line block ×7, first 2 shown]
	ds_read_b128 v[34:37], v2 offset:416
	ds_read_b128 v[70:73], v2 offset:432
	;; [unrolled: 1-line block ×6, first 2 shown]
	v_cmp_lt_u32_e32 vcc, 8, v1
	s_waitcnt vmcnt(6) lgkmcnt(5)
	v_mul_f64 v[2:3], v[34:35], v[6:7]
	v_mul_f64 v[6:7], v[36:37], v[6:7]
	s_waitcnt vmcnt(5) lgkmcnt(4)
	v_mul_f64 v[90:91], v[70:71], v[12:13]
	v_mul_f64 v[12:13], v[72:73], v[12:13]
	v_fmac_f64_e32 v[2:3], v[36:37], v[4:5]
	v_fma_f64 v[4:5], v[34:35], v[4:5], -v[6:7]
	s_waitcnt vmcnt(4) lgkmcnt(3)
	v_mul_f64 v[92:93], v[74:75], v[16:17]
	v_mul_f64 v[16:17], v[76:77], v[16:17]
	v_fmac_f64_e32 v[90:91], v[72:73], v[10:11]
	v_fma_f64 v[6:7], v[70:71], v[10:11], -v[12:13]
	v_add_f64 v[2:3], v[2:3], 0
	v_add_f64 v[4:5], v[4:5], 0
	s_waitcnt vmcnt(3) lgkmcnt(2)
	v_mul_f64 v[94:95], v[78:79], v[20:21]
	v_mul_f64 v[20:21], v[80:81], v[20:21]
	v_fmac_f64_e32 v[92:93], v[76:77], v[14:15]
	v_fma_f64 v[10:11], v[74:75], v[14:15], -v[16:17]
	v_add_f64 v[2:3], v[2:3], v[90:91]
	v_add_f64 v[4:5], v[4:5], v[6:7]
	;; [unrolled: 7-line block ×4, first 2 shown]
	v_fmac_f64_e32 v[98:99], v[88:89], v[26:27]
	v_fma_f64 v[16:17], v[86:87], v[26:27], -v[28:29]
	v_add_f64 v[2:3], v[2:3], v[96:97]
	v_add_f64 v[4:5], v[4:5], v[14:15]
	;; [unrolled: 1-line block ×4, first 2 shown]
	s_waitcnt vmcnt(0)
	v_add_f64 v[2:3], v[30:31], -v[2:3]
	v_add_f64 v[4:5], v[32:33], -v[6:7]
	scratch_store_dwordx4 off, v[2:5], off offset:144
	s_and_saveexec_b64 s[2:3], vcc
	s_cbranch_execz .LBB15_93
; %bb.92:
	scratch_load_dwordx4 v[2:5], off, s25
	v_mov_b32_e32 v10, 0
	v_mov_b32_e32 v11, v10
	v_mov_b32_e32 v12, v10
	v_mov_b32_e32 v13, v10
	scratch_store_dwordx4 off, v[10:13], off offset:128
	s_waitcnt vmcnt(1)
	ds_write_b128 v8, v[2:5]
.LBB15_93:
	s_or_b64 exec, exec, s[2:3]
	s_waitcnt lgkmcnt(0)
	; wave barrier
	scratch_load_dwordx4 v[4:7], off, off offset:144
	scratch_load_dwordx4 v[10:13], off, off offset:160
	;; [unrolled: 1-line block ×8, first 2 shown]
	v_mov_b32_e32 v2, 0
	ds_read_b128 v[70:73], v2 offset:400
	ds_read_b128 v[74:77], v2 offset:416
	;; [unrolled: 1-line block ×7, first 2 shown]
	v_cmp_lt_u32_e32 vcc, 7, v1
	s_waitcnt vmcnt(7) lgkmcnt(6)
	v_mul_f64 v[98:99], v[70:71], v[6:7]
	v_mul_f64 v[6:7], v[72:73], v[6:7]
	s_waitcnt vmcnt(6) lgkmcnt(5)
	v_mul_f64 v[100:101], v[74:75], v[12:13]
	s_waitcnt vmcnt(4) lgkmcnt(3)
	v_mul_f64 v[104:105], v[82:83], v[20:21]
	v_mul_f64 v[12:13], v[76:77], v[12:13]
	;; [unrolled: 1-line block ×3, first 2 shown]
	v_fmac_f64_e32 v[98:99], v[72:73], v[4:5]
	v_fma_f64 v[4:5], v[70:71], v[4:5], -v[6:7]
	v_mul_f64 v[102:103], v[78:79], v[16:17]
	v_mul_f64 v[16:17], v[80:81], v[16:17]
	v_fmac_f64_e32 v[100:101], v[76:77], v[10:11]
	v_fma_f64 v[6:7], v[74:75], v[10:11], -v[12:13]
	v_fma_f64 v[12:13], v[82:83], v[18:19], -v[20:21]
	v_add_f64 v[20:21], v[98:99], 0
	v_add_f64 v[4:5], v[4:5], 0
	v_fmac_f64_e32 v[102:103], v[80:81], v[14:15]
	v_fma_f64 v[10:11], v[78:79], v[14:15], -v[16:17]
	v_add_f64 v[20:21], v[20:21], v[100:101]
	v_add_f64 v[4:5], v[4:5], v[6:7]
	s_waitcnt vmcnt(3) lgkmcnt(2)
	v_mul_f64 v[106:107], v[86:87], v[24:25]
	v_mul_f64 v[24:25], v[88:89], v[24:25]
	v_fmac_f64_e32 v[104:105], v[84:85], v[18:19]
	v_add_f64 v[6:7], v[20:21], v[102:103]
	v_add_f64 v[4:5], v[4:5], v[10:11]
	s_waitcnt vmcnt(2) lgkmcnt(1)
	v_mul_f64 v[108:109], v[90:91], v[28:29]
	v_mul_f64 v[28:29], v[92:93], v[28:29]
	v_fmac_f64_e32 v[106:107], v[88:89], v[22:23]
	v_fma_f64 v[14:15], v[86:87], v[22:23], -v[24:25]
	v_add_f64 v[6:7], v[6:7], v[104:105]
	v_add_f64 v[4:5], v[4:5], v[12:13]
	s_waitcnt vmcnt(1) lgkmcnt(0)
	v_mul_f64 v[110:111], v[94:95], v[32:33]
	v_mul_f64 v[32:33], v[96:97], v[32:33]
	v_fmac_f64_e32 v[108:109], v[92:93], v[26:27]
	v_fma_f64 v[16:17], v[90:91], v[26:27], -v[28:29]
	v_add_f64 v[6:7], v[6:7], v[106:107]
	v_add_f64 v[4:5], v[4:5], v[14:15]
	v_fmac_f64_e32 v[110:111], v[96:97], v[30:31]
	v_fma_f64 v[18:19], v[94:95], v[30:31], -v[32:33]
	v_add_f64 v[6:7], v[6:7], v[108:109]
	v_add_f64 v[4:5], v[4:5], v[16:17]
	;; [unrolled: 1-line block ×4, first 2 shown]
	s_waitcnt vmcnt(0)
	v_add_f64 v[4:5], v[34:35], -v[4:5]
	v_add_f64 v[6:7], v[36:37], -v[6:7]
	scratch_store_dwordx4 off, v[4:7], off offset:128
	s_and_saveexec_b64 s[2:3], vcc
	s_cbranch_execz .LBB15_95
; %bb.94:
	scratch_load_dwordx4 v[10:13], off, s24
	v_mov_b32_e32 v3, v2
	v_mov_b32_e32 v4, v2
	v_mov_b32_e32 v5, v2
	scratch_store_dwordx4 off, v[2:5], off offset:112
	s_waitcnt vmcnt(1)
	ds_write_b128 v8, v[10:13]
.LBB15_95:
	s_or_b64 exec, exec, s[2:3]
	s_waitcnt lgkmcnt(0)
	; wave barrier
	scratch_load_dwordx4 v[4:7], off, off offset:128
	scratch_load_dwordx4 v[10:13], off, off offset:144
	;; [unrolled: 1-line block ×9, first 2 shown]
	ds_read_b128 v[74:77], v2 offset:384
	ds_read_b128 v[78:81], v2 offset:400
	;; [unrolled: 1-line block ×8, first 2 shown]
	v_cmp_lt_u32_e32 vcc, 6, v1
	s_waitcnt vmcnt(8) lgkmcnt(7)
	v_mul_f64 v[2:3], v[74:75], v[6:7]
	v_mul_f64 v[6:7], v[76:77], v[6:7]
	s_waitcnt vmcnt(7) lgkmcnt(6)
	v_mul_f64 v[106:107], v[78:79], v[12:13]
	v_mul_f64 v[12:13], v[80:81], v[12:13]
	v_fmac_f64_e32 v[2:3], v[76:77], v[4:5]
	v_fma_f64 v[4:5], v[74:75], v[4:5], -v[6:7]
	s_waitcnt vmcnt(6) lgkmcnt(5)
	v_mul_f64 v[108:109], v[82:83], v[16:17]
	v_mul_f64 v[16:17], v[84:85], v[16:17]
	v_fmac_f64_e32 v[106:107], v[80:81], v[10:11]
	v_fma_f64 v[6:7], v[78:79], v[10:11], -v[12:13]
	v_add_f64 v[2:3], v[2:3], 0
	v_add_f64 v[4:5], v[4:5], 0
	s_waitcnt vmcnt(5) lgkmcnt(4)
	v_mul_f64 v[110:111], v[86:87], v[20:21]
	v_mul_f64 v[20:21], v[88:89], v[20:21]
	v_fmac_f64_e32 v[108:109], v[84:85], v[14:15]
	v_fma_f64 v[10:11], v[82:83], v[14:15], -v[16:17]
	v_add_f64 v[2:3], v[2:3], v[106:107]
	v_add_f64 v[4:5], v[4:5], v[6:7]
	;; [unrolled: 7-line block ×6, first 2 shown]
	v_fmac_f64_e32 v[118:119], v[104:105], v[34:35]
	v_fma_f64 v[20:21], v[102:103], v[34:35], -v[36:37]
	v_add_f64 v[2:3], v[2:3], v[116:117]
	v_add_f64 v[4:5], v[4:5], v[18:19]
	;; [unrolled: 1-line block ×4, first 2 shown]
	s_waitcnt vmcnt(0)
	v_add_f64 v[2:3], v[70:71], -v[2:3]
	v_add_f64 v[4:5], v[72:73], -v[6:7]
	scratch_store_dwordx4 off, v[2:5], off offset:112
	s_and_saveexec_b64 s[2:3], vcc
	s_cbranch_execz .LBB15_97
; %bb.96:
	scratch_load_dwordx4 v[2:5], off, s19
	v_mov_b32_e32 v10, 0
	v_mov_b32_e32 v11, v10
	;; [unrolled: 1-line block ×4, first 2 shown]
	scratch_store_dwordx4 off, v[10:13], off offset:96
	s_waitcnt vmcnt(1)
	ds_write_b128 v8, v[2:5]
.LBB15_97:
	s_or_b64 exec, exec, s[2:3]
	v_mov_b32_e32 v2, 0
	s_waitcnt lgkmcnt(0)
	; wave barrier
	ds_read_b128 v[4:7], v2 offset:368
	ds_read_b128 v[10:13], v2 offset:384
	;; [unrolled: 1-line block ×4, first 2 shown]
	scratch_load_dwordx4 v[22:25], off, off offset:112
	scratch_load_dwordx4 v[74:77], off, off offset:176
	;; [unrolled: 1-line block ×3, first 2 shown]
	v_cmp_lt_u32_e32 vcc, 5, v1
	scratch_load_dwordx4 v[82:85], off, off offset:192
	scratch_load_dwordx4 v[90:93], off, off offset:208
	;; [unrolled: 1-line block ×3, first 2 shown]
	s_waitcnt vmcnt(5) lgkmcnt(3)
	v_mul_f64 v[26:27], v[4:5], v[24:25]
	v_fmac_f64_e32 v[26:27], v[6:7], v[22:23]
	v_add_f64 v[30:31], v[26:27], 0
	scratch_load_dwordx4 v[26:29], off, off offset:128
	v_mul_f64 v[6:7], v[6:7], v[24:25]
	v_fma_f64 v[4:5], v[4:5], v[22:23], -v[6:7]
	v_add_f64 v[4:5], v[4:5], 0
	s_waitcnt vmcnt(0) lgkmcnt(2)
	v_mul_f64 v[32:33], v[10:11], v[28:29]
	v_fmac_f64_e32 v[32:33], v[12:13], v[26:27]
	v_add_f64 v[34:35], v[30:31], v[32:33]
	scratch_load_dwordx4 v[30:33], off, off offset:144
	v_mul_f64 v[6:7], v[12:13], v[28:29]
	v_fma_f64 v[6:7], v[10:11], v[26:27], -v[6:7]
	v_add_f64 v[4:5], v[4:5], v[6:7]
	;; [unrolled: 8-line block ×3, first 2 shown]
	s_waitcnt vmcnt(0) lgkmcnt(0)
	v_mul_f64 v[72:73], v[18:19], v[36:37]
	v_fmac_f64_e32 v[72:73], v[20:21], v[34:35]
	v_add_f64 v[78:79], v[70:71], v[72:73]
	ds_read_b128 v[70:73], v2 offset:432
	v_mul_f64 v[6:7], v[20:21], v[36:37]
	v_fma_f64 v[6:7], v[18:19], v[34:35], -v[6:7]
	v_add_f64 v[4:5], v[4:5], v[6:7]
	s_waitcnt lgkmcnt(0)
	v_mul_f64 v[80:81], v[70:71], v[76:77]
	v_fmac_f64_e32 v[80:81], v[72:73], v[74:75]
	v_add_f64 v[86:87], v[78:79], v[80:81]
	ds_read_b128 v[78:81], v2 offset:448
	v_mul_f64 v[6:7], v[72:73], v[76:77]
	v_fma_f64 v[6:7], v[70:71], v[74:75], -v[6:7]
	v_add_f64 v[4:5], v[4:5], v[6:7]
	s_waitcnt lgkmcnt(0)
	;; [unrolled: 8-line block ×5, first 2 shown]
	v_mul_f64 v[6:7], v[104:105], v[108:109]
	v_fma_f64 v[6:7], v[102:103], v[106:107], -v[6:7]
	v_add_f64 v[10:11], v[4:5], v[6:7]
	scratch_load_dwordx4 v[4:7], off, off offset:96
	v_mul_f64 v[112:113], v[102:103], v[108:109]
	v_fmac_f64_e32 v[112:113], v[104:105], v[106:107]
	v_add_f64 v[110:111], v[110:111], v[112:113]
	s_waitcnt vmcnt(0)
	v_add_f64 v[4:5], v[4:5], -v[10:11]
	v_add_f64 v[6:7], v[6:7], -v[110:111]
	scratch_store_dwordx4 off, v[4:7], off offset:96
	s_and_saveexec_b64 s[2:3], vcc
	s_cbranch_execz .LBB15_99
; %bb.98:
	scratch_load_dwordx4 v[10:13], off, s17
	v_mov_b32_e32 v3, v2
	v_mov_b32_e32 v4, v2
	v_mov_b32_e32 v5, v2
	scratch_store_dwordx4 off, v[2:5], off offset:80
	s_waitcnt vmcnt(1)
	ds_write_b128 v8, v[10:13]
.LBB15_99:
	s_or_b64 exec, exec, s[2:3]
	s_waitcnt lgkmcnt(0)
	; wave barrier
	scratch_load_dwordx4 v[4:7], off, off offset:96
	scratch_load_dwordx4 v[10:13], off, off offset:112
	;; [unrolled: 1-line block ×11, first 2 shown]
	ds_read_b128 v[82:85], v2 offset:352
	ds_read_b128 v[86:89], v2 offset:368
	;; [unrolled: 1-line block ×10, first 2 shown]
	v_cmp_lt_u32_e32 vcc, 4, v1
	s_waitcnt vmcnt(10) lgkmcnt(9)
	v_mul_f64 v[2:3], v[82:83], v[6:7]
	v_mul_f64 v[6:7], v[84:85], v[6:7]
	s_waitcnt vmcnt(9) lgkmcnt(8)
	v_mul_f64 v[122:123], v[86:87], v[12:13]
	v_mul_f64 v[12:13], v[88:89], v[12:13]
	v_fmac_f64_e32 v[2:3], v[84:85], v[4:5]
	v_fma_f64 v[4:5], v[82:83], v[4:5], -v[6:7]
	s_waitcnt vmcnt(8) lgkmcnt(7)
	v_mul_f64 v[124:125], v[90:91], v[16:17]
	v_mul_f64 v[16:17], v[92:93], v[16:17]
	v_fmac_f64_e32 v[122:123], v[88:89], v[10:11]
	v_fma_f64 v[6:7], v[86:87], v[10:11], -v[12:13]
	v_add_f64 v[2:3], v[2:3], 0
	v_add_f64 v[4:5], v[4:5], 0
	s_waitcnt vmcnt(7) lgkmcnt(6)
	v_mul_f64 v[126:127], v[94:95], v[20:21]
	v_mul_f64 v[20:21], v[96:97], v[20:21]
	v_fmac_f64_e32 v[124:125], v[92:93], v[14:15]
	v_fma_f64 v[10:11], v[90:91], v[14:15], -v[16:17]
	v_add_f64 v[2:3], v[2:3], v[122:123]
	v_add_f64 v[4:5], v[4:5], v[6:7]
	;; [unrolled: 7-line block ×8, first 2 shown]
	v_fmac_f64_e32 v[138:139], v[120:121], v[74:75]
	v_fma_f64 v[24:25], v[118:119], v[74:75], -v[76:77]
	v_add_f64 v[2:3], v[2:3], v[136:137]
	v_add_f64 v[4:5], v[4:5], v[22:23]
	;; [unrolled: 1-line block ×4, first 2 shown]
	s_waitcnt vmcnt(0)
	v_add_f64 v[2:3], v[78:79], -v[2:3]
	v_add_f64 v[4:5], v[80:81], -v[6:7]
	scratch_store_dwordx4 off, v[2:5], off offset:80
	s_and_saveexec_b64 s[2:3], vcc
	s_cbranch_execz .LBB15_101
; %bb.100:
	scratch_load_dwordx4 v[2:5], off, s16
	v_mov_b32_e32 v10, 0
	v_mov_b32_e32 v11, v10
	;; [unrolled: 1-line block ×4, first 2 shown]
	scratch_store_dwordx4 off, v[10:13], off offset:64
	s_waitcnt vmcnt(1)
	ds_write_b128 v8, v[2:5]
.LBB15_101:
	s_or_b64 exec, exec, s[2:3]
	s_waitcnt lgkmcnt(0)
	; wave barrier
	scratch_load_dwordx4 v[4:7], off, off offset:80
	scratch_load_dwordx4 v[10:13], off, off offset:96
	;; [unrolled: 1-line block ×12, first 2 shown]
	v_mov_b32_e32 v2, 0
	ds_read_b128 v[86:89], v2 offset:336
	ds_read_b128 v[90:93], v2 offset:352
	;; [unrolled: 1-line block ×11, first 2 shown]
	v_cmp_lt_u32_e32 vcc, 3, v1
	s_waitcnt vmcnt(11) lgkmcnt(10)
	v_mul_f64 v[130:131], v[86:87], v[6:7]
	v_mul_f64 v[6:7], v[88:89], v[6:7]
	s_waitcnt vmcnt(10) lgkmcnt(9)
	v_mul_f64 v[132:133], v[90:91], v[12:13]
	s_waitcnt vmcnt(9) lgkmcnt(8)
	v_mul_f64 v[134:135], v[94:95], v[16:17]
	v_mul_f64 v[12:13], v[92:93], v[12:13]
	s_waitcnt vmcnt(6) lgkmcnt(5)
	v_mul_f64 v[140:141], v[106:107], v[28:29]
	v_mul_f64 v[16:17], v[96:97], v[16:17]
	;; [unrolled: 1-line block ×3, first 2 shown]
	v_fmac_f64_e32 v[130:131], v[88:89], v[4:5]
	v_fma_f64 v[4:5], v[86:87], v[4:5], -v[6:7]
	v_fmac_f64_e32 v[132:133], v[92:93], v[10:11]
	v_fma_f64 v[6:7], v[90:91], v[10:11], -v[12:13]
	v_fma_f64 v[10:11], v[94:95], v[14:15], -v[16:17]
	;; [unrolled: 1-line block ×3, first 2 shown]
	v_add_f64 v[28:29], v[130:131], 0
	v_add_f64 v[4:5], v[4:5], 0
	v_mul_f64 v[136:137], v[98:99], v[20:21]
	v_mul_f64 v[20:21], v[100:101], v[20:21]
	v_fmac_f64_e32 v[134:135], v[96:97], v[14:15]
	v_add_f64 v[28:29], v[28:29], v[132:133]
	v_add_f64 v[4:5], v[4:5], v[6:7]
	v_mul_f64 v[138:139], v[102:103], v[24:25]
	v_mul_f64 v[24:25], v[104:105], v[24:25]
	v_fmac_f64_e32 v[136:137], v[100:101], v[18:19]
	v_fma_f64 v[12:13], v[98:99], v[18:19], -v[20:21]
	v_add_f64 v[6:7], v[28:29], v[134:135]
	v_add_f64 v[4:5], v[4:5], v[10:11]
	v_fmac_f64_e32 v[138:139], v[104:105], v[22:23]
	v_fma_f64 v[14:15], v[102:103], v[22:23], -v[24:25]
	v_add_f64 v[6:7], v[6:7], v[136:137]
	v_add_f64 v[4:5], v[4:5], v[12:13]
	s_waitcnt vmcnt(5) lgkmcnt(4)
	v_mul_f64 v[142:143], v[110:111], v[32:33]
	v_mul_f64 v[32:33], v[112:113], v[32:33]
	v_fmac_f64_e32 v[140:141], v[108:109], v[26:27]
	v_add_f64 v[6:7], v[6:7], v[138:139]
	v_add_f64 v[4:5], v[4:5], v[14:15]
	s_waitcnt vmcnt(4) lgkmcnt(3)
	v_mul_f64 v[144:145], v[114:115], v[36:37]
	v_mul_f64 v[36:37], v[116:117], v[36:37]
	v_fmac_f64_e32 v[142:143], v[112:113], v[30:31]
	v_fma_f64 v[18:19], v[110:111], v[30:31], -v[32:33]
	v_add_f64 v[6:7], v[6:7], v[140:141]
	v_add_f64 v[4:5], v[4:5], v[16:17]
	s_waitcnt vmcnt(3) lgkmcnt(2)
	v_mul_f64 v[146:147], v[118:119], v[72:73]
	v_mul_f64 v[72:73], v[120:121], v[72:73]
	v_fmac_f64_e32 v[144:145], v[116:117], v[34:35]
	v_fma_f64 v[20:21], v[114:115], v[34:35], -v[36:37]
	;; [unrolled: 7-line block ×4, first 2 shown]
	v_add_f64 v[6:7], v[6:7], v[146:147]
	v_add_f64 v[4:5], v[4:5], v[22:23]
	v_fmac_f64_e32 v[150:151], v[128:129], v[78:79]
	v_fma_f64 v[26:27], v[126:127], v[78:79], -v[80:81]
	v_add_f64 v[6:7], v[6:7], v[148:149]
	v_add_f64 v[4:5], v[4:5], v[24:25]
	;; [unrolled: 1-line block ×4, first 2 shown]
	s_waitcnt vmcnt(0)
	v_add_f64 v[4:5], v[82:83], -v[4:5]
	v_add_f64 v[6:7], v[84:85], -v[6:7]
	scratch_store_dwordx4 off, v[4:7], off offset:64
	s_and_saveexec_b64 s[2:3], vcc
	s_cbranch_execz .LBB15_103
; %bb.102:
	scratch_load_dwordx4 v[10:13], off, s15
	v_mov_b32_e32 v3, v2
	v_mov_b32_e32 v4, v2
	;; [unrolled: 1-line block ×3, first 2 shown]
	scratch_store_dwordx4 off, v[2:5], off offset:48
	s_waitcnt vmcnt(1)
	ds_write_b128 v8, v[10:13]
.LBB15_103:
	s_or_b64 exec, exec, s[2:3]
	s_waitcnt lgkmcnt(0)
	; wave barrier
	scratch_load_dwordx4 v[4:7], off, off offset:64
	scratch_load_dwordx4 v[10:13], off, off offset:80
	;; [unrolled: 1-line block ×12, first 2 shown]
	ds_read_b128 v[86:89], v2 offset:320
	ds_read_b128 v[90:93], v2 offset:336
	;; [unrolled: 1-line block ×4, first 2 shown]
	scratch_load_dwordx4 v[102:105], off, off offset:48
	ds_read_b128 v[106:109], v2 offset:384
	ds_read_b128 v[110:113], v2 offset:400
	;; [unrolled: 1-line block ×8, first 2 shown]
	v_cmp_lt_u32_e32 vcc, 2, v1
	s_waitcnt vmcnt(12) lgkmcnt(11)
	v_mul_f64 v[2:3], v[86:87], v[6:7]
	s_waitcnt vmcnt(11) lgkmcnt(10)
	v_mul_f64 v[138:139], v[90:91], v[12:13]
	v_fmac_f64_e32 v[2:3], v[88:89], v[4:5]
	s_waitcnt vmcnt(10) lgkmcnt(9)
	v_mul_f64 v[140:141], v[94:95], v[16:17]
	v_mul_f64 v[6:7], v[88:89], v[6:7]
	v_fmac_f64_e32 v[138:139], v[92:93], v[10:11]
	v_add_f64 v[2:3], v[2:3], 0
	s_waitcnt vmcnt(9) lgkmcnt(8)
	v_mul_f64 v[142:143], v[98:99], v[20:21]
	v_mul_f64 v[12:13], v[92:93], v[12:13]
	v_fmac_f64_e32 v[140:141], v[96:97], v[14:15]
	v_fma_f64 v[4:5], v[86:87], v[4:5], -v[6:7]
	v_add_f64 v[2:3], v[2:3], v[138:139]
	s_waitcnt vmcnt(8) lgkmcnt(7)
	v_mul_f64 v[144:145], v[106:107], v[24:25]
	v_mul_f64 v[16:17], v[96:97], v[16:17]
	v_fmac_f64_e32 v[142:143], v[100:101], v[18:19]
	v_fma_f64 v[6:7], v[90:91], v[10:11], -v[12:13]
	v_add_f64 v[4:5], v[4:5], 0
	v_add_f64 v[2:3], v[2:3], v[140:141]
	s_waitcnt vmcnt(7) lgkmcnt(6)
	v_mul_f64 v[146:147], v[110:111], v[28:29]
	v_mul_f64 v[20:21], v[100:101], v[20:21]
	v_fmac_f64_e32 v[144:145], v[108:109], v[22:23]
	v_fma_f64 v[10:11], v[94:95], v[14:15], -v[16:17]
	v_add_f64 v[4:5], v[4:5], v[6:7]
	;; [unrolled: 7-line block ×8, first 2 shown]
	v_add_f64 v[2:3], v[2:3], v[154:155]
	v_mul_f64 v[80:81], v[132:133], v[80:81]
	v_fmac_f64_e32 v[158:159], v[136:137], v[82:83]
	v_fma_f64 v[24:25], v[126:127], v[74:75], -v[76:77]
	v_add_f64 v[4:5], v[4:5], v[22:23]
	v_add_f64 v[2:3], v[2:3], v[156:157]
	;; [unrolled: 1-line block ×4, first 2 shown]
	v_fma_f64 v[2:3], v[130:131], v[78:79], -v[80:81]
	v_add_f64 v[2:3], v[4:5], v[2:3]
	v_mul_f64 v[4:5], v[136:137], v[84:85]
	v_fma_f64 v[4:5], v[134:135], v[82:83], -v[4:5]
	v_add_f64 v[2:3], v[2:3], v[4:5]
	s_waitcnt vmcnt(0)
	v_add_f64 v[2:3], v[102:103], -v[2:3]
	v_add_f64 v[4:5], v[104:105], -v[6:7]
	scratch_store_dwordx4 off, v[2:5], off offset:48
	s_and_saveexec_b64 s[2:3], vcc
	s_cbranch_execz .LBB15_105
; %bb.104:
	scratch_load_dwordx4 v[2:5], off, s14
	v_mov_b32_e32 v10, 0
	v_mov_b32_e32 v11, v10
	v_mov_b32_e32 v12, v10
	v_mov_b32_e32 v13, v10
	scratch_store_dwordx4 off, v[10:13], off offset:32
	s_waitcnt vmcnt(1)
	ds_write_b128 v8, v[2:5]
.LBB15_105:
	s_or_b64 exec, exec, s[2:3]
	v_mov_b32_e32 v2, 0
	s_waitcnt lgkmcnt(0)
	; wave barrier
	ds_read_b128 v[4:7], v2 offset:304
	ds_read_b128 v[10:13], v2 offset:320
	;; [unrolled: 1-line block ×4, first 2 shown]
	scratch_load_dwordx4 v[22:25], off, off offset:48
	scratch_load_dwordx4 v[74:77], off, off offset:112
	;; [unrolled: 1-line block ×7, first 2 shown]
	v_cmp_lt_u32_e32 vcc, 1, v1
	scratch_load_dwordx4 v[82:85], off, off offset:128
	scratch_load_dwordx4 v[90:93], off, off offset:144
	;; [unrolled: 1-line block ×3, first 2 shown]
	s_waitcnt vmcnt(9) lgkmcnt(3)
	v_mul_f64 v[26:27], v[4:5], v[24:25]
	v_fmac_f64_e32 v[26:27], v[6:7], v[22:23]
	v_add_f64 v[30:31], v[26:27], 0
	scratch_load_dwordx4 v[26:29], off, off offset:64
	v_mul_f64 v[6:7], v[6:7], v[24:25]
	v_fma_f64 v[4:5], v[4:5], v[22:23], -v[6:7]
	v_add_f64 v[4:5], v[4:5], 0
	s_waitcnt vmcnt(0) lgkmcnt(2)
	v_mul_f64 v[32:33], v[10:11], v[28:29]
	v_fmac_f64_e32 v[32:33], v[12:13], v[26:27]
	v_add_f64 v[34:35], v[30:31], v[32:33]
	scratch_load_dwordx4 v[30:33], off, off offset:80
	v_mul_f64 v[6:7], v[12:13], v[28:29]
	v_fma_f64 v[6:7], v[10:11], v[26:27], -v[6:7]
	v_add_f64 v[4:5], v[4:5], v[6:7]
	;; [unrolled: 8-line block ×3, first 2 shown]
	s_waitcnt vmcnt(0) lgkmcnt(0)
	v_mul_f64 v[72:73], v[18:19], v[36:37]
	v_fmac_f64_e32 v[72:73], v[20:21], v[34:35]
	v_add_f64 v[78:79], v[70:71], v[72:73]
	ds_read_b128 v[70:73], v2 offset:368
	v_mul_f64 v[6:7], v[20:21], v[36:37]
	v_fma_f64 v[6:7], v[18:19], v[34:35], -v[6:7]
	v_add_f64 v[4:5], v[4:5], v[6:7]
	s_waitcnt lgkmcnt(0)
	v_mul_f64 v[80:81], v[70:71], v[76:77]
	v_fmac_f64_e32 v[80:81], v[72:73], v[74:75]
	v_add_f64 v[86:87], v[78:79], v[80:81]
	ds_read_b128 v[78:81], v2 offset:384
	v_mul_f64 v[6:7], v[72:73], v[76:77]
	v_fma_f64 v[6:7], v[70:71], v[74:75], -v[6:7]
	v_add_f64 v[4:5], v[4:5], v[6:7]
	s_waitcnt lgkmcnt(0)
	v_mul_f64 v[88:89], v[78:79], v[84:85]
	v_fmac_f64_e32 v[88:89], v[80:81], v[82:83]
	v_add_f64 v[94:95], v[86:87], v[88:89]
	ds_read_b128 v[86:89], v2 offset:400
	v_mul_f64 v[6:7], v[80:81], v[84:85]
	v_fma_f64 v[6:7], v[78:79], v[82:83], -v[6:7]
	v_add_f64 v[4:5], v[4:5], v[6:7]
	s_waitcnt lgkmcnt(0)
	v_mul_f64 v[96:97], v[86:87], v[92:93]
	v_fmac_f64_e32 v[96:97], v[88:89], v[90:91]
	v_add_f64 v[102:103], v[94:95], v[96:97]
	ds_read_b128 v[94:97], v2 offset:416
	v_mul_f64 v[6:7], v[88:89], v[92:93]
	v_fma_f64 v[6:7], v[86:87], v[90:91], -v[6:7]
	v_add_f64 v[4:5], v[4:5], v[6:7]
	s_waitcnt lgkmcnt(0)
	v_mul_f64 v[104:105], v[94:95], v[100:101]
	v_fmac_f64_e32 v[104:105], v[96:97], v[98:99]
	v_add_f64 v[110:111], v[102:103], v[104:105]
	ds_read_b128 v[102:105], v2 offset:432
	v_mul_f64 v[6:7], v[96:97], v[100:101]
	v_fma_f64 v[6:7], v[94:95], v[98:99], -v[6:7]
	v_add_f64 v[4:5], v[4:5], v[6:7]
	s_waitcnt lgkmcnt(0)
	v_mul_f64 v[112:113], v[102:103], v[108:109]
	v_fmac_f64_e32 v[112:113], v[104:105], v[106:107]
	v_add_f64 v[118:119], v[110:111], v[112:113]
	ds_read_b128 v[110:113], v2 offset:448
	v_mul_f64 v[6:7], v[104:105], v[108:109]
	v_fma_f64 v[6:7], v[102:103], v[106:107], -v[6:7]
	v_add_f64 v[4:5], v[4:5], v[6:7]
	s_waitcnt lgkmcnt(0)
	v_mul_f64 v[120:121], v[110:111], v[116:117]
	v_fmac_f64_e32 v[120:121], v[112:113], v[114:115]
	v_add_f64 v[126:127], v[118:119], v[120:121]
	ds_read_b128 v[118:121], v2 offset:464
	v_mul_f64 v[6:7], v[112:113], v[116:117]
	v_fma_f64 v[6:7], v[110:111], v[114:115], -v[6:7]
	v_add_f64 v[4:5], v[4:5], v[6:7]
	s_waitcnt lgkmcnt(0)
	v_mul_f64 v[128:129], v[118:119], v[124:125]
	v_fmac_f64_e32 v[128:129], v[120:121], v[122:123]
	v_add_f64 v[134:135], v[126:127], v[128:129]
	ds_read_b128 v[126:129], v2 offset:480
	v_mul_f64 v[6:7], v[120:121], v[124:125]
	v_fma_f64 v[6:7], v[118:119], v[122:123], -v[6:7]
	v_add_f64 v[4:5], v[4:5], v[6:7]
	s_waitcnt lgkmcnt(0)
	v_mul_f64 v[136:137], v[126:127], v[132:133]
	v_fmac_f64_e32 v[136:137], v[128:129], v[130:131]
	v_add_f64 v[142:143], v[134:135], v[136:137]
	ds_read_b128 v[134:137], v2 offset:496
	v_mul_f64 v[6:7], v[128:129], v[132:133]
	v_fma_f64 v[6:7], v[126:127], v[130:131], -v[6:7]
	v_add_f64 v[4:5], v[4:5], v[6:7]
	s_waitcnt lgkmcnt(0)
	v_mul_f64 v[6:7], v[136:137], v[140:141]
	v_fma_f64 v[6:7], v[134:135], v[138:139], -v[6:7]
	v_add_f64 v[10:11], v[4:5], v[6:7]
	scratch_load_dwordx4 v[4:7], off, off offset:32
	v_mul_f64 v[144:145], v[134:135], v[140:141]
	v_fmac_f64_e32 v[144:145], v[136:137], v[138:139]
	v_add_f64 v[142:143], v[142:143], v[144:145]
	s_waitcnt vmcnt(0)
	v_add_f64 v[4:5], v[4:5], -v[10:11]
	v_add_f64 v[6:7], v[6:7], -v[142:143]
	scratch_store_dwordx4 off, v[4:7], off offset:32
	s_and_saveexec_b64 s[2:3], vcc
	s_cbranch_execz .LBB15_107
; %bb.106:
	scratch_load_dwordx4 v[10:13], off, s18
	v_mov_b32_e32 v3, v2
	v_mov_b32_e32 v4, v2
	;; [unrolled: 1-line block ×3, first 2 shown]
	scratch_store_dwordx4 off, v[2:5], off offset:16
	s_waitcnt vmcnt(1)
	ds_write_b128 v8, v[10:13]
.LBB15_107:
	s_or_b64 exec, exec, s[2:3]
	s_waitcnt lgkmcnt(0)
	; wave barrier
	ds_read_b128 v[4:7], v2 offset:288
	ds_read_b128 v[10:13], v2 offset:304
	;; [unrolled: 1-line block ×4, first 2 shown]
	scratch_load_dwordx4 v[22:25], off, off offset:32
	scratch_load_dwordx4 v[74:77], off, off offset:96
	;; [unrolled: 1-line block ×8, first 2 shown]
	v_cmp_ne_u32_e32 vcc, 0, v1
	scratch_load_dwordx4 v[82:85], off, off offset:112
	scratch_load_dwordx4 v[90:93], off, off offset:128
	;; [unrolled: 1-line block ×3, first 2 shown]
	s_waitcnt vmcnt(10) lgkmcnt(3)
	v_mul_f64 v[26:27], v[4:5], v[24:25]
	v_fmac_f64_e32 v[26:27], v[6:7], v[22:23]
	v_add_f64 v[30:31], v[26:27], 0
	scratch_load_dwordx4 v[26:29], off, off offset:48
	s_waitcnt vmcnt(0) lgkmcnt(2)
	v_mul_f64 v[32:33], v[10:11], v[28:29]
	v_fmac_f64_e32 v[32:33], v[12:13], v[26:27]
	v_add_f64 v[34:35], v[30:31], v[32:33]
	scratch_load_dwordx4 v[30:33], off, off offset:64
	;; [unrolled: 5-line block ×3, first 2 shown]
	s_waitcnt vmcnt(0) lgkmcnt(0)
	v_mul_f64 v[72:73], v[18:19], v[36:37]
	v_fmac_f64_e32 v[72:73], v[20:21], v[34:35]
	v_add_f64 v[78:79], v[70:71], v[72:73]
	ds_read_b128 v[70:73], v2 offset:352
	s_waitcnt lgkmcnt(0)
	v_mul_f64 v[80:81], v[70:71], v[76:77]
	v_fmac_f64_e32 v[80:81], v[72:73], v[74:75]
	v_add_f64 v[86:87], v[78:79], v[80:81]
	ds_read_b128 v[78:81], v2 offset:368
	s_waitcnt lgkmcnt(0)
	;; [unrolled: 5-line block ×10, first 2 shown]
	v_mul_f64 v[2:3], v[142:143], v[148:149]
	v_fmac_f64_e32 v[2:3], v[144:145], v[146:147]
	v_add_f64 v[150:151], v[150:151], v[2:3]
	v_mul_f64 v[2:3], v[6:7], v[24:25]
	v_fma_f64 v[2:3], v[4:5], v[22:23], -v[2:3]
	v_mul_f64 v[4:5], v[12:13], v[28:29]
	v_add_f64 v[2:3], v[2:3], 0
	v_fma_f64 v[4:5], v[10:11], v[26:27], -v[4:5]
	v_add_f64 v[2:3], v[2:3], v[4:5]
	v_mul_f64 v[4:5], v[16:17], v[32:33]
	v_fma_f64 v[4:5], v[14:15], v[30:31], -v[4:5]
	v_add_f64 v[2:3], v[2:3], v[4:5]
	v_mul_f64 v[4:5], v[20:21], v[36:37]
	;; [unrolled: 3-line block ×12, first 2 shown]
	v_fma_f64 v[4:5], v[142:143], v[146:147], -v[4:5]
	v_add_f64 v[6:7], v[2:3], v[4:5]
	scratch_load_dwordx4 v[2:5], off, off offset:16
	s_waitcnt vmcnt(0)
	v_add_f64 v[2:3], v[2:3], -v[6:7]
	v_add_f64 v[4:5], v[4:5], -v[150:151]
	scratch_store_dwordx4 off, v[2:5], off offset:16
	s_and_saveexec_b64 s[2:3], vcc
	s_cbranch_execz .LBB15_109
; %bb.108:
	scratch_load_dwordx4 v[2:5], off, off
	v_mov_b32_e32 v10, 0
	v_mov_b32_e32 v11, v10
	;; [unrolled: 1-line block ×4, first 2 shown]
	scratch_store_dwordx4 off, v[10:13], off
	s_waitcnt vmcnt(1)
	ds_write_b128 v8, v[2:5]
.LBB15_109:
	s_or_b64 exec, exec, s[2:3]
	v_mov_b32_e32 v72, 0
	s_waitcnt lgkmcnt(0)
	; wave barrier
	ds_read_b128 v[14:17], v72 offset:272
	ds_read_b128 v[10:13], v72 offset:288
	ds_read_b128 v[6:9], v72 offset:304
	ds_read_b128 v[2:5], v72 offset:320
	scratch_load_dwordx4 v[18:21], off, off offset:16
	scratch_load_dwordx4 v[74:77], off, off offset:80
	;; [unrolled: 1-line block ×9, first 2 shown]
	s_and_b64 vcc, exec, s[22:23]
	scratch_load_dwordx4 v[82:85], off, off offset:96
	scratch_load_dwordx4 v[90:93], off, off offset:112
	;; [unrolled: 1-line block ×3, first 2 shown]
	s_waitcnt vmcnt(11) lgkmcnt(3)
	v_mul_f64 v[22:23], v[14:15], v[20:21]
	v_fmac_f64_e32 v[22:23], v[16:17], v[18:19]
	v_add_f64 v[26:27], v[22:23], 0
	scratch_load_dwordx4 v[22:25], off, off offset:32
	v_mul_f64 v[16:17], v[16:17], v[20:21]
	v_fma_f64 v[14:15], v[14:15], v[18:19], -v[16:17]
	v_add_f64 v[14:15], v[14:15], 0
	s_waitcnt vmcnt(0) lgkmcnt(2)
	v_mul_f64 v[28:29], v[10:11], v[24:25]
	v_fmac_f64_e32 v[28:29], v[12:13], v[22:23]
	v_add_f64 v[30:31], v[26:27], v[28:29]
	scratch_load_dwordx4 v[26:29], off, off offset:48
	v_mul_f64 v[12:13], v[12:13], v[24:25]
	v_fma_f64 v[10:11], v[10:11], v[22:23], -v[12:13]
	v_add_f64 v[10:11], v[14:15], v[10:11]
	;; [unrolled: 8-line block ×3, first 2 shown]
	s_waitcnt vmcnt(0) lgkmcnt(0)
	v_mul_f64 v[36:37], v[2:3], v[32:33]
	v_fmac_f64_e32 v[36:37], v[4:5], v[30:31]
	v_add_f64 v[70:71], v[34:35], v[36:37]
	ds_read_b128 v[34:37], v72 offset:336
	v_mul_f64 v[4:5], v[4:5], v[32:33]
	v_fma_f64 v[2:3], v[2:3], v[30:31], -v[4:5]
	v_add_f64 v[2:3], v[6:7], v[2:3]
	s_waitcnt lgkmcnt(0)
	v_mul_f64 v[78:79], v[34:35], v[76:77]
	v_fmac_f64_e32 v[78:79], v[36:37], v[74:75]
	v_add_f64 v[70:71], v[70:71], v[78:79]
	ds_read_b128 v[78:81], v72 offset:352
	v_mul_f64 v[4:5], v[36:37], v[76:77]
	v_fma_f64 v[4:5], v[34:35], v[74:75], -v[4:5]
	v_add_f64 v[2:3], v[2:3], v[4:5]
	s_waitcnt lgkmcnt(0)
	;; [unrolled: 8-line block ×11, first 2 shown]
	v_mul_f64 v[4:5], v[152:153], v[156:157]
	v_fma_f64 v[4:5], v[150:151], v[154:155], -v[4:5]
	v_add_f64 v[2:3], v[2:3], v[4:5]
	scratch_load_dwordx4 v[4:7], off, off
	v_mul_f64 v[158:159], v[150:151], v[156:157]
	v_fmac_f64_e32 v[158:159], v[152:153], v[154:155]
	v_add_f64 v[70:71], v[70:71], v[158:159]
	s_waitcnt vmcnt(0)
	v_add_f64 v[2:3], v[4:5], -v[2:3]
	v_add_f64 v[4:5], v[6:7], -v[70:71]
	scratch_store_dwordx4 off, v[2:5], off
	s_cbranch_vccz .LBB15_140
; %bb.110:
	global_load_dword v2, v72, s[20:21] offset:56
	s_load_dwordx2 s[2:3], s[0:1], 0x4
	v_bfe_u32 v3, v0, 10, 10
	v_bfe_u32 v0, v0, 20, 10
	s_waitcnt lgkmcnt(0)
	s_lshr_b32 s0, s2, 16
	s_mul_i32 s0, s0, s3
	v_mul_u32_u24_e32 v1, s0, v1
	v_mul_u32_u24_e32 v3, s3, v3
	v_add3_u32 v0, v1, v3, v0
	v_mov_b32_e32 v1, 0x208
	v_lshl_add_u32 v0, v0, 4, v1
	s_waitcnt vmcnt(0)
	v_readfirstlane_b32 s0, v2
	s_add_i32 s0, s0, -1
	s_cmp_lg_u32 s0, 14
	s_cbranch_scc0 .LBB15_112
; %bb.111:
	s_lshl_b32 s0, s0, 4
	scratch_load_dwordx4 v[2:5], off, s33
	scratch_load_dwordx4 v[6:9], off, s0
	s_waitcnt vmcnt(1)
	ds_write2_b64 v0, v[2:3], v[4:5] offset1:1
	s_waitcnt vmcnt(0)
	scratch_store_dwordx4 off, v[6:9], s33
	scratch_store_dwordx4 off, v[2:5], s0
.LBB15_112:
	v_mov_b32_e32 v1, 0
	global_load_dword v2, v1, s[20:21] offset:52
	s_waitcnt vmcnt(0)
	v_readfirstlane_b32 s0, v2
	s_add_i32 s0, s0, -1
	s_cmp_eq_u32 s0, 13
	s_cbranch_scc1 .LBB15_114
; %bb.113:
	s_lshl_b32 s0, s0, 4
	scratch_load_dwordx4 v[2:5], off, s31
	scratch_load_dwordx4 v[6:9], off, s0
	s_waitcnt vmcnt(1)
	ds_write2_b64 v0, v[2:3], v[4:5] offset1:1
	s_waitcnt vmcnt(0)
	scratch_store_dwordx4 off, v[6:9], s31
	scratch_store_dwordx4 off, v[2:5], s0
.LBB15_114:
	global_load_dword v1, v1, s[20:21] offset:48
	s_waitcnt vmcnt(0)
	v_readfirstlane_b32 s0, v1
	s_add_i32 s0, s0, -1
	s_cmp_eq_u32 s0, 12
	s_cbranch_scc1 .LBB15_116
; %bb.115:
	s_lshl_b32 s0, s0, 4
	scratch_load_dwordx4 v[2:5], off, s29
	scratch_load_dwordx4 v[6:9], off, s0
	s_waitcnt vmcnt(1)
	ds_write2_b64 v0, v[2:3], v[4:5] offset1:1
	s_waitcnt vmcnt(0)
	scratch_store_dwordx4 off, v[6:9], s29
	scratch_store_dwordx4 off, v[2:5], s0
.LBB15_116:
	v_mov_b32_e32 v1, 0
	global_load_dword v2, v1, s[20:21] offset:44
	s_waitcnt vmcnt(0)
	v_readfirstlane_b32 s0, v2
	s_add_i32 s0, s0, -1
	s_cmp_eq_u32 s0, 11
	s_cbranch_scc1 .LBB15_118
; %bb.117:
	s_lshl_b32 s0, s0, 4
	scratch_load_dwordx4 v[2:5], off, s28
	scratch_load_dwordx4 v[6:9], off, s0
	s_waitcnt vmcnt(1)
	ds_write2_b64 v0, v[2:3], v[4:5] offset1:1
	s_waitcnt vmcnt(0)
	scratch_store_dwordx4 off, v[6:9], s28
	scratch_store_dwordx4 off, v[2:5], s0
.LBB15_118:
	global_load_dword v1, v1, s[20:21] offset:40
	s_waitcnt vmcnt(0)
	v_readfirstlane_b32 s0, v1
	s_add_i32 s0, s0, -1
	s_cmp_eq_u32 s0, 10
	s_cbranch_scc1 .LBB15_120
; %bb.119:
	s_lshl_b32 s0, s0, 4
	scratch_load_dwordx4 v[2:5], off, s27
	scratch_load_dwordx4 v[6:9], off, s0
	s_waitcnt vmcnt(1)
	ds_write2_b64 v0, v[2:3], v[4:5] offset1:1
	s_waitcnt vmcnt(0)
	scratch_store_dwordx4 off, v[6:9], s27
	scratch_store_dwordx4 off, v[2:5], s0
.LBB15_120:
	;; [unrolled: 33-line block ×6, first 2 shown]
	v_mov_b32_e32 v1, 0
	global_load_dword v2, v1, s[20:21] offset:4
	s_waitcnt vmcnt(0)
	v_readfirstlane_b32 s0, v2
	s_add_i32 s0, s0, -1
	s_cmp_eq_u32 s0, 1
	s_cbranch_scc1 .LBB15_138
; %bb.137:
	s_lshl_b32 s0, s0, 4
	scratch_load_dwordx4 v[2:5], off, s18
	scratch_load_dwordx4 v[6:9], off, s0
	s_waitcnt vmcnt(1)
	ds_write2_b64 v0, v[2:3], v[4:5] offset1:1
	s_waitcnt vmcnt(0)
	scratch_store_dwordx4 off, v[6:9], s18
	scratch_store_dwordx4 off, v[2:5], s0
.LBB15_138:
	global_load_dword v1, v1, s[20:21]
	s_waitcnt vmcnt(0)
	v_readfirstlane_b32 s0, v1
	s_add_i32 s0, s0, -1
	s_cmp_eq_u32 s0, 0
	s_cbranch_scc1 .LBB15_140
; %bb.139:
	s_lshl_b32 s0, s0, 4
	scratch_load_dwordx4 v[2:5], off, off
	scratch_load_dwordx4 v[6:9], off, s0
	s_waitcnt vmcnt(1)
	ds_write2_b64 v0, v[2:3], v[4:5] offset1:1
	s_waitcnt vmcnt(0)
	scratch_store_dwordx4 off, v[6:9], off
	scratch_store_dwordx4 off, v[2:5], s0
.LBB15_140:
	scratch_load_dwordx4 v[0:3], off, off
	s_nop 0
	scratch_load_dwordx4 v[4:7], off, s18
	scratch_load_dwordx4 v[8:11], off, s14
	;; [unrolled: 1-line block ×15, first 2 shown]
	s_waitcnt vmcnt(15)
	global_store_dwordx4 v[38:39], v[0:3], off
	s_waitcnt vmcnt(15)
	global_store_dwordx4 v[40:41], v[4:7], off
	;; [unrolled: 2-line block ×16, first 2 shown]
	s_endpgm
	.section	.rodata,"a",@progbits
	.p2align	6, 0x0
	.amdhsa_kernel _ZN9rocsolver6v33100L18getri_kernel_smallILi16E19rocblas_complex_numIdEPS3_EEvT1_iilPiilS6_bb
		.amdhsa_group_segment_fixed_size 1544
		.amdhsa_private_segment_fixed_size 272
		.amdhsa_kernarg_size 60
		.amdhsa_user_sgpr_count 4
		.amdhsa_user_sgpr_dispatch_ptr 1
		.amdhsa_user_sgpr_queue_ptr 0
		.amdhsa_user_sgpr_kernarg_segment_ptr 1
		.amdhsa_user_sgpr_dispatch_id 0
		.amdhsa_user_sgpr_kernarg_preload_length 0
		.amdhsa_user_sgpr_kernarg_preload_offset 0
		.amdhsa_user_sgpr_private_segment_size 0
		.amdhsa_uses_dynamic_stack 0
		.amdhsa_enable_private_segment 1
		.amdhsa_system_sgpr_workgroup_id_x 1
		.amdhsa_system_sgpr_workgroup_id_y 0
		.amdhsa_system_sgpr_workgroup_id_z 0
		.amdhsa_system_sgpr_workgroup_info 0
		.amdhsa_system_vgpr_workitem_id 2
		.amdhsa_next_free_vgpr 160
		.amdhsa_next_free_sgpr 34
		.amdhsa_accum_offset 160
		.amdhsa_reserve_vcc 1
		.amdhsa_float_round_mode_32 0
		.amdhsa_float_round_mode_16_64 0
		.amdhsa_float_denorm_mode_32 3
		.amdhsa_float_denorm_mode_16_64 3
		.amdhsa_dx10_clamp 1
		.amdhsa_ieee_mode 1
		.amdhsa_fp16_overflow 0
		.amdhsa_tg_split 0
		.amdhsa_exception_fp_ieee_invalid_op 0
		.amdhsa_exception_fp_denorm_src 0
		.amdhsa_exception_fp_ieee_div_zero 0
		.amdhsa_exception_fp_ieee_overflow 0
		.amdhsa_exception_fp_ieee_underflow 0
		.amdhsa_exception_fp_ieee_inexact 0
		.amdhsa_exception_int_div_zero 0
	.end_amdhsa_kernel
	.section	.text._ZN9rocsolver6v33100L18getri_kernel_smallILi16E19rocblas_complex_numIdEPS3_EEvT1_iilPiilS6_bb,"axG",@progbits,_ZN9rocsolver6v33100L18getri_kernel_smallILi16E19rocblas_complex_numIdEPS3_EEvT1_iilPiilS6_bb,comdat
.Lfunc_end15:
	.size	_ZN9rocsolver6v33100L18getri_kernel_smallILi16E19rocblas_complex_numIdEPS3_EEvT1_iilPiilS6_bb, .Lfunc_end15-_ZN9rocsolver6v33100L18getri_kernel_smallILi16E19rocblas_complex_numIdEPS3_EEvT1_iilPiilS6_bb
                                        ; -- End function
	.set _ZN9rocsolver6v33100L18getri_kernel_smallILi16E19rocblas_complex_numIdEPS3_EEvT1_iilPiilS6_bb.num_vgpr, 160
	.set _ZN9rocsolver6v33100L18getri_kernel_smallILi16E19rocblas_complex_numIdEPS3_EEvT1_iilPiilS6_bb.num_agpr, 0
	.set _ZN9rocsolver6v33100L18getri_kernel_smallILi16E19rocblas_complex_numIdEPS3_EEvT1_iilPiilS6_bb.numbered_sgpr, 34
	.set _ZN9rocsolver6v33100L18getri_kernel_smallILi16E19rocblas_complex_numIdEPS3_EEvT1_iilPiilS6_bb.num_named_barrier, 0
	.set _ZN9rocsolver6v33100L18getri_kernel_smallILi16E19rocblas_complex_numIdEPS3_EEvT1_iilPiilS6_bb.private_seg_size, 272
	.set _ZN9rocsolver6v33100L18getri_kernel_smallILi16E19rocblas_complex_numIdEPS3_EEvT1_iilPiilS6_bb.uses_vcc, 1
	.set _ZN9rocsolver6v33100L18getri_kernel_smallILi16E19rocblas_complex_numIdEPS3_EEvT1_iilPiilS6_bb.uses_flat_scratch, 0
	.set _ZN9rocsolver6v33100L18getri_kernel_smallILi16E19rocblas_complex_numIdEPS3_EEvT1_iilPiilS6_bb.has_dyn_sized_stack, 0
	.set _ZN9rocsolver6v33100L18getri_kernel_smallILi16E19rocblas_complex_numIdEPS3_EEvT1_iilPiilS6_bb.has_recursion, 0
	.set _ZN9rocsolver6v33100L18getri_kernel_smallILi16E19rocblas_complex_numIdEPS3_EEvT1_iilPiilS6_bb.has_indirect_call, 0
	.section	.AMDGPU.csdata,"",@progbits
; Kernel info:
; codeLenInByte = 15632
; TotalNumSgprs: 40
; NumVgprs: 160
; NumAgprs: 0
; TotalNumVgprs: 160
; ScratchSize: 272
; MemoryBound: 0
; FloatMode: 240
; IeeeMode: 1
; LDSByteSize: 1544 bytes/workgroup (compile time only)
; SGPRBlocks: 4
; VGPRBlocks: 19
; NumSGPRsForWavesPerEU: 40
; NumVGPRsForWavesPerEU: 160
; AccumOffset: 160
; Occupancy: 3
; WaveLimiterHint : 1
; COMPUTE_PGM_RSRC2:SCRATCH_EN: 1
; COMPUTE_PGM_RSRC2:USER_SGPR: 4
; COMPUTE_PGM_RSRC2:TRAP_HANDLER: 0
; COMPUTE_PGM_RSRC2:TGID_X_EN: 1
; COMPUTE_PGM_RSRC2:TGID_Y_EN: 0
; COMPUTE_PGM_RSRC2:TGID_Z_EN: 0
; COMPUTE_PGM_RSRC2:TIDIG_COMP_CNT: 2
; COMPUTE_PGM_RSRC3_GFX90A:ACCUM_OFFSET: 39
; COMPUTE_PGM_RSRC3_GFX90A:TG_SPLIT: 0
	.section	.text._ZN9rocsolver6v33100L18getri_kernel_smallILi17E19rocblas_complex_numIdEPS3_EEvT1_iilPiilS6_bb,"axG",@progbits,_ZN9rocsolver6v33100L18getri_kernel_smallILi17E19rocblas_complex_numIdEPS3_EEvT1_iilPiilS6_bb,comdat
	.globl	_ZN9rocsolver6v33100L18getri_kernel_smallILi17E19rocblas_complex_numIdEPS3_EEvT1_iilPiilS6_bb ; -- Begin function _ZN9rocsolver6v33100L18getri_kernel_smallILi17E19rocblas_complex_numIdEPS3_EEvT1_iilPiilS6_bb
	.p2align	8
	.type	_ZN9rocsolver6v33100L18getri_kernel_smallILi17E19rocblas_complex_numIdEPS3_EEvT1_iilPiilS6_bb,@function
_ZN9rocsolver6v33100L18getri_kernel_smallILi17E19rocblas_complex_numIdEPS3_EEvT1_iilPiilS6_bb: ; @_ZN9rocsolver6v33100L18getri_kernel_smallILi17E19rocblas_complex_numIdEPS3_EEvT1_iilPiilS6_bb
; %bb.0:
	v_and_b32_e32 v1, 0x3ff, v0
	v_cmp_gt_u32_e32 vcc, 17, v1
	s_and_saveexec_b64 s[6:7], vcc
	s_cbranch_execz .LBB16_82
; %bb.1:
	s_load_dword s6, s[2:3], 0x38
	s_load_dwordx4 s[16:19], s[2:3], 0x10
	s_load_dwordx4 s[8:11], s[2:3], 0x28
                                        ; implicit-def: $sgpr20_sgpr21
	s_waitcnt lgkmcnt(0)
	s_bitcmp1_b32 s6, 8
	s_cselect_b64 s[22:23], -1, 0
	s_ashr_i32 s5, s4, 31
	s_bfe_u32 s6, s6, 0x10008
	s_cmp_eq_u32 s6, 0
	s_cbranch_scc1 .LBB16_3
; %bb.2:
	s_load_dword s6, s[2:3], 0x20
	s_mul_i32 s7, s8, s5
	s_mul_hi_u32 s12, s8, s4
	s_mul_i32 s9, s9, s4
	s_add_i32 s12, s12, s7
	s_add_i32 s9, s12, s9
	s_mul_i32 s8, s8, s4
	s_waitcnt lgkmcnt(0)
	s_ashr_i32 s7, s6, 31
	s_lshl_b64 s[8:9], s[8:9], 2
	s_add_u32 s8, s18, s8
	s_addc_u32 s9, s19, s9
	s_lshl_b64 s[6:7], s[6:7], 2
	s_add_u32 s20, s8, s6
	s_addc_u32 s21, s9, s7
.LBB16_3:
	s_load_dwordx4 s[12:15], s[2:3], 0x0
	s_load_dword s6, s[2:3], 0x38
	s_mul_i32 s7, s16, s5
	s_mul_hi_u32 s8, s16, s4
	s_add_i32 s7, s8, s7
	s_mul_i32 s8, s17, s4
	s_add_i32 s9, s7, s8
	s_mul_i32 s8, s16, s4
	s_waitcnt lgkmcnt(0)
	s_ashr_i32 s3, s14, 31
	s_lshl_b64 s[8:9], s[8:9], 4
	s_mov_b32 s2, s14
	s_add_u32 s7, s12, s8
	s_addc_u32 s8, s13, s9
	s_lshl_b64 s[2:3], s[2:3], 4
	s_add_u32 s2, s7, s2
	s_addc_u32 s3, s8, s3
	s_add_i32 s7, s15, s15
	v_add_u32_e32 v16, s7, v1
	v_ashrrev_i32_e32 v17, 31, v16
	v_lshl_add_u64 v[52:53], v[16:17], 4, s[2:3]
	v_add_u32_e32 v16, s15, v16
	v_add_u32_e32 v24, s15, v16
	v_ashrrev_i32_e32 v25, 31, v24
	v_lshl_add_u64 v[56:57], v[24:25], 4, s[2:3]
	v_add_u32_e32 v24, s15, v24
	v_add_u32_e32 v26, s15, v24
	;; [unrolled: 1-line block ×7, first 2 shown]
	v_ashrrev_i32_e32 v73, 31, v72
	v_lshl_add_u64 v[70:71], v[72:73], 4, s[2:3]
	v_add_u32_e32 v72, s15, v72
	v_add_u32_e32 v74, s15, v72
	v_add_u32_e32 v76, s15, v74
	v_add_u32_e32 v78, s15, v76
	v_lshlrev_b32_e32 v14, 4, v1
	v_mov_b32_e32 v15, 0
	v_add_u32_e32 v80, s15, v78
	v_lshl_add_u64 v[48:49], s[2:3], 0, v[14:15]
	s_ashr_i32 s9, s15, 31
	s_mov_b32 s8, s15
	v_ashrrev_i32_e32 v17, 31, v16
	v_ashrrev_i32_e32 v25, 31, v24
	;; [unrolled: 1-line block ×9, first 2 shown]
	v_lshl_add_u64 v[50:51], s[8:9], 4, v[48:49]
	v_lshl_add_u64 v[54:55], v[16:17], 4, s[2:3]
	;; [unrolled: 1-line block ×3, first 2 shown]
	v_ashrrev_i32_e32 v27, 31, v26
	v_lshl_add_u64 v[62:63], v[32:33], 4, s[2:3]
	v_ashrrev_i32_e32 v35, 31, v34
	v_lshl_add_u64 v[66:67], v[40:41], 4, s[2:3]
	;; [unrolled: 2-line block ×3, first 2 shown]
	v_lshl_add_u64 v[74:75], v[74:75], 4, s[2:3]
	v_lshl_add_u64 v[76:77], v[76:77], 4, s[2:3]
	;; [unrolled: 1-line block ×4, first 2 shown]
	global_load_dwordx4 v[2:5], v14, s[2:3]
	global_load_dwordx4 v[6:9], v[50:51], off
	global_load_dwordx4 v[10:13], v[52:53], off
	;; [unrolled: 1-line block ×4, first 2 shown]
	v_lshl_add_u64 v[60:61], v[26:27], 4, s[2:3]
	global_load_dwordx4 v[24:27], v[58:59], off
	global_load_dwordx4 v[28:31], v[60:61], off
	v_lshl_add_u64 v[64:65], v[34:35], 4, s[2:3]
	global_load_dwordx4 v[32:35], v[62:63], off
	global_load_dwordx4 v[36:39], v[64:65], off
	;; [unrolled: 3-line block ×3, first 2 shown]
	global_load_dwordx4 v[82:85], v[70:71], off
	global_load_dwordx4 v[86:89], v[72:73], off
	;; [unrolled: 1-line block ×6, first 2 shown]
	s_movk_i32 s17, 0x50
	s_mov_b32 s18, 16
	s_mov_b32 s14, 32
	;; [unrolled: 1-line block ×4, first 2 shown]
	s_movk_i32 s25, 0x60
	s_movk_i32 s27, 0x70
	;; [unrolled: 1-line block ×11, first 2 shown]
	s_bitcmp0_b32 s6, 0
	s_mov_b64 s[6:7], -1
	s_waitcnt vmcnt(16)
	scratch_store_dwordx4 off, v[2:5], off
	s_waitcnt vmcnt(16)
	scratch_store_dwordx4 off, v[6:9], off offset:16
	s_waitcnt vmcnt(16)
	scratch_store_dwordx4 off, v[10:13], off offset:32
	;; [unrolled: 2-line block ×16, first 2 shown]
	s_cbranch_scc1 .LBB16_80
; %bb.4:
	v_cmp_eq_u32_e64 s[2:3], 0, v1
	s_and_saveexec_b64 s[6:7], s[2:3]
; %bb.5:
	v_mov_b32_e32 v2, 0
	ds_write_b32 v2, v2 offset:544
; %bb.6:
	s_or_b64 exec, exec, s[6:7]
	s_waitcnt lgkmcnt(0)
	; wave barrier
	scratch_load_dwordx4 v[2:5], v14, off
	s_waitcnt vmcnt(0)
	v_cmp_eq_f64_e32 vcc, 0, v[2:3]
	v_cmp_eq_f64_e64 s[6:7], 0, v[4:5]
	s_and_b64 s[6:7], vcc, s[6:7]
	s_and_saveexec_b64 s[8:9], s[6:7]
	s_cbranch_execz .LBB16_10
; %bb.7:
	v_mov_b32_e32 v2, 0
	ds_read_b32 v4, v2 offset:544
	v_add_u32_e32 v3, 1, v1
	s_waitcnt lgkmcnt(0)
	v_readfirstlane_b32 s6, v4
	s_cmp_eq_u32 s6, 0
	s_cselect_b64 s[12:13], -1, 0
	v_cmp_gt_i32_e32 vcc, s6, v3
	s_or_b64 s[12:13], s[12:13], vcc
	s_and_b64 exec, exec, s[12:13]
	s_cbranch_execz .LBB16_10
; %bb.8:
	s_mov_b64 s[12:13], 0
	v_mov_b32_e32 v4, s6
.LBB16_9:                               ; =>This Inner Loop Header: Depth=1
	ds_cmpst_rtn_b32 v4, v2, v4, v3 offset:544
	s_waitcnt lgkmcnt(0)
	v_cmp_ne_u32_e32 vcc, 0, v4
	v_cmp_le_i32_e64 s[6:7], v4, v3
	s_and_b64 s[6:7], vcc, s[6:7]
	s_and_b64 s[6:7], exec, s[6:7]
	s_or_b64 s[12:13], s[6:7], s[12:13]
	s_andn2_b64 exec, exec, s[12:13]
	s_cbranch_execnz .LBB16_9
.LBB16_10:
	s_or_b64 exec, exec, s[8:9]
	v_mov_b32_e32 v3, 0
	; wave barrier
	ds_read_b32 v2, v3 offset:544
	s_and_saveexec_b64 s[6:7], s[2:3]
	s_cbranch_execz .LBB16_12
; %bb.11:
	s_lshl_b64 s[8:9], s[4:5], 2
	s_add_u32 s8, s10, s8
	s_addc_u32 s9, s11, s9
	s_waitcnt lgkmcnt(0)
	global_store_dword v3, v2, s[8:9]
.LBB16_12:
	s_or_b64 exec, exec, s[6:7]
	s_waitcnt lgkmcnt(0)
	v_cmp_ne_u32_e32 vcc, 0, v2
	s_mov_b64 s[6:7], 0
	s_cbranch_vccnz .LBB16_80
; %bb.13:
	v_mov_b32_e32 v15, v14
	scratch_load_dwordx4 v[2:5], v15, off
                                        ; implicit-def: $vgpr6_vgpr7
                                        ; implicit-def: $vgpr10_vgpr11
	s_waitcnt vmcnt(0)
	v_cmp_ngt_f64_e64 s[6:7], |v[2:3]|, |v[4:5]|
	s_and_saveexec_b64 s[8:9], s[6:7]
	s_xor_b64 s[6:7], exec, s[8:9]
	s_cbranch_execz .LBB16_15
; %bb.14:
	v_div_scale_f64 v[6:7], s[8:9], v[4:5], v[4:5], v[2:3]
	v_rcp_f64_e32 v[8:9], v[6:7]
	v_div_scale_f64 v[10:11], vcc, v[2:3], v[4:5], v[2:3]
	v_fma_f64 v[12:13], -v[6:7], v[8:9], 1.0
	v_fmac_f64_e32 v[8:9], v[8:9], v[12:13]
	v_fma_f64 v[12:13], -v[6:7], v[8:9], 1.0
	v_fmac_f64_e32 v[8:9], v[8:9], v[12:13]
	v_mul_f64 v[12:13], v[10:11], v[8:9]
	v_fma_f64 v[6:7], -v[6:7], v[12:13], v[10:11]
	v_div_fmas_f64 v[6:7], v[6:7], v[8:9], v[12:13]
	v_div_fixup_f64 v[6:7], v[6:7], v[4:5], v[2:3]
	v_fmac_f64_e32 v[4:5], v[2:3], v[6:7]
	v_div_scale_f64 v[2:3], s[8:9], v[4:5], v[4:5], 1.0
	v_rcp_f64_e32 v[8:9], v[2:3]
	s_nop 0
	v_fma_f64 v[10:11], -v[2:3], v[8:9], 1.0
	v_fmac_f64_e32 v[8:9], v[8:9], v[10:11]
	v_fma_f64 v[10:11], -v[2:3], v[8:9], 1.0
	v_fmac_f64_e32 v[8:9], v[8:9], v[10:11]
	v_div_scale_f64 v[10:11], vcc, 1.0, v[4:5], 1.0
	v_mul_f64 v[12:13], v[10:11], v[8:9]
	v_fma_f64 v[2:3], -v[2:3], v[12:13], v[10:11]
	s_nop 1
	v_div_fmas_f64 v[2:3], v[2:3], v[8:9], v[12:13]
	v_div_fixup_f64 v[8:9], v[2:3], v[4:5], 1.0
	v_mul_f64 v[6:7], v[6:7], v[8:9]
	v_xor_b32_e32 v9, 0x80000000, v9
	v_xor_b32_e32 v11, 0x80000000, v7
	v_mov_b32_e32 v10, v6
                                        ; implicit-def: $vgpr2_vgpr3
.LBB16_15:
	s_andn2_saveexec_b64 s[6:7], s[6:7]
	s_cbranch_execz .LBB16_17
; %bb.16:
	v_div_scale_f64 v[6:7], s[8:9], v[2:3], v[2:3], v[4:5]
	v_rcp_f64_e32 v[8:9], v[6:7]
	v_div_scale_f64 v[10:11], vcc, v[4:5], v[2:3], v[4:5]
	v_fma_f64 v[12:13], -v[6:7], v[8:9], 1.0
	v_fmac_f64_e32 v[8:9], v[8:9], v[12:13]
	v_fma_f64 v[12:13], -v[6:7], v[8:9], 1.0
	v_fmac_f64_e32 v[8:9], v[8:9], v[12:13]
	v_mul_f64 v[12:13], v[10:11], v[8:9]
	v_fma_f64 v[6:7], -v[6:7], v[12:13], v[10:11]
	v_div_fmas_f64 v[6:7], v[6:7], v[8:9], v[12:13]
	v_div_fixup_f64 v[8:9], v[6:7], v[2:3], v[4:5]
	v_fmac_f64_e32 v[2:3], v[4:5], v[8:9]
	v_div_scale_f64 v[4:5], s[8:9], v[2:3], v[2:3], 1.0
	v_rcp_f64_e32 v[6:7], v[4:5]
	s_nop 0
	v_fma_f64 v[10:11], -v[4:5], v[6:7], 1.0
	v_fmac_f64_e32 v[6:7], v[6:7], v[10:11]
	v_fma_f64 v[10:11], -v[4:5], v[6:7], 1.0
	v_fmac_f64_e32 v[6:7], v[6:7], v[10:11]
	v_div_scale_f64 v[10:11], vcc, 1.0, v[2:3], 1.0
	v_mul_f64 v[12:13], v[10:11], v[6:7]
	v_fma_f64 v[4:5], -v[4:5], v[12:13], v[10:11]
	s_nop 1
	v_div_fmas_f64 v[4:5], v[4:5], v[6:7], v[12:13]
	v_div_fixup_f64 v[6:7], v[4:5], v[2:3], 1.0
	v_xor_b32_e32 v11, 0x80000000, v7
	v_mov_b32_e32 v10, v6
	v_mul_f64 v[8:9], v[8:9], -v[6:7]
.LBB16_17:
	s_or_b64 exec, exec, s[6:7]
	scratch_store_dwordx4 v15, v[6:9], off
	scratch_load_dwordx4 v[2:5], off, s18
	v_xor_b32_e32 v13, 0x80000000, v9
	v_mov_b32_e32 v12, v8
	v_add_u32_e32 v6, 0x110, v14
	ds_write_b128 v14, v[10:13]
	s_waitcnt vmcnt(0)
	ds_write_b128 v14, v[2:5] offset:272
	s_waitcnt lgkmcnt(0)
	; wave barrier
	s_and_saveexec_b64 s[6:7], s[2:3]
	s_cbranch_execz .LBB16_19
; %bb.18:
	scratch_load_dwordx4 v[2:5], v15, off
	ds_read_b128 v[8:11], v6
	v_mov_b32_e32 v7, 0
	ds_read_b128 v[16:19], v7 offset:16
	s_waitcnt vmcnt(0) lgkmcnt(1)
	v_mul_f64 v[12:13], v[10:11], v[4:5]
	v_mul_f64 v[4:5], v[8:9], v[4:5]
	v_fma_f64 v[8:9], v[8:9], v[2:3], -v[12:13]
	v_fmac_f64_e32 v[4:5], v[10:11], v[2:3]
	v_add_f64 v[2:3], v[8:9], 0
	v_add_f64 v[8:9], v[4:5], 0
	s_waitcnt lgkmcnt(0)
	v_mul_f64 v[10:11], v[8:9], v[18:19]
	v_mul_f64 v[4:5], v[2:3], v[18:19]
	v_fma_f64 v[2:3], v[2:3], v[16:17], -v[10:11]
	v_fmac_f64_e32 v[4:5], v[8:9], v[16:17]
	scratch_store_dwordx4 off, v[2:5], off offset:16
.LBB16_19:
	s_or_b64 exec, exec, s[6:7]
	; wave barrier
	scratch_load_dwordx4 v[2:5], off, s14
	v_cmp_gt_u32_e32 vcc, 2, v1
	s_waitcnt vmcnt(0)
	ds_write_b128 v6, v[2:5]
	s_waitcnt lgkmcnt(0)
	; wave barrier
	s_and_saveexec_b64 s[6:7], vcc
	s_cbranch_execz .LBB16_23
; %bb.20:
	scratch_load_dwordx4 v[2:5], v15, off
	ds_read_b128 v[8:11], v6
	s_waitcnt vmcnt(0) lgkmcnt(0)
	v_mul_f64 v[12:13], v[10:11], v[4:5]
	v_mul_f64 v[16:17], v[8:9], v[4:5]
	v_fma_f64 v[4:5], v[8:9], v[2:3], -v[12:13]
	v_fmac_f64_e32 v[16:17], v[10:11], v[2:3]
	v_add_f64 v[4:5], v[4:5], 0
	v_add_f64 v[2:3], v[16:17], 0
	s_and_saveexec_b64 s[8:9], s[2:3]
	s_cbranch_execz .LBB16_22
; %bb.21:
	scratch_load_dwordx4 v[8:11], off, off offset:16
	v_mov_b32_e32 v7, 0
	ds_read_b128 v[16:19], v7 offset:288
	s_waitcnt vmcnt(0) lgkmcnt(0)
	v_mul_f64 v[12:13], v[16:17], v[10:11]
	v_mul_f64 v[10:11], v[18:19], v[10:11]
	v_fmac_f64_e32 v[12:13], v[18:19], v[8:9]
	v_fma_f64 v[8:9], v[16:17], v[8:9], -v[10:11]
	v_add_f64 v[2:3], v[2:3], v[12:13]
	v_add_f64 v[4:5], v[4:5], v[8:9]
.LBB16_22:
	s_or_b64 exec, exec, s[8:9]
	v_mov_b32_e32 v7, 0
	ds_read_b128 v[8:11], v7 offset:32
	s_waitcnt lgkmcnt(0)
	v_mul_f64 v[16:17], v[2:3], v[10:11]
	v_mul_f64 v[12:13], v[4:5], v[10:11]
	v_fma_f64 v[10:11], v[4:5], v[8:9], -v[16:17]
	v_fmac_f64_e32 v[12:13], v[2:3], v[8:9]
	scratch_store_dwordx4 off, v[10:13], off offset:32
.LBB16_23:
	s_or_b64 exec, exec, s[6:7]
	; wave barrier
	scratch_load_dwordx4 v[2:5], off, s15
	v_cmp_gt_u32_e32 vcc, 3, v1
	v_add_u32_e32 v7, -1, v1
	s_waitcnt vmcnt(0)
	ds_write_b128 v6, v[2:5]
	s_waitcnt lgkmcnt(0)
	; wave barrier
	s_and_saveexec_b64 s[2:3], vcc
	s_cbranch_execz .LBB16_27
; %bb.24:
	v_add_u32_e32 v8, -1, v1
	v_add_u32_e32 v9, 0x110, v14
	v_mov_b32_e32 v10, v14
	v_mov_b64_e32 v[2:3], 0
	s_mov_b64 s[6:7], 0
	v_mov_b64_e32 v[4:5], 0
.LBB16_25:                              ; =>This Inner Loop Header: Depth=1
	scratch_load_dwordx4 v[16:19], v10, off
	ds_read_b128 v[20:23], v9
	v_add_u32_e32 v8, 1, v8
	v_cmp_lt_u32_e32 vcc, 1, v8
	v_add_u32_e32 v9, 16, v9
	v_add_u32_e32 v10, 16, v10
	s_or_b64 s[6:7], vcc, s[6:7]
	s_waitcnt vmcnt(0) lgkmcnt(0)
	v_mul_f64 v[12:13], v[22:23], v[18:19]
	v_mul_f64 v[18:19], v[20:21], v[18:19]
	v_fma_f64 v[12:13], v[20:21], v[16:17], -v[12:13]
	v_fmac_f64_e32 v[18:19], v[22:23], v[16:17]
	v_add_f64 v[4:5], v[4:5], v[12:13]
	v_add_f64 v[2:3], v[2:3], v[18:19]
	s_andn2_b64 exec, exec, s[6:7]
	s_cbranch_execnz .LBB16_25
; %bb.26:
	s_or_b64 exec, exec, s[6:7]
	v_mov_b32_e32 v8, 0
	ds_read_b128 v[8:11], v8 offset:48
	s_waitcnt lgkmcnt(0)
	v_mul_f64 v[16:17], v[2:3], v[10:11]
	v_mul_f64 v[12:13], v[4:5], v[10:11]
	v_fma_f64 v[10:11], v[4:5], v[8:9], -v[16:17]
	v_fmac_f64_e32 v[12:13], v[2:3], v[8:9]
	scratch_store_dwordx4 off, v[10:13], off offset:48
.LBB16_27:
	s_or_b64 exec, exec, s[2:3]
	; wave barrier
	scratch_load_dwordx4 v[2:5], off, s16
	v_cmp_gt_u32_e32 vcc, 4, v1
	s_waitcnt vmcnt(0)
	ds_write_b128 v6, v[2:5]
	s_waitcnt lgkmcnt(0)
	; wave barrier
	s_and_saveexec_b64 s[2:3], vcc
	s_cbranch_execz .LBB16_31
; %bb.28:
	v_add_u32_e32 v8, -1, v1
	v_add_u32_e32 v9, 0x110, v14
	v_mov_b32_e32 v10, v14
	v_mov_b64_e32 v[2:3], 0
	s_mov_b64 s[6:7], 0
	v_mov_b64_e32 v[4:5], 0
.LBB16_29:                              ; =>This Inner Loop Header: Depth=1
	scratch_load_dwordx4 v[16:19], v10, off
	ds_read_b128 v[20:23], v9
	v_add_u32_e32 v8, 1, v8
	v_cmp_lt_u32_e32 vcc, 2, v8
	v_add_u32_e32 v9, 16, v9
	v_add_u32_e32 v10, 16, v10
	s_or_b64 s[6:7], vcc, s[6:7]
	s_waitcnt vmcnt(0) lgkmcnt(0)
	v_mul_f64 v[12:13], v[22:23], v[18:19]
	v_mul_f64 v[18:19], v[20:21], v[18:19]
	v_fma_f64 v[12:13], v[20:21], v[16:17], -v[12:13]
	v_fmac_f64_e32 v[18:19], v[22:23], v[16:17]
	v_add_f64 v[4:5], v[4:5], v[12:13]
	v_add_f64 v[2:3], v[2:3], v[18:19]
	s_andn2_b64 exec, exec, s[6:7]
	s_cbranch_execnz .LBB16_29
; %bb.30:
	s_or_b64 exec, exec, s[6:7]
	v_mov_b32_e32 v8, 0
	ds_read_b128 v[8:11], v8 offset:64
	s_waitcnt lgkmcnt(0)
	v_mul_f64 v[16:17], v[2:3], v[10:11]
	v_mul_f64 v[12:13], v[4:5], v[10:11]
	v_fma_f64 v[10:11], v[4:5], v[8:9], -v[16:17]
	v_fmac_f64_e32 v[12:13], v[2:3], v[8:9]
	scratch_store_dwordx4 off, v[10:13], off offset:64
.LBB16_31:
	s_or_b64 exec, exec, s[2:3]
	; wave barrier
	scratch_load_dwordx4 v[2:5], off, s17
	v_cmp_gt_u32_e32 vcc, 5, v1
	;; [unrolled: 45-line block ×12, first 2 shown]
	s_waitcnt vmcnt(0)
	ds_write_b128 v6, v[2:5]
	s_waitcnt lgkmcnt(0)
	; wave barrier
	s_and_saveexec_b64 s[2:3], vcc
	s_cbranch_execz .LBB16_75
; %bb.72:
	v_add_u32_e32 v8, -1, v1
	v_add_u32_e32 v9, 0x110, v14
	v_mov_b32_e32 v10, v14
	v_mov_b64_e32 v[2:3], 0
	s_mov_b64 s[6:7], 0
	v_mov_b64_e32 v[4:5], 0
.LBB16_73:                              ; =>This Inner Loop Header: Depth=1
	scratch_load_dwordx4 v[16:19], v10, off
	ds_read_b128 v[20:23], v9
	v_add_u32_e32 v8, 1, v8
	v_cmp_lt_u32_e32 vcc, 13, v8
	v_add_u32_e32 v9, 16, v9
	v_add_u32_e32 v10, 16, v10
	s_or_b64 s[6:7], vcc, s[6:7]
	s_waitcnt vmcnt(0) lgkmcnt(0)
	v_mul_f64 v[12:13], v[22:23], v[18:19]
	v_mul_f64 v[18:19], v[20:21], v[18:19]
	v_fma_f64 v[12:13], v[20:21], v[16:17], -v[12:13]
	v_fmac_f64_e32 v[18:19], v[22:23], v[16:17]
	v_add_f64 v[4:5], v[4:5], v[12:13]
	v_add_f64 v[2:3], v[2:3], v[18:19]
	s_andn2_b64 exec, exec, s[6:7]
	s_cbranch_execnz .LBB16_73
; %bb.74:
	s_or_b64 exec, exec, s[6:7]
	v_mov_b32_e32 v8, 0
	ds_read_b128 v[8:11], v8 offset:240
	s_waitcnt lgkmcnt(0)
	v_mul_f64 v[16:17], v[2:3], v[10:11]
	v_mul_f64 v[12:13], v[4:5], v[10:11]
	v_fma_f64 v[10:11], v[4:5], v[8:9], -v[16:17]
	v_fmac_f64_e32 v[12:13], v[2:3], v[8:9]
	scratch_store_dwordx4 off, v[10:13], off offset:240
.LBB16_75:
	s_or_b64 exec, exec, s[2:3]
	; wave barrier
	scratch_load_dwordx4 v[2:5], off, s30
	v_cmp_ne_u32_e32 vcc, 16, v1
	s_waitcnt vmcnt(0)
	ds_write_b128 v6, v[2:5]
	s_waitcnt lgkmcnt(0)
	; wave barrier
	s_and_saveexec_b64 s[2:3], vcc
	s_cbranch_execz .LBB16_79
; %bb.76:
	v_add_u32_e32 v6, 0x110, v14
	v_mov_b32_e32 v8, v14
	v_mov_b64_e32 v[2:3], 0
	s_mov_b64 s[6:7], 0
	v_mov_b64_e32 v[4:5], 0
.LBB16_77:                              ; =>This Inner Loop Header: Depth=1
	scratch_load_dwordx4 v[10:13], v8, off
	ds_read_b128 v[14:17], v6
	v_add_u32_e32 v7, 1, v7
	v_cmp_lt_u32_e32 vcc, 14, v7
	v_add_u32_e32 v6, 16, v6
	v_add_u32_e32 v8, 16, v8
	s_or_b64 s[6:7], vcc, s[6:7]
	s_waitcnt vmcnt(0) lgkmcnt(0)
	v_mul_f64 v[18:19], v[16:17], v[12:13]
	v_mul_f64 v[12:13], v[14:15], v[12:13]
	v_fma_f64 v[14:15], v[14:15], v[10:11], -v[18:19]
	v_fmac_f64_e32 v[12:13], v[16:17], v[10:11]
	v_add_f64 v[4:5], v[4:5], v[14:15]
	v_add_f64 v[2:3], v[2:3], v[12:13]
	s_andn2_b64 exec, exec, s[6:7]
	s_cbranch_execnz .LBB16_77
; %bb.78:
	s_or_b64 exec, exec, s[6:7]
	v_mov_b32_e32 v6, 0
	ds_read_b128 v[6:9], v6 offset:256
	s_waitcnt lgkmcnt(0)
	v_mul_f64 v[12:13], v[2:3], v[8:9]
	v_mul_f64 v[10:11], v[4:5], v[8:9]
	v_fma_f64 v[8:9], v[4:5], v[6:7], -v[12:13]
	v_fmac_f64_e32 v[10:11], v[2:3], v[6:7]
	scratch_store_dwordx4 off, v[8:11], off offset:256
.LBB16_79:
	s_or_b64 exec, exec, s[2:3]
	s_mov_b64 s[6:7], -1
	; wave barrier
.LBB16_80:
	s_and_b64 vcc, exec, s[6:7]
	s_cbranch_vccz .LBB16_82
; %bb.81:
	s_lshl_b64 s[2:3], s[4:5], 2
	s_add_u32 s2, s10, s2
	s_addc_u32 s3, s11, s3
	v_mov_b32_e32 v2, 0
	global_load_dword v2, v2, s[2:3]
	s_waitcnt vmcnt(0)
	v_cmp_ne_u32_e32 vcc, 0, v2
	s_cbranch_vccz .LBB16_83
.LBB16_82:
	s_endpgm
.LBB16_83:
	v_mov_b32_e32 v2, 0x110
	v_lshl_add_u32 v82, v1, 4, v2
	v_cmp_eq_u32_e32 vcc, 16, v1
	s_and_saveexec_b64 s[2:3], vcc
	s_cbranch_execz .LBB16_85
; %bb.84:
	scratch_load_dwordx4 v[2:5], off, s31
	v_mov_b32_e32 v6, 0
	v_mov_b32_e32 v7, v6
	;; [unrolled: 1-line block ×4, first 2 shown]
	scratch_store_dwordx4 off, v[6:9], off offset:240
	s_waitcnt vmcnt(1)
	ds_write_b128 v82, v[2:5]
.LBB16_85:
	s_or_b64 exec, exec, s[2:3]
	s_waitcnt lgkmcnt(0)
	; wave barrier
	scratch_load_dwordx4 v[4:7], off, off offset:256
	scratch_load_dwordx4 v[8:11], off, off offset:240
	v_mov_b32_e32 v2, 0
	ds_read_b128 v[12:15], v2 offset:528
	v_cmp_lt_u32_e32 vcc, 14, v1
	s_waitcnt vmcnt(1) lgkmcnt(0)
	v_mul_f64 v[16:17], v[12:13], v[6:7]
	v_mul_f64 v[6:7], v[14:15], v[6:7]
	v_fmac_f64_e32 v[16:17], v[14:15], v[4:5]
	v_fma_f64 v[4:5], v[12:13], v[4:5], -v[6:7]
	v_add_f64 v[6:7], v[16:17], 0
	v_add_f64 v[4:5], v[4:5], 0
	s_waitcnt vmcnt(0)
	v_add_f64 v[4:5], v[8:9], -v[4:5]
	v_add_f64 v[6:7], v[10:11], -v[6:7]
	scratch_store_dwordx4 off, v[4:7], off offset:240
	s_and_saveexec_b64 s[2:3], vcc
	s_cbranch_execz .LBB16_87
; %bb.86:
	scratch_load_dwordx4 v[6:9], off, s34
	v_mov_b32_e32 v3, v2
	v_mov_b32_e32 v4, v2
	;; [unrolled: 1-line block ×3, first 2 shown]
	scratch_store_dwordx4 off, v[2:5], off offset:224
	s_waitcnt vmcnt(1)
	ds_write_b128 v82, v[6:9]
.LBB16_87:
	s_or_b64 exec, exec, s[2:3]
	s_waitcnt lgkmcnt(0)
	; wave barrier
	scratch_load_dwordx4 v[4:7], off, off offset:240
	scratch_load_dwordx4 v[8:11], off, off offset:256
	;; [unrolled: 1-line block ×3, first 2 shown]
	ds_read_b128 v[16:19], v2 offset:512
	ds_read_b128 v[20:23], v2 offset:528
	v_cmp_lt_u32_e32 vcc, 13, v1
	s_waitcnt vmcnt(2) lgkmcnt(1)
	v_mul_f64 v[2:3], v[16:17], v[6:7]
	v_mul_f64 v[6:7], v[18:19], v[6:7]
	s_waitcnt vmcnt(1) lgkmcnt(0)
	v_mul_f64 v[24:25], v[20:21], v[10:11]
	v_mul_f64 v[10:11], v[22:23], v[10:11]
	v_fmac_f64_e32 v[2:3], v[18:19], v[4:5]
	v_fma_f64 v[4:5], v[16:17], v[4:5], -v[6:7]
	v_fmac_f64_e32 v[24:25], v[22:23], v[8:9]
	v_fma_f64 v[6:7], v[20:21], v[8:9], -v[10:11]
	v_add_f64 v[2:3], v[2:3], 0
	v_add_f64 v[4:5], v[4:5], 0
	;; [unrolled: 1-line block ×4, first 2 shown]
	s_waitcnt vmcnt(0)
	v_add_f64 v[2:3], v[12:13], -v[2:3]
	v_add_f64 v[4:5], v[14:15], -v[8:9]
	scratch_store_dwordx4 off, v[2:5], off offset:224
	s_and_saveexec_b64 s[2:3], vcc
	s_cbranch_execz .LBB16_89
; %bb.88:
	scratch_load_dwordx4 v[2:5], off, s33
	v_mov_b32_e32 v6, 0
	v_mov_b32_e32 v7, v6
	;; [unrolled: 1-line block ×4, first 2 shown]
	scratch_store_dwordx4 off, v[6:9], off offset:208
	s_waitcnt vmcnt(1)
	ds_write_b128 v82, v[2:5]
.LBB16_89:
	s_or_b64 exec, exec, s[2:3]
	s_waitcnt lgkmcnt(0)
	; wave barrier
	scratch_load_dwordx4 v[4:7], off, off offset:224
	scratch_load_dwordx4 v[8:11], off, off offset:240
	scratch_load_dwordx4 v[12:15], off, off offset:256
	scratch_load_dwordx4 v[16:19], off, off offset:208
	v_mov_b32_e32 v2, 0
	ds_read_b128 v[20:23], v2 offset:496
	ds_read_b128 v[24:27], v2 offset:512
	;; [unrolled: 1-line block ×3, first 2 shown]
	v_cmp_lt_u32_e32 vcc, 12, v1
	s_waitcnt vmcnt(3) lgkmcnt(2)
	v_mul_f64 v[32:33], v[20:21], v[6:7]
	v_mul_f64 v[6:7], v[22:23], v[6:7]
	s_waitcnt vmcnt(2) lgkmcnt(1)
	v_mul_f64 v[34:35], v[24:25], v[10:11]
	v_mul_f64 v[10:11], v[26:27], v[10:11]
	v_fmac_f64_e32 v[32:33], v[22:23], v[4:5]
	v_fma_f64 v[4:5], v[20:21], v[4:5], -v[6:7]
	s_waitcnt vmcnt(1) lgkmcnt(0)
	v_mul_f64 v[36:37], v[28:29], v[14:15]
	v_mul_f64 v[14:15], v[30:31], v[14:15]
	v_fmac_f64_e32 v[34:35], v[26:27], v[8:9]
	v_fma_f64 v[6:7], v[24:25], v[8:9], -v[10:11]
	v_add_f64 v[10:11], v[32:33], 0
	v_add_f64 v[4:5], v[4:5], 0
	v_fmac_f64_e32 v[36:37], v[30:31], v[12:13]
	v_fma_f64 v[8:9], v[28:29], v[12:13], -v[14:15]
	v_add_f64 v[10:11], v[10:11], v[34:35]
	v_add_f64 v[4:5], v[4:5], v[6:7]
	;; [unrolled: 1-line block ×4, first 2 shown]
	s_waitcnt vmcnt(0)
	v_add_f64 v[4:5], v[16:17], -v[4:5]
	v_add_f64 v[6:7], v[18:19], -v[6:7]
	scratch_store_dwordx4 off, v[4:7], off offset:208
	s_and_saveexec_b64 s[2:3], vcc
	s_cbranch_execz .LBB16_91
; %bb.90:
	scratch_load_dwordx4 v[6:9], off, s29
	v_mov_b32_e32 v3, v2
	v_mov_b32_e32 v4, v2
	;; [unrolled: 1-line block ×3, first 2 shown]
	scratch_store_dwordx4 off, v[2:5], off offset:192
	s_waitcnt vmcnt(1)
	ds_write_b128 v82, v[6:9]
.LBB16_91:
	s_or_b64 exec, exec, s[2:3]
	s_waitcnt lgkmcnt(0)
	; wave barrier
	scratch_load_dwordx4 v[4:7], off, off offset:208
	scratch_load_dwordx4 v[8:11], off, off offset:224
	;; [unrolled: 1-line block ×5, first 2 shown]
	ds_read_b128 v[24:27], v2 offset:480
	ds_read_b128 v[28:31], v2 offset:496
	;; [unrolled: 1-line block ×4, first 2 shown]
	v_cmp_lt_u32_e32 vcc, 11, v1
	s_waitcnt vmcnt(4) lgkmcnt(3)
	v_mul_f64 v[2:3], v[24:25], v[6:7]
	v_mul_f64 v[6:7], v[26:27], v[6:7]
	s_waitcnt vmcnt(3) lgkmcnt(2)
	v_mul_f64 v[40:41], v[28:29], v[10:11]
	v_mul_f64 v[10:11], v[30:31], v[10:11]
	v_fmac_f64_e32 v[2:3], v[26:27], v[4:5]
	v_fma_f64 v[4:5], v[24:25], v[4:5], -v[6:7]
	s_waitcnt vmcnt(2) lgkmcnt(1)
	v_mul_f64 v[42:43], v[32:33], v[14:15]
	v_mul_f64 v[14:15], v[34:35], v[14:15]
	v_fmac_f64_e32 v[40:41], v[30:31], v[8:9]
	v_fma_f64 v[6:7], v[28:29], v[8:9], -v[10:11]
	v_add_f64 v[2:3], v[2:3], 0
	v_add_f64 v[4:5], v[4:5], 0
	s_waitcnt vmcnt(1) lgkmcnt(0)
	v_mul_f64 v[44:45], v[36:37], v[18:19]
	v_mul_f64 v[18:19], v[38:39], v[18:19]
	v_fmac_f64_e32 v[42:43], v[34:35], v[12:13]
	v_fma_f64 v[8:9], v[32:33], v[12:13], -v[14:15]
	v_add_f64 v[2:3], v[2:3], v[40:41]
	v_add_f64 v[4:5], v[4:5], v[6:7]
	v_fmac_f64_e32 v[44:45], v[38:39], v[16:17]
	v_fma_f64 v[10:11], v[36:37], v[16:17], -v[18:19]
	v_add_f64 v[2:3], v[2:3], v[42:43]
	v_add_f64 v[4:5], v[4:5], v[8:9]
	;; [unrolled: 1-line block ×4, first 2 shown]
	s_waitcnt vmcnt(0)
	v_add_f64 v[2:3], v[20:21], -v[2:3]
	v_add_f64 v[4:5], v[22:23], -v[6:7]
	scratch_store_dwordx4 off, v[2:5], off offset:192
	s_and_saveexec_b64 s[2:3], vcc
	s_cbranch_execz .LBB16_93
; %bb.92:
	scratch_load_dwordx4 v[2:5], off, s28
	v_mov_b32_e32 v6, 0
	v_mov_b32_e32 v7, v6
	;; [unrolled: 1-line block ×4, first 2 shown]
	scratch_store_dwordx4 off, v[6:9], off offset:176
	s_waitcnt vmcnt(1)
	ds_write_b128 v82, v[2:5]
.LBB16_93:
	s_or_b64 exec, exec, s[2:3]
	s_waitcnt lgkmcnt(0)
	; wave barrier
	scratch_load_dwordx4 v[4:7], off, off offset:192
	scratch_load_dwordx4 v[8:11], off, off offset:208
	;; [unrolled: 1-line block ×6, first 2 shown]
	v_mov_b32_e32 v2, 0
	ds_read_b128 v[28:31], v2 offset:464
	ds_read_b128 v[32:35], v2 offset:480
	;; [unrolled: 1-line block ×5, first 2 shown]
	v_cmp_lt_u32_e32 vcc, 10, v1
	s_waitcnt vmcnt(5) lgkmcnt(4)
	v_mul_f64 v[84:85], v[28:29], v[6:7]
	v_mul_f64 v[6:7], v[30:31], v[6:7]
	s_waitcnt vmcnt(4) lgkmcnt(3)
	v_mul_f64 v[86:87], v[32:33], v[10:11]
	s_waitcnt vmcnt(3) lgkmcnt(2)
	v_mul_f64 v[88:89], v[36:37], v[14:15]
	v_mul_f64 v[10:11], v[34:35], v[10:11]
	;; [unrolled: 1-line block ×3, first 2 shown]
	v_fmac_f64_e32 v[84:85], v[30:31], v[4:5]
	v_fma_f64 v[4:5], v[28:29], v[4:5], -v[6:7]
	v_fmac_f64_e32 v[86:87], v[34:35], v[8:9]
	v_fma_f64 v[6:7], v[32:33], v[8:9], -v[10:11]
	v_fma_f64 v[8:9], v[36:37], v[12:13], -v[14:15]
	v_add_f64 v[14:15], v[84:85], 0
	v_add_f64 v[4:5], v[4:5], 0
	s_waitcnt vmcnt(2) lgkmcnt(1)
	v_mul_f64 v[90:91], v[40:41], v[18:19]
	v_mul_f64 v[18:19], v[42:43], v[18:19]
	v_fmac_f64_e32 v[88:89], v[38:39], v[12:13]
	v_add_f64 v[14:15], v[14:15], v[86:87]
	v_add_f64 v[4:5], v[4:5], v[6:7]
	s_waitcnt vmcnt(1) lgkmcnt(0)
	v_mul_f64 v[92:93], v[44:45], v[22:23]
	v_mul_f64 v[22:23], v[46:47], v[22:23]
	v_fmac_f64_e32 v[90:91], v[42:43], v[16:17]
	v_fma_f64 v[10:11], v[40:41], v[16:17], -v[18:19]
	v_add_f64 v[6:7], v[14:15], v[88:89]
	v_add_f64 v[4:5], v[4:5], v[8:9]
	v_fmac_f64_e32 v[92:93], v[46:47], v[20:21]
	v_fma_f64 v[12:13], v[44:45], v[20:21], -v[22:23]
	v_add_f64 v[6:7], v[6:7], v[90:91]
	v_add_f64 v[4:5], v[4:5], v[10:11]
	;; [unrolled: 1-line block ×4, first 2 shown]
	s_waitcnt vmcnt(0)
	v_add_f64 v[4:5], v[24:25], -v[4:5]
	v_add_f64 v[6:7], v[26:27], -v[6:7]
	scratch_store_dwordx4 off, v[4:7], off offset:176
	s_and_saveexec_b64 s[2:3], vcc
	s_cbranch_execz .LBB16_95
; %bb.94:
	scratch_load_dwordx4 v[6:9], off, s26
	v_mov_b32_e32 v3, v2
	v_mov_b32_e32 v4, v2
	;; [unrolled: 1-line block ×3, first 2 shown]
	scratch_store_dwordx4 off, v[2:5], off offset:160
	s_waitcnt vmcnt(1)
	ds_write_b128 v82, v[6:9]
.LBB16_95:
	s_or_b64 exec, exec, s[2:3]
	s_waitcnt lgkmcnt(0)
	; wave barrier
	scratch_load_dwordx4 v[4:7], off, off offset:176
	scratch_load_dwordx4 v[8:11], off, off offset:192
	;; [unrolled: 1-line block ×7, first 2 shown]
	ds_read_b128 v[32:35], v2 offset:448
	ds_read_b128 v[36:39], v2 offset:464
	;; [unrolled: 1-line block ×6, first 2 shown]
	v_cmp_lt_u32_e32 vcc, 9, v1
	s_waitcnt vmcnt(6) lgkmcnt(5)
	v_mul_f64 v[2:3], v[32:33], v[6:7]
	v_mul_f64 v[6:7], v[34:35], v[6:7]
	s_waitcnt vmcnt(5) lgkmcnt(4)
	v_mul_f64 v[92:93], v[36:37], v[10:11]
	v_mul_f64 v[10:11], v[38:39], v[10:11]
	v_fmac_f64_e32 v[2:3], v[34:35], v[4:5]
	v_fma_f64 v[4:5], v[32:33], v[4:5], -v[6:7]
	s_waitcnt vmcnt(4) lgkmcnt(3)
	v_mul_f64 v[94:95], v[40:41], v[14:15]
	v_mul_f64 v[14:15], v[42:43], v[14:15]
	v_fmac_f64_e32 v[92:93], v[38:39], v[8:9]
	v_fma_f64 v[6:7], v[36:37], v[8:9], -v[10:11]
	v_add_f64 v[2:3], v[2:3], 0
	v_add_f64 v[4:5], v[4:5], 0
	s_waitcnt vmcnt(3) lgkmcnt(2)
	v_mul_f64 v[96:97], v[44:45], v[18:19]
	v_mul_f64 v[18:19], v[46:47], v[18:19]
	v_fmac_f64_e32 v[94:95], v[42:43], v[12:13]
	v_fma_f64 v[8:9], v[40:41], v[12:13], -v[14:15]
	v_add_f64 v[2:3], v[2:3], v[92:93]
	v_add_f64 v[4:5], v[4:5], v[6:7]
	;; [unrolled: 7-line block ×4, first 2 shown]
	v_fmac_f64_e32 v[100:101], v[90:91], v[24:25]
	v_fma_f64 v[14:15], v[88:89], v[24:25], -v[26:27]
	v_add_f64 v[2:3], v[2:3], v[98:99]
	v_add_f64 v[4:5], v[4:5], v[12:13]
	;; [unrolled: 1-line block ×4, first 2 shown]
	s_waitcnt vmcnt(0)
	v_add_f64 v[2:3], v[28:29], -v[2:3]
	v_add_f64 v[4:5], v[30:31], -v[6:7]
	scratch_store_dwordx4 off, v[2:5], off offset:160
	s_and_saveexec_b64 s[2:3], vcc
	s_cbranch_execz .LBB16_97
; %bb.96:
	scratch_load_dwordx4 v[2:5], off, s24
	v_mov_b32_e32 v6, 0
	v_mov_b32_e32 v7, v6
	;; [unrolled: 1-line block ×4, first 2 shown]
	scratch_store_dwordx4 off, v[6:9], off offset:144
	s_waitcnt vmcnt(1)
	ds_write_b128 v82, v[2:5]
.LBB16_97:
	s_or_b64 exec, exec, s[2:3]
	s_waitcnt lgkmcnt(0)
	; wave barrier
	scratch_load_dwordx4 v[4:7], off, off offset:160
	scratch_load_dwordx4 v[8:11], off, off offset:176
	;; [unrolled: 1-line block ×8, first 2 shown]
	v_mov_b32_e32 v2, 0
	ds_read_b128 v[36:39], v2 offset:432
	ds_read_b128 v[40:43], v2 offset:448
	;; [unrolled: 1-line block ×7, first 2 shown]
	v_cmp_lt_u32_e32 vcc, 8, v1
	s_waitcnt vmcnt(7) lgkmcnt(6)
	v_mul_f64 v[100:101], v[36:37], v[6:7]
	v_mul_f64 v[6:7], v[38:39], v[6:7]
	s_waitcnt vmcnt(6) lgkmcnt(5)
	v_mul_f64 v[102:103], v[40:41], v[10:11]
	s_waitcnt vmcnt(4) lgkmcnt(3)
	v_mul_f64 v[106:107], v[84:85], v[18:19]
	v_mul_f64 v[10:11], v[42:43], v[10:11]
	;; [unrolled: 1-line block ×3, first 2 shown]
	v_fmac_f64_e32 v[100:101], v[38:39], v[4:5]
	v_fma_f64 v[4:5], v[36:37], v[4:5], -v[6:7]
	v_mul_f64 v[104:105], v[44:45], v[14:15]
	v_mul_f64 v[14:15], v[46:47], v[14:15]
	v_fmac_f64_e32 v[102:103], v[42:43], v[8:9]
	v_fma_f64 v[6:7], v[40:41], v[8:9], -v[10:11]
	v_fma_f64 v[10:11], v[84:85], v[16:17], -v[18:19]
	v_add_f64 v[18:19], v[100:101], 0
	v_add_f64 v[4:5], v[4:5], 0
	v_fmac_f64_e32 v[104:105], v[46:47], v[12:13]
	v_fma_f64 v[8:9], v[44:45], v[12:13], -v[14:15]
	v_add_f64 v[18:19], v[18:19], v[102:103]
	v_add_f64 v[4:5], v[4:5], v[6:7]
	s_waitcnt vmcnt(3) lgkmcnt(2)
	v_mul_f64 v[108:109], v[88:89], v[22:23]
	v_mul_f64 v[22:23], v[90:91], v[22:23]
	v_fmac_f64_e32 v[106:107], v[86:87], v[16:17]
	v_add_f64 v[6:7], v[18:19], v[104:105]
	v_add_f64 v[4:5], v[4:5], v[8:9]
	s_waitcnt vmcnt(2) lgkmcnt(1)
	v_mul_f64 v[110:111], v[92:93], v[26:27]
	v_mul_f64 v[26:27], v[94:95], v[26:27]
	v_fmac_f64_e32 v[108:109], v[90:91], v[20:21]
	v_fma_f64 v[12:13], v[88:89], v[20:21], -v[22:23]
	v_add_f64 v[6:7], v[6:7], v[106:107]
	v_add_f64 v[4:5], v[4:5], v[10:11]
	s_waitcnt vmcnt(1) lgkmcnt(0)
	v_mul_f64 v[112:113], v[96:97], v[30:31]
	v_mul_f64 v[30:31], v[98:99], v[30:31]
	v_fmac_f64_e32 v[110:111], v[94:95], v[24:25]
	v_fma_f64 v[14:15], v[92:93], v[24:25], -v[26:27]
	v_add_f64 v[6:7], v[6:7], v[108:109]
	v_add_f64 v[4:5], v[4:5], v[12:13]
	v_fmac_f64_e32 v[112:113], v[98:99], v[28:29]
	v_fma_f64 v[16:17], v[96:97], v[28:29], -v[30:31]
	v_add_f64 v[6:7], v[6:7], v[110:111]
	v_add_f64 v[4:5], v[4:5], v[14:15]
	;; [unrolled: 1-line block ×4, first 2 shown]
	s_waitcnt vmcnt(0)
	v_add_f64 v[4:5], v[32:33], -v[4:5]
	v_add_f64 v[6:7], v[34:35], -v[6:7]
	scratch_store_dwordx4 off, v[4:7], off offset:144
	s_and_saveexec_b64 s[2:3], vcc
	s_cbranch_execz .LBB16_99
; %bb.98:
	scratch_load_dwordx4 v[6:9], off, s19
	v_mov_b32_e32 v3, v2
	v_mov_b32_e32 v4, v2
	;; [unrolled: 1-line block ×3, first 2 shown]
	scratch_store_dwordx4 off, v[2:5], off offset:128
	s_waitcnt vmcnt(1)
	ds_write_b128 v82, v[6:9]
.LBB16_99:
	s_or_b64 exec, exec, s[2:3]
	s_waitcnt lgkmcnt(0)
	; wave barrier
	scratch_load_dwordx4 v[4:7], off, off offset:144
	scratch_load_dwordx4 v[8:11], off, off offset:160
	scratch_load_dwordx4 v[12:15], off, off offset:176
	scratch_load_dwordx4 v[16:19], off, off offset:192
	scratch_load_dwordx4 v[20:23], off, off offset:208
	scratch_load_dwordx4 v[24:27], off, off offset:224
	scratch_load_dwordx4 v[28:31], off, off offset:240
	scratch_load_dwordx4 v[32:35], off, off offset:256
	scratch_load_dwordx4 v[36:39], off, off offset:128
	ds_read_b128 v[40:43], v2 offset:416
	ds_read_b128 v[44:47], v2 offset:432
	;; [unrolled: 1-line block ×8, first 2 shown]
	v_cmp_lt_u32_e32 vcc, 7, v1
	s_waitcnt vmcnt(8) lgkmcnt(7)
	v_mul_f64 v[2:3], v[40:41], v[6:7]
	v_mul_f64 v[6:7], v[42:43], v[6:7]
	s_waitcnt vmcnt(7) lgkmcnt(6)
	v_mul_f64 v[108:109], v[44:45], v[10:11]
	v_mul_f64 v[10:11], v[46:47], v[10:11]
	v_fmac_f64_e32 v[2:3], v[42:43], v[4:5]
	v_fma_f64 v[4:5], v[40:41], v[4:5], -v[6:7]
	s_waitcnt vmcnt(6) lgkmcnt(5)
	v_mul_f64 v[110:111], v[84:85], v[14:15]
	v_mul_f64 v[14:15], v[86:87], v[14:15]
	v_fmac_f64_e32 v[108:109], v[46:47], v[8:9]
	v_fma_f64 v[6:7], v[44:45], v[8:9], -v[10:11]
	v_add_f64 v[2:3], v[2:3], 0
	v_add_f64 v[4:5], v[4:5], 0
	s_waitcnt vmcnt(5) lgkmcnt(4)
	v_mul_f64 v[112:113], v[88:89], v[18:19]
	v_mul_f64 v[18:19], v[90:91], v[18:19]
	v_fmac_f64_e32 v[110:111], v[86:87], v[12:13]
	v_fma_f64 v[8:9], v[84:85], v[12:13], -v[14:15]
	v_add_f64 v[2:3], v[2:3], v[108:109]
	v_add_f64 v[4:5], v[4:5], v[6:7]
	;; [unrolled: 7-line block ×6, first 2 shown]
	v_fmac_f64_e32 v[120:121], v[106:107], v[32:33]
	v_fma_f64 v[18:19], v[104:105], v[32:33], -v[34:35]
	v_add_f64 v[2:3], v[2:3], v[118:119]
	v_add_f64 v[4:5], v[4:5], v[16:17]
	;; [unrolled: 1-line block ×4, first 2 shown]
	s_waitcnt vmcnt(0)
	v_add_f64 v[2:3], v[36:37], -v[2:3]
	v_add_f64 v[4:5], v[38:39], -v[6:7]
	scratch_store_dwordx4 off, v[2:5], off offset:128
	s_and_saveexec_b64 s[2:3], vcc
	s_cbranch_execz .LBB16_101
; %bb.100:
	scratch_load_dwordx4 v[2:5], off, s27
	v_mov_b32_e32 v6, 0
	v_mov_b32_e32 v7, v6
	;; [unrolled: 1-line block ×4, first 2 shown]
	scratch_store_dwordx4 off, v[6:9], off offset:112
	s_waitcnt vmcnt(1)
	ds_write_b128 v82, v[2:5]
.LBB16_101:
	s_or_b64 exec, exec, s[2:3]
	v_mov_b32_e32 v2, 0
	s_waitcnt lgkmcnt(0)
	; wave barrier
	ds_read_b128 v[4:7], v2 offset:400
	ds_read_b128 v[8:11], v2 offset:416
	;; [unrolled: 1-line block ×4, first 2 shown]
	scratch_load_dwordx4 v[20:23], off, off offset:128
	scratch_load_dwordx4 v[40:43], off, off offset:192
	;; [unrolled: 1-line block ×3, first 2 shown]
	v_cmp_lt_u32_e32 vcc, 6, v1
	scratch_load_dwordx4 v[84:87], off, off offset:208
	scratch_load_dwordx4 v[92:95], off, off offset:224
	;; [unrolled: 1-line block ×3, first 2 shown]
	s_waitcnt vmcnt(5) lgkmcnt(3)
	v_mul_f64 v[24:25], v[4:5], v[22:23]
	v_fmac_f64_e32 v[24:25], v[6:7], v[20:21]
	v_add_f64 v[28:29], v[24:25], 0
	scratch_load_dwordx4 v[24:27], off, off offset:144
	v_mul_f64 v[6:7], v[6:7], v[22:23]
	v_fma_f64 v[4:5], v[4:5], v[20:21], -v[6:7]
	v_add_f64 v[4:5], v[4:5], 0
	s_waitcnt vmcnt(0) lgkmcnt(2)
	v_mul_f64 v[30:31], v[8:9], v[26:27]
	v_fmac_f64_e32 v[30:31], v[10:11], v[24:25]
	v_add_f64 v[32:33], v[28:29], v[30:31]
	scratch_load_dwordx4 v[28:31], off, off offset:160
	v_mul_f64 v[6:7], v[10:11], v[26:27]
	v_fma_f64 v[6:7], v[8:9], v[24:25], -v[6:7]
	v_add_f64 v[4:5], v[4:5], v[6:7]
	;; [unrolled: 8-line block ×3, first 2 shown]
	s_waitcnt vmcnt(0) lgkmcnt(0)
	v_mul_f64 v[38:39], v[16:17], v[34:35]
	v_fmac_f64_e32 v[38:39], v[18:19], v[32:33]
	v_add_f64 v[44:45], v[36:37], v[38:39]
	ds_read_b128 v[36:39], v2 offset:464
	v_mul_f64 v[6:7], v[18:19], v[34:35]
	v_fma_f64 v[6:7], v[16:17], v[32:33], -v[6:7]
	v_add_f64 v[4:5], v[4:5], v[6:7]
	s_waitcnt lgkmcnt(0)
	v_mul_f64 v[46:47], v[36:37], v[42:43]
	v_fmac_f64_e32 v[46:47], v[38:39], v[40:41]
	v_add_f64 v[88:89], v[44:45], v[46:47]
	ds_read_b128 v[44:47], v2 offset:480
	v_mul_f64 v[6:7], v[38:39], v[42:43]
	v_fma_f64 v[6:7], v[36:37], v[40:41], -v[6:7]
	v_add_f64 v[4:5], v[4:5], v[6:7]
	s_waitcnt lgkmcnt(0)
	;; [unrolled: 8-line block ×5, first 2 shown]
	v_mul_f64 v[6:7], v[106:107], v[110:111]
	v_fma_f64 v[6:7], v[104:105], v[108:109], -v[6:7]
	v_add_f64 v[8:9], v[4:5], v[6:7]
	scratch_load_dwordx4 v[4:7], off, off offset:112
	v_mul_f64 v[114:115], v[104:105], v[110:111]
	v_fmac_f64_e32 v[114:115], v[106:107], v[108:109]
	v_add_f64 v[112:113], v[112:113], v[114:115]
	s_waitcnt vmcnt(0)
	v_add_f64 v[4:5], v[4:5], -v[8:9]
	v_add_f64 v[6:7], v[6:7], -v[112:113]
	scratch_store_dwordx4 off, v[4:7], off offset:112
	s_and_saveexec_b64 s[2:3], vcc
	s_cbranch_execz .LBB16_103
; %bb.102:
	scratch_load_dwordx4 v[6:9], off, s25
	v_mov_b32_e32 v3, v2
	v_mov_b32_e32 v4, v2
	;; [unrolled: 1-line block ×3, first 2 shown]
	scratch_store_dwordx4 off, v[2:5], off offset:96
	s_waitcnt vmcnt(1)
	ds_write_b128 v82, v[6:9]
.LBB16_103:
	s_or_b64 exec, exec, s[2:3]
	s_waitcnt lgkmcnt(0)
	; wave barrier
	scratch_load_dwordx4 v[4:7], off, off offset:112
	scratch_load_dwordx4 v[8:11], off, off offset:128
	;; [unrolled: 1-line block ×11, first 2 shown]
	ds_read_b128 v[84:87], v2 offset:384
	ds_read_b128 v[88:91], v2 offset:400
	;; [unrolled: 1-line block ×10, first 2 shown]
	v_cmp_lt_u32_e32 vcc, 5, v1
	s_waitcnt vmcnt(10) lgkmcnt(9)
	v_mul_f64 v[2:3], v[84:85], v[6:7]
	v_mul_f64 v[6:7], v[86:87], v[6:7]
	s_waitcnt vmcnt(9) lgkmcnt(8)
	v_mul_f64 v[124:125], v[88:89], v[10:11]
	v_mul_f64 v[10:11], v[90:91], v[10:11]
	v_fmac_f64_e32 v[2:3], v[86:87], v[4:5]
	v_fma_f64 v[4:5], v[84:85], v[4:5], -v[6:7]
	s_waitcnt vmcnt(8) lgkmcnt(7)
	v_mul_f64 v[126:127], v[92:93], v[14:15]
	v_mul_f64 v[14:15], v[94:95], v[14:15]
	v_fmac_f64_e32 v[124:125], v[90:91], v[8:9]
	v_fma_f64 v[6:7], v[88:89], v[8:9], -v[10:11]
	v_add_f64 v[2:3], v[2:3], 0
	v_add_f64 v[4:5], v[4:5], 0
	s_waitcnt vmcnt(7) lgkmcnt(6)
	v_mul_f64 v[128:129], v[96:97], v[18:19]
	v_mul_f64 v[18:19], v[98:99], v[18:19]
	v_fmac_f64_e32 v[126:127], v[94:95], v[12:13]
	v_fma_f64 v[8:9], v[92:93], v[12:13], -v[14:15]
	v_add_f64 v[2:3], v[2:3], v[124:125]
	v_add_f64 v[4:5], v[4:5], v[6:7]
	;; [unrolled: 7-line block ×8, first 2 shown]
	v_fmac_f64_e32 v[140:141], v[122:123], v[40:41]
	v_fma_f64 v[22:23], v[120:121], v[40:41], -v[42:43]
	v_add_f64 v[2:3], v[2:3], v[138:139]
	v_add_f64 v[4:5], v[4:5], v[20:21]
	v_add_f64 v[6:7], v[2:3], v[140:141]
	v_add_f64 v[2:3], v[4:5], v[22:23]
	s_waitcnt vmcnt(0)
	v_add_f64 v[2:3], v[44:45], -v[2:3]
	v_add_f64 v[4:5], v[46:47], -v[6:7]
	scratch_store_dwordx4 off, v[2:5], off offset:96
	s_and_saveexec_b64 s[2:3], vcc
	s_cbranch_execz .LBB16_105
; %bb.104:
	scratch_load_dwordx4 v[2:5], off, s17
	v_mov_b32_e32 v6, 0
	v_mov_b32_e32 v7, v6
	;; [unrolled: 1-line block ×4, first 2 shown]
	scratch_store_dwordx4 off, v[6:9], off offset:80
	s_waitcnt vmcnt(1)
	ds_write_b128 v82, v[2:5]
.LBB16_105:
	s_or_b64 exec, exec, s[2:3]
	s_waitcnt lgkmcnt(0)
	; wave barrier
	scratch_load_dwordx4 v[4:7], off, off offset:96
	scratch_load_dwordx4 v[8:11], off, off offset:112
	;; [unrolled: 1-line block ×12, first 2 shown]
	v_mov_b32_e32 v2, 0
	ds_read_b128 v[88:91], v2 offset:368
	ds_read_b128 v[92:95], v2 offset:384
	;; [unrolled: 1-line block ×11, first 2 shown]
	v_cmp_lt_u32_e32 vcc, 4, v1
	s_waitcnt vmcnt(11) lgkmcnt(10)
	v_mul_f64 v[132:133], v[88:89], v[6:7]
	v_mul_f64 v[6:7], v[90:91], v[6:7]
	s_waitcnt vmcnt(10) lgkmcnt(9)
	v_mul_f64 v[134:135], v[92:93], v[10:11]
	s_waitcnt vmcnt(9) lgkmcnt(8)
	v_mul_f64 v[136:137], v[96:97], v[14:15]
	v_mul_f64 v[10:11], v[94:95], v[10:11]
	s_waitcnt vmcnt(6) lgkmcnt(5)
	v_mul_f64 v[142:143], v[108:109], v[26:27]
	v_mul_f64 v[14:15], v[98:99], v[14:15]
	;; [unrolled: 1-line block ×3, first 2 shown]
	v_fmac_f64_e32 v[132:133], v[90:91], v[4:5]
	v_fma_f64 v[4:5], v[88:89], v[4:5], -v[6:7]
	v_fmac_f64_e32 v[134:135], v[94:95], v[8:9]
	v_fma_f64 v[6:7], v[92:93], v[8:9], -v[10:11]
	v_fma_f64 v[8:9], v[96:97], v[12:13], -v[14:15]
	;; [unrolled: 1-line block ×3, first 2 shown]
	v_add_f64 v[26:27], v[132:133], 0
	v_add_f64 v[4:5], v[4:5], 0
	v_mul_f64 v[138:139], v[100:101], v[18:19]
	v_mul_f64 v[18:19], v[102:103], v[18:19]
	v_fmac_f64_e32 v[136:137], v[98:99], v[12:13]
	v_add_f64 v[26:27], v[26:27], v[134:135]
	v_add_f64 v[4:5], v[4:5], v[6:7]
	v_mul_f64 v[140:141], v[104:105], v[22:23]
	v_mul_f64 v[22:23], v[106:107], v[22:23]
	v_fmac_f64_e32 v[138:139], v[102:103], v[16:17]
	v_fma_f64 v[10:11], v[100:101], v[16:17], -v[18:19]
	v_add_f64 v[6:7], v[26:27], v[136:137]
	v_add_f64 v[4:5], v[4:5], v[8:9]
	v_fmac_f64_e32 v[140:141], v[106:107], v[20:21]
	v_fma_f64 v[12:13], v[104:105], v[20:21], -v[22:23]
	v_add_f64 v[6:7], v[6:7], v[138:139]
	v_add_f64 v[4:5], v[4:5], v[10:11]
	s_waitcnt vmcnt(5) lgkmcnt(4)
	v_mul_f64 v[144:145], v[112:113], v[30:31]
	v_mul_f64 v[30:31], v[114:115], v[30:31]
	v_fmac_f64_e32 v[142:143], v[110:111], v[24:25]
	v_add_f64 v[6:7], v[6:7], v[140:141]
	v_add_f64 v[4:5], v[4:5], v[12:13]
	s_waitcnt vmcnt(4) lgkmcnt(3)
	v_mul_f64 v[146:147], v[116:117], v[34:35]
	v_mul_f64 v[34:35], v[118:119], v[34:35]
	v_fmac_f64_e32 v[144:145], v[114:115], v[28:29]
	v_fma_f64 v[16:17], v[112:113], v[28:29], -v[30:31]
	v_add_f64 v[6:7], v[6:7], v[142:143]
	v_add_f64 v[4:5], v[4:5], v[14:15]
	s_waitcnt vmcnt(3) lgkmcnt(2)
	v_mul_f64 v[148:149], v[120:121], v[38:39]
	v_mul_f64 v[38:39], v[122:123], v[38:39]
	v_fmac_f64_e32 v[146:147], v[118:119], v[32:33]
	v_fma_f64 v[18:19], v[116:117], v[32:33], -v[34:35]
	;; [unrolled: 7-line block ×4, first 2 shown]
	v_add_f64 v[6:7], v[6:7], v[148:149]
	v_add_f64 v[4:5], v[4:5], v[20:21]
	v_fmac_f64_e32 v[152:153], v[130:131], v[44:45]
	v_fma_f64 v[24:25], v[128:129], v[44:45], -v[46:47]
	v_add_f64 v[6:7], v[6:7], v[150:151]
	v_add_f64 v[4:5], v[4:5], v[22:23]
	;; [unrolled: 1-line block ×4, first 2 shown]
	s_waitcnt vmcnt(0)
	v_add_f64 v[4:5], v[84:85], -v[4:5]
	v_add_f64 v[6:7], v[86:87], -v[6:7]
	scratch_store_dwordx4 off, v[4:7], off offset:80
	s_and_saveexec_b64 s[2:3], vcc
	s_cbranch_execz .LBB16_107
; %bb.106:
	scratch_load_dwordx4 v[6:9], off, s16
	v_mov_b32_e32 v3, v2
	v_mov_b32_e32 v4, v2
	;; [unrolled: 1-line block ×3, first 2 shown]
	scratch_store_dwordx4 off, v[2:5], off offset:64
	s_waitcnt vmcnt(1)
	ds_write_b128 v82, v[6:9]
.LBB16_107:
	s_or_b64 exec, exec, s[2:3]
	s_waitcnt lgkmcnt(0)
	; wave barrier
	scratch_load_dwordx4 v[4:7], off, off offset:80
	scratch_load_dwordx4 v[8:11], off, off offset:96
	;; [unrolled: 1-line block ×12, first 2 shown]
	ds_read_b128 v[88:91], v2 offset:352
	ds_read_b128 v[92:95], v2 offset:368
	;; [unrolled: 1-line block ×4, first 2 shown]
	scratch_load_dwordx4 v[104:107], off, off offset:64
	ds_read_b128 v[108:111], v2 offset:416
	ds_read_b128 v[112:115], v2 offset:432
	;; [unrolled: 1-line block ×8, first 2 shown]
	v_cmp_lt_u32_e32 vcc, 3, v1
	s_waitcnt vmcnt(12) lgkmcnt(11)
	v_mul_f64 v[2:3], v[88:89], v[6:7]
	s_waitcnt vmcnt(11) lgkmcnt(10)
	v_mul_f64 v[140:141], v[92:93], v[10:11]
	v_fmac_f64_e32 v[2:3], v[90:91], v[4:5]
	s_waitcnt vmcnt(10) lgkmcnt(9)
	v_mul_f64 v[142:143], v[96:97], v[14:15]
	v_mul_f64 v[6:7], v[90:91], v[6:7]
	v_fmac_f64_e32 v[140:141], v[94:95], v[8:9]
	v_add_f64 v[2:3], v[2:3], 0
	s_waitcnt vmcnt(9) lgkmcnt(8)
	v_mul_f64 v[144:145], v[100:101], v[18:19]
	v_mul_f64 v[10:11], v[94:95], v[10:11]
	v_fmac_f64_e32 v[142:143], v[98:99], v[12:13]
	v_fma_f64 v[4:5], v[88:89], v[4:5], -v[6:7]
	v_add_f64 v[2:3], v[2:3], v[140:141]
	s_waitcnt vmcnt(8) lgkmcnt(7)
	v_mul_f64 v[146:147], v[108:109], v[22:23]
	v_mul_f64 v[14:15], v[98:99], v[14:15]
	v_fmac_f64_e32 v[144:145], v[102:103], v[16:17]
	v_fma_f64 v[6:7], v[92:93], v[8:9], -v[10:11]
	v_add_f64 v[4:5], v[4:5], 0
	v_add_f64 v[2:3], v[2:3], v[142:143]
	s_waitcnt vmcnt(7) lgkmcnt(6)
	v_mul_f64 v[148:149], v[112:113], v[26:27]
	v_mul_f64 v[18:19], v[102:103], v[18:19]
	v_fmac_f64_e32 v[146:147], v[110:111], v[20:21]
	v_fma_f64 v[8:9], v[96:97], v[12:13], -v[14:15]
	v_add_f64 v[4:5], v[4:5], v[6:7]
	;; [unrolled: 7-line block ×8, first 2 shown]
	v_add_f64 v[2:3], v[2:3], v[156:157]
	v_mul_f64 v[46:47], v[134:135], v[46:47]
	v_fmac_f64_e32 v[160:161], v[138:139], v[84:85]
	v_fma_f64 v[22:23], v[128:129], v[40:41], -v[42:43]
	v_add_f64 v[4:5], v[4:5], v[20:21]
	v_add_f64 v[2:3], v[2:3], v[158:159]
	;; [unrolled: 1-line block ×4, first 2 shown]
	v_fma_f64 v[2:3], v[132:133], v[44:45], -v[46:47]
	v_add_f64 v[2:3], v[4:5], v[2:3]
	v_mul_f64 v[4:5], v[138:139], v[86:87]
	v_fma_f64 v[4:5], v[136:137], v[84:85], -v[4:5]
	v_add_f64 v[2:3], v[2:3], v[4:5]
	s_waitcnt vmcnt(0)
	v_add_f64 v[2:3], v[104:105], -v[2:3]
	v_add_f64 v[4:5], v[106:107], -v[6:7]
	scratch_store_dwordx4 off, v[2:5], off offset:64
	s_and_saveexec_b64 s[2:3], vcc
	s_cbranch_execz .LBB16_109
; %bb.108:
	scratch_load_dwordx4 v[2:5], off, s15
	v_mov_b32_e32 v6, 0
	v_mov_b32_e32 v7, v6
	;; [unrolled: 1-line block ×4, first 2 shown]
	scratch_store_dwordx4 off, v[6:9], off offset:48
	s_waitcnt vmcnt(1)
	ds_write_b128 v82, v[2:5]
.LBB16_109:
	s_or_b64 exec, exec, s[2:3]
	v_mov_b32_e32 v2, 0
	s_waitcnt lgkmcnt(0)
	; wave barrier
	ds_read_b128 v[4:7], v2 offset:336
	ds_read_b128 v[8:11], v2 offset:352
	;; [unrolled: 1-line block ×4, first 2 shown]
	scratch_load_dwordx4 v[20:23], off, off offset:64
	scratch_load_dwordx4 v[40:43], off, off offset:128
	;; [unrolled: 1-line block ×7, first 2 shown]
	v_cmp_lt_u32_e32 vcc, 2, v1
	scratch_load_dwordx4 v[84:87], off, off offset:144
	scratch_load_dwordx4 v[92:95], off, off offset:160
	scratch_load_dwordx4 v[100:103], off, off offset:176
	s_waitcnt vmcnt(9) lgkmcnt(3)
	v_mul_f64 v[24:25], v[4:5], v[22:23]
	v_fmac_f64_e32 v[24:25], v[6:7], v[20:21]
	v_add_f64 v[28:29], v[24:25], 0
	scratch_load_dwordx4 v[24:27], off, off offset:80
	v_mul_f64 v[6:7], v[6:7], v[22:23]
	v_fma_f64 v[4:5], v[4:5], v[20:21], -v[6:7]
	v_add_f64 v[4:5], v[4:5], 0
	s_waitcnt vmcnt(0) lgkmcnt(2)
	v_mul_f64 v[30:31], v[8:9], v[26:27]
	v_fmac_f64_e32 v[30:31], v[10:11], v[24:25]
	v_add_f64 v[32:33], v[28:29], v[30:31]
	scratch_load_dwordx4 v[28:31], off, off offset:96
	v_mul_f64 v[6:7], v[10:11], v[26:27]
	v_fma_f64 v[6:7], v[8:9], v[24:25], -v[6:7]
	v_add_f64 v[4:5], v[4:5], v[6:7]
	;; [unrolled: 8-line block ×3, first 2 shown]
	s_waitcnt vmcnt(0) lgkmcnt(0)
	v_mul_f64 v[38:39], v[16:17], v[34:35]
	v_fmac_f64_e32 v[38:39], v[18:19], v[32:33]
	v_add_f64 v[44:45], v[36:37], v[38:39]
	ds_read_b128 v[36:39], v2 offset:400
	v_mul_f64 v[6:7], v[18:19], v[34:35]
	v_fma_f64 v[6:7], v[16:17], v[32:33], -v[6:7]
	v_add_f64 v[4:5], v[4:5], v[6:7]
	s_waitcnt lgkmcnt(0)
	v_mul_f64 v[46:47], v[36:37], v[42:43]
	v_fmac_f64_e32 v[46:47], v[38:39], v[40:41]
	v_add_f64 v[88:89], v[44:45], v[46:47]
	ds_read_b128 v[44:47], v2 offset:416
	v_mul_f64 v[6:7], v[38:39], v[42:43]
	v_fma_f64 v[6:7], v[36:37], v[40:41], -v[6:7]
	v_add_f64 v[4:5], v[4:5], v[6:7]
	s_waitcnt lgkmcnt(0)
	;; [unrolled: 8-line block ×9, first 2 shown]
	v_mul_f64 v[6:7], v[138:139], v[142:143]
	v_fma_f64 v[6:7], v[136:137], v[140:141], -v[6:7]
	v_add_f64 v[8:9], v[4:5], v[6:7]
	scratch_load_dwordx4 v[4:7], off, off offset:48
	v_mul_f64 v[146:147], v[136:137], v[142:143]
	v_fmac_f64_e32 v[146:147], v[138:139], v[140:141]
	v_add_f64 v[144:145], v[144:145], v[146:147]
	s_waitcnt vmcnt(0)
	v_add_f64 v[4:5], v[4:5], -v[8:9]
	v_add_f64 v[6:7], v[6:7], -v[144:145]
	scratch_store_dwordx4 off, v[4:7], off offset:48
	s_and_saveexec_b64 s[2:3], vcc
	s_cbranch_execz .LBB16_111
; %bb.110:
	scratch_load_dwordx4 v[6:9], off, s14
	v_mov_b32_e32 v3, v2
	v_mov_b32_e32 v4, v2
	;; [unrolled: 1-line block ×3, first 2 shown]
	scratch_store_dwordx4 off, v[2:5], off offset:32
	s_waitcnt vmcnt(1)
	ds_write_b128 v82, v[6:9]
.LBB16_111:
	s_or_b64 exec, exec, s[2:3]
	s_waitcnt lgkmcnt(0)
	; wave barrier
	ds_read_b128 v[4:7], v2 offset:320
	ds_read_b128 v[8:11], v2 offset:336
	;; [unrolled: 1-line block ×4, first 2 shown]
	scratch_load_dwordx4 v[20:23], off, off offset:48
	scratch_load_dwordx4 v[40:43], off, off offset:112
	;; [unrolled: 1-line block ×8, first 2 shown]
	v_cmp_lt_u32_e32 vcc, 1, v1
	scratch_load_dwordx4 v[84:87], off, off offset:128
	scratch_load_dwordx4 v[92:95], off, off offset:144
	scratch_load_dwordx4 v[100:103], off, off offset:160
	s_waitcnt vmcnt(10) lgkmcnt(3)
	v_mul_f64 v[24:25], v[4:5], v[22:23]
	v_fmac_f64_e32 v[24:25], v[6:7], v[20:21]
	v_add_f64 v[28:29], v[24:25], 0
	scratch_load_dwordx4 v[24:27], off, off offset:64
	s_waitcnt vmcnt(0) lgkmcnt(2)
	v_mul_f64 v[30:31], v[8:9], v[26:27]
	v_fmac_f64_e32 v[30:31], v[10:11], v[24:25]
	v_add_f64 v[32:33], v[28:29], v[30:31]
	scratch_load_dwordx4 v[28:31], off, off offset:80
	;; [unrolled: 5-line block ×3, first 2 shown]
	s_waitcnt vmcnt(0) lgkmcnt(0)
	v_mul_f64 v[38:39], v[16:17], v[34:35]
	v_fmac_f64_e32 v[38:39], v[18:19], v[32:33]
	v_add_f64 v[44:45], v[36:37], v[38:39]
	ds_read_b128 v[36:39], v2 offset:384
	s_waitcnt lgkmcnt(0)
	v_mul_f64 v[46:47], v[36:37], v[42:43]
	v_fmac_f64_e32 v[46:47], v[38:39], v[40:41]
	v_add_f64 v[88:89], v[44:45], v[46:47]
	ds_read_b128 v[44:47], v2 offset:400
	s_waitcnt lgkmcnt(0)
	;; [unrolled: 5-line block ×10, first 2 shown]
	v_mul_f64 v[2:3], v[144:145], v[150:151]
	v_fmac_f64_e32 v[2:3], v[146:147], v[148:149]
	v_add_f64 v[152:153], v[152:153], v[2:3]
	v_mul_f64 v[2:3], v[6:7], v[22:23]
	v_fma_f64 v[2:3], v[4:5], v[20:21], -v[2:3]
	v_mul_f64 v[4:5], v[10:11], v[26:27]
	v_add_f64 v[2:3], v[2:3], 0
	v_fma_f64 v[4:5], v[8:9], v[24:25], -v[4:5]
	v_add_f64 v[2:3], v[2:3], v[4:5]
	v_mul_f64 v[4:5], v[14:15], v[30:31]
	v_fma_f64 v[4:5], v[12:13], v[28:29], -v[4:5]
	v_add_f64 v[2:3], v[2:3], v[4:5]
	v_mul_f64 v[4:5], v[18:19], v[34:35]
	;; [unrolled: 3-line block ×12, first 2 shown]
	v_fma_f64 v[4:5], v[144:145], v[148:149], -v[4:5]
	v_add_f64 v[6:7], v[2:3], v[4:5]
	scratch_load_dwordx4 v[2:5], off, off offset:32
	s_waitcnt vmcnt(0)
	v_add_f64 v[2:3], v[2:3], -v[6:7]
	v_add_f64 v[4:5], v[4:5], -v[152:153]
	scratch_store_dwordx4 off, v[2:5], off offset:32
	s_and_saveexec_b64 s[2:3], vcc
	s_cbranch_execz .LBB16_113
; %bb.112:
	scratch_load_dwordx4 v[2:5], off, s18
	v_mov_b32_e32 v6, 0
	v_mov_b32_e32 v7, v6
	;; [unrolled: 1-line block ×4, first 2 shown]
	scratch_store_dwordx4 off, v[6:9], off offset:16
	s_waitcnt vmcnt(1)
	ds_write_b128 v82, v[2:5]
.LBB16_113:
	s_or_b64 exec, exec, s[2:3]
	s_waitcnt lgkmcnt(0)
	; wave barrier
	scratch_load_dwordx4 v[4:7], off, off offset:32
	scratch_load_dwordx4 v[8:11], off, off offset:48
	;; [unrolled: 1-line block ×16, first 2 shown]
	v_mov_b32_e32 v2, 0
	ds_read_b128 v[104:107], v2 offset:304
	ds_read_b128 v[108:111], v2 offset:320
	;; [unrolled: 1-line block ×15, first 2 shown]
	v_cmp_ne_u32_e32 vcc, 0, v1
	s_waitcnt vmcnt(15) lgkmcnt(14)
	v_mul_f64 v[164:165], v[104:105], v[6:7]
	v_mul_f64 v[6:7], v[106:107], v[6:7]
	s_waitcnt vmcnt(14) lgkmcnt(13)
	v_mul_f64 v[166:167], v[108:109], v[10:11]
	v_mul_f64 v[10:11], v[110:111], v[10:11]
	v_fmac_f64_e32 v[164:165], v[106:107], v[4:5]
	v_fma_f64 v[4:5], v[104:105], v[4:5], -v[6:7]
	s_waitcnt vmcnt(13) lgkmcnt(12)
	v_mul_f64 v[168:169], v[112:113], v[14:15]
	v_mul_f64 v[14:15], v[114:115], v[14:15]
	v_fma_f64 v[6:7], v[108:109], v[8:9], -v[10:11]
	v_add_f64 v[4:5], v[4:5], 0
	s_waitcnt vmcnt(12) lgkmcnt(11)
	v_mul_f64 v[170:171], v[116:117], v[18:19]
	v_mul_f64 v[18:19], v[118:119], v[18:19]
	v_fmac_f64_e32 v[166:167], v[110:111], v[8:9]
	v_fma_f64 v[8:9], v[112:113], v[12:13], -v[14:15]
	v_add_f64 v[4:5], v[4:5], v[6:7]
	s_waitcnt vmcnt(11) lgkmcnt(10)
	v_mul_f64 v[172:173], v[120:121], v[22:23]
	v_mul_f64 v[22:23], v[122:123], v[22:23]
	v_fma_f64 v[10:11], v[116:117], v[16:17], -v[18:19]
	v_add_f64 v[4:5], v[4:5], v[8:9]
	s_waitcnt vmcnt(10) lgkmcnt(9)
	v_mul_f64 v[174:175], v[124:125], v[30:31]
	v_mul_f64 v[30:31], v[126:127], v[30:31]
	v_fmac_f64_e32 v[168:169], v[114:115], v[12:13]
	v_fma_f64 v[12:13], v[120:121], v[20:21], -v[22:23]
	v_add_f64 v[4:5], v[4:5], v[10:11]
	v_fma_f64 v[14:15], v[124:125], v[28:29], -v[30:31]
	v_add_f64 v[4:5], v[4:5], v[12:13]
	s_waitcnt vmcnt(9) lgkmcnt(8)
	v_mul_f64 v[8:9], v[130:131], v[26:27]
	v_add_f64 v[4:5], v[4:5], v[14:15]
	v_fma_f64 v[8:9], v[128:129], v[24:25], -v[8:9]
	v_add_f64 v[4:5], v[4:5], v[8:9]
	s_waitcnt vmcnt(8) lgkmcnt(7)
	v_mul_f64 v[8:9], v[134:135], v[34:35]
	v_fma_f64 v[8:9], v[132:133], v[32:33], -v[8:9]
	v_fmac_f64_e32 v[170:171], v[118:119], v[16:17]
	v_add_f64 v[16:17], v[164:165], 0
	v_add_f64 v[4:5], v[4:5], v[8:9]
	s_waitcnt vmcnt(7) lgkmcnt(6)
	v_mul_f64 v[8:9], v[138:139], v[38:39]
	v_add_f64 v[16:17], v[16:17], v[166:167]
	v_fma_f64 v[8:9], v[136:137], v[36:37], -v[8:9]
	v_add_f64 v[6:7], v[16:17], v[168:169]
	v_add_f64 v[4:5], v[4:5], v[8:9]
	s_waitcnt vmcnt(6) lgkmcnt(5)
	v_mul_f64 v[8:9], v[142:143], v[42:43]
	v_fmac_f64_e32 v[172:173], v[122:123], v[20:21]
	v_add_f64 v[6:7], v[6:7], v[170:171]
	v_fma_f64 v[8:9], v[140:141], v[40:41], -v[8:9]
	v_mul_f64 v[176:177], v[128:129], v[26:27]
	v_fmac_f64_e32 v[174:175], v[126:127], v[28:29]
	v_add_f64 v[6:7], v[6:7], v[172:173]
	v_add_f64 v[4:5], v[4:5], v[8:9]
	s_waitcnt vmcnt(5) lgkmcnt(4)
	v_mul_f64 v[8:9], v[146:147], v[46:47]
	v_mul_f64 v[178:179], v[132:133], v[34:35]
	v_fmac_f64_e32 v[176:177], v[130:131], v[24:25]
	v_add_f64 v[6:7], v[6:7], v[174:175]
	v_fma_f64 v[8:9], v[144:145], v[44:45], -v[8:9]
	v_mul_f64 v[180:181], v[136:137], v[38:39]
	v_fmac_f64_e32 v[178:179], v[134:135], v[32:33]
	v_add_f64 v[6:7], v[6:7], v[176:177]
	v_add_f64 v[4:5], v[4:5], v[8:9]
	s_waitcnt vmcnt(4) lgkmcnt(3)
	v_mul_f64 v[8:9], v[150:151], v[86:87]
	;; [unrolled: 10-line block ×4, first 2 shown]
	v_mul_f64 v[190:191], v[156:157], v[94:95]
	v_fmac_f64_e32 v[188:189], v[154:155], v[88:89]
	v_add_f64 v[6:7], v[6:7], v[186:187]
	v_fma_f64 v[8:9], v[156:157], v[92:93], -v[8:9]
	s_waitcnt vmcnt(1) lgkmcnt(0)
	v_mul_f64 v[192:193], v[160:161], v[98:99]
	v_fmac_f64_e32 v[190:191], v[158:159], v[92:93]
	v_add_f64 v[6:7], v[6:7], v[188:189]
	v_add_f64 v[4:5], v[4:5], v[8:9]
	v_mul_f64 v[8:9], v[162:163], v[98:99]
	v_fmac_f64_e32 v[192:193], v[162:163], v[96:97]
	v_add_f64 v[6:7], v[6:7], v[190:191]
	v_fma_f64 v[8:9], v[160:161], v[96:97], -v[8:9]
	v_add_f64 v[6:7], v[6:7], v[192:193]
	v_add_f64 v[4:5], v[4:5], v[8:9]
	s_waitcnt vmcnt(0)
	v_add_f64 v[4:5], v[100:101], -v[4:5]
	v_add_f64 v[6:7], v[102:103], -v[6:7]
	scratch_store_dwordx4 off, v[4:7], off offset:16
	s_and_saveexec_b64 s[2:3], vcc
	s_cbranch_execz .LBB16_115
; %bb.114:
	scratch_load_dwordx4 v[6:9], off, off
	v_mov_b32_e32 v3, v2
	v_mov_b32_e32 v4, v2
	;; [unrolled: 1-line block ×3, first 2 shown]
	scratch_store_dwordx4 off, v[2:5], off
	s_waitcnt vmcnt(1)
	ds_write_b128 v82, v[6:9]
.LBB16_115:
	s_or_b64 exec, exec, s[2:3]
	s_waitcnt lgkmcnt(0)
	; wave barrier
	scratch_load_dwordx4 v[4:7], off, off offset:16
	scratch_load_dwordx4 v[8:11], off, off offset:32
	;; [unrolled: 1-line block ×16, first 2 shown]
	ds_read_b128 v[102:105], v2 offset:288
	ds_read_b128 v[106:109], v2 offset:304
	ds_read_b128 v[110:113], v2 offset:320
	ds_read_b128 v[114:117], v2 offset:336
	ds_read_b128 v[118:121], v2 offset:352
	ds_read_b128 v[122:125], v2 offset:368
	ds_read_b128 v[126:129], v2 offset:384
	ds_read_b128 v[130:133], v2 offset:400
	ds_read_b128 v[134:137], v2 offset:416
	ds_read_b128 v[138:141], v2 offset:432
	ds_read_b128 v[142:145], v2 offset:448
	ds_read_b128 v[146:149], v2 offset:464
	ds_read_b128 v[150:153], v2 offset:480
	ds_read_b128 v[154:157], v2 offset:496
	ds_read_b128 v[158:161], v2 offset:512
	ds_read_b128 v[162:165], v2 offset:528
	scratch_load_dwordx4 v[166:169], off, off
	s_and_b64 vcc, exec, s[22:23]
	s_waitcnt vmcnt(16) lgkmcnt(14)
	v_mul_f64 v[2:3], v[102:103], v[6:7]
	s_waitcnt vmcnt(15)
	v_mul_f64 v[170:171], v[106:107], v[10:11]
	v_fmac_f64_e32 v[2:3], v[104:105], v[4:5]
	s_waitcnt vmcnt(14) lgkmcnt(13)
	v_mul_f64 v[172:173], v[110:111], v[18:19]
	v_fmac_f64_e32 v[170:171], v[108:109], v[8:9]
	v_add_f64 v[2:3], v[2:3], 0
	s_waitcnt vmcnt(13) lgkmcnt(12)
	v_mul_f64 v[174:175], v[114:115], v[14:15]
	v_fmac_f64_e32 v[172:173], v[112:113], v[16:17]
	v_add_f64 v[2:3], v[2:3], v[170:171]
	;; [unrolled: 4-line block ×10, first 2 shown]
	v_mul_f64 v[6:7], v[104:105], v[6:7]
	s_waitcnt vmcnt(4) lgkmcnt(3)
	v_mul_f64 v[192:193], v[150:151], v[88:89]
	v_fmac_f64_e32 v[190:191], v[148:149], v[82:83]
	v_add_f64 v[2:3], v[2:3], v[188:189]
	s_waitcnt vmcnt(3) lgkmcnt(2)
	v_mul_f64 v[194:195], v[154:155], v[92:93]
	v_mul_f64 v[10:11], v[108:109], v[10:11]
	v_fma_f64 v[4:5], v[102:103], v[4:5], -v[6:7]
	v_fmac_f64_e32 v[192:193], v[152:153], v[86:87]
	v_add_f64 v[2:3], v[2:3], v[190:191]
	s_waitcnt vmcnt(2) lgkmcnt(1)
	v_mul_f64 v[196:197], v[158:159], v[96:97]
	v_mul_f64 v[18:19], v[112:113], v[18:19]
	v_fma_f64 v[6:7], v[106:107], v[8:9], -v[10:11]
	v_fmac_f64_e32 v[194:195], v[156:157], v[90:91]
	v_add_f64 v[4:5], v[4:5], 0
	v_add_f64 v[2:3], v[2:3], v[192:193]
	s_waitcnt vmcnt(1) lgkmcnt(0)
	v_mul_f64 v[198:199], v[162:163], v[100:101]
	v_mul_f64 v[14:15], v[116:117], v[14:15]
	v_fma_f64 v[8:9], v[110:111], v[16:17], -v[18:19]
	v_fmac_f64_e32 v[196:197], v[160:161], v[94:95]
	v_add_f64 v[4:5], v[4:5], v[6:7]
	v_add_f64 v[2:3], v[2:3], v[194:195]
	v_mul_f64 v[26:27], v[120:121], v[26:27]
	v_fmac_f64_e32 v[198:199], v[164:165], v[98:99]
	v_fma_f64 v[10:11], v[114:115], v[12:13], -v[14:15]
	v_add_f64 v[4:5], v[4:5], v[8:9]
	v_add_f64 v[2:3], v[2:3], v[196:197]
	v_fma_f64 v[12:13], v[118:119], v[24:25], -v[26:27]
	v_add_f64 v[4:5], v[4:5], v[10:11]
	v_add_f64 v[6:7], v[2:3], v[198:199]
	v_mul_f64 v[2:3], v[124:125], v[22:23]
	v_add_f64 v[4:5], v[4:5], v[12:13]
	v_fma_f64 v[2:3], v[122:123], v[20:21], -v[2:3]
	v_add_f64 v[2:3], v[4:5], v[2:3]
	v_mul_f64 v[4:5], v[128:129], v[30:31]
	v_fma_f64 v[4:5], v[126:127], v[28:29], -v[4:5]
	v_add_f64 v[2:3], v[2:3], v[4:5]
	v_mul_f64 v[4:5], v[132:133], v[34:35]
	v_fma_f64 v[4:5], v[130:131], v[32:33], -v[4:5]
	v_add_f64 v[2:3], v[2:3], v[4:5]
	v_mul_f64 v[4:5], v[136:137], v[38:39]
	v_fma_f64 v[4:5], v[134:135], v[36:37], -v[4:5]
	v_add_f64 v[2:3], v[2:3], v[4:5]
	v_mul_f64 v[4:5], v[140:141], v[42:43]
	v_fma_f64 v[4:5], v[138:139], v[40:41], -v[4:5]
	v_add_f64 v[2:3], v[2:3], v[4:5]
	v_mul_f64 v[4:5], v[144:145], v[46:47]
	v_fma_f64 v[4:5], v[142:143], v[44:45], -v[4:5]
	v_add_f64 v[2:3], v[2:3], v[4:5]
	v_mul_f64 v[4:5], v[148:149], v[84:85]
	v_fma_f64 v[4:5], v[146:147], v[82:83], -v[4:5]
	v_add_f64 v[2:3], v[2:3], v[4:5]
	v_mul_f64 v[4:5], v[152:153], v[88:89]
	v_fma_f64 v[4:5], v[150:151], v[86:87], -v[4:5]
	v_add_f64 v[2:3], v[2:3], v[4:5]
	v_mul_f64 v[4:5], v[156:157], v[92:93]
	v_fma_f64 v[4:5], v[154:155], v[90:91], -v[4:5]
	v_add_f64 v[2:3], v[2:3], v[4:5]
	v_mul_f64 v[4:5], v[160:161], v[96:97]
	v_fma_f64 v[4:5], v[158:159], v[94:95], -v[4:5]
	v_add_f64 v[2:3], v[2:3], v[4:5]
	v_mul_f64 v[4:5], v[164:165], v[100:101]
	v_fma_f64 v[4:5], v[162:163], v[98:99], -v[4:5]
	v_add_f64 v[2:3], v[2:3], v[4:5]
	s_waitcnt vmcnt(0)
	v_add_f64 v[2:3], v[166:167], -v[2:3]
	v_add_f64 v[4:5], v[168:169], -v[6:7]
	scratch_store_dwordx4 off, v[2:5], off
	s_cbranch_vccz .LBB16_148
; %bb.116:
	s_nop 0
	v_mov_b32_e32 v2, 0
	global_load_dword v3, v2, s[20:21] offset:60
	s_load_dwordx2 s[2:3], s[0:1], 0x4
	v_bfe_u32 v4, v0, 10, 10
	v_bfe_u32 v0, v0, 20, 10
	s_waitcnt lgkmcnt(0)
	s_lshr_b32 s0, s2, 16
	s_mul_i32 s0, s0, s3
	v_mul_u32_u24_e32 v1, s0, v1
	v_mul_u32_u24_e32 v4, s3, v4
	v_add3_u32 v0, v1, v4, v0
	v_mov_b32_e32 v1, 0x228
	v_lshl_add_u32 v0, v0, 4, v1
	s_waitcnt vmcnt(0)
	v_readfirstlane_b32 s0, v3
	s_add_i32 s0, s0, -1
	s_cmp_lg_u32 s0, 15
	s_cbranch_scc0 .LBB16_118
; %bb.117:
	s_lshl_b32 s0, s0, 4
	scratch_load_dwordx4 v[4:7], off, s31
	scratch_load_dwordx4 v[8:11], off, s0
	s_waitcnt vmcnt(1)
	ds_write2_b64 v0, v[4:5], v[6:7] offset1:1
	s_waitcnt vmcnt(0)
	scratch_store_dwordx4 off, v[8:11], s31
	scratch_store_dwordx4 off, v[4:7], s0
.LBB16_118:
	global_load_dword v1, v2, s[20:21] offset:56
	s_waitcnt vmcnt(0)
	v_readfirstlane_b32 s0, v1
	s_add_i32 s0, s0, -1
	s_cmp_eq_u32 s0, 14
	s_cbranch_scc1 .LBB16_120
; %bb.119:
	s_lshl_b32 s0, s0, 4
	scratch_load_dwordx4 v[2:5], off, s34
	scratch_load_dwordx4 v[6:9], off, s0
	s_waitcnt vmcnt(1)
	ds_write2_b64 v0, v[2:3], v[4:5] offset1:1
	s_waitcnt vmcnt(0)
	scratch_store_dwordx4 off, v[6:9], s34
	scratch_store_dwordx4 off, v[2:5], s0
.LBB16_120:
	v_mov_b32_e32 v1, 0
	global_load_dword v2, v1, s[20:21] offset:52
	s_waitcnt vmcnt(0)
	v_readfirstlane_b32 s0, v2
	s_add_i32 s0, s0, -1
	s_cmp_eq_u32 s0, 13
	s_cbranch_scc1 .LBB16_122
; %bb.121:
	s_lshl_b32 s0, s0, 4
	scratch_load_dwordx4 v[2:5], off, s33
	scratch_load_dwordx4 v[6:9], off, s0
	s_waitcnt vmcnt(1)
	ds_write2_b64 v0, v[2:3], v[4:5] offset1:1
	s_waitcnt vmcnt(0)
	scratch_store_dwordx4 off, v[6:9], s33
	scratch_store_dwordx4 off, v[2:5], s0
.LBB16_122:
	global_load_dword v1, v1, s[20:21] offset:48
	s_waitcnt vmcnt(0)
	v_readfirstlane_b32 s0, v1
	s_add_i32 s0, s0, -1
	s_cmp_eq_u32 s0, 12
	s_cbranch_scc1 .LBB16_124
; %bb.123:
	s_lshl_b32 s0, s0, 4
	scratch_load_dwordx4 v[2:5], off, s29
	scratch_load_dwordx4 v[6:9], off, s0
	s_waitcnt vmcnt(1)
	ds_write2_b64 v0, v[2:3], v[4:5] offset1:1
	s_waitcnt vmcnt(0)
	scratch_store_dwordx4 off, v[6:9], s29
	scratch_store_dwordx4 off, v[2:5], s0
.LBB16_124:
	v_mov_b32_e32 v1, 0
	global_load_dword v2, v1, s[20:21] offset:44
	s_waitcnt vmcnt(0)
	v_readfirstlane_b32 s0, v2
	s_add_i32 s0, s0, -1
	s_cmp_eq_u32 s0, 11
	s_cbranch_scc1 .LBB16_126
; %bb.125:
	s_lshl_b32 s0, s0, 4
	scratch_load_dwordx4 v[2:5], off, s28
	scratch_load_dwordx4 v[6:9], off, s0
	s_waitcnt vmcnt(1)
	ds_write2_b64 v0, v[2:3], v[4:5] offset1:1
	s_waitcnt vmcnt(0)
	scratch_store_dwordx4 off, v[6:9], s28
	scratch_store_dwordx4 off, v[2:5], s0
.LBB16_126:
	global_load_dword v1, v1, s[20:21] offset:40
	s_waitcnt vmcnt(0)
	v_readfirstlane_b32 s0, v1
	s_add_i32 s0, s0, -1
	s_cmp_eq_u32 s0, 10
	s_cbranch_scc1 .LBB16_128
; %bb.127:
	s_lshl_b32 s0, s0, 4
	scratch_load_dwordx4 v[2:5], off, s26
	scratch_load_dwordx4 v[6:9], off, s0
	s_waitcnt vmcnt(1)
	ds_write2_b64 v0, v[2:3], v[4:5] offset1:1
	s_waitcnt vmcnt(0)
	scratch_store_dwordx4 off, v[6:9], s26
	scratch_store_dwordx4 off, v[2:5], s0
.LBB16_128:
	v_mov_b32_e32 v1, 0
	global_load_dword v2, v1, s[20:21] offset:36
	s_waitcnt vmcnt(0)
	v_readfirstlane_b32 s0, v2
	s_add_i32 s0, s0, -1
	s_cmp_eq_u32 s0, 9
	s_cbranch_scc1 .LBB16_130
; %bb.129:
	s_lshl_b32 s0, s0, 4
	scratch_load_dwordx4 v[2:5], off, s24
	scratch_load_dwordx4 v[6:9], off, s0
	s_waitcnt vmcnt(1)
	ds_write2_b64 v0, v[2:3], v[4:5] offset1:1
	s_waitcnt vmcnt(0)
	scratch_store_dwordx4 off, v[6:9], s24
	scratch_store_dwordx4 off, v[2:5], s0
.LBB16_130:
	global_load_dword v1, v1, s[20:21] offset:32
	s_waitcnt vmcnt(0)
	v_readfirstlane_b32 s0, v1
	s_add_i32 s0, s0, -1
	s_cmp_eq_u32 s0, 8
	s_cbranch_scc1 .LBB16_132
; %bb.131:
	s_lshl_b32 s0, s0, 4
	scratch_load_dwordx4 v[2:5], off, s19
	scratch_load_dwordx4 v[6:9], off, s0
	s_waitcnt vmcnt(1)
	ds_write2_b64 v0, v[2:3], v[4:5] offset1:1
	s_waitcnt vmcnt(0)
	scratch_store_dwordx4 off, v[6:9], s19
	scratch_store_dwordx4 off, v[2:5], s0
.LBB16_132:
	v_mov_b32_e32 v1, 0
	global_load_dword v2, v1, s[20:21] offset:28
	s_waitcnt vmcnt(0)
	v_readfirstlane_b32 s0, v2
	s_add_i32 s0, s0, -1
	s_cmp_eq_u32 s0, 7
	s_cbranch_scc1 .LBB16_134
; %bb.133:
	s_lshl_b32 s0, s0, 4
	scratch_load_dwordx4 v[2:5], off, s27
	scratch_load_dwordx4 v[6:9], off, s0
	s_waitcnt vmcnt(1)
	ds_write2_b64 v0, v[2:3], v[4:5] offset1:1
	s_waitcnt vmcnt(0)
	scratch_store_dwordx4 off, v[6:9], s27
	scratch_store_dwordx4 off, v[2:5], s0
.LBB16_134:
	global_load_dword v1, v1, s[20:21] offset:24
	s_waitcnt vmcnt(0)
	v_readfirstlane_b32 s0, v1
	s_add_i32 s0, s0, -1
	s_cmp_eq_u32 s0, 6
	s_cbranch_scc1 .LBB16_136
; %bb.135:
	s_lshl_b32 s0, s0, 4
	scratch_load_dwordx4 v[2:5], off, s25
	scratch_load_dwordx4 v[6:9], off, s0
	s_waitcnt vmcnt(1)
	ds_write2_b64 v0, v[2:3], v[4:5] offset1:1
	s_waitcnt vmcnt(0)
	scratch_store_dwordx4 off, v[6:9], s25
	scratch_store_dwordx4 off, v[2:5], s0
.LBB16_136:
	v_mov_b32_e32 v1, 0
	global_load_dword v2, v1, s[20:21] offset:20
	s_waitcnt vmcnt(0)
	v_readfirstlane_b32 s0, v2
	s_add_i32 s0, s0, -1
	s_cmp_eq_u32 s0, 5
	s_cbranch_scc1 .LBB16_138
; %bb.137:
	s_lshl_b32 s0, s0, 4
	scratch_load_dwordx4 v[2:5], off, s17
	scratch_load_dwordx4 v[6:9], off, s0
	s_waitcnt vmcnt(1)
	ds_write2_b64 v0, v[2:3], v[4:5] offset1:1
	s_waitcnt vmcnt(0)
	scratch_store_dwordx4 off, v[6:9], s17
	scratch_store_dwordx4 off, v[2:5], s0
.LBB16_138:
	global_load_dword v1, v1, s[20:21] offset:16
	s_waitcnt vmcnt(0)
	v_readfirstlane_b32 s0, v1
	s_add_i32 s0, s0, -1
	s_cmp_eq_u32 s0, 4
	s_cbranch_scc1 .LBB16_140
; %bb.139:
	s_lshl_b32 s0, s0, 4
	scratch_load_dwordx4 v[2:5], off, s16
	scratch_load_dwordx4 v[6:9], off, s0
	s_waitcnt vmcnt(1)
	ds_write2_b64 v0, v[2:3], v[4:5] offset1:1
	s_waitcnt vmcnt(0)
	scratch_store_dwordx4 off, v[6:9], s16
	scratch_store_dwordx4 off, v[2:5], s0
.LBB16_140:
	v_mov_b32_e32 v1, 0
	global_load_dword v2, v1, s[20:21] offset:12
	s_waitcnt vmcnt(0)
	v_readfirstlane_b32 s0, v2
	s_add_i32 s0, s0, -1
	s_cmp_eq_u32 s0, 3
	s_cbranch_scc1 .LBB16_142
; %bb.141:
	s_lshl_b32 s0, s0, 4
	scratch_load_dwordx4 v[2:5], off, s15
	scratch_load_dwordx4 v[6:9], off, s0
	s_waitcnt vmcnt(1)
	ds_write2_b64 v0, v[2:3], v[4:5] offset1:1
	s_waitcnt vmcnt(0)
	scratch_store_dwordx4 off, v[6:9], s15
	scratch_store_dwordx4 off, v[2:5], s0
.LBB16_142:
	global_load_dword v1, v1, s[20:21] offset:8
	s_waitcnt vmcnt(0)
	v_readfirstlane_b32 s0, v1
	s_add_i32 s0, s0, -1
	s_cmp_eq_u32 s0, 2
	s_cbranch_scc1 .LBB16_144
; %bb.143:
	s_lshl_b32 s0, s0, 4
	scratch_load_dwordx4 v[2:5], off, s14
	scratch_load_dwordx4 v[6:9], off, s0
	s_waitcnt vmcnt(1)
	ds_write2_b64 v0, v[2:3], v[4:5] offset1:1
	s_waitcnt vmcnt(0)
	scratch_store_dwordx4 off, v[6:9], s14
	scratch_store_dwordx4 off, v[2:5], s0
.LBB16_144:
	v_mov_b32_e32 v1, 0
	global_load_dword v2, v1, s[20:21] offset:4
	s_waitcnt vmcnt(0)
	v_readfirstlane_b32 s0, v2
	s_add_i32 s0, s0, -1
	s_cmp_eq_u32 s0, 1
	s_cbranch_scc1 .LBB16_146
; %bb.145:
	s_lshl_b32 s0, s0, 4
	scratch_load_dwordx4 v[2:5], off, s18
	scratch_load_dwordx4 v[6:9], off, s0
	s_waitcnt vmcnt(1)
	ds_write2_b64 v0, v[2:3], v[4:5] offset1:1
	s_waitcnt vmcnt(0)
	scratch_store_dwordx4 off, v[6:9], s18
	scratch_store_dwordx4 off, v[2:5], s0
.LBB16_146:
	global_load_dword v1, v1, s[20:21]
	s_waitcnt vmcnt(0)
	v_readfirstlane_b32 s0, v1
	s_add_i32 s0, s0, -1
	s_cmp_eq_u32 s0, 0
	s_cbranch_scc1 .LBB16_148
; %bb.147:
	s_lshl_b32 s0, s0, 4
	scratch_load_dwordx4 v[2:5], off, off
	scratch_load_dwordx4 v[6:9], off, s0
	s_waitcnt vmcnt(1)
	ds_write2_b64 v0, v[2:3], v[4:5] offset1:1
	s_waitcnt vmcnt(0)
	scratch_store_dwordx4 off, v[6:9], off
	scratch_store_dwordx4 off, v[2:5], s0
.LBB16_148:
	scratch_load_dwordx4 v[0:3], off, off
	s_nop 0
	scratch_load_dwordx4 v[4:7], off, s18
	scratch_load_dwordx4 v[8:11], off, s14
	scratch_load_dwordx4 v[12:15], off, s15
	scratch_load_dwordx4 v[16:19], off, s16
	scratch_load_dwordx4 v[20:23], off, s17
	scratch_load_dwordx4 v[24:27], off, s25
	scratch_load_dwordx4 v[28:31], off, s27
	scratch_load_dwordx4 v[32:35], off, s19
	scratch_load_dwordx4 v[36:39], off, s24
	scratch_load_dwordx4 v[40:43], off, s26
	scratch_load_dwordx4 v[44:47], off, s28
	scratch_load_dwordx4 v[82:85], off, s29
	scratch_load_dwordx4 v[86:89], off, s33
	scratch_load_dwordx4 v[90:93], off, s34
	scratch_load_dwordx4 v[94:97], off, s31
                                        ; kill: killed $sgpr34
                                        ; kill: killed $sgpr18
                                        ; kill: killed $sgpr27
                                        ; kill: killed $sgpr33
                                        ; kill: killed $sgpr25
                                        ; kill: killed $sgpr29
                                        ; kill: killed $sgpr17
                                        ; kill: killed $sgpr28
                                        ; kill: killed $sgpr16
                                        ; kill: killed $sgpr26
                                        ; kill: killed $sgpr15
                                        ; kill: killed $sgpr24
                                        ; kill: killed $sgpr31
                                        ; kill: killed $sgpr14
                                        ; kill: killed $sgpr19
	scratch_load_dwordx4 v[98:101], off, s30
	s_waitcnt vmcnt(16)
	global_store_dwordx4 v[48:49], v[0:3], off
	s_waitcnt vmcnt(16)
	global_store_dwordx4 v[50:51], v[4:7], off
	;; [unrolled: 2-line block ×17, first 2 shown]
	s_endpgm
	.section	.rodata,"a",@progbits
	.p2align	6, 0x0
	.amdhsa_kernel _ZN9rocsolver6v33100L18getri_kernel_smallILi17E19rocblas_complex_numIdEPS3_EEvT1_iilPiilS6_bb
		.amdhsa_group_segment_fixed_size 1576
		.amdhsa_private_segment_fixed_size 288
		.amdhsa_kernarg_size 60
		.amdhsa_user_sgpr_count 4
		.amdhsa_user_sgpr_dispatch_ptr 1
		.amdhsa_user_sgpr_queue_ptr 0
		.amdhsa_user_sgpr_kernarg_segment_ptr 1
		.amdhsa_user_sgpr_dispatch_id 0
		.amdhsa_user_sgpr_kernarg_preload_length 0
		.amdhsa_user_sgpr_kernarg_preload_offset 0
		.amdhsa_user_sgpr_private_segment_size 0
		.amdhsa_uses_dynamic_stack 0
		.amdhsa_enable_private_segment 1
		.amdhsa_system_sgpr_workgroup_id_x 1
		.amdhsa_system_sgpr_workgroup_id_y 0
		.amdhsa_system_sgpr_workgroup_id_z 0
		.amdhsa_system_sgpr_workgroup_info 0
		.amdhsa_system_vgpr_workitem_id 2
		.amdhsa_next_free_vgpr 200
		.amdhsa_next_free_sgpr 35
		.amdhsa_accum_offset 200
		.amdhsa_reserve_vcc 1
		.amdhsa_float_round_mode_32 0
		.amdhsa_float_round_mode_16_64 0
		.amdhsa_float_denorm_mode_32 3
		.amdhsa_float_denorm_mode_16_64 3
		.amdhsa_dx10_clamp 1
		.amdhsa_ieee_mode 1
		.amdhsa_fp16_overflow 0
		.amdhsa_tg_split 0
		.amdhsa_exception_fp_ieee_invalid_op 0
		.amdhsa_exception_fp_denorm_src 0
		.amdhsa_exception_fp_ieee_div_zero 0
		.amdhsa_exception_fp_ieee_overflow 0
		.amdhsa_exception_fp_ieee_underflow 0
		.amdhsa_exception_fp_ieee_inexact 0
		.amdhsa_exception_int_div_zero 0
	.end_amdhsa_kernel
	.section	.text._ZN9rocsolver6v33100L18getri_kernel_smallILi17E19rocblas_complex_numIdEPS3_EEvT1_iilPiilS6_bb,"axG",@progbits,_ZN9rocsolver6v33100L18getri_kernel_smallILi17E19rocblas_complex_numIdEPS3_EEvT1_iilPiilS6_bb,comdat
.Lfunc_end16:
	.size	_ZN9rocsolver6v33100L18getri_kernel_smallILi17E19rocblas_complex_numIdEPS3_EEvT1_iilPiilS6_bb, .Lfunc_end16-_ZN9rocsolver6v33100L18getri_kernel_smallILi17E19rocblas_complex_numIdEPS3_EEvT1_iilPiilS6_bb
                                        ; -- End function
	.set _ZN9rocsolver6v33100L18getri_kernel_smallILi17E19rocblas_complex_numIdEPS3_EEvT1_iilPiilS6_bb.num_vgpr, 200
	.set _ZN9rocsolver6v33100L18getri_kernel_smallILi17E19rocblas_complex_numIdEPS3_EEvT1_iilPiilS6_bb.num_agpr, 0
	.set _ZN9rocsolver6v33100L18getri_kernel_smallILi17E19rocblas_complex_numIdEPS3_EEvT1_iilPiilS6_bb.numbered_sgpr, 35
	.set _ZN9rocsolver6v33100L18getri_kernel_smallILi17E19rocblas_complex_numIdEPS3_EEvT1_iilPiilS6_bb.num_named_barrier, 0
	.set _ZN9rocsolver6v33100L18getri_kernel_smallILi17E19rocblas_complex_numIdEPS3_EEvT1_iilPiilS6_bb.private_seg_size, 288
	.set _ZN9rocsolver6v33100L18getri_kernel_smallILi17E19rocblas_complex_numIdEPS3_EEvT1_iilPiilS6_bb.uses_vcc, 1
	.set _ZN9rocsolver6v33100L18getri_kernel_smallILi17E19rocblas_complex_numIdEPS3_EEvT1_iilPiilS6_bb.uses_flat_scratch, 0
	.set _ZN9rocsolver6v33100L18getri_kernel_smallILi17E19rocblas_complex_numIdEPS3_EEvT1_iilPiilS6_bb.has_dyn_sized_stack, 0
	.set _ZN9rocsolver6v33100L18getri_kernel_smallILi17E19rocblas_complex_numIdEPS3_EEvT1_iilPiilS6_bb.has_recursion, 0
	.set _ZN9rocsolver6v33100L18getri_kernel_smallILi17E19rocblas_complex_numIdEPS3_EEvT1_iilPiilS6_bb.has_indirect_call, 0
	.section	.AMDGPU.csdata,"",@progbits
; Kernel info:
; codeLenInByte = 17116
; TotalNumSgprs: 41
; NumVgprs: 200
; NumAgprs: 0
; TotalNumVgprs: 200
; ScratchSize: 288
; MemoryBound: 0
; FloatMode: 240
; IeeeMode: 1
; LDSByteSize: 1576 bytes/workgroup (compile time only)
; SGPRBlocks: 5
; VGPRBlocks: 24
; NumSGPRsForWavesPerEU: 41
; NumVGPRsForWavesPerEU: 200
; AccumOffset: 200
; Occupancy: 2
; WaveLimiterHint : 1
; COMPUTE_PGM_RSRC2:SCRATCH_EN: 1
; COMPUTE_PGM_RSRC2:USER_SGPR: 4
; COMPUTE_PGM_RSRC2:TRAP_HANDLER: 0
; COMPUTE_PGM_RSRC2:TGID_X_EN: 1
; COMPUTE_PGM_RSRC2:TGID_Y_EN: 0
; COMPUTE_PGM_RSRC2:TGID_Z_EN: 0
; COMPUTE_PGM_RSRC2:TIDIG_COMP_CNT: 2
; COMPUTE_PGM_RSRC3_GFX90A:ACCUM_OFFSET: 49
; COMPUTE_PGM_RSRC3_GFX90A:TG_SPLIT: 0
	.section	.text._ZN9rocsolver6v33100L18getri_kernel_smallILi18E19rocblas_complex_numIdEPS3_EEvT1_iilPiilS6_bb,"axG",@progbits,_ZN9rocsolver6v33100L18getri_kernel_smallILi18E19rocblas_complex_numIdEPS3_EEvT1_iilPiilS6_bb,comdat
	.globl	_ZN9rocsolver6v33100L18getri_kernel_smallILi18E19rocblas_complex_numIdEPS3_EEvT1_iilPiilS6_bb ; -- Begin function _ZN9rocsolver6v33100L18getri_kernel_smallILi18E19rocblas_complex_numIdEPS3_EEvT1_iilPiilS6_bb
	.p2align	8
	.type	_ZN9rocsolver6v33100L18getri_kernel_smallILi18E19rocblas_complex_numIdEPS3_EEvT1_iilPiilS6_bb,@function
_ZN9rocsolver6v33100L18getri_kernel_smallILi18E19rocblas_complex_numIdEPS3_EEvT1_iilPiilS6_bb: ; @_ZN9rocsolver6v33100L18getri_kernel_smallILi18E19rocblas_complex_numIdEPS3_EEvT1_iilPiilS6_bb
; %bb.0:
	v_and_b32_e32 v1, 0x3ff, v0
	v_cmp_gt_u32_e32 vcc, 18, v1
	s_and_saveexec_b64 s[6:7], vcc
	s_cbranch_execz .LBB17_86
; %bb.1:
	s_load_dword s6, s[2:3], 0x38
	s_load_dwordx4 s[16:19], s[2:3], 0x10
	s_load_dwordx4 s[8:11], s[2:3], 0x28
                                        ; implicit-def: $sgpr20_sgpr21
	s_waitcnt lgkmcnt(0)
	s_bitcmp1_b32 s6, 8
	s_cselect_b64 s[22:23], -1, 0
	s_ashr_i32 s5, s4, 31
	s_bfe_u32 s6, s6, 0x10008
	s_cmp_eq_u32 s6, 0
	s_cbranch_scc1 .LBB17_3
; %bb.2:
	s_load_dword s6, s[2:3], 0x20
	s_mul_i32 s7, s8, s5
	s_mul_hi_u32 s12, s8, s4
	s_mul_i32 s9, s9, s4
	s_add_i32 s12, s12, s7
	s_add_i32 s9, s12, s9
	s_mul_i32 s8, s8, s4
	s_waitcnt lgkmcnt(0)
	s_ashr_i32 s7, s6, 31
	s_lshl_b64 s[8:9], s[8:9], 2
	s_add_u32 s8, s18, s8
	s_addc_u32 s9, s19, s9
	s_lshl_b64 s[6:7], s[6:7], 2
	s_add_u32 s20, s8, s6
	s_addc_u32 s21, s9, s7
.LBB17_3:
	s_load_dwordx4 s[12:15], s[2:3], 0x0
	s_load_dword s6, s[2:3], 0x38
	s_mul_i32 s7, s16, s5
	s_mul_hi_u32 s8, s16, s4
	s_add_i32 s7, s8, s7
	s_mul_i32 s8, s17, s4
	s_add_i32 s9, s7, s8
	s_mul_i32 s8, s16, s4
	s_waitcnt lgkmcnt(0)
	s_ashr_i32 s3, s14, 31
	s_lshl_b64 s[8:9], s[8:9], 4
	s_mov_b32 s2, s14
	s_add_u32 s7, s12, s8
	s_addc_u32 s8, s13, s9
	s_lshl_b64 s[2:3], s[2:3], 4
	s_add_u32 s2, s7, s2
	s_addc_u32 s3, s8, s3
	s_add_i32 s7, s15, s15
	v_add_u32_e32 v16, s7, v1
	v_ashrrev_i32_e32 v17, 31, v16
	v_lshl_add_u64 v[52:53], v[16:17], 4, s[2:3]
	v_add_u32_e32 v16, s15, v16
	v_add_u32_e32 v24, s15, v16
	v_ashrrev_i32_e32 v25, 31, v24
	v_lshl_add_u64 v[56:57], v[24:25], 4, s[2:3]
	v_add_u32_e32 v24, s15, v24
	v_ashrrev_i32_e32 v25, 31, v24
	v_lshl_add_u64 v[58:59], v[24:25], 4, s[2:3]
	v_add_u32_e32 v24, s15, v24
	v_add_u32_e32 v32, s15, v24
	;; [unrolled: 1-line block ×7, first 2 shown]
	v_ashrrev_i32_e32 v75, 31, v74
	v_lshl_add_u64 v[72:73], v[74:75], 4, s[2:3]
	v_add_u32_e32 v74, s15, v74
	v_add_u32_e32 v76, s15, v74
	;; [unrolled: 1-line block ×4, first 2 shown]
	v_lshlrev_b32_e32 v14, 4, v1
	v_mov_b32_e32 v15, 0
	v_add_u32_e32 v82, s15, v80
	v_lshl_add_u64 v[48:49], s[2:3], 0, v[14:15]
	s_ashr_i32 s9, s15, 31
	s_mov_b32 s8, s15
	v_ashrrev_i32_e32 v17, 31, v16
	v_ashrrev_i32_e32 v33, 31, v32
	;; [unrolled: 1-line block ×9, first 2 shown]
	v_lshl_add_u64 v[50:51], s[8:9], 4, v[48:49]
	v_lshl_add_u64 v[54:55], v[16:17], 4, s[2:3]
	v_ashrrev_i32_e32 v25, 31, v24
	v_lshl_add_u64 v[62:63], v[32:33], 4, s[2:3]
	v_ashrrev_i32_e32 v35, 31, v34
	;; [unrolled: 2-line block ×3, first 2 shown]
	v_lshl_add_u64 v[70:71], v[70:71], 4, s[2:3]
	v_lshl_add_u64 v[74:75], v[74:75], 4, s[2:3]
	;; [unrolled: 1-line block ×6, first 2 shown]
	global_load_dwordx4 v[2:5], v14, s[2:3]
	global_load_dwordx4 v[6:9], v[50:51], off
	global_load_dwordx4 v[10:13], v[52:53], off
	;; [unrolled: 1-line block ×4, first 2 shown]
	v_lshl_add_u64 v[60:61], v[24:25], 4, s[2:3]
	global_load_dwordx4 v[24:27], v[58:59], off
	global_load_dwordx4 v[28:31], v[60:61], off
	v_lshl_add_u64 v[64:65], v[34:35], 4, s[2:3]
	global_load_dwordx4 v[32:35], v[62:63], off
	global_load_dwordx4 v[36:39], v[64:65], off
	;; [unrolled: 3-line block ×3, first 2 shown]
	global_load_dwordx4 v[84:87], v[70:71], off
	global_load_dwordx4 v[88:91], v[72:73], off
	;; [unrolled: 1-line block ×7, first 2 shown]
	s_mov_b32 s15, 16
	s_mov_b32 s14, 32
	;; [unrolled: 1-line block ×4, first 2 shown]
	s_movk_i32 s19, 0x50
	s_movk_i32 s25, 0x60
	;; [unrolled: 1-line block ×13, first 2 shown]
	s_bitcmp0_b32 s6, 0
	s_mov_b64 s[6:7], -1
	s_waitcnt vmcnt(17)
	scratch_store_dwordx4 off, v[2:5], off
	s_waitcnt vmcnt(17)
	scratch_store_dwordx4 off, v[6:9], off offset:16
	s_waitcnt vmcnt(17)
	scratch_store_dwordx4 off, v[10:13], off offset:32
	;; [unrolled: 2-line block ×17, first 2 shown]
	s_cbranch_scc1 .LBB17_84
; %bb.4:
	v_cmp_eq_u32_e64 s[2:3], 0, v1
	s_and_saveexec_b64 s[6:7], s[2:3]
; %bb.5:
	v_mov_b32_e32 v2, 0
	ds_write_b32 v2, v2 offset:576
; %bb.6:
	s_or_b64 exec, exec, s[6:7]
	s_waitcnt lgkmcnt(0)
	; wave barrier
	scratch_load_dwordx4 v[2:5], v14, off
	s_waitcnt vmcnt(0)
	v_cmp_eq_f64_e32 vcc, 0, v[2:3]
	v_cmp_eq_f64_e64 s[6:7], 0, v[4:5]
	s_and_b64 s[6:7], vcc, s[6:7]
	s_and_saveexec_b64 s[8:9], s[6:7]
	s_cbranch_execz .LBB17_10
; %bb.7:
	v_mov_b32_e32 v2, 0
	ds_read_b32 v4, v2 offset:576
	v_add_u32_e32 v3, 1, v1
	s_waitcnt lgkmcnt(0)
	v_readfirstlane_b32 s6, v4
	s_cmp_eq_u32 s6, 0
	s_cselect_b64 s[12:13], -1, 0
	v_cmp_gt_i32_e32 vcc, s6, v3
	s_or_b64 s[12:13], s[12:13], vcc
	s_and_b64 exec, exec, s[12:13]
	s_cbranch_execz .LBB17_10
; %bb.8:
	s_mov_b64 s[12:13], 0
	v_mov_b32_e32 v4, s6
.LBB17_9:                               ; =>This Inner Loop Header: Depth=1
	ds_cmpst_rtn_b32 v4, v2, v4, v3 offset:576
	s_waitcnt lgkmcnt(0)
	v_cmp_ne_u32_e32 vcc, 0, v4
	v_cmp_le_i32_e64 s[6:7], v4, v3
	s_and_b64 s[6:7], vcc, s[6:7]
	s_and_b64 s[6:7], exec, s[6:7]
	s_or_b64 s[12:13], s[6:7], s[12:13]
	s_andn2_b64 exec, exec, s[12:13]
	s_cbranch_execnz .LBB17_9
.LBB17_10:
	s_or_b64 exec, exec, s[8:9]
	v_mov_b32_e32 v3, 0
	; wave barrier
	ds_read_b32 v2, v3 offset:576
	s_and_saveexec_b64 s[6:7], s[2:3]
	s_cbranch_execz .LBB17_12
; %bb.11:
	s_lshl_b64 s[8:9], s[4:5], 2
	s_add_u32 s8, s10, s8
	s_addc_u32 s9, s11, s9
	s_waitcnt lgkmcnt(0)
	global_store_dword v3, v2, s[8:9]
.LBB17_12:
	s_or_b64 exec, exec, s[6:7]
	s_waitcnt lgkmcnt(0)
	v_cmp_ne_u32_e32 vcc, 0, v2
	s_mov_b64 s[6:7], 0
	s_cbranch_vccnz .LBB17_84
; %bb.13:
	v_mov_b32_e32 v15, v14
	scratch_load_dwordx4 v[2:5], v15, off
                                        ; implicit-def: $vgpr6_vgpr7
                                        ; implicit-def: $vgpr10_vgpr11
	s_waitcnt vmcnt(0)
	v_cmp_ngt_f64_e64 s[6:7], |v[2:3]|, |v[4:5]|
	s_and_saveexec_b64 s[8:9], s[6:7]
	s_xor_b64 s[6:7], exec, s[8:9]
	s_cbranch_execz .LBB17_15
; %bb.14:
	v_div_scale_f64 v[6:7], s[8:9], v[4:5], v[4:5], v[2:3]
	v_rcp_f64_e32 v[8:9], v[6:7]
	v_div_scale_f64 v[10:11], vcc, v[2:3], v[4:5], v[2:3]
	v_fma_f64 v[12:13], -v[6:7], v[8:9], 1.0
	v_fmac_f64_e32 v[8:9], v[8:9], v[12:13]
	v_fma_f64 v[12:13], -v[6:7], v[8:9], 1.0
	v_fmac_f64_e32 v[8:9], v[8:9], v[12:13]
	v_mul_f64 v[12:13], v[10:11], v[8:9]
	v_fma_f64 v[6:7], -v[6:7], v[12:13], v[10:11]
	v_div_fmas_f64 v[6:7], v[6:7], v[8:9], v[12:13]
	v_div_fixup_f64 v[6:7], v[6:7], v[4:5], v[2:3]
	v_fmac_f64_e32 v[4:5], v[2:3], v[6:7]
	v_div_scale_f64 v[2:3], s[8:9], v[4:5], v[4:5], 1.0
	v_rcp_f64_e32 v[8:9], v[2:3]
	s_nop 0
	v_fma_f64 v[10:11], -v[2:3], v[8:9], 1.0
	v_fmac_f64_e32 v[8:9], v[8:9], v[10:11]
	v_fma_f64 v[10:11], -v[2:3], v[8:9], 1.0
	v_fmac_f64_e32 v[8:9], v[8:9], v[10:11]
	v_div_scale_f64 v[10:11], vcc, 1.0, v[4:5], 1.0
	v_mul_f64 v[12:13], v[10:11], v[8:9]
	v_fma_f64 v[2:3], -v[2:3], v[12:13], v[10:11]
	s_nop 1
	v_div_fmas_f64 v[2:3], v[2:3], v[8:9], v[12:13]
	v_div_fixup_f64 v[8:9], v[2:3], v[4:5], 1.0
	v_mul_f64 v[6:7], v[6:7], v[8:9]
	v_xor_b32_e32 v9, 0x80000000, v9
	v_xor_b32_e32 v11, 0x80000000, v7
	v_mov_b32_e32 v10, v6
                                        ; implicit-def: $vgpr2_vgpr3
.LBB17_15:
	s_andn2_saveexec_b64 s[6:7], s[6:7]
	s_cbranch_execz .LBB17_17
; %bb.16:
	v_div_scale_f64 v[6:7], s[8:9], v[2:3], v[2:3], v[4:5]
	v_rcp_f64_e32 v[8:9], v[6:7]
	v_div_scale_f64 v[10:11], vcc, v[4:5], v[2:3], v[4:5]
	v_fma_f64 v[12:13], -v[6:7], v[8:9], 1.0
	v_fmac_f64_e32 v[8:9], v[8:9], v[12:13]
	v_fma_f64 v[12:13], -v[6:7], v[8:9], 1.0
	v_fmac_f64_e32 v[8:9], v[8:9], v[12:13]
	v_mul_f64 v[12:13], v[10:11], v[8:9]
	v_fma_f64 v[6:7], -v[6:7], v[12:13], v[10:11]
	v_div_fmas_f64 v[6:7], v[6:7], v[8:9], v[12:13]
	v_div_fixup_f64 v[8:9], v[6:7], v[2:3], v[4:5]
	v_fmac_f64_e32 v[2:3], v[4:5], v[8:9]
	v_div_scale_f64 v[4:5], s[8:9], v[2:3], v[2:3], 1.0
	v_rcp_f64_e32 v[6:7], v[4:5]
	s_nop 0
	v_fma_f64 v[10:11], -v[4:5], v[6:7], 1.0
	v_fmac_f64_e32 v[6:7], v[6:7], v[10:11]
	v_fma_f64 v[10:11], -v[4:5], v[6:7], 1.0
	v_fmac_f64_e32 v[6:7], v[6:7], v[10:11]
	v_div_scale_f64 v[10:11], vcc, 1.0, v[2:3], 1.0
	v_mul_f64 v[12:13], v[10:11], v[6:7]
	v_fma_f64 v[4:5], -v[4:5], v[12:13], v[10:11]
	s_nop 1
	v_div_fmas_f64 v[4:5], v[4:5], v[6:7], v[12:13]
	v_div_fixup_f64 v[6:7], v[4:5], v[2:3], 1.0
	v_xor_b32_e32 v11, 0x80000000, v7
	v_mov_b32_e32 v10, v6
	v_mul_f64 v[8:9], v[8:9], -v[6:7]
.LBB17_17:
	s_or_b64 exec, exec, s[6:7]
	scratch_store_dwordx4 v15, v[6:9], off
	scratch_load_dwordx4 v[2:5], off, s15
	v_xor_b32_e32 v13, 0x80000000, v9
	v_mov_b32_e32 v12, v8
	v_add_u32_e32 v6, 0x120, v14
	ds_write_b128 v14, v[10:13]
	s_waitcnt vmcnt(0)
	ds_write_b128 v14, v[2:5] offset:288
	s_waitcnt lgkmcnt(0)
	; wave barrier
	s_and_saveexec_b64 s[6:7], s[2:3]
	s_cbranch_execz .LBB17_19
; %bb.18:
	scratch_load_dwordx4 v[2:5], v15, off
	ds_read_b128 v[8:11], v6
	v_mov_b32_e32 v7, 0
	ds_read_b128 v[16:19], v7 offset:16
	s_waitcnt vmcnt(0) lgkmcnt(1)
	v_mul_f64 v[12:13], v[10:11], v[4:5]
	v_mul_f64 v[4:5], v[8:9], v[4:5]
	v_fma_f64 v[8:9], v[8:9], v[2:3], -v[12:13]
	v_fmac_f64_e32 v[4:5], v[10:11], v[2:3]
	v_add_f64 v[2:3], v[8:9], 0
	v_add_f64 v[8:9], v[4:5], 0
	s_waitcnt lgkmcnt(0)
	v_mul_f64 v[10:11], v[8:9], v[18:19]
	v_mul_f64 v[4:5], v[2:3], v[18:19]
	v_fma_f64 v[2:3], v[2:3], v[16:17], -v[10:11]
	v_fmac_f64_e32 v[4:5], v[8:9], v[16:17]
	scratch_store_dwordx4 off, v[2:5], off offset:16
.LBB17_19:
	s_or_b64 exec, exec, s[6:7]
	; wave barrier
	scratch_load_dwordx4 v[2:5], off, s14
	v_cmp_gt_u32_e32 vcc, 2, v1
	s_waitcnt vmcnt(0)
	ds_write_b128 v6, v[2:5]
	s_waitcnt lgkmcnt(0)
	; wave barrier
	s_and_saveexec_b64 s[6:7], vcc
	s_cbranch_execz .LBB17_23
; %bb.20:
	scratch_load_dwordx4 v[2:5], v15, off
	ds_read_b128 v[8:11], v6
	s_waitcnt vmcnt(0) lgkmcnt(0)
	v_mul_f64 v[12:13], v[10:11], v[4:5]
	v_mul_f64 v[16:17], v[8:9], v[4:5]
	v_fma_f64 v[4:5], v[8:9], v[2:3], -v[12:13]
	v_fmac_f64_e32 v[16:17], v[10:11], v[2:3]
	v_add_f64 v[4:5], v[4:5], 0
	v_add_f64 v[2:3], v[16:17], 0
	s_and_saveexec_b64 s[8:9], s[2:3]
	s_cbranch_execz .LBB17_22
; %bb.21:
	scratch_load_dwordx4 v[8:11], off, off offset:16
	v_mov_b32_e32 v7, 0
	ds_read_b128 v[16:19], v7 offset:304
	s_waitcnt vmcnt(0) lgkmcnt(0)
	v_mul_f64 v[12:13], v[16:17], v[10:11]
	v_mul_f64 v[10:11], v[18:19], v[10:11]
	v_fmac_f64_e32 v[12:13], v[18:19], v[8:9]
	v_fma_f64 v[8:9], v[16:17], v[8:9], -v[10:11]
	v_add_f64 v[2:3], v[2:3], v[12:13]
	v_add_f64 v[4:5], v[4:5], v[8:9]
.LBB17_22:
	s_or_b64 exec, exec, s[8:9]
	v_mov_b32_e32 v7, 0
	ds_read_b128 v[8:11], v7 offset:32
	s_waitcnt lgkmcnt(0)
	v_mul_f64 v[16:17], v[2:3], v[10:11]
	v_mul_f64 v[12:13], v[4:5], v[10:11]
	v_fma_f64 v[10:11], v[4:5], v[8:9], -v[16:17]
	v_fmac_f64_e32 v[12:13], v[2:3], v[8:9]
	scratch_store_dwordx4 off, v[10:13], off offset:32
.LBB17_23:
	s_or_b64 exec, exec, s[6:7]
	; wave barrier
	scratch_load_dwordx4 v[2:5], off, s16
	v_cmp_gt_u32_e32 vcc, 3, v1
	v_add_u32_e32 v7, -1, v1
	s_waitcnt vmcnt(0)
	ds_write_b128 v6, v[2:5]
	s_waitcnt lgkmcnt(0)
	; wave barrier
	s_and_saveexec_b64 s[2:3], vcc
	s_cbranch_execz .LBB17_27
; %bb.24:
	v_add_u32_e32 v8, -1, v1
	v_add_u32_e32 v9, 0x120, v14
	v_mov_b32_e32 v10, v14
	v_mov_b64_e32 v[2:3], 0
	s_mov_b64 s[6:7], 0
	v_mov_b64_e32 v[4:5], 0
.LBB17_25:                              ; =>This Inner Loop Header: Depth=1
	scratch_load_dwordx4 v[16:19], v10, off
	ds_read_b128 v[20:23], v9
	v_add_u32_e32 v8, 1, v8
	v_cmp_lt_u32_e32 vcc, 1, v8
	v_add_u32_e32 v9, 16, v9
	v_add_u32_e32 v10, 16, v10
	s_or_b64 s[6:7], vcc, s[6:7]
	s_waitcnt vmcnt(0) lgkmcnt(0)
	v_mul_f64 v[12:13], v[22:23], v[18:19]
	v_mul_f64 v[18:19], v[20:21], v[18:19]
	v_fma_f64 v[12:13], v[20:21], v[16:17], -v[12:13]
	v_fmac_f64_e32 v[18:19], v[22:23], v[16:17]
	v_add_f64 v[4:5], v[4:5], v[12:13]
	v_add_f64 v[2:3], v[2:3], v[18:19]
	s_andn2_b64 exec, exec, s[6:7]
	s_cbranch_execnz .LBB17_25
; %bb.26:
	s_or_b64 exec, exec, s[6:7]
	v_mov_b32_e32 v8, 0
	ds_read_b128 v[8:11], v8 offset:48
	s_waitcnt lgkmcnt(0)
	v_mul_f64 v[16:17], v[2:3], v[10:11]
	v_mul_f64 v[12:13], v[4:5], v[10:11]
	v_fma_f64 v[10:11], v[4:5], v[8:9], -v[16:17]
	v_fmac_f64_e32 v[12:13], v[2:3], v[8:9]
	scratch_store_dwordx4 off, v[10:13], off offset:48
.LBB17_27:
	s_or_b64 exec, exec, s[2:3]
	; wave barrier
	scratch_load_dwordx4 v[2:5], off, s17
	v_cmp_gt_u32_e32 vcc, 4, v1
	s_waitcnt vmcnt(0)
	ds_write_b128 v6, v[2:5]
	s_waitcnt lgkmcnt(0)
	; wave barrier
	s_and_saveexec_b64 s[2:3], vcc
	s_cbranch_execz .LBB17_31
; %bb.28:
	v_add_u32_e32 v8, -1, v1
	v_add_u32_e32 v9, 0x120, v14
	v_mov_b32_e32 v10, v14
	v_mov_b64_e32 v[2:3], 0
	s_mov_b64 s[6:7], 0
	v_mov_b64_e32 v[4:5], 0
.LBB17_29:                              ; =>This Inner Loop Header: Depth=1
	scratch_load_dwordx4 v[16:19], v10, off
	ds_read_b128 v[20:23], v9
	v_add_u32_e32 v8, 1, v8
	v_cmp_lt_u32_e32 vcc, 2, v8
	v_add_u32_e32 v9, 16, v9
	v_add_u32_e32 v10, 16, v10
	s_or_b64 s[6:7], vcc, s[6:7]
	s_waitcnt vmcnt(0) lgkmcnt(0)
	v_mul_f64 v[12:13], v[22:23], v[18:19]
	v_mul_f64 v[18:19], v[20:21], v[18:19]
	v_fma_f64 v[12:13], v[20:21], v[16:17], -v[12:13]
	v_fmac_f64_e32 v[18:19], v[22:23], v[16:17]
	v_add_f64 v[4:5], v[4:5], v[12:13]
	v_add_f64 v[2:3], v[2:3], v[18:19]
	s_andn2_b64 exec, exec, s[6:7]
	s_cbranch_execnz .LBB17_29
; %bb.30:
	s_or_b64 exec, exec, s[6:7]
	v_mov_b32_e32 v8, 0
	ds_read_b128 v[8:11], v8 offset:64
	s_waitcnt lgkmcnt(0)
	v_mul_f64 v[16:17], v[2:3], v[10:11]
	v_mul_f64 v[12:13], v[4:5], v[10:11]
	v_fma_f64 v[10:11], v[4:5], v[8:9], -v[16:17]
	v_fmac_f64_e32 v[12:13], v[2:3], v[8:9]
	scratch_store_dwordx4 off, v[10:13], off offset:64
.LBB17_31:
	s_or_b64 exec, exec, s[2:3]
	; wave barrier
	scratch_load_dwordx4 v[2:5], off, s19
	v_cmp_gt_u32_e32 vcc, 5, v1
	s_waitcnt vmcnt(0)
	ds_write_b128 v6, v[2:5]
	s_waitcnt lgkmcnt(0)
	; wave barrier
	s_and_saveexec_b64 s[2:3], vcc
	s_cbranch_execz .LBB17_35
; %bb.32:
	v_add_u32_e32 v8, -1, v1
	v_add_u32_e32 v9, 0x120, v14
	v_mov_b32_e32 v10, v14
	v_mov_b64_e32 v[2:3], 0
	s_mov_b64 s[6:7], 0
	v_mov_b64_e32 v[4:5], 0
.LBB17_33:                              ; =>This Inner Loop Header: Depth=1
	scratch_load_dwordx4 v[16:19], v10, off
	ds_read_b128 v[20:23], v9
	v_add_u32_e32 v8, 1, v8
	v_cmp_lt_u32_e32 vcc, 3, v8
	v_add_u32_e32 v9, 16, v9
	v_add_u32_e32 v10, 16, v10
	s_or_b64 s[6:7], vcc, s[6:7]
	s_waitcnt vmcnt(0) lgkmcnt(0)
	v_mul_f64 v[12:13], v[22:23], v[18:19]
	v_mul_f64 v[18:19], v[20:21], v[18:19]
	v_fma_f64 v[12:13], v[20:21], v[16:17], -v[12:13]
	v_fmac_f64_e32 v[18:19], v[22:23], v[16:17]
	v_add_f64 v[4:5], v[4:5], v[12:13]
	v_add_f64 v[2:3], v[2:3], v[18:19]
	s_andn2_b64 exec, exec, s[6:7]
	s_cbranch_execnz .LBB17_33
; %bb.34:
	s_or_b64 exec, exec, s[6:7]
	v_mov_b32_e32 v8, 0
	ds_read_b128 v[8:11], v8 offset:80
	s_waitcnt lgkmcnt(0)
	v_mul_f64 v[16:17], v[2:3], v[10:11]
	v_mul_f64 v[12:13], v[4:5], v[10:11]
	v_fma_f64 v[10:11], v[4:5], v[8:9], -v[16:17]
	v_fmac_f64_e32 v[12:13], v[2:3], v[8:9]
	scratch_store_dwordx4 off, v[10:13], off offset:80
.LBB17_35:
	s_or_b64 exec, exec, s[2:3]
	; wave barrier
	scratch_load_dwordx4 v[2:5], off, s25
	v_cmp_gt_u32_e32 vcc, 6, v1
	s_waitcnt vmcnt(0)
	ds_write_b128 v6, v[2:5]
	s_waitcnt lgkmcnt(0)
	; wave barrier
	s_and_saveexec_b64 s[2:3], vcc
	s_cbranch_execz .LBB17_39
; %bb.36:
	v_add_u32_e32 v8, -1, v1
	v_add_u32_e32 v9, 0x120, v14
	v_mov_b32_e32 v10, v14
	v_mov_b64_e32 v[2:3], 0
	s_mov_b64 s[6:7], 0
	v_mov_b64_e32 v[4:5], 0
.LBB17_37:                              ; =>This Inner Loop Header: Depth=1
	scratch_load_dwordx4 v[16:19], v10, off
	ds_read_b128 v[20:23], v9
	v_add_u32_e32 v8, 1, v8
	v_cmp_lt_u32_e32 vcc, 4, v8
	v_add_u32_e32 v9, 16, v9
	v_add_u32_e32 v10, 16, v10
	s_or_b64 s[6:7], vcc, s[6:7]
	s_waitcnt vmcnt(0) lgkmcnt(0)
	v_mul_f64 v[12:13], v[22:23], v[18:19]
	v_mul_f64 v[18:19], v[20:21], v[18:19]
	v_fma_f64 v[12:13], v[20:21], v[16:17], -v[12:13]
	v_fmac_f64_e32 v[18:19], v[22:23], v[16:17]
	v_add_f64 v[4:5], v[4:5], v[12:13]
	v_add_f64 v[2:3], v[2:3], v[18:19]
	s_andn2_b64 exec, exec, s[6:7]
	s_cbranch_execnz .LBB17_37
; %bb.38:
	s_or_b64 exec, exec, s[6:7]
	v_mov_b32_e32 v8, 0
	ds_read_b128 v[8:11], v8 offset:96
	s_waitcnt lgkmcnt(0)
	v_mul_f64 v[16:17], v[2:3], v[10:11]
	v_mul_f64 v[12:13], v[4:5], v[10:11]
	v_fma_f64 v[10:11], v[4:5], v[8:9], -v[16:17]
	v_fmac_f64_e32 v[12:13], v[2:3], v[8:9]
	scratch_store_dwordx4 off, v[10:13], off offset:96
.LBB17_39:
	s_or_b64 exec, exec, s[2:3]
	; wave barrier
	scratch_load_dwordx4 v[2:5], off, s27
	v_cmp_gt_u32_e32 vcc, 7, v1
	s_waitcnt vmcnt(0)
	ds_write_b128 v6, v[2:5]
	s_waitcnt lgkmcnt(0)
	; wave barrier
	s_and_saveexec_b64 s[2:3], vcc
	s_cbranch_execz .LBB17_43
; %bb.40:
	v_add_u32_e32 v8, -1, v1
	v_add_u32_e32 v9, 0x120, v14
	v_mov_b32_e32 v10, v14
	v_mov_b64_e32 v[2:3], 0
	s_mov_b64 s[6:7], 0
	v_mov_b64_e32 v[4:5], 0
.LBB17_41:                              ; =>This Inner Loop Header: Depth=1
	scratch_load_dwordx4 v[16:19], v10, off
	ds_read_b128 v[20:23], v9
	v_add_u32_e32 v8, 1, v8
	v_cmp_lt_u32_e32 vcc, 5, v8
	v_add_u32_e32 v9, 16, v9
	v_add_u32_e32 v10, 16, v10
	s_or_b64 s[6:7], vcc, s[6:7]
	s_waitcnt vmcnt(0) lgkmcnt(0)
	v_mul_f64 v[12:13], v[22:23], v[18:19]
	v_mul_f64 v[18:19], v[20:21], v[18:19]
	v_fma_f64 v[12:13], v[20:21], v[16:17], -v[12:13]
	v_fmac_f64_e32 v[18:19], v[22:23], v[16:17]
	v_add_f64 v[4:5], v[4:5], v[12:13]
	v_add_f64 v[2:3], v[2:3], v[18:19]
	s_andn2_b64 exec, exec, s[6:7]
	s_cbranch_execnz .LBB17_41
; %bb.42:
	s_or_b64 exec, exec, s[6:7]
	v_mov_b32_e32 v8, 0
	ds_read_b128 v[8:11], v8 offset:112
	s_waitcnt lgkmcnt(0)
	v_mul_f64 v[16:17], v[2:3], v[10:11]
	v_mul_f64 v[12:13], v[4:5], v[10:11]
	v_fma_f64 v[10:11], v[4:5], v[8:9], -v[16:17]
	v_fmac_f64_e32 v[12:13], v[2:3], v[8:9]
	scratch_store_dwordx4 off, v[10:13], off offset:112
.LBB17_43:
	s_or_b64 exec, exec, s[2:3]
	; wave barrier
	scratch_load_dwordx4 v[2:5], off, s18
	v_cmp_gt_u32_e32 vcc, 8, v1
	s_waitcnt vmcnt(0)
	ds_write_b128 v6, v[2:5]
	s_waitcnt lgkmcnt(0)
	; wave barrier
	s_and_saveexec_b64 s[2:3], vcc
	s_cbranch_execz .LBB17_47
; %bb.44:
	v_add_u32_e32 v8, -1, v1
	v_add_u32_e32 v9, 0x120, v14
	v_mov_b32_e32 v10, v14
	v_mov_b64_e32 v[2:3], 0
	s_mov_b64 s[6:7], 0
	v_mov_b64_e32 v[4:5], 0
.LBB17_45:                              ; =>This Inner Loop Header: Depth=1
	scratch_load_dwordx4 v[16:19], v10, off
	ds_read_b128 v[20:23], v9
	v_add_u32_e32 v8, 1, v8
	v_cmp_lt_u32_e32 vcc, 6, v8
	v_add_u32_e32 v9, 16, v9
	v_add_u32_e32 v10, 16, v10
	s_or_b64 s[6:7], vcc, s[6:7]
	s_waitcnt vmcnt(0) lgkmcnt(0)
	v_mul_f64 v[12:13], v[22:23], v[18:19]
	v_mul_f64 v[18:19], v[20:21], v[18:19]
	v_fma_f64 v[12:13], v[20:21], v[16:17], -v[12:13]
	v_fmac_f64_e32 v[18:19], v[22:23], v[16:17]
	v_add_f64 v[4:5], v[4:5], v[12:13]
	v_add_f64 v[2:3], v[2:3], v[18:19]
	s_andn2_b64 exec, exec, s[6:7]
	s_cbranch_execnz .LBB17_45
; %bb.46:
	s_or_b64 exec, exec, s[6:7]
	v_mov_b32_e32 v8, 0
	ds_read_b128 v[8:11], v8 offset:128
	s_waitcnt lgkmcnt(0)
	v_mul_f64 v[16:17], v[2:3], v[10:11]
	v_mul_f64 v[12:13], v[4:5], v[10:11]
	v_fma_f64 v[10:11], v[4:5], v[8:9], -v[16:17]
	v_fmac_f64_e32 v[12:13], v[2:3], v[8:9]
	scratch_store_dwordx4 off, v[10:13], off offset:128
.LBB17_47:
	s_or_b64 exec, exec, s[2:3]
	; wave barrier
	scratch_load_dwordx4 v[2:5], off, s24
	v_cmp_gt_u32_e32 vcc, 9, v1
	s_waitcnt vmcnt(0)
	ds_write_b128 v6, v[2:5]
	s_waitcnt lgkmcnt(0)
	; wave barrier
	s_and_saveexec_b64 s[2:3], vcc
	s_cbranch_execz .LBB17_51
; %bb.48:
	v_add_u32_e32 v8, -1, v1
	v_add_u32_e32 v9, 0x120, v14
	v_mov_b32_e32 v10, v14
	v_mov_b64_e32 v[2:3], 0
	s_mov_b64 s[6:7], 0
	v_mov_b64_e32 v[4:5], 0
.LBB17_49:                              ; =>This Inner Loop Header: Depth=1
	scratch_load_dwordx4 v[16:19], v10, off
	ds_read_b128 v[20:23], v9
	v_add_u32_e32 v8, 1, v8
	v_cmp_lt_u32_e32 vcc, 7, v8
	v_add_u32_e32 v9, 16, v9
	v_add_u32_e32 v10, 16, v10
	s_or_b64 s[6:7], vcc, s[6:7]
	s_waitcnt vmcnt(0) lgkmcnt(0)
	v_mul_f64 v[12:13], v[22:23], v[18:19]
	v_mul_f64 v[18:19], v[20:21], v[18:19]
	v_fma_f64 v[12:13], v[20:21], v[16:17], -v[12:13]
	v_fmac_f64_e32 v[18:19], v[22:23], v[16:17]
	v_add_f64 v[4:5], v[4:5], v[12:13]
	v_add_f64 v[2:3], v[2:3], v[18:19]
	s_andn2_b64 exec, exec, s[6:7]
	s_cbranch_execnz .LBB17_49
; %bb.50:
	s_or_b64 exec, exec, s[6:7]
	v_mov_b32_e32 v8, 0
	ds_read_b128 v[8:11], v8 offset:144
	s_waitcnt lgkmcnt(0)
	v_mul_f64 v[16:17], v[2:3], v[10:11]
	v_mul_f64 v[12:13], v[4:5], v[10:11]
	v_fma_f64 v[10:11], v[4:5], v[8:9], -v[16:17]
	v_fmac_f64_e32 v[12:13], v[2:3], v[8:9]
	scratch_store_dwordx4 off, v[10:13], off offset:144
.LBB17_51:
	s_or_b64 exec, exec, s[2:3]
	; wave barrier
	scratch_load_dwordx4 v[2:5], off, s26
	v_cmp_gt_u32_e32 vcc, 10, v1
	s_waitcnt vmcnt(0)
	ds_write_b128 v6, v[2:5]
	s_waitcnt lgkmcnt(0)
	; wave barrier
	s_and_saveexec_b64 s[2:3], vcc
	s_cbranch_execz .LBB17_55
; %bb.52:
	v_add_u32_e32 v8, -1, v1
	v_add_u32_e32 v9, 0x120, v14
	v_mov_b32_e32 v10, v14
	v_mov_b64_e32 v[2:3], 0
	s_mov_b64 s[6:7], 0
	v_mov_b64_e32 v[4:5], 0
.LBB17_53:                              ; =>This Inner Loop Header: Depth=1
	scratch_load_dwordx4 v[16:19], v10, off
	ds_read_b128 v[20:23], v9
	v_add_u32_e32 v8, 1, v8
	v_cmp_lt_u32_e32 vcc, 8, v8
	v_add_u32_e32 v9, 16, v9
	v_add_u32_e32 v10, 16, v10
	s_or_b64 s[6:7], vcc, s[6:7]
	s_waitcnt vmcnt(0) lgkmcnt(0)
	v_mul_f64 v[12:13], v[22:23], v[18:19]
	v_mul_f64 v[18:19], v[20:21], v[18:19]
	v_fma_f64 v[12:13], v[20:21], v[16:17], -v[12:13]
	v_fmac_f64_e32 v[18:19], v[22:23], v[16:17]
	v_add_f64 v[4:5], v[4:5], v[12:13]
	v_add_f64 v[2:3], v[2:3], v[18:19]
	s_andn2_b64 exec, exec, s[6:7]
	s_cbranch_execnz .LBB17_53
; %bb.54:
	s_or_b64 exec, exec, s[6:7]
	v_mov_b32_e32 v8, 0
	ds_read_b128 v[8:11], v8 offset:160
	s_waitcnt lgkmcnt(0)
	v_mul_f64 v[16:17], v[2:3], v[10:11]
	v_mul_f64 v[12:13], v[4:5], v[10:11]
	v_fma_f64 v[10:11], v[4:5], v[8:9], -v[16:17]
	v_fmac_f64_e32 v[12:13], v[2:3], v[8:9]
	scratch_store_dwordx4 off, v[10:13], off offset:160
.LBB17_55:
	s_or_b64 exec, exec, s[2:3]
	; wave barrier
	scratch_load_dwordx4 v[2:5], off, s28
	v_cmp_gt_u32_e32 vcc, 11, v1
	s_waitcnt vmcnt(0)
	ds_write_b128 v6, v[2:5]
	s_waitcnt lgkmcnt(0)
	; wave barrier
	s_and_saveexec_b64 s[2:3], vcc
	s_cbranch_execz .LBB17_59
; %bb.56:
	v_add_u32_e32 v8, -1, v1
	v_add_u32_e32 v9, 0x120, v14
	v_mov_b32_e32 v10, v14
	v_mov_b64_e32 v[2:3], 0
	s_mov_b64 s[6:7], 0
	v_mov_b64_e32 v[4:5], 0
.LBB17_57:                              ; =>This Inner Loop Header: Depth=1
	scratch_load_dwordx4 v[16:19], v10, off
	ds_read_b128 v[20:23], v9
	v_add_u32_e32 v8, 1, v8
	v_cmp_lt_u32_e32 vcc, 9, v8
	v_add_u32_e32 v9, 16, v9
	v_add_u32_e32 v10, 16, v10
	s_or_b64 s[6:7], vcc, s[6:7]
	s_waitcnt vmcnt(0) lgkmcnt(0)
	v_mul_f64 v[12:13], v[22:23], v[18:19]
	v_mul_f64 v[18:19], v[20:21], v[18:19]
	v_fma_f64 v[12:13], v[20:21], v[16:17], -v[12:13]
	v_fmac_f64_e32 v[18:19], v[22:23], v[16:17]
	v_add_f64 v[4:5], v[4:5], v[12:13]
	v_add_f64 v[2:3], v[2:3], v[18:19]
	s_andn2_b64 exec, exec, s[6:7]
	s_cbranch_execnz .LBB17_57
; %bb.58:
	s_or_b64 exec, exec, s[6:7]
	v_mov_b32_e32 v8, 0
	ds_read_b128 v[8:11], v8 offset:176
	s_waitcnt lgkmcnt(0)
	v_mul_f64 v[16:17], v[2:3], v[10:11]
	v_mul_f64 v[12:13], v[4:5], v[10:11]
	v_fma_f64 v[10:11], v[4:5], v[8:9], -v[16:17]
	v_fmac_f64_e32 v[12:13], v[2:3], v[8:9]
	scratch_store_dwordx4 off, v[10:13], off offset:176
.LBB17_59:
	s_or_b64 exec, exec, s[2:3]
	; wave barrier
	scratch_load_dwordx4 v[2:5], off, s30
	v_cmp_gt_u32_e32 vcc, 12, v1
	s_waitcnt vmcnt(0)
	ds_write_b128 v6, v[2:5]
	s_waitcnt lgkmcnt(0)
	; wave barrier
	s_and_saveexec_b64 s[2:3], vcc
	s_cbranch_execz .LBB17_63
; %bb.60:
	v_add_u32_e32 v8, -1, v1
	v_add_u32_e32 v9, 0x120, v14
	v_mov_b32_e32 v10, v14
	v_mov_b64_e32 v[2:3], 0
	s_mov_b64 s[6:7], 0
	v_mov_b64_e32 v[4:5], 0
.LBB17_61:                              ; =>This Inner Loop Header: Depth=1
	scratch_load_dwordx4 v[16:19], v10, off
	ds_read_b128 v[20:23], v9
	v_add_u32_e32 v8, 1, v8
	v_cmp_lt_u32_e32 vcc, 10, v8
	v_add_u32_e32 v9, 16, v9
	v_add_u32_e32 v10, 16, v10
	s_or_b64 s[6:7], vcc, s[6:7]
	s_waitcnt vmcnt(0) lgkmcnt(0)
	v_mul_f64 v[12:13], v[22:23], v[18:19]
	v_mul_f64 v[18:19], v[20:21], v[18:19]
	v_fma_f64 v[12:13], v[20:21], v[16:17], -v[12:13]
	v_fmac_f64_e32 v[18:19], v[22:23], v[16:17]
	v_add_f64 v[4:5], v[4:5], v[12:13]
	v_add_f64 v[2:3], v[2:3], v[18:19]
	s_andn2_b64 exec, exec, s[6:7]
	s_cbranch_execnz .LBB17_61
; %bb.62:
	s_or_b64 exec, exec, s[6:7]
	v_mov_b32_e32 v8, 0
	ds_read_b128 v[8:11], v8 offset:192
	s_waitcnt lgkmcnt(0)
	v_mul_f64 v[16:17], v[2:3], v[10:11]
	v_mul_f64 v[12:13], v[4:5], v[10:11]
	v_fma_f64 v[10:11], v[4:5], v[8:9], -v[16:17]
	v_fmac_f64_e32 v[12:13], v[2:3], v[8:9]
	scratch_store_dwordx4 off, v[10:13], off offset:192
.LBB17_63:
	s_or_b64 exec, exec, s[2:3]
	; wave barrier
	scratch_load_dwordx4 v[2:5], off, s34
	v_cmp_gt_u32_e32 vcc, 13, v1
	s_waitcnt vmcnt(0)
	ds_write_b128 v6, v[2:5]
	s_waitcnt lgkmcnt(0)
	; wave barrier
	s_and_saveexec_b64 s[2:3], vcc
	s_cbranch_execz .LBB17_67
; %bb.64:
	v_add_u32_e32 v8, -1, v1
	v_add_u32_e32 v9, 0x120, v14
	v_mov_b32_e32 v10, v14
	v_mov_b64_e32 v[2:3], 0
	s_mov_b64 s[6:7], 0
	v_mov_b64_e32 v[4:5], 0
.LBB17_65:                              ; =>This Inner Loop Header: Depth=1
	scratch_load_dwordx4 v[16:19], v10, off
	ds_read_b128 v[20:23], v9
	v_add_u32_e32 v8, 1, v8
	v_cmp_lt_u32_e32 vcc, 11, v8
	v_add_u32_e32 v9, 16, v9
	v_add_u32_e32 v10, 16, v10
	s_or_b64 s[6:7], vcc, s[6:7]
	s_waitcnt vmcnt(0) lgkmcnt(0)
	v_mul_f64 v[12:13], v[22:23], v[18:19]
	v_mul_f64 v[18:19], v[20:21], v[18:19]
	v_fma_f64 v[12:13], v[20:21], v[16:17], -v[12:13]
	v_fmac_f64_e32 v[18:19], v[22:23], v[16:17]
	v_add_f64 v[4:5], v[4:5], v[12:13]
	v_add_f64 v[2:3], v[2:3], v[18:19]
	s_andn2_b64 exec, exec, s[6:7]
	s_cbranch_execnz .LBB17_65
; %bb.66:
	s_or_b64 exec, exec, s[6:7]
	v_mov_b32_e32 v8, 0
	ds_read_b128 v[8:11], v8 offset:208
	s_waitcnt lgkmcnt(0)
	v_mul_f64 v[16:17], v[2:3], v[10:11]
	v_mul_f64 v[12:13], v[4:5], v[10:11]
	v_fma_f64 v[10:11], v[4:5], v[8:9], -v[16:17]
	v_fmac_f64_e32 v[12:13], v[2:3], v[8:9]
	scratch_store_dwordx4 off, v[10:13], off offset:208
.LBB17_67:
	s_or_b64 exec, exec, s[2:3]
	; wave barrier
	scratch_load_dwordx4 v[2:5], off, s35
	v_cmp_gt_u32_e32 vcc, 14, v1
	s_waitcnt vmcnt(0)
	ds_write_b128 v6, v[2:5]
	s_waitcnt lgkmcnt(0)
	; wave barrier
	s_and_saveexec_b64 s[2:3], vcc
	s_cbranch_execz .LBB17_71
; %bb.68:
	v_add_u32_e32 v8, -1, v1
	v_add_u32_e32 v9, 0x120, v14
	v_mov_b32_e32 v10, v14
	v_mov_b64_e32 v[2:3], 0
	s_mov_b64 s[6:7], 0
	v_mov_b64_e32 v[4:5], 0
.LBB17_69:                              ; =>This Inner Loop Header: Depth=1
	scratch_load_dwordx4 v[16:19], v10, off
	ds_read_b128 v[20:23], v9
	v_add_u32_e32 v8, 1, v8
	v_cmp_lt_u32_e32 vcc, 12, v8
	v_add_u32_e32 v9, 16, v9
	v_add_u32_e32 v10, 16, v10
	s_or_b64 s[6:7], vcc, s[6:7]
	s_waitcnt vmcnt(0) lgkmcnt(0)
	v_mul_f64 v[12:13], v[22:23], v[18:19]
	v_mul_f64 v[18:19], v[20:21], v[18:19]
	v_fma_f64 v[12:13], v[20:21], v[16:17], -v[12:13]
	v_fmac_f64_e32 v[18:19], v[22:23], v[16:17]
	v_add_f64 v[4:5], v[4:5], v[12:13]
	v_add_f64 v[2:3], v[2:3], v[18:19]
	s_andn2_b64 exec, exec, s[6:7]
	s_cbranch_execnz .LBB17_69
; %bb.70:
	s_or_b64 exec, exec, s[6:7]
	v_mov_b32_e32 v8, 0
	ds_read_b128 v[8:11], v8 offset:224
	s_waitcnt lgkmcnt(0)
	v_mul_f64 v[16:17], v[2:3], v[10:11]
	v_mul_f64 v[12:13], v[4:5], v[10:11]
	v_fma_f64 v[10:11], v[4:5], v[8:9], -v[16:17]
	v_fmac_f64_e32 v[12:13], v[2:3], v[8:9]
	scratch_store_dwordx4 off, v[10:13], off offset:224
.LBB17_71:
	s_or_b64 exec, exec, s[2:3]
	; wave barrier
	scratch_load_dwordx4 v[2:5], off, s33
	v_cmp_gt_u32_e32 vcc, 15, v1
	s_waitcnt vmcnt(0)
	ds_write_b128 v6, v[2:5]
	s_waitcnt lgkmcnt(0)
	; wave barrier
	s_and_saveexec_b64 s[2:3], vcc
	s_cbranch_execz .LBB17_75
; %bb.72:
	v_add_u32_e32 v8, -1, v1
	v_add_u32_e32 v9, 0x120, v14
	v_mov_b32_e32 v10, v14
	v_mov_b64_e32 v[2:3], 0
	s_mov_b64 s[6:7], 0
	v_mov_b64_e32 v[4:5], 0
.LBB17_73:                              ; =>This Inner Loop Header: Depth=1
	scratch_load_dwordx4 v[16:19], v10, off
	ds_read_b128 v[20:23], v9
	v_add_u32_e32 v8, 1, v8
	v_cmp_lt_u32_e32 vcc, 13, v8
	v_add_u32_e32 v9, 16, v9
	v_add_u32_e32 v10, 16, v10
	s_or_b64 s[6:7], vcc, s[6:7]
	s_waitcnt vmcnt(0) lgkmcnt(0)
	v_mul_f64 v[12:13], v[22:23], v[18:19]
	v_mul_f64 v[18:19], v[20:21], v[18:19]
	v_fma_f64 v[12:13], v[20:21], v[16:17], -v[12:13]
	v_fmac_f64_e32 v[18:19], v[22:23], v[16:17]
	v_add_f64 v[4:5], v[4:5], v[12:13]
	v_add_f64 v[2:3], v[2:3], v[18:19]
	s_andn2_b64 exec, exec, s[6:7]
	s_cbranch_execnz .LBB17_73
; %bb.74:
	s_or_b64 exec, exec, s[6:7]
	v_mov_b32_e32 v8, 0
	ds_read_b128 v[8:11], v8 offset:240
	s_waitcnt lgkmcnt(0)
	v_mul_f64 v[16:17], v[2:3], v[10:11]
	v_mul_f64 v[12:13], v[4:5], v[10:11]
	v_fma_f64 v[10:11], v[4:5], v[8:9], -v[16:17]
	v_fmac_f64_e32 v[12:13], v[2:3], v[8:9]
	scratch_store_dwordx4 off, v[10:13], off offset:240
.LBB17_75:
	s_or_b64 exec, exec, s[2:3]
	; wave barrier
	scratch_load_dwordx4 v[2:5], off, s29
	v_cmp_gt_u32_e32 vcc, 16, v1
	s_waitcnt vmcnt(0)
	ds_write_b128 v6, v[2:5]
	s_waitcnt lgkmcnt(0)
	; wave barrier
	s_and_saveexec_b64 s[2:3], vcc
	s_cbranch_execz .LBB17_79
; %bb.76:
	v_add_u32_e32 v8, -1, v1
	v_add_u32_e32 v9, 0x120, v14
	v_mov_b32_e32 v10, v14
	v_mov_b64_e32 v[2:3], 0
	s_mov_b64 s[6:7], 0
	v_mov_b64_e32 v[4:5], 0
.LBB17_77:                              ; =>This Inner Loop Header: Depth=1
	scratch_load_dwordx4 v[16:19], v10, off
	ds_read_b128 v[20:23], v9
	v_add_u32_e32 v8, 1, v8
	v_cmp_lt_u32_e32 vcc, 14, v8
	v_add_u32_e32 v9, 16, v9
	v_add_u32_e32 v10, 16, v10
	s_or_b64 s[6:7], vcc, s[6:7]
	s_waitcnt vmcnt(0) lgkmcnt(0)
	v_mul_f64 v[12:13], v[22:23], v[18:19]
	v_mul_f64 v[18:19], v[20:21], v[18:19]
	v_fma_f64 v[12:13], v[20:21], v[16:17], -v[12:13]
	v_fmac_f64_e32 v[18:19], v[22:23], v[16:17]
	v_add_f64 v[4:5], v[4:5], v[12:13]
	v_add_f64 v[2:3], v[2:3], v[18:19]
	s_andn2_b64 exec, exec, s[6:7]
	s_cbranch_execnz .LBB17_77
; %bb.78:
	s_or_b64 exec, exec, s[6:7]
	v_mov_b32_e32 v8, 0
	ds_read_b128 v[8:11], v8 offset:256
	s_waitcnt lgkmcnt(0)
	v_mul_f64 v[16:17], v[2:3], v[10:11]
	v_mul_f64 v[12:13], v[4:5], v[10:11]
	v_fma_f64 v[10:11], v[4:5], v[8:9], -v[16:17]
	v_fmac_f64_e32 v[12:13], v[2:3], v[8:9]
	scratch_store_dwordx4 off, v[10:13], off offset:256
.LBB17_79:
	s_or_b64 exec, exec, s[2:3]
	; wave barrier
	scratch_load_dwordx4 v[2:5], off, s31
	v_cmp_ne_u32_e32 vcc, 17, v1
	s_waitcnt vmcnt(0)
	ds_write_b128 v6, v[2:5]
	s_waitcnt lgkmcnt(0)
	; wave barrier
	s_and_saveexec_b64 s[2:3], vcc
	s_cbranch_execz .LBB17_83
; %bb.80:
	v_add_u32_e32 v6, 0x120, v14
	v_mov_b32_e32 v8, v14
	v_mov_b64_e32 v[2:3], 0
	s_mov_b64 s[6:7], 0
	v_mov_b64_e32 v[4:5], 0
.LBB17_81:                              ; =>This Inner Loop Header: Depth=1
	scratch_load_dwordx4 v[10:13], v8, off
	ds_read_b128 v[14:17], v6
	v_add_u32_e32 v7, 1, v7
	v_cmp_lt_u32_e32 vcc, 15, v7
	v_add_u32_e32 v6, 16, v6
	v_add_u32_e32 v8, 16, v8
	s_or_b64 s[6:7], vcc, s[6:7]
	s_waitcnt vmcnt(0) lgkmcnt(0)
	v_mul_f64 v[18:19], v[16:17], v[12:13]
	v_mul_f64 v[12:13], v[14:15], v[12:13]
	v_fma_f64 v[14:15], v[14:15], v[10:11], -v[18:19]
	v_fmac_f64_e32 v[12:13], v[16:17], v[10:11]
	v_add_f64 v[4:5], v[4:5], v[14:15]
	v_add_f64 v[2:3], v[2:3], v[12:13]
	s_andn2_b64 exec, exec, s[6:7]
	s_cbranch_execnz .LBB17_81
; %bb.82:
	s_or_b64 exec, exec, s[6:7]
	v_mov_b32_e32 v6, 0
	ds_read_b128 v[6:9], v6 offset:272
	s_waitcnt lgkmcnt(0)
	v_mul_f64 v[12:13], v[2:3], v[8:9]
	v_mul_f64 v[10:11], v[4:5], v[8:9]
	v_fma_f64 v[8:9], v[4:5], v[6:7], -v[12:13]
	v_fmac_f64_e32 v[10:11], v[2:3], v[6:7]
	scratch_store_dwordx4 off, v[8:11], off offset:272
.LBB17_83:
	s_or_b64 exec, exec, s[2:3]
	s_mov_b64 s[6:7], -1
	; wave barrier
.LBB17_84:
	s_and_b64 vcc, exec, s[6:7]
	s_cbranch_vccz .LBB17_86
; %bb.85:
	s_lshl_b64 s[2:3], s[4:5], 2
	s_add_u32 s2, s10, s2
	s_addc_u32 s3, s11, s3
	v_mov_b32_e32 v2, 0
	global_load_dword v2, v2, s[2:3]
	s_waitcnt vmcnt(0)
	v_cmp_ne_u32_e32 vcc, 0, v2
	s_cbranch_vccz .LBB17_87
.LBB17_86:
	s_endpgm
.LBB17_87:
	v_mov_b32_e32 v2, 0x120
	v_lshl_add_u32 v84, v1, 4, v2
	v_cmp_eq_u32_e32 vcc, 17, v1
	s_and_saveexec_b64 s[2:3], vcc
	s_cbranch_execz .LBB17_89
; %bb.88:
	scratch_load_dwordx4 v[2:5], off, s29
	v_mov_b32_e32 v6, 0
	v_mov_b32_e32 v7, v6
	;; [unrolled: 1-line block ×4, first 2 shown]
	scratch_store_dwordx4 off, v[6:9], off offset:256
	s_waitcnt vmcnt(1)
	ds_write_b128 v84, v[2:5]
.LBB17_89:
	s_or_b64 exec, exec, s[2:3]
	s_waitcnt lgkmcnt(0)
	; wave barrier
	scratch_load_dwordx4 v[4:7], off, off offset:272
	scratch_load_dwordx4 v[8:11], off, off offset:256
	v_mov_b32_e32 v2, 0
	ds_read_b128 v[12:15], v2 offset:560
	v_cmp_lt_u32_e32 vcc, 15, v1
	s_waitcnt vmcnt(1) lgkmcnt(0)
	v_mul_f64 v[16:17], v[12:13], v[6:7]
	v_mul_f64 v[6:7], v[14:15], v[6:7]
	v_fmac_f64_e32 v[16:17], v[14:15], v[4:5]
	v_fma_f64 v[4:5], v[12:13], v[4:5], -v[6:7]
	v_add_f64 v[6:7], v[16:17], 0
	v_add_f64 v[4:5], v[4:5], 0
	s_waitcnt vmcnt(0)
	v_add_f64 v[4:5], v[8:9], -v[4:5]
	v_add_f64 v[6:7], v[10:11], -v[6:7]
	scratch_store_dwordx4 off, v[4:7], off offset:256
	s_and_saveexec_b64 s[2:3], vcc
	s_cbranch_execz .LBB17_91
; %bb.90:
	scratch_load_dwordx4 v[6:9], off, s33
	v_mov_b32_e32 v3, v2
	v_mov_b32_e32 v4, v2
	;; [unrolled: 1-line block ×3, first 2 shown]
	scratch_store_dwordx4 off, v[2:5], off offset:240
	s_waitcnt vmcnt(1)
	ds_write_b128 v84, v[6:9]
.LBB17_91:
	s_or_b64 exec, exec, s[2:3]
	s_waitcnt lgkmcnt(0)
	; wave barrier
	scratch_load_dwordx4 v[4:7], off, off offset:256
	scratch_load_dwordx4 v[8:11], off, off offset:272
	;; [unrolled: 1-line block ×3, first 2 shown]
	ds_read_b128 v[16:19], v2 offset:544
	ds_read_b128 v[20:23], v2 offset:560
	v_cmp_lt_u32_e32 vcc, 14, v1
	s_waitcnt vmcnt(2) lgkmcnt(1)
	v_mul_f64 v[2:3], v[16:17], v[6:7]
	v_mul_f64 v[6:7], v[18:19], v[6:7]
	s_waitcnt vmcnt(1) lgkmcnt(0)
	v_mul_f64 v[24:25], v[20:21], v[10:11]
	v_mul_f64 v[10:11], v[22:23], v[10:11]
	v_fmac_f64_e32 v[2:3], v[18:19], v[4:5]
	v_fma_f64 v[4:5], v[16:17], v[4:5], -v[6:7]
	v_fmac_f64_e32 v[24:25], v[22:23], v[8:9]
	v_fma_f64 v[6:7], v[20:21], v[8:9], -v[10:11]
	v_add_f64 v[2:3], v[2:3], 0
	v_add_f64 v[4:5], v[4:5], 0
	;; [unrolled: 1-line block ×4, first 2 shown]
	s_waitcnt vmcnt(0)
	v_add_f64 v[2:3], v[12:13], -v[2:3]
	v_add_f64 v[4:5], v[14:15], -v[8:9]
	scratch_store_dwordx4 off, v[2:5], off offset:240
	s_and_saveexec_b64 s[2:3], vcc
	s_cbranch_execz .LBB17_93
; %bb.92:
	scratch_load_dwordx4 v[2:5], off, s35
	v_mov_b32_e32 v6, 0
	v_mov_b32_e32 v7, v6
	;; [unrolled: 1-line block ×4, first 2 shown]
	scratch_store_dwordx4 off, v[6:9], off offset:224
	s_waitcnt vmcnt(1)
	ds_write_b128 v84, v[2:5]
.LBB17_93:
	s_or_b64 exec, exec, s[2:3]
	s_waitcnt lgkmcnt(0)
	; wave barrier
	scratch_load_dwordx4 v[4:7], off, off offset:240
	scratch_load_dwordx4 v[8:11], off, off offset:256
	scratch_load_dwordx4 v[12:15], off, off offset:272
	scratch_load_dwordx4 v[16:19], off, off offset:224
	v_mov_b32_e32 v2, 0
	ds_read_b128 v[20:23], v2 offset:528
	ds_read_b128 v[24:27], v2 offset:544
	;; [unrolled: 1-line block ×3, first 2 shown]
	v_cmp_lt_u32_e32 vcc, 13, v1
	s_waitcnt vmcnt(3) lgkmcnt(2)
	v_mul_f64 v[32:33], v[20:21], v[6:7]
	v_mul_f64 v[6:7], v[22:23], v[6:7]
	s_waitcnt vmcnt(2) lgkmcnt(1)
	v_mul_f64 v[34:35], v[24:25], v[10:11]
	v_mul_f64 v[10:11], v[26:27], v[10:11]
	v_fmac_f64_e32 v[32:33], v[22:23], v[4:5]
	v_fma_f64 v[4:5], v[20:21], v[4:5], -v[6:7]
	s_waitcnt vmcnt(1) lgkmcnt(0)
	v_mul_f64 v[36:37], v[28:29], v[14:15]
	v_mul_f64 v[14:15], v[30:31], v[14:15]
	v_fmac_f64_e32 v[34:35], v[26:27], v[8:9]
	v_fma_f64 v[6:7], v[24:25], v[8:9], -v[10:11]
	v_add_f64 v[10:11], v[32:33], 0
	v_add_f64 v[4:5], v[4:5], 0
	v_fmac_f64_e32 v[36:37], v[30:31], v[12:13]
	v_fma_f64 v[8:9], v[28:29], v[12:13], -v[14:15]
	v_add_f64 v[10:11], v[10:11], v[34:35]
	v_add_f64 v[4:5], v[4:5], v[6:7]
	;; [unrolled: 1-line block ×4, first 2 shown]
	s_waitcnt vmcnt(0)
	v_add_f64 v[4:5], v[16:17], -v[4:5]
	v_add_f64 v[6:7], v[18:19], -v[6:7]
	scratch_store_dwordx4 off, v[4:7], off offset:224
	s_and_saveexec_b64 s[2:3], vcc
	s_cbranch_execz .LBB17_95
; %bb.94:
	scratch_load_dwordx4 v[6:9], off, s34
	v_mov_b32_e32 v3, v2
	v_mov_b32_e32 v4, v2
	;; [unrolled: 1-line block ×3, first 2 shown]
	scratch_store_dwordx4 off, v[2:5], off offset:208
	s_waitcnt vmcnt(1)
	ds_write_b128 v84, v[6:9]
.LBB17_95:
	s_or_b64 exec, exec, s[2:3]
	s_waitcnt lgkmcnt(0)
	; wave barrier
	scratch_load_dwordx4 v[4:7], off, off offset:224
	scratch_load_dwordx4 v[8:11], off, off offset:240
	;; [unrolled: 1-line block ×5, first 2 shown]
	ds_read_b128 v[24:27], v2 offset:512
	ds_read_b128 v[28:31], v2 offset:528
	;; [unrolled: 1-line block ×4, first 2 shown]
	v_cmp_lt_u32_e32 vcc, 12, v1
	s_waitcnt vmcnt(4) lgkmcnt(3)
	v_mul_f64 v[2:3], v[24:25], v[6:7]
	v_mul_f64 v[6:7], v[26:27], v[6:7]
	s_waitcnt vmcnt(3) lgkmcnt(2)
	v_mul_f64 v[40:41], v[28:29], v[10:11]
	v_mul_f64 v[10:11], v[30:31], v[10:11]
	v_fmac_f64_e32 v[2:3], v[26:27], v[4:5]
	v_fma_f64 v[4:5], v[24:25], v[4:5], -v[6:7]
	s_waitcnt vmcnt(2) lgkmcnt(1)
	v_mul_f64 v[42:43], v[32:33], v[14:15]
	v_mul_f64 v[14:15], v[34:35], v[14:15]
	v_fmac_f64_e32 v[40:41], v[30:31], v[8:9]
	v_fma_f64 v[6:7], v[28:29], v[8:9], -v[10:11]
	v_add_f64 v[2:3], v[2:3], 0
	v_add_f64 v[4:5], v[4:5], 0
	s_waitcnt vmcnt(1) lgkmcnt(0)
	v_mul_f64 v[44:45], v[36:37], v[18:19]
	v_mul_f64 v[18:19], v[38:39], v[18:19]
	v_fmac_f64_e32 v[42:43], v[34:35], v[12:13]
	v_fma_f64 v[8:9], v[32:33], v[12:13], -v[14:15]
	v_add_f64 v[2:3], v[2:3], v[40:41]
	v_add_f64 v[4:5], v[4:5], v[6:7]
	v_fmac_f64_e32 v[44:45], v[38:39], v[16:17]
	v_fma_f64 v[10:11], v[36:37], v[16:17], -v[18:19]
	v_add_f64 v[2:3], v[2:3], v[42:43]
	v_add_f64 v[4:5], v[4:5], v[8:9]
	;; [unrolled: 1-line block ×4, first 2 shown]
	s_waitcnt vmcnt(0)
	v_add_f64 v[2:3], v[20:21], -v[2:3]
	v_add_f64 v[4:5], v[22:23], -v[6:7]
	scratch_store_dwordx4 off, v[2:5], off offset:208
	s_and_saveexec_b64 s[2:3], vcc
	s_cbranch_execz .LBB17_97
; %bb.96:
	scratch_load_dwordx4 v[2:5], off, s30
	v_mov_b32_e32 v6, 0
	v_mov_b32_e32 v7, v6
	;; [unrolled: 1-line block ×4, first 2 shown]
	scratch_store_dwordx4 off, v[6:9], off offset:192
	s_waitcnt vmcnt(1)
	ds_write_b128 v84, v[2:5]
.LBB17_97:
	s_or_b64 exec, exec, s[2:3]
	s_waitcnt lgkmcnt(0)
	; wave barrier
	scratch_load_dwordx4 v[4:7], off, off offset:208
	scratch_load_dwordx4 v[8:11], off, off offset:224
	;; [unrolled: 1-line block ×6, first 2 shown]
	v_mov_b32_e32 v2, 0
	ds_read_b128 v[28:31], v2 offset:496
	ds_read_b128 v[32:35], v2 offset:512
	;; [unrolled: 1-line block ×5, first 2 shown]
	v_cmp_lt_u32_e32 vcc, 11, v1
	s_waitcnt vmcnt(5) lgkmcnt(4)
	v_mul_f64 v[86:87], v[28:29], v[6:7]
	v_mul_f64 v[6:7], v[30:31], v[6:7]
	s_waitcnt vmcnt(4) lgkmcnt(3)
	v_mul_f64 v[88:89], v[32:33], v[10:11]
	s_waitcnt vmcnt(3) lgkmcnt(2)
	v_mul_f64 v[90:91], v[36:37], v[14:15]
	v_mul_f64 v[10:11], v[34:35], v[10:11]
	;; [unrolled: 1-line block ×3, first 2 shown]
	v_fmac_f64_e32 v[86:87], v[30:31], v[4:5]
	v_fma_f64 v[4:5], v[28:29], v[4:5], -v[6:7]
	v_fmac_f64_e32 v[88:89], v[34:35], v[8:9]
	v_fma_f64 v[6:7], v[32:33], v[8:9], -v[10:11]
	v_fma_f64 v[8:9], v[36:37], v[12:13], -v[14:15]
	v_add_f64 v[14:15], v[86:87], 0
	v_add_f64 v[4:5], v[4:5], 0
	s_waitcnt vmcnt(2) lgkmcnt(1)
	v_mul_f64 v[92:93], v[40:41], v[18:19]
	v_mul_f64 v[18:19], v[42:43], v[18:19]
	v_fmac_f64_e32 v[90:91], v[38:39], v[12:13]
	v_add_f64 v[14:15], v[14:15], v[88:89]
	v_add_f64 v[4:5], v[4:5], v[6:7]
	s_waitcnt vmcnt(1) lgkmcnt(0)
	v_mul_f64 v[94:95], v[44:45], v[22:23]
	v_mul_f64 v[22:23], v[46:47], v[22:23]
	v_fmac_f64_e32 v[92:93], v[42:43], v[16:17]
	v_fma_f64 v[10:11], v[40:41], v[16:17], -v[18:19]
	v_add_f64 v[6:7], v[14:15], v[90:91]
	v_add_f64 v[4:5], v[4:5], v[8:9]
	v_fmac_f64_e32 v[94:95], v[46:47], v[20:21]
	v_fma_f64 v[12:13], v[44:45], v[20:21], -v[22:23]
	v_add_f64 v[6:7], v[6:7], v[92:93]
	v_add_f64 v[4:5], v[4:5], v[10:11]
	;; [unrolled: 1-line block ×4, first 2 shown]
	s_waitcnt vmcnt(0)
	v_add_f64 v[4:5], v[24:25], -v[4:5]
	v_add_f64 v[6:7], v[26:27], -v[6:7]
	scratch_store_dwordx4 off, v[4:7], off offset:192
	s_and_saveexec_b64 s[2:3], vcc
	s_cbranch_execz .LBB17_99
; %bb.98:
	scratch_load_dwordx4 v[6:9], off, s28
	v_mov_b32_e32 v3, v2
	v_mov_b32_e32 v4, v2
	;; [unrolled: 1-line block ×3, first 2 shown]
	scratch_store_dwordx4 off, v[2:5], off offset:176
	s_waitcnt vmcnt(1)
	ds_write_b128 v84, v[6:9]
.LBB17_99:
	s_or_b64 exec, exec, s[2:3]
	s_waitcnt lgkmcnt(0)
	; wave barrier
	scratch_load_dwordx4 v[4:7], off, off offset:192
	scratch_load_dwordx4 v[8:11], off, off offset:208
	;; [unrolled: 1-line block ×7, first 2 shown]
	ds_read_b128 v[32:35], v2 offset:480
	ds_read_b128 v[36:39], v2 offset:496
	;; [unrolled: 1-line block ×6, first 2 shown]
	v_cmp_lt_u32_e32 vcc, 10, v1
	s_waitcnt vmcnt(6) lgkmcnt(5)
	v_mul_f64 v[2:3], v[32:33], v[6:7]
	v_mul_f64 v[6:7], v[34:35], v[6:7]
	s_waitcnt vmcnt(5) lgkmcnt(4)
	v_mul_f64 v[94:95], v[36:37], v[10:11]
	v_mul_f64 v[10:11], v[38:39], v[10:11]
	v_fmac_f64_e32 v[2:3], v[34:35], v[4:5]
	v_fma_f64 v[4:5], v[32:33], v[4:5], -v[6:7]
	s_waitcnt vmcnt(4) lgkmcnt(3)
	v_mul_f64 v[96:97], v[40:41], v[14:15]
	v_mul_f64 v[14:15], v[42:43], v[14:15]
	v_fmac_f64_e32 v[94:95], v[38:39], v[8:9]
	v_fma_f64 v[6:7], v[36:37], v[8:9], -v[10:11]
	v_add_f64 v[2:3], v[2:3], 0
	v_add_f64 v[4:5], v[4:5], 0
	s_waitcnt vmcnt(3) lgkmcnt(2)
	v_mul_f64 v[98:99], v[44:45], v[18:19]
	v_mul_f64 v[18:19], v[46:47], v[18:19]
	v_fmac_f64_e32 v[96:97], v[42:43], v[12:13]
	v_fma_f64 v[8:9], v[40:41], v[12:13], -v[14:15]
	v_add_f64 v[2:3], v[2:3], v[94:95]
	v_add_f64 v[4:5], v[4:5], v[6:7]
	s_waitcnt vmcnt(2) lgkmcnt(1)
	v_mul_f64 v[100:101], v[86:87], v[22:23]
	v_mul_f64 v[22:23], v[88:89], v[22:23]
	v_fmac_f64_e32 v[98:99], v[46:47], v[16:17]
	v_fma_f64 v[10:11], v[44:45], v[16:17], -v[18:19]
	v_add_f64 v[2:3], v[2:3], v[96:97]
	v_add_f64 v[4:5], v[4:5], v[8:9]
	s_waitcnt vmcnt(1) lgkmcnt(0)
	v_mul_f64 v[102:103], v[90:91], v[26:27]
	v_mul_f64 v[26:27], v[92:93], v[26:27]
	v_fmac_f64_e32 v[100:101], v[88:89], v[20:21]
	v_fma_f64 v[12:13], v[86:87], v[20:21], -v[22:23]
	v_add_f64 v[2:3], v[2:3], v[98:99]
	v_add_f64 v[4:5], v[4:5], v[10:11]
	v_fmac_f64_e32 v[102:103], v[92:93], v[24:25]
	v_fma_f64 v[14:15], v[90:91], v[24:25], -v[26:27]
	v_add_f64 v[2:3], v[2:3], v[100:101]
	v_add_f64 v[4:5], v[4:5], v[12:13]
	;; [unrolled: 1-line block ×4, first 2 shown]
	s_waitcnt vmcnt(0)
	v_add_f64 v[2:3], v[28:29], -v[2:3]
	v_add_f64 v[4:5], v[30:31], -v[6:7]
	scratch_store_dwordx4 off, v[2:5], off offset:176
	s_and_saveexec_b64 s[2:3], vcc
	s_cbranch_execz .LBB17_101
; %bb.100:
	scratch_load_dwordx4 v[2:5], off, s26
	v_mov_b32_e32 v6, 0
	v_mov_b32_e32 v7, v6
	;; [unrolled: 1-line block ×4, first 2 shown]
	scratch_store_dwordx4 off, v[6:9], off offset:160
	s_waitcnt vmcnt(1)
	ds_write_b128 v84, v[2:5]
.LBB17_101:
	s_or_b64 exec, exec, s[2:3]
	s_waitcnt lgkmcnt(0)
	; wave barrier
	scratch_load_dwordx4 v[4:7], off, off offset:176
	scratch_load_dwordx4 v[8:11], off, off offset:192
	;; [unrolled: 1-line block ×8, first 2 shown]
	v_mov_b32_e32 v2, 0
	ds_read_b128 v[36:39], v2 offset:464
	ds_read_b128 v[40:43], v2 offset:480
	ds_read_b128 v[44:47], v2 offset:496
	ds_read_b128 v[86:89], v2 offset:512
	ds_read_b128 v[90:93], v2 offset:528
	ds_read_b128 v[94:97], v2 offset:544
	ds_read_b128 v[98:101], v2 offset:560
	v_cmp_lt_u32_e32 vcc, 9, v1
	s_waitcnt vmcnt(7) lgkmcnt(6)
	v_mul_f64 v[102:103], v[36:37], v[6:7]
	v_mul_f64 v[6:7], v[38:39], v[6:7]
	s_waitcnt vmcnt(6) lgkmcnt(5)
	v_mul_f64 v[104:105], v[40:41], v[10:11]
	s_waitcnt vmcnt(4) lgkmcnt(3)
	v_mul_f64 v[108:109], v[86:87], v[18:19]
	v_mul_f64 v[10:11], v[42:43], v[10:11]
	;; [unrolled: 1-line block ×3, first 2 shown]
	v_fmac_f64_e32 v[102:103], v[38:39], v[4:5]
	v_fma_f64 v[4:5], v[36:37], v[4:5], -v[6:7]
	v_mul_f64 v[106:107], v[44:45], v[14:15]
	v_mul_f64 v[14:15], v[46:47], v[14:15]
	v_fmac_f64_e32 v[104:105], v[42:43], v[8:9]
	v_fma_f64 v[6:7], v[40:41], v[8:9], -v[10:11]
	v_fma_f64 v[10:11], v[86:87], v[16:17], -v[18:19]
	v_add_f64 v[18:19], v[102:103], 0
	v_add_f64 v[4:5], v[4:5], 0
	v_fmac_f64_e32 v[106:107], v[46:47], v[12:13]
	v_fma_f64 v[8:9], v[44:45], v[12:13], -v[14:15]
	v_add_f64 v[18:19], v[18:19], v[104:105]
	v_add_f64 v[4:5], v[4:5], v[6:7]
	s_waitcnt vmcnt(3) lgkmcnt(2)
	v_mul_f64 v[110:111], v[90:91], v[22:23]
	v_mul_f64 v[22:23], v[92:93], v[22:23]
	v_fmac_f64_e32 v[108:109], v[88:89], v[16:17]
	v_add_f64 v[6:7], v[18:19], v[106:107]
	v_add_f64 v[4:5], v[4:5], v[8:9]
	s_waitcnt vmcnt(2) lgkmcnt(1)
	v_mul_f64 v[112:113], v[94:95], v[26:27]
	v_mul_f64 v[26:27], v[96:97], v[26:27]
	v_fmac_f64_e32 v[110:111], v[92:93], v[20:21]
	v_fma_f64 v[12:13], v[90:91], v[20:21], -v[22:23]
	v_add_f64 v[6:7], v[6:7], v[108:109]
	v_add_f64 v[4:5], v[4:5], v[10:11]
	s_waitcnt vmcnt(1) lgkmcnt(0)
	v_mul_f64 v[114:115], v[98:99], v[30:31]
	v_mul_f64 v[30:31], v[100:101], v[30:31]
	v_fmac_f64_e32 v[112:113], v[96:97], v[24:25]
	v_fma_f64 v[14:15], v[94:95], v[24:25], -v[26:27]
	v_add_f64 v[6:7], v[6:7], v[110:111]
	v_add_f64 v[4:5], v[4:5], v[12:13]
	v_fmac_f64_e32 v[114:115], v[100:101], v[28:29]
	v_fma_f64 v[16:17], v[98:99], v[28:29], -v[30:31]
	v_add_f64 v[6:7], v[6:7], v[112:113]
	v_add_f64 v[4:5], v[4:5], v[14:15]
	;; [unrolled: 1-line block ×4, first 2 shown]
	s_waitcnt vmcnt(0)
	v_add_f64 v[4:5], v[32:33], -v[4:5]
	v_add_f64 v[6:7], v[34:35], -v[6:7]
	scratch_store_dwordx4 off, v[4:7], off offset:160
	s_and_saveexec_b64 s[2:3], vcc
	s_cbranch_execz .LBB17_103
; %bb.102:
	scratch_load_dwordx4 v[6:9], off, s24
	v_mov_b32_e32 v3, v2
	v_mov_b32_e32 v4, v2
	;; [unrolled: 1-line block ×3, first 2 shown]
	scratch_store_dwordx4 off, v[2:5], off offset:144
	s_waitcnt vmcnt(1)
	ds_write_b128 v84, v[6:9]
.LBB17_103:
	s_or_b64 exec, exec, s[2:3]
	s_waitcnt lgkmcnt(0)
	; wave barrier
	scratch_load_dwordx4 v[4:7], off, off offset:160
	scratch_load_dwordx4 v[8:11], off, off offset:176
	;; [unrolled: 1-line block ×9, first 2 shown]
	ds_read_b128 v[40:43], v2 offset:448
	ds_read_b128 v[44:47], v2 offset:464
	;; [unrolled: 1-line block ×8, first 2 shown]
	v_cmp_lt_u32_e32 vcc, 8, v1
	s_waitcnt vmcnt(8) lgkmcnt(7)
	v_mul_f64 v[2:3], v[40:41], v[6:7]
	v_mul_f64 v[6:7], v[42:43], v[6:7]
	s_waitcnt vmcnt(7) lgkmcnt(6)
	v_mul_f64 v[110:111], v[44:45], v[10:11]
	v_mul_f64 v[10:11], v[46:47], v[10:11]
	v_fmac_f64_e32 v[2:3], v[42:43], v[4:5]
	v_fma_f64 v[4:5], v[40:41], v[4:5], -v[6:7]
	s_waitcnt vmcnt(6) lgkmcnt(5)
	v_mul_f64 v[112:113], v[86:87], v[14:15]
	v_mul_f64 v[14:15], v[88:89], v[14:15]
	v_fmac_f64_e32 v[110:111], v[46:47], v[8:9]
	v_fma_f64 v[6:7], v[44:45], v[8:9], -v[10:11]
	v_add_f64 v[2:3], v[2:3], 0
	v_add_f64 v[4:5], v[4:5], 0
	s_waitcnt vmcnt(5) lgkmcnt(4)
	v_mul_f64 v[114:115], v[90:91], v[18:19]
	v_mul_f64 v[18:19], v[92:93], v[18:19]
	v_fmac_f64_e32 v[112:113], v[88:89], v[12:13]
	v_fma_f64 v[8:9], v[86:87], v[12:13], -v[14:15]
	v_add_f64 v[2:3], v[2:3], v[110:111]
	v_add_f64 v[4:5], v[4:5], v[6:7]
	;; [unrolled: 7-line block ×6, first 2 shown]
	v_fmac_f64_e32 v[122:123], v[108:109], v[32:33]
	v_fma_f64 v[18:19], v[106:107], v[32:33], -v[34:35]
	v_add_f64 v[2:3], v[2:3], v[120:121]
	v_add_f64 v[4:5], v[4:5], v[16:17]
	;; [unrolled: 1-line block ×4, first 2 shown]
	s_waitcnt vmcnt(0)
	v_add_f64 v[2:3], v[36:37], -v[2:3]
	v_add_f64 v[4:5], v[38:39], -v[6:7]
	scratch_store_dwordx4 off, v[2:5], off offset:144
	s_and_saveexec_b64 s[2:3], vcc
	s_cbranch_execz .LBB17_105
; %bb.104:
	scratch_load_dwordx4 v[2:5], off, s18
	v_mov_b32_e32 v6, 0
	v_mov_b32_e32 v7, v6
	;; [unrolled: 1-line block ×4, first 2 shown]
	scratch_store_dwordx4 off, v[6:9], off offset:128
	s_waitcnt vmcnt(1)
	ds_write_b128 v84, v[2:5]
.LBB17_105:
	s_or_b64 exec, exec, s[2:3]
	v_mov_b32_e32 v2, 0
	s_waitcnt lgkmcnt(0)
	; wave barrier
	ds_read_b128 v[4:7], v2 offset:432
	ds_read_b128 v[8:11], v2 offset:448
	;; [unrolled: 1-line block ×4, first 2 shown]
	scratch_load_dwordx4 v[20:23], off, off offset:144
	scratch_load_dwordx4 v[40:43], off, off offset:208
	;; [unrolled: 1-line block ×3, first 2 shown]
	v_cmp_lt_u32_e32 vcc, 7, v1
	scratch_load_dwordx4 v[86:89], off, off offset:224
	scratch_load_dwordx4 v[94:97], off, off offset:240
	;; [unrolled: 1-line block ×3, first 2 shown]
	s_waitcnt vmcnt(5) lgkmcnt(3)
	v_mul_f64 v[24:25], v[4:5], v[22:23]
	v_fmac_f64_e32 v[24:25], v[6:7], v[20:21]
	v_add_f64 v[28:29], v[24:25], 0
	scratch_load_dwordx4 v[24:27], off, off offset:160
	v_mul_f64 v[6:7], v[6:7], v[22:23]
	v_fma_f64 v[4:5], v[4:5], v[20:21], -v[6:7]
	v_add_f64 v[4:5], v[4:5], 0
	s_waitcnt vmcnt(0) lgkmcnt(2)
	v_mul_f64 v[30:31], v[8:9], v[26:27]
	v_fmac_f64_e32 v[30:31], v[10:11], v[24:25]
	v_add_f64 v[32:33], v[28:29], v[30:31]
	scratch_load_dwordx4 v[28:31], off, off offset:176
	v_mul_f64 v[6:7], v[10:11], v[26:27]
	v_fma_f64 v[6:7], v[8:9], v[24:25], -v[6:7]
	v_add_f64 v[4:5], v[4:5], v[6:7]
	;; [unrolled: 8-line block ×3, first 2 shown]
	s_waitcnt vmcnt(0) lgkmcnt(0)
	v_mul_f64 v[38:39], v[16:17], v[34:35]
	v_fmac_f64_e32 v[38:39], v[18:19], v[32:33]
	v_add_f64 v[44:45], v[36:37], v[38:39]
	ds_read_b128 v[36:39], v2 offset:496
	v_mul_f64 v[6:7], v[18:19], v[34:35]
	v_fma_f64 v[6:7], v[16:17], v[32:33], -v[6:7]
	v_add_f64 v[4:5], v[4:5], v[6:7]
	s_waitcnt lgkmcnt(0)
	v_mul_f64 v[46:47], v[36:37], v[42:43]
	v_fmac_f64_e32 v[46:47], v[38:39], v[40:41]
	v_add_f64 v[90:91], v[44:45], v[46:47]
	ds_read_b128 v[44:47], v2 offset:512
	v_mul_f64 v[6:7], v[38:39], v[42:43]
	v_fma_f64 v[6:7], v[36:37], v[40:41], -v[6:7]
	v_add_f64 v[4:5], v[4:5], v[6:7]
	s_waitcnt lgkmcnt(0)
	;; [unrolled: 8-line block ×5, first 2 shown]
	v_mul_f64 v[6:7], v[108:109], v[112:113]
	v_fma_f64 v[6:7], v[106:107], v[110:111], -v[6:7]
	v_add_f64 v[8:9], v[4:5], v[6:7]
	scratch_load_dwordx4 v[4:7], off, off offset:128
	v_mul_f64 v[116:117], v[106:107], v[112:113]
	v_fmac_f64_e32 v[116:117], v[108:109], v[110:111]
	v_add_f64 v[114:115], v[114:115], v[116:117]
	s_waitcnt vmcnt(0)
	v_add_f64 v[4:5], v[4:5], -v[8:9]
	v_add_f64 v[6:7], v[6:7], -v[114:115]
	scratch_store_dwordx4 off, v[4:7], off offset:128
	s_and_saveexec_b64 s[2:3], vcc
	s_cbranch_execz .LBB17_107
; %bb.106:
	scratch_load_dwordx4 v[6:9], off, s27
	v_mov_b32_e32 v3, v2
	v_mov_b32_e32 v4, v2
	;; [unrolled: 1-line block ×3, first 2 shown]
	scratch_store_dwordx4 off, v[2:5], off offset:112
	s_waitcnt vmcnt(1)
	ds_write_b128 v84, v[6:9]
.LBB17_107:
	s_or_b64 exec, exec, s[2:3]
	s_waitcnt lgkmcnt(0)
	; wave barrier
	scratch_load_dwordx4 v[4:7], off, off offset:128
	scratch_load_dwordx4 v[8:11], off, off offset:144
	;; [unrolled: 1-line block ×11, first 2 shown]
	ds_read_b128 v[86:89], v2 offset:416
	ds_read_b128 v[90:93], v2 offset:432
	;; [unrolled: 1-line block ×10, first 2 shown]
	v_cmp_lt_u32_e32 vcc, 6, v1
	s_waitcnt vmcnt(10) lgkmcnt(9)
	v_mul_f64 v[2:3], v[86:87], v[6:7]
	v_mul_f64 v[6:7], v[88:89], v[6:7]
	s_waitcnt vmcnt(9) lgkmcnt(8)
	v_mul_f64 v[126:127], v[90:91], v[10:11]
	v_mul_f64 v[10:11], v[92:93], v[10:11]
	v_fmac_f64_e32 v[2:3], v[88:89], v[4:5]
	v_fma_f64 v[4:5], v[86:87], v[4:5], -v[6:7]
	s_waitcnt vmcnt(8) lgkmcnt(7)
	v_mul_f64 v[128:129], v[94:95], v[14:15]
	v_mul_f64 v[14:15], v[96:97], v[14:15]
	v_fmac_f64_e32 v[126:127], v[92:93], v[8:9]
	v_fma_f64 v[6:7], v[90:91], v[8:9], -v[10:11]
	v_add_f64 v[2:3], v[2:3], 0
	v_add_f64 v[4:5], v[4:5], 0
	s_waitcnt vmcnt(7) lgkmcnt(6)
	v_mul_f64 v[130:131], v[98:99], v[18:19]
	v_mul_f64 v[18:19], v[100:101], v[18:19]
	v_fmac_f64_e32 v[128:129], v[96:97], v[12:13]
	v_fma_f64 v[8:9], v[94:95], v[12:13], -v[14:15]
	v_add_f64 v[2:3], v[2:3], v[126:127]
	v_add_f64 v[4:5], v[4:5], v[6:7]
	;; [unrolled: 7-line block ×8, first 2 shown]
	v_fmac_f64_e32 v[142:143], v[124:125], v[40:41]
	v_fma_f64 v[22:23], v[122:123], v[40:41], -v[42:43]
	v_add_f64 v[2:3], v[2:3], v[140:141]
	v_add_f64 v[4:5], v[4:5], v[20:21]
	;; [unrolled: 1-line block ×4, first 2 shown]
	s_waitcnt vmcnt(0)
	v_add_f64 v[2:3], v[44:45], -v[2:3]
	v_add_f64 v[4:5], v[46:47], -v[6:7]
	scratch_store_dwordx4 off, v[2:5], off offset:112
	s_and_saveexec_b64 s[2:3], vcc
	s_cbranch_execz .LBB17_109
; %bb.108:
	scratch_load_dwordx4 v[2:5], off, s25
	v_mov_b32_e32 v6, 0
	v_mov_b32_e32 v7, v6
	;; [unrolled: 1-line block ×4, first 2 shown]
	scratch_store_dwordx4 off, v[6:9], off offset:96
	s_waitcnt vmcnt(1)
	ds_write_b128 v84, v[2:5]
.LBB17_109:
	s_or_b64 exec, exec, s[2:3]
	s_waitcnt lgkmcnt(0)
	; wave barrier
	scratch_load_dwordx4 v[4:7], off, off offset:112
	scratch_load_dwordx4 v[8:11], off, off offset:128
	;; [unrolled: 1-line block ×12, first 2 shown]
	v_mov_b32_e32 v2, 0
	ds_read_b128 v[90:93], v2 offset:400
	ds_read_b128 v[94:97], v2 offset:416
	;; [unrolled: 1-line block ×11, first 2 shown]
	v_cmp_lt_u32_e32 vcc, 5, v1
	s_waitcnt vmcnt(11) lgkmcnt(10)
	v_mul_f64 v[134:135], v[90:91], v[6:7]
	v_mul_f64 v[6:7], v[92:93], v[6:7]
	s_waitcnt vmcnt(10) lgkmcnt(9)
	v_mul_f64 v[136:137], v[94:95], v[10:11]
	s_waitcnt vmcnt(9) lgkmcnt(8)
	v_mul_f64 v[138:139], v[98:99], v[14:15]
	v_mul_f64 v[10:11], v[96:97], v[10:11]
	s_waitcnt vmcnt(6) lgkmcnt(5)
	v_mul_f64 v[144:145], v[110:111], v[26:27]
	v_mul_f64 v[14:15], v[100:101], v[14:15]
	;; [unrolled: 1-line block ×3, first 2 shown]
	v_fmac_f64_e32 v[134:135], v[92:93], v[4:5]
	v_fma_f64 v[4:5], v[90:91], v[4:5], -v[6:7]
	v_fmac_f64_e32 v[136:137], v[96:97], v[8:9]
	v_fma_f64 v[6:7], v[94:95], v[8:9], -v[10:11]
	v_fma_f64 v[8:9], v[98:99], v[12:13], -v[14:15]
	;; [unrolled: 1-line block ×3, first 2 shown]
	v_add_f64 v[26:27], v[134:135], 0
	v_add_f64 v[4:5], v[4:5], 0
	v_mul_f64 v[140:141], v[102:103], v[18:19]
	v_mul_f64 v[18:19], v[104:105], v[18:19]
	v_fmac_f64_e32 v[138:139], v[100:101], v[12:13]
	v_add_f64 v[26:27], v[26:27], v[136:137]
	v_add_f64 v[4:5], v[4:5], v[6:7]
	v_mul_f64 v[142:143], v[106:107], v[22:23]
	v_mul_f64 v[22:23], v[108:109], v[22:23]
	v_fmac_f64_e32 v[140:141], v[104:105], v[16:17]
	v_fma_f64 v[10:11], v[102:103], v[16:17], -v[18:19]
	v_add_f64 v[6:7], v[26:27], v[138:139]
	v_add_f64 v[4:5], v[4:5], v[8:9]
	v_fmac_f64_e32 v[142:143], v[108:109], v[20:21]
	v_fma_f64 v[12:13], v[106:107], v[20:21], -v[22:23]
	v_add_f64 v[6:7], v[6:7], v[140:141]
	v_add_f64 v[4:5], v[4:5], v[10:11]
	s_waitcnt vmcnt(5) lgkmcnt(4)
	v_mul_f64 v[146:147], v[114:115], v[30:31]
	v_mul_f64 v[30:31], v[116:117], v[30:31]
	v_fmac_f64_e32 v[144:145], v[112:113], v[24:25]
	v_add_f64 v[6:7], v[6:7], v[142:143]
	v_add_f64 v[4:5], v[4:5], v[12:13]
	s_waitcnt vmcnt(4) lgkmcnt(3)
	v_mul_f64 v[148:149], v[118:119], v[34:35]
	v_mul_f64 v[34:35], v[120:121], v[34:35]
	v_fmac_f64_e32 v[146:147], v[116:117], v[28:29]
	v_fma_f64 v[16:17], v[114:115], v[28:29], -v[30:31]
	v_add_f64 v[6:7], v[6:7], v[144:145]
	v_add_f64 v[4:5], v[4:5], v[14:15]
	s_waitcnt vmcnt(3) lgkmcnt(2)
	v_mul_f64 v[150:151], v[122:123], v[38:39]
	v_mul_f64 v[38:39], v[124:125], v[38:39]
	v_fmac_f64_e32 v[148:149], v[120:121], v[32:33]
	v_fma_f64 v[18:19], v[118:119], v[32:33], -v[34:35]
	;; [unrolled: 7-line block ×4, first 2 shown]
	v_add_f64 v[6:7], v[6:7], v[150:151]
	v_add_f64 v[4:5], v[4:5], v[20:21]
	v_fmac_f64_e32 v[154:155], v[132:133], v[44:45]
	v_fma_f64 v[24:25], v[130:131], v[44:45], -v[46:47]
	v_add_f64 v[6:7], v[6:7], v[152:153]
	v_add_f64 v[4:5], v[4:5], v[22:23]
	;; [unrolled: 1-line block ×4, first 2 shown]
	s_waitcnt vmcnt(0)
	v_add_f64 v[4:5], v[86:87], -v[4:5]
	v_add_f64 v[6:7], v[88:89], -v[6:7]
	scratch_store_dwordx4 off, v[4:7], off offset:96
	s_and_saveexec_b64 s[2:3], vcc
	s_cbranch_execz .LBB17_111
; %bb.110:
	scratch_load_dwordx4 v[6:9], off, s19
	v_mov_b32_e32 v3, v2
	v_mov_b32_e32 v4, v2
	;; [unrolled: 1-line block ×3, first 2 shown]
	scratch_store_dwordx4 off, v[2:5], off offset:80
	s_waitcnt vmcnt(1)
	ds_write_b128 v84, v[6:9]
.LBB17_111:
	s_or_b64 exec, exec, s[2:3]
	s_waitcnt lgkmcnt(0)
	; wave barrier
	scratch_load_dwordx4 v[4:7], off, off offset:96
	scratch_load_dwordx4 v[8:11], off, off offset:112
	;; [unrolled: 1-line block ×12, first 2 shown]
	ds_read_b128 v[90:93], v2 offset:384
	ds_read_b128 v[94:97], v2 offset:400
	;; [unrolled: 1-line block ×4, first 2 shown]
	scratch_load_dwordx4 v[106:109], off, off offset:80
	ds_read_b128 v[110:113], v2 offset:448
	ds_read_b128 v[114:117], v2 offset:464
	;; [unrolled: 1-line block ×8, first 2 shown]
	v_cmp_lt_u32_e32 vcc, 4, v1
	s_waitcnt vmcnt(12) lgkmcnt(11)
	v_mul_f64 v[2:3], v[90:91], v[6:7]
	s_waitcnt vmcnt(11) lgkmcnt(10)
	v_mul_f64 v[142:143], v[94:95], v[10:11]
	v_fmac_f64_e32 v[2:3], v[92:93], v[4:5]
	s_waitcnt vmcnt(10) lgkmcnt(9)
	v_mul_f64 v[144:145], v[98:99], v[14:15]
	v_mul_f64 v[6:7], v[92:93], v[6:7]
	v_fmac_f64_e32 v[142:143], v[96:97], v[8:9]
	v_add_f64 v[2:3], v[2:3], 0
	s_waitcnt vmcnt(9) lgkmcnt(8)
	v_mul_f64 v[146:147], v[102:103], v[18:19]
	v_mul_f64 v[10:11], v[96:97], v[10:11]
	v_fmac_f64_e32 v[144:145], v[100:101], v[12:13]
	v_fma_f64 v[4:5], v[90:91], v[4:5], -v[6:7]
	v_add_f64 v[2:3], v[2:3], v[142:143]
	s_waitcnt vmcnt(8) lgkmcnt(7)
	v_mul_f64 v[148:149], v[110:111], v[22:23]
	v_mul_f64 v[14:15], v[100:101], v[14:15]
	v_fmac_f64_e32 v[146:147], v[104:105], v[16:17]
	v_fma_f64 v[6:7], v[94:95], v[8:9], -v[10:11]
	v_add_f64 v[4:5], v[4:5], 0
	v_add_f64 v[2:3], v[2:3], v[144:145]
	s_waitcnt vmcnt(7) lgkmcnt(6)
	v_mul_f64 v[150:151], v[114:115], v[26:27]
	v_mul_f64 v[18:19], v[104:105], v[18:19]
	v_fmac_f64_e32 v[148:149], v[112:113], v[20:21]
	v_fma_f64 v[8:9], v[98:99], v[12:13], -v[14:15]
	v_add_f64 v[4:5], v[4:5], v[6:7]
	;; [unrolled: 7-line block ×8, first 2 shown]
	v_add_f64 v[2:3], v[2:3], v[158:159]
	v_mul_f64 v[46:47], v[136:137], v[46:47]
	v_fmac_f64_e32 v[162:163], v[140:141], v[86:87]
	v_fma_f64 v[22:23], v[130:131], v[40:41], -v[42:43]
	v_add_f64 v[4:5], v[4:5], v[20:21]
	v_add_f64 v[2:3], v[2:3], v[160:161]
	;; [unrolled: 1-line block ×4, first 2 shown]
	v_fma_f64 v[2:3], v[134:135], v[44:45], -v[46:47]
	v_add_f64 v[2:3], v[4:5], v[2:3]
	v_mul_f64 v[4:5], v[140:141], v[88:89]
	v_fma_f64 v[4:5], v[138:139], v[86:87], -v[4:5]
	v_add_f64 v[2:3], v[2:3], v[4:5]
	s_waitcnt vmcnt(0)
	v_add_f64 v[2:3], v[106:107], -v[2:3]
	v_add_f64 v[4:5], v[108:109], -v[6:7]
	scratch_store_dwordx4 off, v[2:5], off offset:80
	s_and_saveexec_b64 s[2:3], vcc
	s_cbranch_execz .LBB17_113
; %bb.112:
	scratch_load_dwordx4 v[2:5], off, s17
	v_mov_b32_e32 v6, 0
	v_mov_b32_e32 v7, v6
	;; [unrolled: 1-line block ×4, first 2 shown]
	scratch_store_dwordx4 off, v[6:9], off offset:64
	s_waitcnt vmcnt(1)
	ds_write_b128 v84, v[2:5]
.LBB17_113:
	s_or_b64 exec, exec, s[2:3]
	v_mov_b32_e32 v2, 0
	s_waitcnt lgkmcnt(0)
	; wave barrier
	ds_read_b128 v[4:7], v2 offset:368
	ds_read_b128 v[8:11], v2 offset:384
	ds_read_b128 v[12:15], v2 offset:400
	ds_read_b128 v[16:19], v2 offset:416
	scratch_load_dwordx4 v[20:23], off, off offset:80
	scratch_load_dwordx4 v[40:43], off, off offset:144
	;; [unrolled: 1-line block ×7, first 2 shown]
	v_cmp_lt_u32_e32 vcc, 3, v1
	scratch_load_dwordx4 v[86:89], off, off offset:160
	scratch_load_dwordx4 v[94:97], off, off offset:176
	scratch_load_dwordx4 v[102:105], off, off offset:192
	s_waitcnt vmcnt(9) lgkmcnt(3)
	v_mul_f64 v[24:25], v[4:5], v[22:23]
	v_fmac_f64_e32 v[24:25], v[6:7], v[20:21]
	v_add_f64 v[28:29], v[24:25], 0
	scratch_load_dwordx4 v[24:27], off, off offset:96
	v_mul_f64 v[6:7], v[6:7], v[22:23]
	v_fma_f64 v[4:5], v[4:5], v[20:21], -v[6:7]
	v_add_f64 v[4:5], v[4:5], 0
	s_waitcnt vmcnt(0) lgkmcnt(2)
	v_mul_f64 v[30:31], v[8:9], v[26:27]
	v_fmac_f64_e32 v[30:31], v[10:11], v[24:25]
	v_add_f64 v[32:33], v[28:29], v[30:31]
	scratch_load_dwordx4 v[28:31], off, off offset:112
	v_mul_f64 v[6:7], v[10:11], v[26:27]
	v_fma_f64 v[6:7], v[8:9], v[24:25], -v[6:7]
	v_add_f64 v[4:5], v[4:5], v[6:7]
	;; [unrolled: 8-line block ×3, first 2 shown]
	s_waitcnt vmcnt(0) lgkmcnt(0)
	v_mul_f64 v[38:39], v[16:17], v[34:35]
	v_fmac_f64_e32 v[38:39], v[18:19], v[32:33]
	v_add_f64 v[44:45], v[36:37], v[38:39]
	ds_read_b128 v[36:39], v2 offset:432
	v_mul_f64 v[6:7], v[18:19], v[34:35]
	v_fma_f64 v[6:7], v[16:17], v[32:33], -v[6:7]
	v_add_f64 v[4:5], v[4:5], v[6:7]
	s_waitcnt lgkmcnt(0)
	v_mul_f64 v[46:47], v[36:37], v[42:43]
	v_fmac_f64_e32 v[46:47], v[38:39], v[40:41]
	v_add_f64 v[90:91], v[44:45], v[46:47]
	ds_read_b128 v[44:47], v2 offset:448
	v_mul_f64 v[6:7], v[38:39], v[42:43]
	v_fma_f64 v[6:7], v[36:37], v[40:41], -v[6:7]
	v_add_f64 v[4:5], v[4:5], v[6:7]
	s_waitcnt lgkmcnt(0)
	;; [unrolled: 8-line block ×9, first 2 shown]
	v_mul_f64 v[6:7], v[140:141], v[144:145]
	v_fma_f64 v[6:7], v[138:139], v[142:143], -v[6:7]
	v_add_f64 v[8:9], v[4:5], v[6:7]
	scratch_load_dwordx4 v[4:7], off, off offset:64
	v_mul_f64 v[148:149], v[138:139], v[144:145]
	v_fmac_f64_e32 v[148:149], v[140:141], v[142:143]
	v_add_f64 v[146:147], v[146:147], v[148:149]
	s_waitcnt vmcnt(0)
	v_add_f64 v[4:5], v[4:5], -v[8:9]
	v_add_f64 v[6:7], v[6:7], -v[146:147]
	scratch_store_dwordx4 off, v[4:7], off offset:64
	s_and_saveexec_b64 s[2:3], vcc
	s_cbranch_execz .LBB17_115
; %bb.114:
	scratch_load_dwordx4 v[6:9], off, s16
	v_mov_b32_e32 v3, v2
	v_mov_b32_e32 v4, v2
	;; [unrolled: 1-line block ×3, first 2 shown]
	scratch_store_dwordx4 off, v[2:5], off offset:48
	s_waitcnt vmcnt(1)
	ds_write_b128 v84, v[6:9]
.LBB17_115:
	s_or_b64 exec, exec, s[2:3]
	s_waitcnt lgkmcnt(0)
	; wave barrier
	ds_read_b128 v[4:7], v2 offset:352
	ds_read_b128 v[8:11], v2 offset:368
	;; [unrolled: 1-line block ×4, first 2 shown]
	scratch_load_dwordx4 v[20:23], off, off offset:64
	scratch_load_dwordx4 v[40:43], off, off offset:128
	scratch_load_dwordx4 v[110:113], off, off offset:192
	scratch_load_dwordx4 v[118:121], off, off offset:208
	scratch_load_dwordx4 v[126:129], off, off offset:224
	scratch_load_dwordx4 v[134:137], off, off offset:240
	scratch_load_dwordx4 v[142:145], off, off offset:256
	scratch_load_dwordx4 v[150:153], off, off offset:272
	v_cmp_lt_u32_e32 vcc, 2, v1
	scratch_load_dwordx4 v[86:89], off, off offset:144
	scratch_load_dwordx4 v[94:97], off, off offset:160
	;; [unrolled: 1-line block ×3, first 2 shown]
	s_waitcnt vmcnt(10) lgkmcnt(3)
	v_mul_f64 v[24:25], v[4:5], v[22:23]
	v_fmac_f64_e32 v[24:25], v[6:7], v[20:21]
	v_add_f64 v[28:29], v[24:25], 0
	scratch_load_dwordx4 v[24:27], off, off offset:80
	s_waitcnt vmcnt(0) lgkmcnt(2)
	v_mul_f64 v[30:31], v[8:9], v[26:27]
	v_fmac_f64_e32 v[30:31], v[10:11], v[24:25]
	v_add_f64 v[32:33], v[28:29], v[30:31]
	scratch_load_dwordx4 v[28:31], off, off offset:96
	;; [unrolled: 5-line block ×3, first 2 shown]
	s_waitcnt vmcnt(0) lgkmcnt(0)
	v_mul_f64 v[38:39], v[16:17], v[34:35]
	v_fmac_f64_e32 v[38:39], v[18:19], v[32:33]
	v_add_f64 v[44:45], v[36:37], v[38:39]
	ds_read_b128 v[36:39], v2 offset:416
	s_waitcnt lgkmcnt(0)
	v_mul_f64 v[46:47], v[36:37], v[42:43]
	v_fmac_f64_e32 v[46:47], v[38:39], v[40:41]
	v_add_f64 v[90:91], v[44:45], v[46:47]
	ds_read_b128 v[44:47], v2 offset:432
	s_waitcnt lgkmcnt(0)
	;; [unrolled: 5-line block ×10, first 2 shown]
	v_mul_f64 v[2:3], v[146:147], v[152:153]
	v_fmac_f64_e32 v[2:3], v[148:149], v[150:151]
	v_add_f64 v[154:155], v[154:155], v[2:3]
	v_mul_f64 v[2:3], v[6:7], v[22:23]
	v_fma_f64 v[2:3], v[4:5], v[20:21], -v[2:3]
	v_mul_f64 v[4:5], v[10:11], v[26:27]
	v_add_f64 v[2:3], v[2:3], 0
	v_fma_f64 v[4:5], v[8:9], v[24:25], -v[4:5]
	v_add_f64 v[2:3], v[2:3], v[4:5]
	v_mul_f64 v[4:5], v[14:15], v[30:31]
	v_fma_f64 v[4:5], v[12:13], v[28:29], -v[4:5]
	v_add_f64 v[2:3], v[2:3], v[4:5]
	v_mul_f64 v[4:5], v[18:19], v[34:35]
	;; [unrolled: 3-line block ×12, first 2 shown]
	v_fma_f64 v[4:5], v[146:147], v[150:151], -v[4:5]
	v_add_f64 v[6:7], v[2:3], v[4:5]
	scratch_load_dwordx4 v[2:5], off, off offset:48
	s_waitcnt vmcnt(0)
	v_add_f64 v[2:3], v[2:3], -v[6:7]
	v_add_f64 v[4:5], v[4:5], -v[154:155]
	scratch_store_dwordx4 off, v[2:5], off offset:48
	s_and_saveexec_b64 s[2:3], vcc
	s_cbranch_execz .LBB17_117
; %bb.116:
	scratch_load_dwordx4 v[2:5], off, s14
	v_mov_b32_e32 v6, 0
	v_mov_b32_e32 v7, v6
	;; [unrolled: 1-line block ×4, first 2 shown]
	scratch_store_dwordx4 off, v[6:9], off offset:32
	s_waitcnt vmcnt(1)
	ds_write_b128 v84, v[2:5]
.LBB17_117:
	s_or_b64 exec, exec, s[2:3]
	s_waitcnt lgkmcnt(0)
	; wave barrier
	scratch_load_dwordx4 v[4:7], off, off offset:48
	scratch_load_dwordx4 v[8:11], off, off offset:64
	;; [unrolled: 1-line block ×16, first 2 shown]
	v_mov_b32_e32 v2, 0
	ds_read_b128 v[106:109], v2 offset:336
	ds_read_b128 v[110:113], v2 offset:352
	;; [unrolled: 1-line block ×15, first 2 shown]
	v_cmp_lt_u32_e32 vcc, 1, v1
	s_waitcnt vmcnt(15) lgkmcnt(14)
	v_mul_f64 v[166:167], v[106:107], v[6:7]
	v_mul_f64 v[6:7], v[108:109], v[6:7]
	s_waitcnt vmcnt(14) lgkmcnt(13)
	v_mul_f64 v[168:169], v[110:111], v[10:11]
	v_mul_f64 v[10:11], v[112:113], v[10:11]
	v_fmac_f64_e32 v[166:167], v[108:109], v[4:5]
	v_fma_f64 v[4:5], v[106:107], v[4:5], -v[6:7]
	s_waitcnt vmcnt(13) lgkmcnt(12)
	v_mul_f64 v[170:171], v[114:115], v[14:15]
	v_mul_f64 v[14:15], v[116:117], v[14:15]
	v_fma_f64 v[6:7], v[110:111], v[8:9], -v[10:11]
	v_add_f64 v[4:5], v[4:5], 0
	s_waitcnt vmcnt(12) lgkmcnt(11)
	v_mul_f64 v[172:173], v[118:119], v[18:19]
	v_mul_f64 v[18:19], v[120:121], v[18:19]
	v_fmac_f64_e32 v[168:169], v[112:113], v[8:9]
	v_fma_f64 v[8:9], v[114:115], v[12:13], -v[14:15]
	v_add_f64 v[4:5], v[4:5], v[6:7]
	s_waitcnt vmcnt(11) lgkmcnt(10)
	v_mul_f64 v[174:175], v[122:123], v[22:23]
	v_mul_f64 v[22:23], v[124:125], v[22:23]
	v_fma_f64 v[10:11], v[118:119], v[16:17], -v[18:19]
	v_add_f64 v[4:5], v[4:5], v[8:9]
	s_waitcnt vmcnt(10) lgkmcnt(9)
	v_mul_f64 v[176:177], v[126:127], v[30:31]
	v_mul_f64 v[30:31], v[128:129], v[30:31]
	v_fmac_f64_e32 v[170:171], v[116:117], v[12:13]
	v_fma_f64 v[12:13], v[122:123], v[20:21], -v[22:23]
	v_add_f64 v[4:5], v[4:5], v[10:11]
	v_fma_f64 v[14:15], v[126:127], v[28:29], -v[30:31]
	v_add_f64 v[4:5], v[4:5], v[12:13]
	s_waitcnt vmcnt(9) lgkmcnt(8)
	v_mul_f64 v[8:9], v[132:133], v[26:27]
	v_add_f64 v[4:5], v[4:5], v[14:15]
	v_fma_f64 v[8:9], v[130:131], v[24:25], -v[8:9]
	v_add_f64 v[4:5], v[4:5], v[8:9]
	s_waitcnt vmcnt(8) lgkmcnt(7)
	v_mul_f64 v[8:9], v[136:137], v[34:35]
	v_fma_f64 v[8:9], v[134:135], v[32:33], -v[8:9]
	v_fmac_f64_e32 v[172:173], v[120:121], v[16:17]
	v_add_f64 v[16:17], v[166:167], 0
	v_add_f64 v[4:5], v[4:5], v[8:9]
	s_waitcnt vmcnt(7) lgkmcnt(6)
	v_mul_f64 v[8:9], v[140:141], v[38:39]
	v_add_f64 v[16:17], v[16:17], v[168:169]
	v_fma_f64 v[8:9], v[138:139], v[36:37], -v[8:9]
	v_add_f64 v[6:7], v[16:17], v[170:171]
	v_add_f64 v[4:5], v[4:5], v[8:9]
	s_waitcnt vmcnt(6) lgkmcnt(5)
	v_mul_f64 v[8:9], v[144:145], v[42:43]
	v_fmac_f64_e32 v[174:175], v[124:125], v[20:21]
	v_add_f64 v[6:7], v[6:7], v[172:173]
	v_fma_f64 v[8:9], v[142:143], v[40:41], -v[8:9]
	v_mul_f64 v[178:179], v[130:131], v[26:27]
	v_fmac_f64_e32 v[176:177], v[128:129], v[28:29]
	v_add_f64 v[6:7], v[6:7], v[174:175]
	v_add_f64 v[4:5], v[4:5], v[8:9]
	s_waitcnt vmcnt(5) lgkmcnt(4)
	v_mul_f64 v[8:9], v[148:149], v[46:47]
	v_mul_f64 v[180:181], v[134:135], v[34:35]
	v_fmac_f64_e32 v[178:179], v[132:133], v[24:25]
	v_add_f64 v[6:7], v[6:7], v[176:177]
	v_fma_f64 v[8:9], v[146:147], v[44:45], -v[8:9]
	v_mul_f64 v[182:183], v[138:139], v[38:39]
	v_fmac_f64_e32 v[180:181], v[136:137], v[32:33]
	v_add_f64 v[6:7], v[6:7], v[178:179]
	v_add_f64 v[4:5], v[4:5], v[8:9]
	s_waitcnt vmcnt(4) lgkmcnt(3)
	v_mul_f64 v[8:9], v[152:153], v[88:89]
	;; [unrolled: 10-line block ×4, first 2 shown]
	v_mul_f64 v[192:193], v[158:159], v[96:97]
	v_fmac_f64_e32 v[190:191], v[156:157], v[90:91]
	v_add_f64 v[6:7], v[6:7], v[188:189]
	v_fma_f64 v[8:9], v[158:159], v[94:95], -v[8:9]
	s_waitcnt vmcnt(1) lgkmcnt(0)
	v_mul_f64 v[194:195], v[162:163], v[100:101]
	v_fmac_f64_e32 v[192:193], v[160:161], v[94:95]
	v_add_f64 v[6:7], v[6:7], v[190:191]
	v_add_f64 v[4:5], v[4:5], v[8:9]
	v_mul_f64 v[8:9], v[164:165], v[100:101]
	v_fmac_f64_e32 v[194:195], v[164:165], v[98:99]
	v_add_f64 v[6:7], v[6:7], v[192:193]
	v_fma_f64 v[8:9], v[162:163], v[98:99], -v[8:9]
	v_add_f64 v[6:7], v[6:7], v[194:195]
	v_add_f64 v[4:5], v[4:5], v[8:9]
	s_waitcnt vmcnt(0)
	v_add_f64 v[4:5], v[102:103], -v[4:5]
	v_add_f64 v[6:7], v[104:105], -v[6:7]
	scratch_store_dwordx4 off, v[4:7], off offset:32
	s_and_saveexec_b64 s[2:3], vcc
	s_cbranch_execz .LBB17_119
; %bb.118:
	scratch_load_dwordx4 v[6:9], off, s15
	v_mov_b32_e32 v3, v2
	v_mov_b32_e32 v4, v2
	;; [unrolled: 1-line block ×3, first 2 shown]
	scratch_store_dwordx4 off, v[2:5], off offset:16
	s_waitcnt vmcnt(1)
	ds_write_b128 v84, v[6:9]
.LBB17_119:
	s_or_b64 exec, exec, s[2:3]
	s_waitcnt lgkmcnt(0)
	; wave barrier
	scratch_load_dwordx4 v[4:7], off, off offset:32
	scratch_load_dwordx4 v[8:11], off, off offset:48
	;; [unrolled: 1-line block ×16, first 2 shown]
	ds_read_b128 v[106:109], v2 offset:320
	ds_read_b128 v[110:113], v2 offset:336
	;; [unrolled: 1-line block ×16, first 2 shown]
	scratch_load_dwordx4 v[170:173], off, off offset:16
	v_cmp_ne_u32_e32 vcc, 0, v1
	s_waitcnt vmcnt(16) lgkmcnt(14)
	v_mul_f64 v[2:3], v[106:107], v[6:7]
	s_waitcnt vmcnt(15)
	v_mul_f64 v[174:175], v[110:111], v[10:11]
	v_fmac_f64_e32 v[2:3], v[108:109], v[4:5]
	s_waitcnt vmcnt(14) lgkmcnt(13)
	v_mul_f64 v[176:177], v[114:115], v[18:19]
	v_fmac_f64_e32 v[174:175], v[112:113], v[8:9]
	v_add_f64 v[2:3], v[2:3], 0
	s_waitcnt vmcnt(13) lgkmcnt(12)
	v_mul_f64 v[178:179], v[118:119], v[14:15]
	v_fmac_f64_e32 v[176:177], v[116:117], v[16:17]
	v_add_f64 v[2:3], v[2:3], v[174:175]
	;; [unrolled: 4-line block ×10, first 2 shown]
	v_mul_f64 v[6:7], v[108:109], v[6:7]
	s_waitcnt vmcnt(4) lgkmcnt(3)
	v_mul_f64 v[196:197], v[154:155], v[92:93]
	v_fmac_f64_e32 v[194:195], v[152:153], v[86:87]
	v_add_f64 v[2:3], v[2:3], v[192:193]
	s_waitcnt vmcnt(3) lgkmcnt(2)
	v_mul_f64 v[198:199], v[158:159], v[96:97]
	v_mul_f64 v[10:11], v[112:113], v[10:11]
	v_fma_f64 v[4:5], v[106:107], v[4:5], -v[6:7]
	v_fmac_f64_e32 v[196:197], v[156:157], v[90:91]
	v_add_f64 v[2:3], v[2:3], v[194:195]
	s_waitcnt vmcnt(2) lgkmcnt(1)
	v_mul_f64 v[200:201], v[162:163], v[100:101]
	v_mul_f64 v[18:19], v[116:117], v[18:19]
	v_fma_f64 v[6:7], v[110:111], v[8:9], -v[10:11]
	v_fmac_f64_e32 v[198:199], v[160:161], v[94:95]
	v_add_f64 v[4:5], v[4:5], 0
	v_add_f64 v[2:3], v[2:3], v[196:197]
	s_waitcnt vmcnt(1) lgkmcnt(0)
	v_mul_f64 v[202:203], v[166:167], v[104:105]
	v_mul_f64 v[14:15], v[120:121], v[14:15]
	v_fma_f64 v[8:9], v[114:115], v[16:17], -v[18:19]
	v_fmac_f64_e32 v[200:201], v[164:165], v[98:99]
	v_add_f64 v[4:5], v[4:5], v[6:7]
	v_add_f64 v[2:3], v[2:3], v[198:199]
	v_mul_f64 v[26:27], v[124:125], v[26:27]
	v_fmac_f64_e32 v[202:203], v[168:169], v[102:103]
	v_fma_f64 v[10:11], v[118:119], v[12:13], -v[14:15]
	v_add_f64 v[4:5], v[4:5], v[8:9]
	v_add_f64 v[2:3], v[2:3], v[200:201]
	v_fma_f64 v[12:13], v[122:123], v[24:25], -v[26:27]
	v_add_f64 v[4:5], v[4:5], v[10:11]
	v_add_f64 v[6:7], v[2:3], v[202:203]
	v_mul_f64 v[2:3], v[128:129], v[22:23]
	v_add_f64 v[4:5], v[4:5], v[12:13]
	v_fma_f64 v[2:3], v[126:127], v[20:21], -v[2:3]
	v_add_f64 v[2:3], v[4:5], v[2:3]
	v_mul_f64 v[4:5], v[132:133], v[30:31]
	v_fma_f64 v[4:5], v[130:131], v[28:29], -v[4:5]
	v_add_f64 v[2:3], v[2:3], v[4:5]
	v_mul_f64 v[4:5], v[136:137], v[34:35]
	;; [unrolled: 3-line block ×10, first 2 shown]
	v_fma_f64 v[4:5], v[166:167], v[102:103], -v[4:5]
	v_add_f64 v[2:3], v[2:3], v[4:5]
	s_waitcnt vmcnt(0)
	v_add_f64 v[2:3], v[170:171], -v[2:3]
	v_add_f64 v[4:5], v[172:173], -v[6:7]
	scratch_store_dwordx4 off, v[2:5], off offset:16
	s_and_saveexec_b64 s[2:3], vcc
	s_cbranch_execz .LBB17_121
; %bb.120:
	scratch_load_dwordx4 v[2:5], off, off
	v_mov_b32_e32 v6, 0
	v_mov_b32_e32 v7, v6
	;; [unrolled: 1-line block ×4, first 2 shown]
	scratch_store_dwordx4 off, v[6:9], off
	s_waitcnt vmcnt(1)
	ds_write_b128 v84, v[2:5]
.LBB17_121:
	s_or_b64 exec, exec, s[2:3]
	s_waitcnt lgkmcnt(0)
	; wave barrier
	scratch_load_dwordx4 v[2:5], off, off offset:16
	scratch_load_dwordx4 v[6:9], off, off offset:32
	;; [unrolled: 1-line block ×17, first 2 shown]
	scratch_load_dwordx4 v[108:111], off, off
	v_mov_b32_e32 v42, 0
	ds_read_b128 v[112:115], v42 offset:304
	ds_read_b128 v[116:119], v42 offset:320
	;; [unrolled: 1-line block ×17, first 2 shown]
	s_and_b64 vcc, exec, s[22:23]
	s_waitcnt vmcnt(17) lgkmcnt(14)
	v_mul_f64 v[180:181], v[112:113], v[4:5]
	v_mul_f64 v[4:5], v[114:115], v[4:5]
	s_waitcnt vmcnt(16)
	v_mul_f64 v[182:183], v[116:117], v[8:9]
	v_mul_f64 v[8:9], v[118:119], v[8:9]
	v_fmac_f64_e32 v[180:181], v[114:115], v[2:3]
	v_fma_f64 v[2:3], v[112:113], v[2:3], -v[4:5]
	s_waitcnt vmcnt(15)
	v_mul_f64 v[184:185], v[120:121], v[16:17]
	v_mul_f64 v[16:17], v[122:123], v[16:17]
	v_fma_f64 v[4:5], v[116:117], v[6:7], -v[8:9]
	v_add_f64 v[2:3], v[2:3], 0
	s_waitcnt vmcnt(14) lgkmcnt(13)
	v_mul_f64 v[186:187], v[124:125], v[12:13]
	v_mul_f64 v[12:13], v[126:127], v[12:13]
	v_fmac_f64_e32 v[182:183], v[118:119], v[6:7]
	v_fma_f64 v[6:7], v[120:121], v[14:15], -v[16:17]
	v_add_f64 v[2:3], v[2:3], v[4:5]
	v_add_f64 v[2:3], v[2:3], v[6:7]
	v_fma_f64 v[6:7], v[124:125], v[10:11], -v[12:13]
	v_add_f64 v[2:3], v[2:3], v[6:7]
	s_waitcnt vmcnt(13) lgkmcnt(12)
	v_mul_f64 v[6:7], v[130:131], v[20:21]
	v_fma_f64 v[6:7], v[128:129], v[18:19], -v[6:7]
	v_add_f64 v[2:3], v[2:3], v[6:7]
	s_waitcnt vmcnt(12) lgkmcnt(11)
	v_mul_f64 v[6:7], v[134:135], v[24:25]
	;; [unrolled: 4-line block ×5, first 2 shown]
	v_fma_f64 v[6:7], v[144:145], v[34:35], -v[6:7]
	v_add_f64 v[8:9], v[180:181], 0
	v_add_f64 v[2:3], v[2:3], v[6:7]
	s_waitcnt vmcnt(8) lgkmcnt(7)
	v_mul_f64 v[6:7], v[150:151], v[40:41]
	v_fmac_f64_e32 v[184:185], v[122:123], v[14:15]
	v_add_f64 v[8:9], v[8:9], v[182:183]
	v_fma_f64 v[6:7], v[148:149], v[38:39], -v[6:7]
	v_mul_f64 v[188:189], v[128:129], v[20:21]
	v_fmac_f64_e32 v[186:187], v[126:127], v[10:11]
	v_add_f64 v[4:5], v[8:9], v[184:185]
	v_add_f64 v[2:3], v[2:3], v[6:7]
	s_waitcnt vmcnt(7) lgkmcnt(6)
	v_mul_f64 v[6:7], v[154:155], v[46:47]
	v_mul_f64 v[190:191], v[132:133], v[24:25]
	v_fmac_f64_e32 v[188:189], v[130:131], v[18:19]
	v_add_f64 v[4:5], v[4:5], v[186:187]
	v_fma_f64 v[6:7], v[152:153], v[44:45], -v[6:7]
	v_mul_f64 v[192:193], v[136:137], v[28:29]
	v_fmac_f64_e32 v[190:191], v[134:135], v[22:23]
	v_add_f64 v[4:5], v[4:5], v[188:189]
	v_add_f64 v[2:3], v[2:3], v[6:7]
	s_waitcnt vmcnt(6) lgkmcnt(5)
	v_mul_f64 v[6:7], v[158:159], v[86:87]
	;; [unrolled: 10-line block ×6, first 2 shown]
	v_mul_f64 v[210:211], v[172:173], v[102:103]
	v_fmac_f64_e32 v[208:209], v[170:171], v[96:97]
	v_add_f64 v[4:5], v[4:5], v[206:207]
	v_fma_f64 v[6:7], v[172:173], v[100:101], -v[6:7]
	s_waitcnt vmcnt(1) lgkmcnt(0)
	v_mul_f64 v[212:213], v[176:177], v[106:107]
	v_fmac_f64_e32 v[210:211], v[174:175], v[100:101]
	v_add_f64 v[4:5], v[4:5], v[208:209]
	v_add_f64 v[2:3], v[2:3], v[6:7]
	v_mul_f64 v[6:7], v[178:179], v[106:107]
	v_fmac_f64_e32 v[212:213], v[178:179], v[104:105]
	v_add_f64 v[4:5], v[4:5], v[210:211]
	v_fma_f64 v[6:7], v[176:177], v[104:105], -v[6:7]
	v_add_f64 v[4:5], v[4:5], v[212:213]
	v_add_f64 v[2:3], v[2:3], v[6:7]
	s_waitcnt vmcnt(0)
	v_add_f64 v[2:3], v[108:109], -v[2:3]
	v_add_f64 v[4:5], v[110:111], -v[4:5]
	scratch_store_dwordx4 off, v[2:5], off
	s_cbranch_vccz .LBB17_156
; %bb.122:
	global_load_dword v2, v42, s[20:21] offset:64
	s_load_dwordx2 s[2:3], s[0:1], 0x4
	v_bfe_u32 v3, v0, 10, 10
	v_bfe_u32 v0, v0, 20, 10
	s_waitcnt lgkmcnt(0)
	s_lshr_b32 s0, s2, 16
	s_mul_i32 s0, s0, s3
	v_mul_u32_u24_e32 v1, s0, v1
	v_mul_u32_u24_e32 v3, s3, v3
	v_add3_u32 v0, v1, v3, v0
	v_mov_b32_e32 v1, 0x248
	v_lshl_add_u32 v0, v0, 4, v1
	s_waitcnt vmcnt(0)
	v_readfirstlane_b32 s0, v2
	s_add_i32 s0, s0, -1
	s_cmp_lg_u32 s0, 16
	s_cbranch_scc0 .LBB17_124
; %bb.123:
	s_lshl_b32 s0, s0, 4
	scratch_load_dwordx4 v[2:5], off, s29
	scratch_load_dwordx4 v[6:9], off, s0
	s_waitcnt vmcnt(1)
	ds_write2_b64 v0, v[2:3], v[4:5] offset1:1
	s_waitcnt vmcnt(0)
	scratch_store_dwordx4 off, v[6:9], s29
	scratch_store_dwordx4 off, v[2:5], s0
.LBB17_124:
	v_mov_b32_e32 v1, 0
	global_load_dword v2, v1, s[20:21] offset:60
	s_waitcnt vmcnt(0)
	v_readfirstlane_b32 s0, v2
	s_add_i32 s0, s0, -1
	s_cmp_eq_u32 s0, 15
	s_cbranch_scc1 .LBB17_126
; %bb.125:
	s_lshl_b32 s0, s0, 4
	scratch_load_dwordx4 v[2:5], off, s33
	scratch_load_dwordx4 v[6:9], off, s0
	s_waitcnt vmcnt(1)
	ds_write2_b64 v0, v[2:3], v[4:5] offset1:1
	s_waitcnt vmcnt(0)
	scratch_store_dwordx4 off, v[6:9], s33
	scratch_store_dwordx4 off, v[2:5], s0
.LBB17_126:
	global_load_dword v1, v1, s[20:21] offset:56
	s_waitcnt vmcnt(0)
	v_readfirstlane_b32 s0, v1
	s_add_i32 s0, s0, -1
	s_cmp_eq_u32 s0, 14
	s_cbranch_scc1 .LBB17_128
; %bb.127:
	s_lshl_b32 s0, s0, 4
	scratch_load_dwordx4 v[2:5], off, s35
	scratch_load_dwordx4 v[6:9], off, s0
	s_waitcnt vmcnt(1)
	ds_write2_b64 v0, v[2:3], v[4:5] offset1:1
	s_waitcnt vmcnt(0)
	scratch_store_dwordx4 off, v[6:9], s35
	scratch_store_dwordx4 off, v[2:5], s0
.LBB17_128:
	v_mov_b32_e32 v1, 0
	global_load_dword v2, v1, s[20:21] offset:52
	s_waitcnt vmcnt(0)
	v_readfirstlane_b32 s0, v2
	s_add_i32 s0, s0, -1
	s_cmp_eq_u32 s0, 13
	s_cbranch_scc1 .LBB17_130
; %bb.129:
	s_lshl_b32 s0, s0, 4
	scratch_load_dwordx4 v[2:5], off, s34
	scratch_load_dwordx4 v[6:9], off, s0
	s_waitcnt vmcnt(1)
	ds_write2_b64 v0, v[2:3], v[4:5] offset1:1
	s_waitcnt vmcnt(0)
	scratch_store_dwordx4 off, v[6:9], s34
	scratch_store_dwordx4 off, v[2:5], s0
.LBB17_130:
	global_load_dword v1, v1, s[20:21] offset:48
	s_waitcnt vmcnt(0)
	v_readfirstlane_b32 s0, v1
	s_add_i32 s0, s0, -1
	s_cmp_eq_u32 s0, 12
	s_cbranch_scc1 .LBB17_132
; %bb.131:
	s_lshl_b32 s0, s0, 4
	scratch_load_dwordx4 v[2:5], off, s30
	scratch_load_dwordx4 v[6:9], off, s0
	s_waitcnt vmcnt(1)
	ds_write2_b64 v0, v[2:3], v[4:5] offset1:1
	s_waitcnt vmcnt(0)
	scratch_store_dwordx4 off, v[6:9], s30
	scratch_store_dwordx4 off, v[2:5], s0
.LBB17_132:
	;; [unrolled: 33-line block ×7, first 2 shown]
	v_mov_b32_e32 v1, 0
	global_load_dword v2, v1, s[20:21] offset:4
	s_waitcnt vmcnt(0)
	v_readfirstlane_b32 s0, v2
	s_add_i32 s0, s0, -1
	s_cmp_eq_u32 s0, 1
	s_cbranch_scc1 .LBB17_154
; %bb.153:
	s_lshl_b32 s0, s0, 4
	scratch_load_dwordx4 v[2:5], off, s15
	scratch_load_dwordx4 v[6:9], off, s0
	s_waitcnt vmcnt(1)
	ds_write2_b64 v0, v[2:3], v[4:5] offset1:1
	s_waitcnt vmcnt(0)
	scratch_store_dwordx4 off, v[6:9], s15
	scratch_store_dwordx4 off, v[2:5], s0
.LBB17_154:
	global_load_dword v1, v1, s[20:21]
	s_waitcnt vmcnt(0)
	v_readfirstlane_b32 s0, v1
	s_add_i32 s0, s0, -1
	s_cmp_eq_u32 s0, 0
	s_cbranch_scc1 .LBB17_156
; %bb.155:
	s_lshl_b32 s0, s0, 4
	scratch_load_dwordx4 v[2:5], off, off
	scratch_load_dwordx4 v[6:9], off, s0
	s_waitcnt vmcnt(1)
	ds_write2_b64 v0, v[2:3], v[4:5] offset1:1
	s_waitcnt vmcnt(0)
	scratch_store_dwordx4 off, v[6:9], off
	scratch_store_dwordx4 off, v[2:5], s0
.LBB17_156:
	scratch_load_dwordx4 v[0:3], off, off
	s_nop 0
	scratch_load_dwordx4 v[4:7], off, s15
	scratch_load_dwordx4 v[8:11], off, s14
	;; [unrolled: 1-line block ×15, first 2 shown]
                                        ; kill: killed $sgpr35
                                        ; kill: killed $sgpr15
                                        ; kill: killed $sgpr27
                                        ; kill: killed $sgpr34
                                        ; kill: killed $sgpr25
                                        ; kill: killed $sgpr30
                                        ; kill: killed $sgpr19
                                        ; kill: killed $sgpr28
                                        ; kill: killed $sgpr17
                                        ; kill: killed $sgpr26
                                        ; kill: killed $sgpr16
                                        ; kill: killed $sgpr24
                                        ; kill: killed $sgpr33
                                        ; kill: killed $sgpr14
                                        ; kill: killed $sgpr18
	scratch_load_dwordx4 v[100:103], off, s29
	scratch_load_dwordx4 v[104:107], off, s31
	s_waitcnt vmcnt(17)
	global_store_dwordx4 v[48:49], v[0:3], off
	s_waitcnt vmcnt(17)
	global_store_dwordx4 v[50:51], v[4:7], off
	;; [unrolled: 2-line block ×18, first 2 shown]
	s_endpgm
	.section	.rodata,"a",@progbits
	.p2align	6, 0x0
	.amdhsa_kernel _ZN9rocsolver6v33100L18getri_kernel_smallILi18E19rocblas_complex_numIdEPS3_EEvT1_iilPiilS6_bb
		.amdhsa_group_segment_fixed_size 1608
		.amdhsa_private_segment_fixed_size 304
		.amdhsa_kernarg_size 60
		.amdhsa_user_sgpr_count 4
		.amdhsa_user_sgpr_dispatch_ptr 1
		.amdhsa_user_sgpr_queue_ptr 0
		.amdhsa_user_sgpr_kernarg_segment_ptr 1
		.amdhsa_user_sgpr_dispatch_id 0
		.amdhsa_user_sgpr_kernarg_preload_length 0
		.amdhsa_user_sgpr_kernarg_preload_offset 0
		.amdhsa_user_sgpr_private_segment_size 0
		.amdhsa_uses_dynamic_stack 0
		.amdhsa_enable_private_segment 1
		.amdhsa_system_sgpr_workgroup_id_x 1
		.amdhsa_system_sgpr_workgroup_id_y 0
		.amdhsa_system_sgpr_workgroup_id_z 0
		.amdhsa_system_sgpr_workgroup_info 0
		.amdhsa_system_vgpr_workitem_id 2
		.amdhsa_next_free_vgpr 214
		.amdhsa_next_free_sgpr 36
		.amdhsa_accum_offset 216
		.amdhsa_reserve_vcc 1
		.amdhsa_float_round_mode_32 0
		.amdhsa_float_round_mode_16_64 0
		.amdhsa_float_denorm_mode_32 3
		.amdhsa_float_denorm_mode_16_64 3
		.amdhsa_dx10_clamp 1
		.amdhsa_ieee_mode 1
		.amdhsa_fp16_overflow 0
		.amdhsa_tg_split 0
		.amdhsa_exception_fp_ieee_invalid_op 0
		.amdhsa_exception_fp_denorm_src 0
		.amdhsa_exception_fp_ieee_div_zero 0
		.amdhsa_exception_fp_ieee_overflow 0
		.amdhsa_exception_fp_ieee_underflow 0
		.amdhsa_exception_fp_ieee_inexact 0
		.amdhsa_exception_int_div_zero 0
	.end_amdhsa_kernel
	.section	.text._ZN9rocsolver6v33100L18getri_kernel_smallILi18E19rocblas_complex_numIdEPS3_EEvT1_iilPiilS6_bb,"axG",@progbits,_ZN9rocsolver6v33100L18getri_kernel_smallILi18E19rocblas_complex_numIdEPS3_EEvT1_iilPiilS6_bb,comdat
.Lfunc_end17:
	.size	_ZN9rocsolver6v33100L18getri_kernel_smallILi18E19rocblas_complex_numIdEPS3_EEvT1_iilPiilS6_bb, .Lfunc_end17-_ZN9rocsolver6v33100L18getri_kernel_smallILi18E19rocblas_complex_numIdEPS3_EEvT1_iilPiilS6_bb
                                        ; -- End function
	.set _ZN9rocsolver6v33100L18getri_kernel_smallILi18E19rocblas_complex_numIdEPS3_EEvT1_iilPiilS6_bb.num_vgpr, 214
	.set _ZN9rocsolver6v33100L18getri_kernel_smallILi18E19rocblas_complex_numIdEPS3_EEvT1_iilPiilS6_bb.num_agpr, 0
	.set _ZN9rocsolver6v33100L18getri_kernel_smallILi18E19rocblas_complex_numIdEPS3_EEvT1_iilPiilS6_bb.numbered_sgpr, 36
	.set _ZN9rocsolver6v33100L18getri_kernel_smallILi18E19rocblas_complex_numIdEPS3_EEvT1_iilPiilS6_bb.num_named_barrier, 0
	.set _ZN9rocsolver6v33100L18getri_kernel_smallILi18E19rocblas_complex_numIdEPS3_EEvT1_iilPiilS6_bb.private_seg_size, 304
	.set _ZN9rocsolver6v33100L18getri_kernel_smallILi18E19rocblas_complex_numIdEPS3_EEvT1_iilPiilS6_bb.uses_vcc, 1
	.set _ZN9rocsolver6v33100L18getri_kernel_smallILi18E19rocblas_complex_numIdEPS3_EEvT1_iilPiilS6_bb.uses_flat_scratch, 0
	.set _ZN9rocsolver6v33100L18getri_kernel_smallILi18E19rocblas_complex_numIdEPS3_EEvT1_iilPiilS6_bb.has_dyn_sized_stack, 0
	.set _ZN9rocsolver6v33100L18getri_kernel_smallILi18E19rocblas_complex_numIdEPS3_EEvT1_iilPiilS6_bb.has_recursion, 0
	.set _ZN9rocsolver6v33100L18getri_kernel_smallILi18E19rocblas_complex_numIdEPS3_EEvT1_iilPiilS6_bb.has_indirect_call, 0
	.section	.AMDGPU.csdata,"",@progbits
; Kernel info:
; codeLenInByte = 18660
; TotalNumSgprs: 42
; NumVgprs: 214
; NumAgprs: 0
; TotalNumVgprs: 214
; ScratchSize: 304
; MemoryBound: 0
; FloatMode: 240
; IeeeMode: 1
; LDSByteSize: 1608 bytes/workgroup (compile time only)
; SGPRBlocks: 5
; VGPRBlocks: 26
; NumSGPRsForWavesPerEU: 42
; NumVGPRsForWavesPerEU: 214
; AccumOffset: 216
; Occupancy: 2
; WaveLimiterHint : 1
; COMPUTE_PGM_RSRC2:SCRATCH_EN: 1
; COMPUTE_PGM_RSRC2:USER_SGPR: 4
; COMPUTE_PGM_RSRC2:TRAP_HANDLER: 0
; COMPUTE_PGM_RSRC2:TGID_X_EN: 1
; COMPUTE_PGM_RSRC2:TGID_Y_EN: 0
; COMPUTE_PGM_RSRC2:TGID_Z_EN: 0
; COMPUTE_PGM_RSRC2:TIDIG_COMP_CNT: 2
; COMPUTE_PGM_RSRC3_GFX90A:ACCUM_OFFSET: 53
; COMPUTE_PGM_RSRC3_GFX90A:TG_SPLIT: 0
	.section	.text._ZN9rocsolver6v33100L18getri_kernel_smallILi19E19rocblas_complex_numIdEPS3_EEvT1_iilPiilS6_bb,"axG",@progbits,_ZN9rocsolver6v33100L18getri_kernel_smallILi19E19rocblas_complex_numIdEPS3_EEvT1_iilPiilS6_bb,comdat
	.globl	_ZN9rocsolver6v33100L18getri_kernel_smallILi19E19rocblas_complex_numIdEPS3_EEvT1_iilPiilS6_bb ; -- Begin function _ZN9rocsolver6v33100L18getri_kernel_smallILi19E19rocblas_complex_numIdEPS3_EEvT1_iilPiilS6_bb
	.p2align	8
	.type	_ZN9rocsolver6v33100L18getri_kernel_smallILi19E19rocblas_complex_numIdEPS3_EEvT1_iilPiilS6_bb,@function
_ZN9rocsolver6v33100L18getri_kernel_smallILi19E19rocblas_complex_numIdEPS3_EEvT1_iilPiilS6_bb: ; @_ZN9rocsolver6v33100L18getri_kernel_smallILi19E19rocblas_complex_numIdEPS3_EEvT1_iilPiilS6_bb
; %bb.0:
	v_and_b32_e32 v1, 0x3ff, v0
	v_cmp_gt_u32_e32 vcc, 19, v1
	s_and_saveexec_b64 s[6:7], vcc
	s_cbranch_execz .LBB18_90
; %bb.1:
	s_load_dword s6, s[2:3], 0x38
	s_load_dwordx4 s[16:19], s[2:3], 0x10
	s_load_dwordx4 s[8:11], s[2:3], 0x28
                                        ; implicit-def: $sgpr20_sgpr21
	s_waitcnt lgkmcnt(0)
	s_bitcmp1_b32 s6, 8
	s_cselect_b64 s[22:23], -1, 0
	s_ashr_i32 s5, s4, 31
	s_bfe_u32 s6, s6, 0x10008
	s_cmp_eq_u32 s6, 0
	s_cbranch_scc1 .LBB18_3
; %bb.2:
	s_load_dword s6, s[2:3], 0x20
	s_mul_i32 s7, s8, s5
	s_mul_hi_u32 s12, s8, s4
	s_mul_i32 s9, s9, s4
	s_add_i32 s12, s12, s7
	s_add_i32 s9, s12, s9
	s_mul_i32 s8, s8, s4
	s_waitcnt lgkmcnt(0)
	s_ashr_i32 s7, s6, 31
	s_lshl_b64 s[8:9], s[8:9], 2
	s_add_u32 s8, s18, s8
	s_addc_u32 s9, s19, s9
	s_lshl_b64 s[6:7], s[6:7], 2
	s_add_u32 s20, s8, s6
	s_addc_u32 s21, s9, s7
.LBB18_3:
	s_load_dwordx4 s[12:15], s[2:3], 0x0
	s_load_dword s6, s[2:3], 0x38
	s_mul_i32 s7, s16, s5
	s_mul_hi_u32 s8, s16, s4
	s_add_i32 s7, s8, s7
	s_mul_i32 s8, s17, s4
	s_add_i32 s9, s7, s8
	s_mul_i32 s8, s16, s4
	s_waitcnt lgkmcnt(0)
	s_ashr_i32 s3, s14, 31
	s_lshl_b64 s[8:9], s[8:9], 4
	s_mov_b32 s2, s14
	s_add_u32 s7, s12, s8
	s_addc_u32 s8, s13, s9
	s_lshl_b64 s[2:3], s[2:3], 4
	s_add_u32 s2, s7, s2
	s_addc_u32 s3, s8, s3
	s_add_i32 s7, s15, s15
	v_add_u32_e32 v16, s7, v1
	v_ashrrev_i32_e32 v17, 31, v16
	v_lshl_add_u64 v[52:53], v[16:17], 4, s[2:3]
	v_add_u32_e32 v16, s15, v16
	v_add_u32_e32 v24, s15, v16
	v_ashrrev_i32_e32 v25, 31, v24
	v_lshl_add_u64 v[56:57], v[24:25], 4, s[2:3]
	v_add_u32_e32 v24, s15, v24
	;; [unrolled: 4-line block ×4, first 2 shown]
	v_add_u32_e32 v42, s15, v40
	v_add_u32_e32 v70, s15, v42
	;; [unrolled: 1-line block ×5, first 2 shown]
	v_ashrrev_i32_e32 v79, 31, v78
	v_lshl_add_u64 v[76:77], v[78:79], 4, s[2:3]
	v_add_u32_e32 v78, s15, v78
	v_add_u32_e32 v80, s15, v78
	v_add_u32_e32 v82, s15, v80
	v_lshlrev_b32_e32 v14, 4, v1
	v_mov_b32_e32 v15, 0
	v_add_u32_e32 v84, s15, v82
	v_lshl_add_u64 v[48:49], s[2:3], 0, v[14:15]
	s_ashr_i32 s9, s15, 31
	s_mov_b32 s8, s15
	v_ashrrev_i32_e32 v17, 31, v16
	v_ashrrev_i32_e32 v25, 31, v24
	;; [unrolled: 1-line block ×10, first 2 shown]
	v_lshl_add_u64 v[50:51], s[8:9], 4, v[48:49]
	v_lshl_add_u64 v[54:55], v[16:17], 4, s[2:3]
	;; [unrolled: 1-line block ×5, first 2 shown]
	v_ashrrev_i32_e32 v43, 31, v42
	v_lshl_add_u64 v[70:71], v[70:71], 4, s[2:3]
	v_ashrrev_i32_e32 v73, 31, v72
	v_lshl_add_u64 v[74:75], v[74:75], 4, s[2:3]
	v_lshl_add_u64 v[78:79], v[78:79], 4, s[2:3]
	;; [unrolled: 1-line block ×5, first 2 shown]
	global_load_dwordx4 v[2:5], v14, s[2:3]
	global_load_dwordx4 v[6:9], v[50:51], off
	global_load_dwordx4 v[10:13], v[52:53], off
	;; [unrolled: 1-line block ×8, first 2 shown]
	v_lshl_add_u64 v[68:69], v[42:43], 4, s[2:3]
	global_load_dwordx4 v[40:43], v[66:67], off
	global_load_dwordx4 v[44:47], v[68:69], off
	v_lshl_add_u64 v[72:73], v[72:73], 4, s[2:3]
	global_load_dwordx4 v[86:89], v[70:71], off
	global_load_dwordx4 v[90:93], v[72:73], off
	;; [unrolled: 1-line block ×8, first 2 shown]
	s_mov_b32 s18, 16
	s_mov_b32 s14, 32
	;; [unrolled: 1-line block ×4, first 2 shown]
	s_movk_i32 s19, 0x50
	s_movk_i32 s25, 0x60
	;; [unrolled: 1-line block ×14, first 2 shown]
	s_bitcmp0_b32 s6, 0
	s_mov_b64 s[6:7], -1
	s_waitcnt vmcnt(18)
	scratch_store_dwordx4 off, v[2:5], off
	s_waitcnt vmcnt(18)
	scratch_store_dwordx4 off, v[6:9], off offset:16
	s_waitcnt vmcnt(18)
	scratch_store_dwordx4 off, v[10:13], off offset:32
	;; [unrolled: 2-line block ×18, first 2 shown]
	s_cbranch_scc1 .LBB18_88
; %bb.4:
	v_cmp_eq_u32_e64 s[2:3], 0, v1
	s_and_saveexec_b64 s[6:7], s[2:3]
; %bb.5:
	v_mov_b32_e32 v2, 0
	ds_write_b32 v2, v2 offset:608
; %bb.6:
	s_or_b64 exec, exec, s[6:7]
	s_waitcnt lgkmcnt(0)
	; wave barrier
	scratch_load_dwordx4 v[2:5], v14, off
	s_waitcnt vmcnt(0)
	v_cmp_eq_f64_e32 vcc, 0, v[2:3]
	v_cmp_eq_f64_e64 s[6:7], 0, v[4:5]
	s_and_b64 s[6:7], vcc, s[6:7]
	s_and_saveexec_b64 s[8:9], s[6:7]
	s_cbranch_execz .LBB18_10
; %bb.7:
	v_mov_b32_e32 v2, 0
	ds_read_b32 v4, v2 offset:608
	v_add_u32_e32 v3, 1, v1
	s_waitcnt lgkmcnt(0)
	v_readfirstlane_b32 s6, v4
	s_cmp_eq_u32 s6, 0
	s_cselect_b64 s[12:13], -1, 0
	v_cmp_gt_i32_e32 vcc, s6, v3
	s_or_b64 s[12:13], s[12:13], vcc
	s_and_b64 exec, exec, s[12:13]
	s_cbranch_execz .LBB18_10
; %bb.8:
	s_mov_b64 s[12:13], 0
	v_mov_b32_e32 v4, s6
.LBB18_9:                               ; =>This Inner Loop Header: Depth=1
	ds_cmpst_rtn_b32 v4, v2, v4, v3 offset:608
	s_waitcnt lgkmcnt(0)
	v_cmp_ne_u32_e32 vcc, 0, v4
	v_cmp_le_i32_e64 s[6:7], v4, v3
	s_and_b64 s[6:7], vcc, s[6:7]
	s_and_b64 s[6:7], exec, s[6:7]
	s_or_b64 s[12:13], s[6:7], s[12:13]
	s_andn2_b64 exec, exec, s[12:13]
	s_cbranch_execnz .LBB18_9
.LBB18_10:
	s_or_b64 exec, exec, s[8:9]
	v_mov_b32_e32 v3, 0
	; wave barrier
	ds_read_b32 v2, v3 offset:608
	s_and_saveexec_b64 s[6:7], s[2:3]
	s_cbranch_execz .LBB18_12
; %bb.11:
	s_lshl_b64 s[8:9], s[4:5], 2
	s_add_u32 s8, s10, s8
	s_addc_u32 s9, s11, s9
	s_waitcnt lgkmcnt(0)
	global_store_dword v3, v2, s[8:9]
.LBB18_12:
	s_or_b64 exec, exec, s[6:7]
	s_waitcnt lgkmcnt(0)
	v_cmp_ne_u32_e32 vcc, 0, v2
	s_mov_b64 s[6:7], 0
	s_cbranch_vccnz .LBB18_88
; %bb.13:
	v_mov_b32_e32 v15, v14
	scratch_load_dwordx4 v[2:5], v15, off
                                        ; implicit-def: $vgpr6_vgpr7
                                        ; implicit-def: $vgpr10_vgpr11
	s_waitcnt vmcnt(0)
	v_cmp_ngt_f64_e64 s[6:7], |v[2:3]|, |v[4:5]|
	s_and_saveexec_b64 s[8:9], s[6:7]
	s_xor_b64 s[6:7], exec, s[8:9]
	s_cbranch_execz .LBB18_15
; %bb.14:
	v_div_scale_f64 v[6:7], s[8:9], v[4:5], v[4:5], v[2:3]
	v_rcp_f64_e32 v[8:9], v[6:7]
	v_div_scale_f64 v[10:11], vcc, v[2:3], v[4:5], v[2:3]
	v_fma_f64 v[12:13], -v[6:7], v[8:9], 1.0
	v_fmac_f64_e32 v[8:9], v[8:9], v[12:13]
	v_fma_f64 v[12:13], -v[6:7], v[8:9], 1.0
	v_fmac_f64_e32 v[8:9], v[8:9], v[12:13]
	v_mul_f64 v[12:13], v[10:11], v[8:9]
	v_fma_f64 v[6:7], -v[6:7], v[12:13], v[10:11]
	v_div_fmas_f64 v[6:7], v[6:7], v[8:9], v[12:13]
	v_div_fixup_f64 v[6:7], v[6:7], v[4:5], v[2:3]
	v_fmac_f64_e32 v[4:5], v[2:3], v[6:7]
	v_div_scale_f64 v[2:3], s[8:9], v[4:5], v[4:5], 1.0
	v_rcp_f64_e32 v[8:9], v[2:3]
	s_nop 0
	v_fma_f64 v[10:11], -v[2:3], v[8:9], 1.0
	v_fmac_f64_e32 v[8:9], v[8:9], v[10:11]
	v_fma_f64 v[10:11], -v[2:3], v[8:9], 1.0
	v_fmac_f64_e32 v[8:9], v[8:9], v[10:11]
	v_div_scale_f64 v[10:11], vcc, 1.0, v[4:5], 1.0
	v_mul_f64 v[12:13], v[10:11], v[8:9]
	v_fma_f64 v[2:3], -v[2:3], v[12:13], v[10:11]
	s_nop 1
	v_div_fmas_f64 v[2:3], v[2:3], v[8:9], v[12:13]
	v_div_fixup_f64 v[8:9], v[2:3], v[4:5], 1.0
	v_mul_f64 v[6:7], v[6:7], v[8:9]
	v_xor_b32_e32 v9, 0x80000000, v9
	v_xor_b32_e32 v11, 0x80000000, v7
	v_mov_b32_e32 v10, v6
                                        ; implicit-def: $vgpr2_vgpr3
.LBB18_15:
	s_andn2_saveexec_b64 s[6:7], s[6:7]
	s_cbranch_execz .LBB18_17
; %bb.16:
	v_div_scale_f64 v[6:7], s[8:9], v[2:3], v[2:3], v[4:5]
	v_rcp_f64_e32 v[8:9], v[6:7]
	v_div_scale_f64 v[10:11], vcc, v[4:5], v[2:3], v[4:5]
	v_fma_f64 v[12:13], -v[6:7], v[8:9], 1.0
	v_fmac_f64_e32 v[8:9], v[8:9], v[12:13]
	v_fma_f64 v[12:13], -v[6:7], v[8:9], 1.0
	v_fmac_f64_e32 v[8:9], v[8:9], v[12:13]
	v_mul_f64 v[12:13], v[10:11], v[8:9]
	v_fma_f64 v[6:7], -v[6:7], v[12:13], v[10:11]
	v_div_fmas_f64 v[6:7], v[6:7], v[8:9], v[12:13]
	v_div_fixup_f64 v[8:9], v[6:7], v[2:3], v[4:5]
	v_fmac_f64_e32 v[2:3], v[4:5], v[8:9]
	v_div_scale_f64 v[4:5], s[8:9], v[2:3], v[2:3], 1.0
	v_rcp_f64_e32 v[6:7], v[4:5]
	s_nop 0
	v_fma_f64 v[10:11], -v[4:5], v[6:7], 1.0
	v_fmac_f64_e32 v[6:7], v[6:7], v[10:11]
	v_fma_f64 v[10:11], -v[4:5], v[6:7], 1.0
	v_fmac_f64_e32 v[6:7], v[6:7], v[10:11]
	v_div_scale_f64 v[10:11], vcc, 1.0, v[2:3], 1.0
	v_mul_f64 v[12:13], v[10:11], v[6:7]
	v_fma_f64 v[4:5], -v[4:5], v[12:13], v[10:11]
	s_nop 1
	v_div_fmas_f64 v[4:5], v[4:5], v[6:7], v[12:13]
	v_div_fixup_f64 v[6:7], v[4:5], v[2:3], 1.0
	v_xor_b32_e32 v11, 0x80000000, v7
	v_mov_b32_e32 v10, v6
	v_mul_f64 v[8:9], v[8:9], -v[6:7]
.LBB18_17:
	s_or_b64 exec, exec, s[6:7]
	scratch_store_dwordx4 v15, v[6:9], off
	scratch_load_dwordx4 v[2:5], off, s18
	v_xor_b32_e32 v13, 0x80000000, v9
	v_mov_b32_e32 v12, v8
	v_add_u32_e32 v6, 0x130, v14
	ds_write_b128 v14, v[10:13]
	s_waitcnt vmcnt(0)
	ds_write_b128 v14, v[2:5] offset:304
	s_waitcnt lgkmcnt(0)
	; wave barrier
	s_and_saveexec_b64 s[6:7], s[2:3]
	s_cbranch_execz .LBB18_19
; %bb.18:
	scratch_load_dwordx4 v[2:5], v15, off
	ds_read_b128 v[8:11], v6
	v_mov_b32_e32 v7, 0
	ds_read_b128 v[16:19], v7 offset:16
	s_waitcnt vmcnt(0) lgkmcnt(1)
	v_mul_f64 v[12:13], v[10:11], v[4:5]
	v_mul_f64 v[4:5], v[8:9], v[4:5]
	v_fma_f64 v[8:9], v[8:9], v[2:3], -v[12:13]
	v_fmac_f64_e32 v[4:5], v[10:11], v[2:3]
	v_add_f64 v[2:3], v[8:9], 0
	v_add_f64 v[8:9], v[4:5], 0
	s_waitcnt lgkmcnt(0)
	v_mul_f64 v[10:11], v[8:9], v[18:19]
	v_mul_f64 v[4:5], v[2:3], v[18:19]
	v_fma_f64 v[2:3], v[2:3], v[16:17], -v[10:11]
	v_fmac_f64_e32 v[4:5], v[8:9], v[16:17]
	scratch_store_dwordx4 off, v[2:5], off offset:16
.LBB18_19:
	s_or_b64 exec, exec, s[6:7]
	; wave barrier
	scratch_load_dwordx4 v[2:5], off, s14
	v_cmp_gt_u32_e32 vcc, 2, v1
	s_waitcnt vmcnt(0)
	ds_write_b128 v6, v[2:5]
	s_waitcnt lgkmcnt(0)
	; wave barrier
	s_and_saveexec_b64 s[6:7], vcc
	s_cbranch_execz .LBB18_23
; %bb.20:
	scratch_load_dwordx4 v[2:5], v15, off
	ds_read_b128 v[8:11], v6
	s_waitcnt vmcnt(0) lgkmcnt(0)
	v_mul_f64 v[12:13], v[10:11], v[4:5]
	v_mul_f64 v[16:17], v[8:9], v[4:5]
	v_fma_f64 v[4:5], v[8:9], v[2:3], -v[12:13]
	v_fmac_f64_e32 v[16:17], v[10:11], v[2:3]
	v_add_f64 v[4:5], v[4:5], 0
	v_add_f64 v[2:3], v[16:17], 0
	s_and_saveexec_b64 s[8:9], s[2:3]
	s_cbranch_execz .LBB18_22
; %bb.21:
	scratch_load_dwordx4 v[8:11], off, off offset:16
	v_mov_b32_e32 v7, 0
	ds_read_b128 v[16:19], v7 offset:320
	s_waitcnt vmcnt(0) lgkmcnt(0)
	v_mul_f64 v[12:13], v[16:17], v[10:11]
	v_mul_f64 v[10:11], v[18:19], v[10:11]
	v_fmac_f64_e32 v[12:13], v[18:19], v[8:9]
	v_fma_f64 v[8:9], v[16:17], v[8:9], -v[10:11]
	v_add_f64 v[2:3], v[2:3], v[12:13]
	v_add_f64 v[4:5], v[4:5], v[8:9]
.LBB18_22:
	s_or_b64 exec, exec, s[8:9]
	v_mov_b32_e32 v7, 0
	ds_read_b128 v[8:11], v7 offset:32
	s_waitcnt lgkmcnt(0)
	v_mul_f64 v[16:17], v[2:3], v[10:11]
	v_mul_f64 v[12:13], v[4:5], v[10:11]
	v_fma_f64 v[10:11], v[4:5], v[8:9], -v[16:17]
	v_fmac_f64_e32 v[12:13], v[2:3], v[8:9]
	scratch_store_dwordx4 off, v[10:13], off offset:32
.LBB18_23:
	s_or_b64 exec, exec, s[6:7]
	; wave barrier
	scratch_load_dwordx4 v[2:5], off, s15
	v_cmp_gt_u32_e32 vcc, 3, v1
	v_add_u32_e32 v7, -1, v1
	s_waitcnt vmcnt(0)
	ds_write_b128 v6, v[2:5]
	s_waitcnt lgkmcnt(0)
	; wave barrier
	s_and_saveexec_b64 s[2:3], vcc
	s_cbranch_execz .LBB18_27
; %bb.24:
	v_add_u32_e32 v8, -1, v1
	v_add_u32_e32 v9, 0x130, v14
	v_mov_b32_e32 v10, v14
	v_mov_b64_e32 v[2:3], 0
	s_mov_b64 s[6:7], 0
	v_mov_b64_e32 v[4:5], 0
.LBB18_25:                              ; =>This Inner Loop Header: Depth=1
	scratch_load_dwordx4 v[16:19], v10, off
	ds_read_b128 v[20:23], v9
	v_add_u32_e32 v8, 1, v8
	v_cmp_lt_u32_e32 vcc, 1, v8
	v_add_u32_e32 v9, 16, v9
	v_add_u32_e32 v10, 16, v10
	s_or_b64 s[6:7], vcc, s[6:7]
	s_waitcnt vmcnt(0) lgkmcnt(0)
	v_mul_f64 v[12:13], v[22:23], v[18:19]
	v_mul_f64 v[18:19], v[20:21], v[18:19]
	v_fma_f64 v[12:13], v[20:21], v[16:17], -v[12:13]
	v_fmac_f64_e32 v[18:19], v[22:23], v[16:17]
	v_add_f64 v[4:5], v[4:5], v[12:13]
	v_add_f64 v[2:3], v[2:3], v[18:19]
	s_andn2_b64 exec, exec, s[6:7]
	s_cbranch_execnz .LBB18_25
; %bb.26:
	s_or_b64 exec, exec, s[6:7]
	v_mov_b32_e32 v8, 0
	ds_read_b128 v[8:11], v8 offset:48
	s_waitcnt lgkmcnt(0)
	v_mul_f64 v[16:17], v[2:3], v[10:11]
	v_mul_f64 v[12:13], v[4:5], v[10:11]
	v_fma_f64 v[10:11], v[4:5], v[8:9], -v[16:17]
	v_fmac_f64_e32 v[12:13], v[2:3], v[8:9]
	scratch_store_dwordx4 off, v[10:13], off offset:48
.LBB18_27:
	s_or_b64 exec, exec, s[2:3]
	; wave barrier
	scratch_load_dwordx4 v[2:5], off, s16
	v_cmp_gt_u32_e32 vcc, 4, v1
	s_waitcnt vmcnt(0)
	ds_write_b128 v6, v[2:5]
	s_waitcnt lgkmcnt(0)
	; wave barrier
	s_and_saveexec_b64 s[2:3], vcc
	s_cbranch_execz .LBB18_31
; %bb.28:
	v_add_u32_e32 v8, -1, v1
	v_add_u32_e32 v9, 0x130, v14
	v_mov_b32_e32 v10, v14
	v_mov_b64_e32 v[2:3], 0
	s_mov_b64 s[6:7], 0
	v_mov_b64_e32 v[4:5], 0
.LBB18_29:                              ; =>This Inner Loop Header: Depth=1
	scratch_load_dwordx4 v[16:19], v10, off
	ds_read_b128 v[20:23], v9
	v_add_u32_e32 v8, 1, v8
	v_cmp_lt_u32_e32 vcc, 2, v8
	v_add_u32_e32 v9, 16, v9
	v_add_u32_e32 v10, 16, v10
	s_or_b64 s[6:7], vcc, s[6:7]
	s_waitcnt vmcnt(0) lgkmcnt(0)
	v_mul_f64 v[12:13], v[22:23], v[18:19]
	v_mul_f64 v[18:19], v[20:21], v[18:19]
	v_fma_f64 v[12:13], v[20:21], v[16:17], -v[12:13]
	v_fmac_f64_e32 v[18:19], v[22:23], v[16:17]
	v_add_f64 v[4:5], v[4:5], v[12:13]
	v_add_f64 v[2:3], v[2:3], v[18:19]
	s_andn2_b64 exec, exec, s[6:7]
	s_cbranch_execnz .LBB18_29
; %bb.30:
	s_or_b64 exec, exec, s[6:7]
	v_mov_b32_e32 v8, 0
	ds_read_b128 v[8:11], v8 offset:64
	s_waitcnt lgkmcnt(0)
	v_mul_f64 v[16:17], v[2:3], v[10:11]
	v_mul_f64 v[12:13], v[4:5], v[10:11]
	v_fma_f64 v[10:11], v[4:5], v[8:9], -v[16:17]
	v_fmac_f64_e32 v[12:13], v[2:3], v[8:9]
	scratch_store_dwordx4 off, v[10:13], off offset:64
.LBB18_31:
	s_or_b64 exec, exec, s[2:3]
	; wave barrier
	scratch_load_dwordx4 v[2:5], off, s19
	v_cmp_gt_u32_e32 vcc, 5, v1
	;; [unrolled: 45-line block ×14, first 2 shown]
	s_waitcnt vmcnt(0)
	ds_write_b128 v6, v[2:5]
	s_waitcnt lgkmcnt(0)
	; wave barrier
	s_and_saveexec_b64 s[2:3], vcc
	s_cbranch_execz .LBB18_83
; %bb.80:
	v_add_u32_e32 v8, -1, v1
	v_add_u32_e32 v9, 0x130, v14
	v_mov_b32_e32 v10, v14
	v_mov_b64_e32 v[2:3], 0
	s_mov_b64 s[6:7], 0
	v_mov_b64_e32 v[4:5], 0
.LBB18_81:                              ; =>This Inner Loop Header: Depth=1
	scratch_load_dwordx4 v[16:19], v10, off
	ds_read_b128 v[20:23], v9
	v_add_u32_e32 v8, 1, v8
	v_cmp_lt_u32_e32 vcc, 15, v8
	v_add_u32_e32 v9, 16, v9
	v_add_u32_e32 v10, 16, v10
	s_or_b64 s[6:7], vcc, s[6:7]
	s_waitcnt vmcnt(0) lgkmcnt(0)
	v_mul_f64 v[12:13], v[22:23], v[18:19]
	v_mul_f64 v[18:19], v[20:21], v[18:19]
	v_fma_f64 v[12:13], v[20:21], v[16:17], -v[12:13]
	v_fmac_f64_e32 v[18:19], v[22:23], v[16:17]
	v_add_f64 v[4:5], v[4:5], v[12:13]
	v_add_f64 v[2:3], v[2:3], v[18:19]
	s_andn2_b64 exec, exec, s[6:7]
	s_cbranch_execnz .LBB18_81
; %bb.82:
	s_or_b64 exec, exec, s[6:7]
	v_mov_b32_e32 v8, 0
	ds_read_b128 v[8:11], v8 offset:272
	s_waitcnt lgkmcnt(0)
	v_mul_f64 v[16:17], v[2:3], v[10:11]
	v_mul_f64 v[12:13], v[4:5], v[10:11]
	v_fma_f64 v[10:11], v[4:5], v[8:9], -v[16:17]
	v_fmac_f64_e32 v[12:13], v[2:3], v[8:9]
	scratch_store_dwordx4 off, v[10:13], off offset:272
.LBB18_83:
	s_or_b64 exec, exec, s[2:3]
	; wave barrier
	scratch_load_dwordx4 v[2:5], off, s33
	v_cmp_ne_u32_e32 vcc, 18, v1
	s_waitcnt vmcnt(0)
	ds_write_b128 v6, v[2:5]
	s_waitcnt lgkmcnt(0)
	; wave barrier
	s_and_saveexec_b64 s[2:3], vcc
	s_cbranch_execz .LBB18_87
; %bb.84:
	v_add_u32_e32 v6, 0x130, v14
	v_mov_b32_e32 v8, v14
	v_mov_b64_e32 v[2:3], 0
	s_mov_b64 s[6:7], 0
	v_mov_b64_e32 v[4:5], 0
.LBB18_85:                              ; =>This Inner Loop Header: Depth=1
	scratch_load_dwordx4 v[10:13], v8, off
	ds_read_b128 v[14:17], v6
	v_add_u32_e32 v7, 1, v7
	v_cmp_lt_u32_e32 vcc, 16, v7
	v_add_u32_e32 v6, 16, v6
	v_add_u32_e32 v8, 16, v8
	s_or_b64 s[6:7], vcc, s[6:7]
	s_waitcnt vmcnt(0) lgkmcnt(0)
	v_mul_f64 v[18:19], v[16:17], v[12:13]
	v_mul_f64 v[12:13], v[14:15], v[12:13]
	v_fma_f64 v[14:15], v[14:15], v[10:11], -v[18:19]
	v_fmac_f64_e32 v[12:13], v[16:17], v[10:11]
	v_add_f64 v[4:5], v[4:5], v[14:15]
	v_add_f64 v[2:3], v[2:3], v[12:13]
	s_andn2_b64 exec, exec, s[6:7]
	s_cbranch_execnz .LBB18_85
; %bb.86:
	s_or_b64 exec, exec, s[6:7]
	v_mov_b32_e32 v6, 0
	ds_read_b128 v[6:9], v6 offset:288
	s_waitcnt lgkmcnt(0)
	v_mul_f64 v[12:13], v[2:3], v[8:9]
	v_mul_f64 v[10:11], v[4:5], v[8:9]
	v_fma_f64 v[8:9], v[4:5], v[6:7], -v[12:13]
	v_fmac_f64_e32 v[10:11], v[2:3], v[6:7]
	scratch_store_dwordx4 off, v[8:11], off offset:288
.LBB18_87:
	s_or_b64 exec, exec, s[2:3]
	s_mov_b64 s[6:7], -1
	; wave barrier
.LBB18_88:
	s_and_b64 vcc, exec, s[6:7]
	s_cbranch_vccz .LBB18_90
; %bb.89:
	s_lshl_b64 s[2:3], s[4:5], 2
	s_add_u32 s2, s10, s2
	s_addc_u32 s3, s11, s3
	v_mov_b32_e32 v2, 0
	global_load_dword v2, v2, s[2:3]
	s_waitcnt vmcnt(0)
	v_cmp_ne_u32_e32 vcc, 0, v2
	s_cbranch_vccz .LBB18_91
.LBB18_90:
	s_endpgm
.LBB18_91:
	v_mov_b32_e32 v2, 0x130
	v_lshl_add_u32 v86, v1, 4, v2
	v_cmp_eq_u32_e32 vcc, 18, v1
	s_and_saveexec_b64 s[2:3], vcc
	s_cbranch_execz .LBB18_93
; %bb.92:
	scratch_load_dwordx4 v[2:5], off, s29
	v_mov_b32_e32 v6, 0
	v_mov_b32_e32 v7, v6
	;; [unrolled: 1-line block ×4, first 2 shown]
	scratch_store_dwordx4 off, v[6:9], off offset:272
	s_waitcnt vmcnt(1)
	ds_write_b128 v86, v[2:5]
.LBB18_93:
	s_or_b64 exec, exec, s[2:3]
	s_waitcnt lgkmcnt(0)
	; wave barrier
	scratch_load_dwordx4 v[4:7], off, off offset:288
	scratch_load_dwordx4 v[8:11], off, off offset:272
	v_mov_b32_e32 v2, 0
	ds_read_b128 v[12:15], v2 offset:592
	v_cmp_lt_u32_e32 vcc, 16, v1
	s_waitcnt vmcnt(1) lgkmcnt(0)
	v_mul_f64 v[16:17], v[12:13], v[6:7]
	v_mul_f64 v[6:7], v[14:15], v[6:7]
	v_fmac_f64_e32 v[16:17], v[14:15], v[4:5]
	v_fma_f64 v[4:5], v[12:13], v[4:5], -v[6:7]
	v_add_f64 v[6:7], v[16:17], 0
	v_add_f64 v[4:5], v[4:5], 0
	s_waitcnt vmcnt(0)
	v_add_f64 v[4:5], v[8:9], -v[4:5]
	v_add_f64 v[6:7], v[10:11], -v[6:7]
	scratch_store_dwordx4 off, v[4:7], off offset:272
	s_and_saveexec_b64 s[2:3], vcc
	s_cbranch_execz .LBB18_95
; %bb.94:
	scratch_load_dwordx4 v[6:9], off, s26
	v_mov_b32_e32 v3, v2
	v_mov_b32_e32 v4, v2
	;; [unrolled: 1-line block ×3, first 2 shown]
	scratch_store_dwordx4 off, v[2:5], off offset:256
	s_waitcnt vmcnt(1)
	ds_write_b128 v86, v[6:9]
.LBB18_95:
	s_or_b64 exec, exec, s[2:3]
	s_waitcnt lgkmcnt(0)
	; wave barrier
	scratch_load_dwordx4 v[4:7], off, off offset:272
	scratch_load_dwordx4 v[8:11], off, off offset:288
	;; [unrolled: 1-line block ×3, first 2 shown]
	ds_read_b128 v[16:19], v2 offset:576
	ds_read_b128 v[20:23], v2 offset:592
	v_cmp_lt_u32_e32 vcc, 15, v1
	s_waitcnt vmcnt(2) lgkmcnt(1)
	v_mul_f64 v[2:3], v[16:17], v[6:7]
	v_mul_f64 v[6:7], v[18:19], v[6:7]
	s_waitcnt vmcnt(1) lgkmcnt(0)
	v_mul_f64 v[24:25], v[20:21], v[10:11]
	v_mul_f64 v[10:11], v[22:23], v[10:11]
	v_fmac_f64_e32 v[2:3], v[18:19], v[4:5]
	v_fma_f64 v[4:5], v[16:17], v[4:5], -v[6:7]
	v_fmac_f64_e32 v[24:25], v[22:23], v[8:9]
	v_fma_f64 v[6:7], v[20:21], v[8:9], -v[10:11]
	v_add_f64 v[2:3], v[2:3], 0
	v_add_f64 v[4:5], v[4:5], 0
	;; [unrolled: 1-line block ×4, first 2 shown]
	s_waitcnt vmcnt(0)
	v_add_f64 v[2:3], v[12:13], -v[2:3]
	v_add_f64 v[4:5], v[14:15], -v[8:9]
	scratch_store_dwordx4 off, v[2:5], off offset:256
	s_and_saveexec_b64 s[2:3], vcc
	s_cbranch_execz .LBB18_97
; %bb.96:
	scratch_load_dwordx4 v[2:5], off, s31
	v_mov_b32_e32 v6, 0
	v_mov_b32_e32 v7, v6
	;; [unrolled: 1-line block ×4, first 2 shown]
	scratch_store_dwordx4 off, v[6:9], off offset:240
	s_waitcnt vmcnt(1)
	ds_write_b128 v86, v[2:5]
.LBB18_97:
	s_or_b64 exec, exec, s[2:3]
	s_waitcnt lgkmcnt(0)
	; wave barrier
	scratch_load_dwordx4 v[4:7], off, off offset:256
	scratch_load_dwordx4 v[8:11], off, off offset:272
	;; [unrolled: 1-line block ×4, first 2 shown]
	v_mov_b32_e32 v2, 0
	ds_read_b128 v[20:23], v2 offset:560
	ds_read_b128 v[24:27], v2 offset:576
	;; [unrolled: 1-line block ×3, first 2 shown]
	v_cmp_lt_u32_e32 vcc, 14, v1
	s_waitcnt vmcnt(3) lgkmcnt(2)
	v_mul_f64 v[32:33], v[20:21], v[6:7]
	v_mul_f64 v[6:7], v[22:23], v[6:7]
	s_waitcnt vmcnt(2) lgkmcnt(1)
	v_mul_f64 v[34:35], v[24:25], v[10:11]
	v_mul_f64 v[10:11], v[26:27], v[10:11]
	v_fmac_f64_e32 v[32:33], v[22:23], v[4:5]
	v_fma_f64 v[4:5], v[20:21], v[4:5], -v[6:7]
	s_waitcnt vmcnt(1) lgkmcnt(0)
	v_mul_f64 v[36:37], v[28:29], v[14:15]
	v_mul_f64 v[14:15], v[30:31], v[14:15]
	v_fmac_f64_e32 v[34:35], v[26:27], v[8:9]
	v_fma_f64 v[6:7], v[24:25], v[8:9], -v[10:11]
	v_add_f64 v[10:11], v[32:33], 0
	v_add_f64 v[4:5], v[4:5], 0
	v_fmac_f64_e32 v[36:37], v[30:31], v[12:13]
	v_fma_f64 v[8:9], v[28:29], v[12:13], -v[14:15]
	v_add_f64 v[10:11], v[10:11], v[34:35]
	v_add_f64 v[4:5], v[4:5], v[6:7]
	;; [unrolled: 1-line block ×4, first 2 shown]
	s_waitcnt vmcnt(0)
	v_add_f64 v[4:5], v[16:17], -v[4:5]
	v_add_f64 v[6:7], v[18:19], -v[6:7]
	scratch_store_dwordx4 off, v[4:7], off offset:240
	s_and_saveexec_b64 s[2:3], vcc
	s_cbranch_execz .LBB18_99
; %bb.98:
	scratch_load_dwordx4 v[6:9], off, s36
	v_mov_b32_e32 v3, v2
	v_mov_b32_e32 v4, v2
	;; [unrolled: 1-line block ×3, first 2 shown]
	scratch_store_dwordx4 off, v[2:5], off offset:224
	s_waitcnt vmcnt(1)
	ds_write_b128 v86, v[6:9]
.LBB18_99:
	s_or_b64 exec, exec, s[2:3]
	s_waitcnt lgkmcnt(0)
	; wave barrier
	scratch_load_dwordx4 v[4:7], off, off offset:240
	scratch_load_dwordx4 v[8:11], off, off offset:256
	;; [unrolled: 1-line block ×5, first 2 shown]
	ds_read_b128 v[24:27], v2 offset:544
	ds_read_b128 v[28:31], v2 offset:560
	;; [unrolled: 1-line block ×4, first 2 shown]
	v_cmp_lt_u32_e32 vcc, 13, v1
	s_waitcnt vmcnt(4) lgkmcnt(3)
	v_mul_f64 v[2:3], v[24:25], v[6:7]
	v_mul_f64 v[6:7], v[26:27], v[6:7]
	s_waitcnt vmcnt(3) lgkmcnt(2)
	v_mul_f64 v[40:41], v[28:29], v[10:11]
	v_mul_f64 v[10:11], v[30:31], v[10:11]
	v_fmac_f64_e32 v[2:3], v[26:27], v[4:5]
	v_fma_f64 v[4:5], v[24:25], v[4:5], -v[6:7]
	s_waitcnt vmcnt(2) lgkmcnt(1)
	v_mul_f64 v[42:43], v[32:33], v[14:15]
	v_mul_f64 v[14:15], v[34:35], v[14:15]
	v_fmac_f64_e32 v[40:41], v[30:31], v[8:9]
	v_fma_f64 v[6:7], v[28:29], v[8:9], -v[10:11]
	v_add_f64 v[2:3], v[2:3], 0
	v_add_f64 v[4:5], v[4:5], 0
	s_waitcnt vmcnt(1) lgkmcnt(0)
	v_mul_f64 v[44:45], v[36:37], v[18:19]
	v_mul_f64 v[18:19], v[38:39], v[18:19]
	v_fmac_f64_e32 v[42:43], v[34:35], v[12:13]
	v_fma_f64 v[8:9], v[32:33], v[12:13], -v[14:15]
	v_add_f64 v[2:3], v[2:3], v[40:41]
	v_add_f64 v[4:5], v[4:5], v[6:7]
	v_fmac_f64_e32 v[44:45], v[38:39], v[16:17]
	v_fma_f64 v[10:11], v[36:37], v[16:17], -v[18:19]
	v_add_f64 v[2:3], v[2:3], v[42:43]
	v_add_f64 v[4:5], v[4:5], v[8:9]
	;; [unrolled: 1-line block ×4, first 2 shown]
	s_waitcnt vmcnt(0)
	v_add_f64 v[2:3], v[20:21], -v[2:3]
	v_add_f64 v[4:5], v[22:23], -v[6:7]
	scratch_store_dwordx4 off, v[2:5], off offset:224
	s_and_saveexec_b64 s[2:3], vcc
	s_cbranch_execz .LBB18_101
; %bb.100:
	scratch_load_dwordx4 v[2:5], off, s35
	v_mov_b32_e32 v6, 0
	v_mov_b32_e32 v7, v6
	;; [unrolled: 1-line block ×4, first 2 shown]
	scratch_store_dwordx4 off, v[6:9], off offset:208
	s_waitcnt vmcnt(1)
	ds_write_b128 v86, v[2:5]
.LBB18_101:
	s_or_b64 exec, exec, s[2:3]
	s_waitcnt lgkmcnt(0)
	; wave barrier
	scratch_load_dwordx4 v[4:7], off, off offset:224
	scratch_load_dwordx4 v[8:11], off, off offset:240
	scratch_load_dwordx4 v[12:15], off, off offset:256
	scratch_load_dwordx4 v[16:19], off, off offset:272
	scratch_load_dwordx4 v[20:23], off, off offset:288
	scratch_load_dwordx4 v[24:27], off, off offset:208
	v_mov_b32_e32 v2, 0
	ds_read_b128 v[28:31], v2 offset:528
	ds_read_b128 v[32:35], v2 offset:544
	;; [unrolled: 1-line block ×5, first 2 shown]
	v_cmp_lt_u32_e32 vcc, 12, v1
	s_waitcnt vmcnt(5) lgkmcnt(4)
	v_mul_f64 v[88:89], v[28:29], v[6:7]
	v_mul_f64 v[6:7], v[30:31], v[6:7]
	s_waitcnt vmcnt(4) lgkmcnt(3)
	v_mul_f64 v[90:91], v[32:33], v[10:11]
	s_waitcnt vmcnt(3) lgkmcnt(2)
	v_mul_f64 v[92:93], v[36:37], v[14:15]
	v_mul_f64 v[10:11], v[34:35], v[10:11]
	v_mul_f64 v[14:15], v[38:39], v[14:15]
	v_fmac_f64_e32 v[88:89], v[30:31], v[4:5]
	v_fma_f64 v[4:5], v[28:29], v[4:5], -v[6:7]
	v_fmac_f64_e32 v[90:91], v[34:35], v[8:9]
	v_fma_f64 v[6:7], v[32:33], v[8:9], -v[10:11]
	v_fma_f64 v[8:9], v[36:37], v[12:13], -v[14:15]
	v_add_f64 v[14:15], v[88:89], 0
	v_add_f64 v[4:5], v[4:5], 0
	s_waitcnt vmcnt(2) lgkmcnt(1)
	v_mul_f64 v[94:95], v[40:41], v[18:19]
	v_mul_f64 v[18:19], v[42:43], v[18:19]
	v_fmac_f64_e32 v[92:93], v[38:39], v[12:13]
	v_add_f64 v[14:15], v[14:15], v[90:91]
	v_add_f64 v[4:5], v[4:5], v[6:7]
	s_waitcnt vmcnt(1) lgkmcnt(0)
	v_mul_f64 v[96:97], v[44:45], v[22:23]
	v_mul_f64 v[22:23], v[46:47], v[22:23]
	v_fmac_f64_e32 v[94:95], v[42:43], v[16:17]
	v_fma_f64 v[10:11], v[40:41], v[16:17], -v[18:19]
	v_add_f64 v[6:7], v[14:15], v[92:93]
	v_add_f64 v[4:5], v[4:5], v[8:9]
	v_fmac_f64_e32 v[96:97], v[46:47], v[20:21]
	v_fma_f64 v[12:13], v[44:45], v[20:21], -v[22:23]
	v_add_f64 v[6:7], v[6:7], v[94:95]
	v_add_f64 v[4:5], v[4:5], v[10:11]
	;; [unrolled: 1-line block ×4, first 2 shown]
	s_waitcnt vmcnt(0)
	v_add_f64 v[4:5], v[24:25], -v[4:5]
	v_add_f64 v[6:7], v[26:27], -v[6:7]
	scratch_store_dwordx4 off, v[4:7], off offset:208
	s_and_saveexec_b64 s[2:3], vcc
	s_cbranch_execz .LBB18_103
; %bb.102:
	scratch_load_dwordx4 v[6:9], off, s34
	v_mov_b32_e32 v3, v2
	v_mov_b32_e32 v4, v2
	;; [unrolled: 1-line block ×3, first 2 shown]
	scratch_store_dwordx4 off, v[2:5], off offset:192
	s_waitcnt vmcnt(1)
	ds_write_b128 v86, v[6:9]
.LBB18_103:
	s_or_b64 exec, exec, s[2:3]
	s_waitcnt lgkmcnt(0)
	; wave barrier
	scratch_load_dwordx4 v[4:7], off, off offset:208
	scratch_load_dwordx4 v[8:11], off, off offset:224
	;; [unrolled: 1-line block ×7, first 2 shown]
	ds_read_b128 v[32:35], v2 offset:512
	ds_read_b128 v[36:39], v2 offset:528
	;; [unrolled: 1-line block ×6, first 2 shown]
	v_cmp_lt_u32_e32 vcc, 11, v1
	s_waitcnt vmcnt(6) lgkmcnt(5)
	v_mul_f64 v[2:3], v[32:33], v[6:7]
	v_mul_f64 v[6:7], v[34:35], v[6:7]
	s_waitcnt vmcnt(5) lgkmcnt(4)
	v_mul_f64 v[96:97], v[36:37], v[10:11]
	v_mul_f64 v[10:11], v[38:39], v[10:11]
	v_fmac_f64_e32 v[2:3], v[34:35], v[4:5]
	v_fma_f64 v[4:5], v[32:33], v[4:5], -v[6:7]
	s_waitcnt vmcnt(4) lgkmcnt(3)
	v_mul_f64 v[98:99], v[40:41], v[14:15]
	v_mul_f64 v[14:15], v[42:43], v[14:15]
	v_fmac_f64_e32 v[96:97], v[38:39], v[8:9]
	v_fma_f64 v[6:7], v[36:37], v[8:9], -v[10:11]
	v_add_f64 v[2:3], v[2:3], 0
	v_add_f64 v[4:5], v[4:5], 0
	s_waitcnt vmcnt(3) lgkmcnt(2)
	v_mul_f64 v[100:101], v[44:45], v[18:19]
	v_mul_f64 v[18:19], v[46:47], v[18:19]
	v_fmac_f64_e32 v[98:99], v[42:43], v[12:13]
	v_fma_f64 v[8:9], v[40:41], v[12:13], -v[14:15]
	v_add_f64 v[2:3], v[2:3], v[96:97]
	v_add_f64 v[4:5], v[4:5], v[6:7]
	;; [unrolled: 7-line block ×4, first 2 shown]
	v_fmac_f64_e32 v[104:105], v[94:95], v[24:25]
	v_fma_f64 v[14:15], v[92:93], v[24:25], -v[26:27]
	v_add_f64 v[2:3], v[2:3], v[102:103]
	v_add_f64 v[4:5], v[4:5], v[12:13]
	;; [unrolled: 1-line block ×4, first 2 shown]
	s_waitcnt vmcnt(0)
	v_add_f64 v[2:3], v[28:29], -v[2:3]
	v_add_f64 v[4:5], v[30:31], -v[6:7]
	scratch_store_dwordx4 off, v[2:5], off offset:192
	s_and_saveexec_b64 s[2:3], vcc
	s_cbranch_execz .LBB18_105
; %bb.104:
	scratch_load_dwordx4 v[2:5], off, s30
	v_mov_b32_e32 v6, 0
	v_mov_b32_e32 v7, v6
	;; [unrolled: 1-line block ×4, first 2 shown]
	scratch_store_dwordx4 off, v[6:9], off offset:176
	s_waitcnt vmcnt(1)
	ds_write_b128 v86, v[2:5]
.LBB18_105:
	s_or_b64 exec, exec, s[2:3]
	s_waitcnt lgkmcnt(0)
	; wave barrier
	scratch_load_dwordx4 v[4:7], off, off offset:192
	scratch_load_dwordx4 v[8:11], off, off offset:208
	;; [unrolled: 1-line block ×8, first 2 shown]
	v_mov_b32_e32 v2, 0
	ds_read_b128 v[36:39], v2 offset:496
	ds_read_b128 v[40:43], v2 offset:512
	;; [unrolled: 1-line block ×7, first 2 shown]
	v_cmp_lt_u32_e32 vcc, 10, v1
	s_waitcnt vmcnt(7) lgkmcnt(6)
	v_mul_f64 v[104:105], v[36:37], v[6:7]
	v_mul_f64 v[6:7], v[38:39], v[6:7]
	s_waitcnt vmcnt(6) lgkmcnt(5)
	v_mul_f64 v[106:107], v[40:41], v[10:11]
	s_waitcnt vmcnt(4) lgkmcnt(3)
	v_mul_f64 v[110:111], v[88:89], v[18:19]
	v_mul_f64 v[10:11], v[42:43], v[10:11]
	;; [unrolled: 1-line block ×3, first 2 shown]
	v_fmac_f64_e32 v[104:105], v[38:39], v[4:5]
	v_fma_f64 v[4:5], v[36:37], v[4:5], -v[6:7]
	v_mul_f64 v[108:109], v[44:45], v[14:15]
	v_mul_f64 v[14:15], v[46:47], v[14:15]
	v_fmac_f64_e32 v[106:107], v[42:43], v[8:9]
	v_fma_f64 v[6:7], v[40:41], v[8:9], -v[10:11]
	v_fma_f64 v[10:11], v[88:89], v[16:17], -v[18:19]
	v_add_f64 v[18:19], v[104:105], 0
	v_add_f64 v[4:5], v[4:5], 0
	v_fmac_f64_e32 v[108:109], v[46:47], v[12:13]
	v_fma_f64 v[8:9], v[44:45], v[12:13], -v[14:15]
	v_add_f64 v[18:19], v[18:19], v[106:107]
	v_add_f64 v[4:5], v[4:5], v[6:7]
	s_waitcnt vmcnt(3) lgkmcnt(2)
	v_mul_f64 v[112:113], v[92:93], v[22:23]
	v_mul_f64 v[22:23], v[94:95], v[22:23]
	v_fmac_f64_e32 v[110:111], v[90:91], v[16:17]
	v_add_f64 v[6:7], v[18:19], v[108:109]
	v_add_f64 v[4:5], v[4:5], v[8:9]
	s_waitcnt vmcnt(2) lgkmcnt(1)
	v_mul_f64 v[114:115], v[96:97], v[26:27]
	v_mul_f64 v[26:27], v[98:99], v[26:27]
	v_fmac_f64_e32 v[112:113], v[94:95], v[20:21]
	v_fma_f64 v[12:13], v[92:93], v[20:21], -v[22:23]
	v_add_f64 v[6:7], v[6:7], v[110:111]
	v_add_f64 v[4:5], v[4:5], v[10:11]
	s_waitcnt vmcnt(1) lgkmcnt(0)
	v_mul_f64 v[116:117], v[100:101], v[30:31]
	v_mul_f64 v[30:31], v[102:103], v[30:31]
	v_fmac_f64_e32 v[114:115], v[98:99], v[24:25]
	v_fma_f64 v[14:15], v[96:97], v[24:25], -v[26:27]
	v_add_f64 v[6:7], v[6:7], v[112:113]
	v_add_f64 v[4:5], v[4:5], v[12:13]
	v_fmac_f64_e32 v[116:117], v[102:103], v[28:29]
	v_fma_f64 v[16:17], v[100:101], v[28:29], -v[30:31]
	v_add_f64 v[6:7], v[6:7], v[114:115]
	v_add_f64 v[4:5], v[4:5], v[14:15]
	v_add_f64 v[6:7], v[6:7], v[116:117]
	v_add_f64 v[4:5], v[4:5], v[16:17]
	s_waitcnt vmcnt(0)
	v_add_f64 v[4:5], v[32:33], -v[4:5]
	v_add_f64 v[6:7], v[34:35], -v[6:7]
	scratch_store_dwordx4 off, v[4:7], off offset:176
	s_and_saveexec_b64 s[2:3], vcc
	s_cbranch_execz .LBB18_107
; %bb.106:
	scratch_load_dwordx4 v[6:9], off, s27
	v_mov_b32_e32 v3, v2
	v_mov_b32_e32 v4, v2
	;; [unrolled: 1-line block ×3, first 2 shown]
	scratch_store_dwordx4 off, v[2:5], off offset:160
	s_waitcnt vmcnt(1)
	ds_write_b128 v86, v[6:9]
.LBB18_107:
	s_or_b64 exec, exec, s[2:3]
	s_waitcnt lgkmcnt(0)
	; wave barrier
	scratch_load_dwordx4 v[4:7], off, off offset:176
	scratch_load_dwordx4 v[8:11], off, off offset:192
	;; [unrolled: 1-line block ×9, first 2 shown]
	ds_read_b128 v[40:43], v2 offset:480
	ds_read_b128 v[44:47], v2 offset:496
	;; [unrolled: 1-line block ×8, first 2 shown]
	v_cmp_lt_u32_e32 vcc, 9, v1
	s_waitcnt vmcnt(8) lgkmcnt(7)
	v_mul_f64 v[2:3], v[40:41], v[6:7]
	v_mul_f64 v[6:7], v[42:43], v[6:7]
	s_waitcnt vmcnt(7) lgkmcnt(6)
	v_mul_f64 v[112:113], v[44:45], v[10:11]
	v_mul_f64 v[10:11], v[46:47], v[10:11]
	v_fmac_f64_e32 v[2:3], v[42:43], v[4:5]
	v_fma_f64 v[4:5], v[40:41], v[4:5], -v[6:7]
	s_waitcnt vmcnt(6) lgkmcnt(5)
	v_mul_f64 v[114:115], v[88:89], v[14:15]
	v_mul_f64 v[14:15], v[90:91], v[14:15]
	v_fmac_f64_e32 v[112:113], v[46:47], v[8:9]
	v_fma_f64 v[6:7], v[44:45], v[8:9], -v[10:11]
	v_add_f64 v[2:3], v[2:3], 0
	v_add_f64 v[4:5], v[4:5], 0
	s_waitcnt vmcnt(5) lgkmcnt(4)
	v_mul_f64 v[116:117], v[92:93], v[18:19]
	v_mul_f64 v[18:19], v[94:95], v[18:19]
	v_fmac_f64_e32 v[114:115], v[90:91], v[12:13]
	v_fma_f64 v[8:9], v[88:89], v[12:13], -v[14:15]
	v_add_f64 v[2:3], v[2:3], v[112:113]
	v_add_f64 v[4:5], v[4:5], v[6:7]
	s_waitcnt vmcnt(4) lgkmcnt(3)
	v_mul_f64 v[118:119], v[96:97], v[22:23]
	v_mul_f64 v[22:23], v[98:99], v[22:23]
	v_fmac_f64_e32 v[116:117], v[94:95], v[16:17]
	v_fma_f64 v[10:11], v[92:93], v[16:17], -v[18:19]
	v_add_f64 v[2:3], v[2:3], v[114:115]
	v_add_f64 v[4:5], v[4:5], v[8:9]
	s_waitcnt vmcnt(3) lgkmcnt(2)
	v_mul_f64 v[120:121], v[100:101], v[26:27]
	v_mul_f64 v[26:27], v[102:103], v[26:27]
	v_fmac_f64_e32 v[118:119], v[98:99], v[20:21]
	v_fma_f64 v[12:13], v[96:97], v[20:21], -v[22:23]
	v_add_f64 v[2:3], v[2:3], v[116:117]
	v_add_f64 v[4:5], v[4:5], v[10:11]
	s_waitcnt vmcnt(2) lgkmcnt(1)
	v_mul_f64 v[122:123], v[104:105], v[30:31]
	v_mul_f64 v[30:31], v[106:107], v[30:31]
	v_fmac_f64_e32 v[120:121], v[102:103], v[24:25]
	v_fma_f64 v[14:15], v[100:101], v[24:25], -v[26:27]
	v_add_f64 v[2:3], v[2:3], v[118:119]
	v_add_f64 v[4:5], v[4:5], v[12:13]
	s_waitcnt vmcnt(1) lgkmcnt(0)
	v_mul_f64 v[124:125], v[108:109], v[34:35]
	v_mul_f64 v[34:35], v[110:111], v[34:35]
	v_fmac_f64_e32 v[122:123], v[106:107], v[28:29]
	v_fma_f64 v[16:17], v[104:105], v[28:29], -v[30:31]
	v_add_f64 v[2:3], v[2:3], v[120:121]
	v_add_f64 v[4:5], v[4:5], v[14:15]
	v_fmac_f64_e32 v[124:125], v[110:111], v[32:33]
	v_fma_f64 v[18:19], v[108:109], v[32:33], -v[34:35]
	v_add_f64 v[2:3], v[2:3], v[122:123]
	v_add_f64 v[4:5], v[4:5], v[16:17]
	v_add_f64 v[6:7], v[2:3], v[124:125]
	v_add_f64 v[2:3], v[4:5], v[18:19]
	s_waitcnt vmcnt(0)
	v_add_f64 v[2:3], v[36:37], -v[2:3]
	v_add_f64 v[4:5], v[38:39], -v[6:7]
	scratch_store_dwordx4 off, v[2:5], off offset:160
	s_and_saveexec_b64 s[2:3], vcc
	s_cbranch_execz .LBB18_109
; %bb.108:
	scratch_load_dwordx4 v[2:5], off, s24
	v_mov_b32_e32 v6, 0
	v_mov_b32_e32 v7, v6
	;; [unrolled: 1-line block ×4, first 2 shown]
	scratch_store_dwordx4 off, v[6:9], off offset:144
	s_waitcnt vmcnt(1)
	ds_write_b128 v86, v[2:5]
.LBB18_109:
	s_or_b64 exec, exec, s[2:3]
	v_mov_b32_e32 v2, 0
	s_waitcnt lgkmcnt(0)
	; wave barrier
	ds_read_b128 v[4:7], v2 offset:464
	ds_read_b128 v[8:11], v2 offset:480
	;; [unrolled: 1-line block ×4, first 2 shown]
	scratch_load_dwordx4 v[20:23], off, off offset:160
	scratch_load_dwordx4 v[40:43], off, off offset:224
	;; [unrolled: 1-line block ×3, first 2 shown]
	v_cmp_lt_u32_e32 vcc, 8, v1
	scratch_load_dwordx4 v[88:91], off, off offset:240
	scratch_load_dwordx4 v[96:99], off, off offset:256
	;; [unrolled: 1-line block ×3, first 2 shown]
	s_waitcnt vmcnt(5) lgkmcnt(3)
	v_mul_f64 v[24:25], v[4:5], v[22:23]
	v_fmac_f64_e32 v[24:25], v[6:7], v[20:21]
	v_add_f64 v[28:29], v[24:25], 0
	scratch_load_dwordx4 v[24:27], off, off offset:176
	v_mul_f64 v[6:7], v[6:7], v[22:23]
	v_fma_f64 v[4:5], v[4:5], v[20:21], -v[6:7]
	v_add_f64 v[4:5], v[4:5], 0
	s_waitcnt vmcnt(0) lgkmcnt(2)
	v_mul_f64 v[30:31], v[8:9], v[26:27]
	v_fmac_f64_e32 v[30:31], v[10:11], v[24:25]
	v_add_f64 v[32:33], v[28:29], v[30:31]
	scratch_load_dwordx4 v[28:31], off, off offset:192
	v_mul_f64 v[6:7], v[10:11], v[26:27]
	v_fma_f64 v[6:7], v[8:9], v[24:25], -v[6:7]
	v_add_f64 v[4:5], v[4:5], v[6:7]
	;; [unrolled: 8-line block ×3, first 2 shown]
	s_waitcnt vmcnt(0) lgkmcnt(0)
	v_mul_f64 v[38:39], v[16:17], v[34:35]
	v_fmac_f64_e32 v[38:39], v[18:19], v[32:33]
	v_add_f64 v[44:45], v[36:37], v[38:39]
	ds_read_b128 v[36:39], v2 offset:528
	v_mul_f64 v[6:7], v[18:19], v[34:35]
	v_fma_f64 v[6:7], v[16:17], v[32:33], -v[6:7]
	v_add_f64 v[4:5], v[4:5], v[6:7]
	s_waitcnt lgkmcnt(0)
	v_mul_f64 v[46:47], v[36:37], v[42:43]
	v_fmac_f64_e32 v[46:47], v[38:39], v[40:41]
	v_add_f64 v[92:93], v[44:45], v[46:47]
	ds_read_b128 v[44:47], v2 offset:544
	v_mul_f64 v[6:7], v[38:39], v[42:43]
	v_fma_f64 v[6:7], v[36:37], v[40:41], -v[6:7]
	v_add_f64 v[4:5], v[4:5], v[6:7]
	s_waitcnt lgkmcnt(0)
	;; [unrolled: 8-line block ×5, first 2 shown]
	v_mul_f64 v[6:7], v[110:111], v[114:115]
	v_fma_f64 v[6:7], v[108:109], v[112:113], -v[6:7]
	v_add_f64 v[8:9], v[4:5], v[6:7]
	scratch_load_dwordx4 v[4:7], off, off offset:144
	v_mul_f64 v[118:119], v[108:109], v[114:115]
	v_fmac_f64_e32 v[118:119], v[110:111], v[112:113]
	v_add_f64 v[116:117], v[116:117], v[118:119]
	s_waitcnt vmcnt(0)
	v_add_f64 v[4:5], v[4:5], -v[8:9]
	v_add_f64 v[6:7], v[6:7], -v[116:117]
	scratch_store_dwordx4 off, v[4:7], off offset:144
	s_and_saveexec_b64 s[2:3], vcc
	s_cbranch_execz .LBB18_111
; %bb.110:
	scratch_load_dwordx4 v[6:9], off, s17
	v_mov_b32_e32 v3, v2
	v_mov_b32_e32 v4, v2
	;; [unrolled: 1-line block ×3, first 2 shown]
	scratch_store_dwordx4 off, v[2:5], off offset:128
	s_waitcnt vmcnt(1)
	ds_write_b128 v86, v[6:9]
.LBB18_111:
	s_or_b64 exec, exec, s[2:3]
	s_waitcnt lgkmcnt(0)
	; wave barrier
	scratch_load_dwordx4 v[4:7], off, off offset:144
	scratch_load_dwordx4 v[8:11], off, off offset:160
	;; [unrolled: 1-line block ×11, first 2 shown]
	ds_read_b128 v[88:91], v2 offset:448
	ds_read_b128 v[92:95], v2 offset:464
	;; [unrolled: 1-line block ×10, first 2 shown]
	v_cmp_lt_u32_e32 vcc, 7, v1
	s_waitcnt vmcnt(10) lgkmcnt(9)
	v_mul_f64 v[2:3], v[88:89], v[6:7]
	v_mul_f64 v[6:7], v[90:91], v[6:7]
	s_waitcnt vmcnt(9) lgkmcnt(8)
	v_mul_f64 v[128:129], v[92:93], v[10:11]
	v_mul_f64 v[10:11], v[94:95], v[10:11]
	v_fmac_f64_e32 v[2:3], v[90:91], v[4:5]
	v_fma_f64 v[4:5], v[88:89], v[4:5], -v[6:7]
	s_waitcnt vmcnt(8) lgkmcnt(7)
	v_mul_f64 v[130:131], v[96:97], v[14:15]
	v_mul_f64 v[14:15], v[98:99], v[14:15]
	v_fmac_f64_e32 v[128:129], v[94:95], v[8:9]
	v_fma_f64 v[6:7], v[92:93], v[8:9], -v[10:11]
	v_add_f64 v[2:3], v[2:3], 0
	v_add_f64 v[4:5], v[4:5], 0
	s_waitcnt vmcnt(7) lgkmcnt(6)
	v_mul_f64 v[132:133], v[100:101], v[18:19]
	v_mul_f64 v[18:19], v[102:103], v[18:19]
	v_fmac_f64_e32 v[130:131], v[98:99], v[12:13]
	v_fma_f64 v[8:9], v[96:97], v[12:13], -v[14:15]
	v_add_f64 v[2:3], v[2:3], v[128:129]
	v_add_f64 v[4:5], v[4:5], v[6:7]
	;; [unrolled: 7-line block ×8, first 2 shown]
	v_fmac_f64_e32 v[144:145], v[126:127], v[40:41]
	v_fma_f64 v[22:23], v[124:125], v[40:41], -v[42:43]
	v_add_f64 v[2:3], v[2:3], v[142:143]
	v_add_f64 v[4:5], v[4:5], v[20:21]
	;; [unrolled: 1-line block ×4, first 2 shown]
	s_waitcnt vmcnt(0)
	v_add_f64 v[2:3], v[44:45], -v[2:3]
	v_add_f64 v[4:5], v[46:47], -v[6:7]
	scratch_store_dwordx4 off, v[2:5], off offset:128
	s_and_saveexec_b64 s[2:3], vcc
	s_cbranch_execz .LBB18_113
; %bb.112:
	scratch_load_dwordx4 v[2:5], off, s28
	v_mov_b32_e32 v6, 0
	v_mov_b32_e32 v7, v6
	;; [unrolled: 1-line block ×4, first 2 shown]
	scratch_store_dwordx4 off, v[6:9], off offset:112
	s_waitcnt vmcnt(1)
	ds_write_b128 v86, v[2:5]
.LBB18_113:
	s_or_b64 exec, exec, s[2:3]
	s_waitcnt lgkmcnt(0)
	; wave barrier
	scratch_load_dwordx4 v[4:7], off, off offset:128
	scratch_load_dwordx4 v[8:11], off, off offset:144
	;; [unrolled: 1-line block ×12, first 2 shown]
	v_mov_b32_e32 v2, 0
	ds_read_b128 v[92:95], v2 offset:432
	ds_read_b128 v[96:99], v2 offset:448
	;; [unrolled: 1-line block ×11, first 2 shown]
	v_cmp_lt_u32_e32 vcc, 6, v1
	s_waitcnt vmcnt(11) lgkmcnt(10)
	v_mul_f64 v[136:137], v[92:93], v[6:7]
	v_mul_f64 v[6:7], v[94:95], v[6:7]
	s_waitcnt vmcnt(10) lgkmcnt(9)
	v_mul_f64 v[138:139], v[96:97], v[10:11]
	s_waitcnt vmcnt(9) lgkmcnt(8)
	v_mul_f64 v[140:141], v[100:101], v[14:15]
	v_mul_f64 v[10:11], v[98:99], v[10:11]
	s_waitcnt vmcnt(6) lgkmcnt(5)
	v_mul_f64 v[146:147], v[112:113], v[26:27]
	v_mul_f64 v[14:15], v[102:103], v[14:15]
	;; [unrolled: 1-line block ×3, first 2 shown]
	v_fmac_f64_e32 v[136:137], v[94:95], v[4:5]
	v_fma_f64 v[4:5], v[92:93], v[4:5], -v[6:7]
	v_fmac_f64_e32 v[138:139], v[98:99], v[8:9]
	v_fma_f64 v[6:7], v[96:97], v[8:9], -v[10:11]
	v_fma_f64 v[8:9], v[100:101], v[12:13], -v[14:15]
	;; [unrolled: 1-line block ×3, first 2 shown]
	v_add_f64 v[26:27], v[136:137], 0
	v_add_f64 v[4:5], v[4:5], 0
	v_mul_f64 v[142:143], v[104:105], v[18:19]
	v_mul_f64 v[18:19], v[106:107], v[18:19]
	v_fmac_f64_e32 v[140:141], v[102:103], v[12:13]
	v_add_f64 v[26:27], v[26:27], v[138:139]
	v_add_f64 v[4:5], v[4:5], v[6:7]
	v_mul_f64 v[144:145], v[108:109], v[22:23]
	v_mul_f64 v[22:23], v[110:111], v[22:23]
	v_fmac_f64_e32 v[142:143], v[106:107], v[16:17]
	v_fma_f64 v[10:11], v[104:105], v[16:17], -v[18:19]
	v_add_f64 v[6:7], v[26:27], v[140:141]
	v_add_f64 v[4:5], v[4:5], v[8:9]
	v_fmac_f64_e32 v[144:145], v[110:111], v[20:21]
	v_fma_f64 v[12:13], v[108:109], v[20:21], -v[22:23]
	v_add_f64 v[6:7], v[6:7], v[142:143]
	v_add_f64 v[4:5], v[4:5], v[10:11]
	s_waitcnt vmcnt(5) lgkmcnt(4)
	v_mul_f64 v[148:149], v[116:117], v[30:31]
	v_mul_f64 v[30:31], v[118:119], v[30:31]
	v_fmac_f64_e32 v[146:147], v[114:115], v[24:25]
	v_add_f64 v[6:7], v[6:7], v[144:145]
	v_add_f64 v[4:5], v[4:5], v[12:13]
	s_waitcnt vmcnt(4) lgkmcnt(3)
	v_mul_f64 v[150:151], v[120:121], v[34:35]
	v_mul_f64 v[34:35], v[122:123], v[34:35]
	v_fmac_f64_e32 v[148:149], v[118:119], v[28:29]
	v_fma_f64 v[16:17], v[116:117], v[28:29], -v[30:31]
	v_add_f64 v[6:7], v[6:7], v[146:147]
	v_add_f64 v[4:5], v[4:5], v[14:15]
	s_waitcnt vmcnt(3) lgkmcnt(2)
	v_mul_f64 v[152:153], v[124:125], v[38:39]
	v_mul_f64 v[38:39], v[126:127], v[38:39]
	v_fmac_f64_e32 v[150:151], v[122:123], v[32:33]
	v_fma_f64 v[18:19], v[120:121], v[32:33], -v[34:35]
	;; [unrolled: 7-line block ×4, first 2 shown]
	v_add_f64 v[6:7], v[6:7], v[152:153]
	v_add_f64 v[4:5], v[4:5], v[20:21]
	v_fmac_f64_e32 v[156:157], v[134:135], v[44:45]
	v_fma_f64 v[24:25], v[132:133], v[44:45], -v[46:47]
	v_add_f64 v[6:7], v[6:7], v[154:155]
	v_add_f64 v[4:5], v[4:5], v[22:23]
	;; [unrolled: 1-line block ×4, first 2 shown]
	s_waitcnt vmcnt(0)
	v_add_f64 v[4:5], v[88:89], -v[4:5]
	v_add_f64 v[6:7], v[90:91], -v[6:7]
	scratch_store_dwordx4 off, v[4:7], off offset:112
	s_and_saveexec_b64 s[2:3], vcc
	s_cbranch_execz .LBB18_115
; %bb.114:
	scratch_load_dwordx4 v[6:9], off, s25
	v_mov_b32_e32 v3, v2
	v_mov_b32_e32 v4, v2
	;; [unrolled: 1-line block ×3, first 2 shown]
	scratch_store_dwordx4 off, v[2:5], off offset:96
	s_waitcnt vmcnt(1)
	ds_write_b128 v86, v[6:9]
.LBB18_115:
	s_or_b64 exec, exec, s[2:3]
	s_waitcnt lgkmcnt(0)
	; wave barrier
	scratch_load_dwordx4 v[4:7], off, off offset:112
	scratch_load_dwordx4 v[8:11], off, off offset:128
	;; [unrolled: 1-line block ×12, first 2 shown]
	ds_read_b128 v[92:95], v2 offset:416
	ds_read_b128 v[96:99], v2 offset:432
	;; [unrolled: 1-line block ×4, first 2 shown]
	scratch_load_dwordx4 v[108:111], off, off offset:96
	ds_read_b128 v[112:115], v2 offset:480
	ds_read_b128 v[116:119], v2 offset:496
	;; [unrolled: 1-line block ×8, first 2 shown]
	v_cmp_lt_u32_e32 vcc, 5, v1
	s_waitcnt vmcnt(12) lgkmcnt(11)
	v_mul_f64 v[2:3], v[92:93], v[6:7]
	s_waitcnt vmcnt(11) lgkmcnt(10)
	v_mul_f64 v[144:145], v[96:97], v[10:11]
	v_fmac_f64_e32 v[2:3], v[94:95], v[4:5]
	s_waitcnt vmcnt(10) lgkmcnt(9)
	v_mul_f64 v[146:147], v[100:101], v[14:15]
	v_mul_f64 v[6:7], v[94:95], v[6:7]
	v_fmac_f64_e32 v[144:145], v[98:99], v[8:9]
	v_add_f64 v[2:3], v[2:3], 0
	s_waitcnt vmcnt(9) lgkmcnt(8)
	v_mul_f64 v[148:149], v[104:105], v[18:19]
	v_mul_f64 v[10:11], v[98:99], v[10:11]
	v_fmac_f64_e32 v[146:147], v[102:103], v[12:13]
	v_fma_f64 v[4:5], v[92:93], v[4:5], -v[6:7]
	v_add_f64 v[2:3], v[2:3], v[144:145]
	s_waitcnt vmcnt(8) lgkmcnt(7)
	v_mul_f64 v[150:151], v[112:113], v[22:23]
	v_mul_f64 v[14:15], v[102:103], v[14:15]
	v_fmac_f64_e32 v[148:149], v[106:107], v[16:17]
	v_fma_f64 v[6:7], v[96:97], v[8:9], -v[10:11]
	v_add_f64 v[4:5], v[4:5], 0
	v_add_f64 v[2:3], v[2:3], v[146:147]
	s_waitcnt vmcnt(7) lgkmcnt(6)
	v_mul_f64 v[152:153], v[116:117], v[26:27]
	v_mul_f64 v[18:19], v[106:107], v[18:19]
	v_fmac_f64_e32 v[150:151], v[114:115], v[20:21]
	v_fma_f64 v[8:9], v[100:101], v[12:13], -v[14:15]
	v_add_f64 v[4:5], v[4:5], v[6:7]
	v_add_f64 v[2:3], v[2:3], v[148:149]
	s_waitcnt vmcnt(6) lgkmcnt(5)
	v_mul_f64 v[154:155], v[120:121], v[30:31]
	v_mul_f64 v[22:23], v[114:115], v[22:23]
	v_fmac_f64_e32 v[152:153], v[118:119], v[24:25]
	v_fma_f64 v[10:11], v[104:105], v[16:17], -v[18:19]
	v_add_f64 v[4:5], v[4:5], v[8:9]
	v_add_f64 v[2:3], v[2:3], v[150:151]
	s_waitcnt vmcnt(5) lgkmcnt(4)
	v_mul_f64 v[156:157], v[124:125], v[34:35]
	v_mul_f64 v[26:27], v[118:119], v[26:27]
	v_fmac_f64_e32 v[154:155], v[122:123], v[28:29]
	v_fma_f64 v[12:13], v[112:113], v[20:21], -v[22:23]
	v_add_f64 v[4:5], v[4:5], v[10:11]
	v_add_f64 v[2:3], v[2:3], v[152:153]
	s_waitcnt vmcnt(4) lgkmcnt(3)
	v_mul_f64 v[158:159], v[128:129], v[38:39]
	v_mul_f64 v[30:31], v[122:123], v[30:31]
	v_fmac_f64_e32 v[156:157], v[126:127], v[32:33]
	v_fma_f64 v[14:15], v[116:117], v[24:25], -v[26:27]
	v_add_f64 v[4:5], v[4:5], v[12:13]
	v_add_f64 v[2:3], v[2:3], v[154:155]
	s_waitcnt vmcnt(3) lgkmcnt(2)
	v_mul_f64 v[160:161], v[132:133], v[42:43]
	v_mul_f64 v[34:35], v[126:127], v[34:35]
	v_fmac_f64_e32 v[158:159], v[130:131], v[36:37]
	v_fma_f64 v[16:17], v[120:121], v[28:29], -v[30:31]
	v_add_f64 v[4:5], v[4:5], v[14:15]
	v_add_f64 v[2:3], v[2:3], v[156:157]
	s_waitcnt vmcnt(2) lgkmcnt(1)
	v_mul_f64 v[162:163], v[136:137], v[46:47]
	v_mul_f64 v[38:39], v[130:131], v[38:39]
	v_fmac_f64_e32 v[160:161], v[134:135], v[40:41]
	v_fma_f64 v[18:19], v[124:125], v[32:33], -v[34:35]
	v_add_f64 v[4:5], v[4:5], v[16:17]
	v_add_f64 v[2:3], v[2:3], v[158:159]
	s_waitcnt vmcnt(1) lgkmcnt(0)
	v_mul_f64 v[164:165], v[140:141], v[90:91]
	v_mul_f64 v[42:43], v[134:135], v[42:43]
	v_fmac_f64_e32 v[162:163], v[138:139], v[44:45]
	v_fma_f64 v[20:21], v[128:129], v[36:37], -v[38:39]
	v_add_f64 v[4:5], v[4:5], v[18:19]
	v_add_f64 v[2:3], v[2:3], v[160:161]
	v_mul_f64 v[46:47], v[138:139], v[46:47]
	v_fmac_f64_e32 v[164:165], v[142:143], v[88:89]
	v_fma_f64 v[22:23], v[132:133], v[40:41], -v[42:43]
	v_add_f64 v[4:5], v[4:5], v[20:21]
	v_add_f64 v[2:3], v[2:3], v[162:163]
	v_add_f64 v[4:5], v[4:5], v[22:23]
	v_add_f64 v[6:7], v[2:3], v[164:165]
	v_fma_f64 v[2:3], v[136:137], v[44:45], -v[46:47]
	v_add_f64 v[2:3], v[4:5], v[2:3]
	v_mul_f64 v[4:5], v[142:143], v[90:91]
	v_fma_f64 v[4:5], v[140:141], v[88:89], -v[4:5]
	v_add_f64 v[2:3], v[2:3], v[4:5]
	s_waitcnt vmcnt(0)
	v_add_f64 v[2:3], v[108:109], -v[2:3]
	v_add_f64 v[4:5], v[110:111], -v[6:7]
	scratch_store_dwordx4 off, v[2:5], off offset:96
	s_and_saveexec_b64 s[2:3], vcc
	s_cbranch_execz .LBB18_117
; %bb.116:
	scratch_load_dwordx4 v[2:5], off, s19
	v_mov_b32_e32 v6, 0
	v_mov_b32_e32 v7, v6
	;; [unrolled: 1-line block ×4, first 2 shown]
	scratch_store_dwordx4 off, v[6:9], off offset:80
	s_waitcnt vmcnt(1)
	ds_write_b128 v86, v[2:5]
.LBB18_117:
	s_or_b64 exec, exec, s[2:3]
	v_mov_b32_e32 v2, 0
	s_waitcnt lgkmcnt(0)
	; wave barrier
	ds_read_b128 v[4:7], v2 offset:400
	ds_read_b128 v[8:11], v2 offset:416
	;; [unrolled: 1-line block ×4, first 2 shown]
	scratch_load_dwordx4 v[20:23], off, off offset:96
	scratch_load_dwordx4 v[40:43], off, off offset:160
	;; [unrolled: 1-line block ×7, first 2 shown]
	v_cmp_lt_u32_e32 vcc, 4, v1
	scratch_load_dwordx4 v[88:91], off, off offset:176
	scratch_load_dwordx4 v[96:99], off, off offset:192
	;; [unrolled: 1-line block ×3, first 2 shown]
	s_waitcnt vmcnt(9) lgkmcnt(3)
	v_mul_f64 v[24:25], v[4:5], v[22:23]
	v_fmac_f64_e32 v[24:25], v[6:7], v[20:21]
	v_add_f64 v[28:29], v[24:25], 0
	scratch_load_dwordx4 v[24:27], off, off offset:112
	v_mul_f64 v[6:7], v[6:7], v[22:23]
	v_fma_f64 v[4:5], v[4:5], v[20:21], -v[6:7]
	v_add_f64 v[4:5], v[4:5], 0
	s_waitcnt vmcnt(0) lgkmcnt(2)
	v_mul_f64 v[30:31], v[8:9], v[26:27]
	v_fmac_f64_e32 v[30:31], v[10:11], v[24:25]
	v_add_f64 v[32:33], v[28:29], v[30:31]
	scratch_load_dwordx4 v[28:31], off, off offset:128
	v_mul_f64 v[6:7], v[10:11], v[26:27]
	v_fma_f64 v[6:7], v[8:9], v[24:25], -v[6:7]
	v_add_f64 v[4:5], v[4:5], v[6:7]
	;; [unrolled: 8-line block ×3, first 2 shown]
	s_waitcnt vmcnt(0) lgkmcnt(0)
	v_mul_f64 v[38:39], v[16:17], v[34:35]
	v_fmac_f64_e32 v[38:39], v[18:19], v[32:33]
	v_add_f64 v[44:45], v[36:37], v[38:39]
	ds_read_b128 v[36:39], v2 offset:464
	v_mul_f64 v[6:7], v[18:19], v[34:35]
	v_fma_f64 v[6:7], v[16:17], v[32:33], -v[6:7]
	v_add_f64 v[4:5], v[4:5], v[6:7]
	s_waitcnt lgkmcnt(0)
	v_mul_f64 v[46:47], v[36:37], v[42:43]
	v_fmac_f64_e32 v[46:47], v[38:39], v[40:41]
	v_add_f64 v[92:93], v[44:45], v[46:47]
	ds_read_b128 v[44:47], v2 offset:480
	v_mul_f64 v[6:7], v[38:39], v[42:43]
	v_fma_f64 v[6:7], v[36:37], v[40:41], -v[6:7]
	v_add_f64 v[4:5], v[4:5], v[6:7]
	s_waitcnt lgkmcnt(0)
	;; [unrolled: 8-line block ×9, first 2 shown]
	v_mul_f64 v[6:7], v[142:143], v[146:147]
	v_fma_f64 v[6:7], v[140:141], v[144:145], -v[6:7]
	v_add_f64 v[8:9], v[4:5], v[6:7]
	scratch_load_dwordx4 v[4:7], off, off offset:80
	v_mul_f64 v[150:151], v[140:141], v[146:147]
	v_fmac_f64_e32 v[150:151], v[142:143], v[144:145]
	v_add_f64 v[148:149], v[148:149], v[150:151]
	s_waitcnt vmcnt(0)
	v_add_f64 v[4:5], v[4:5], -v[8:9]
	v_add_f64 v[6:7], v[6:7], -v[148:149]
	scratch_store_dwordx4 off, v[4:7], off offset:80
	s_and_saveexec_b64 s[2:3], vcc
	s_cbranch_execz .LBB18_119
; %bb.118:
	scratch_load_dwordx4 v[6:9], off, s16
	v_mov_b32_e32 v3, v2
	v_mov_b32_e32 v4, v2
	;; [unrolled: 1-line block ×3, first 2 shown]
	scratch_store_dwordx4 off, v[2:5], off offset:64
	s_waitcnt vmcnt(1)
	ds_write_b128 v86, v[6:9]
.LBB18_119:
	s_or_b64 exec, exec, s[2:3]
	s_waitcnt lgkmcnt(0)
	; wave barrier
	ds_read_b128 v[4:7], v2 offset:384
	ds_read_b128 v[8:11], v2 offset:400
	;; [unrolled: 1-line block ×4, first 2 shown]
	scratch_load_dwordx4 v[20:23], off, off offset:80
	scratch_load_dwordx4 v[40:43], off, off offset:144
	;; [unrolled: 1-line block ×8, first 2 shown]
	v_cmp_lt_u32_e32 vcc, 3, v1
	scratch_load_dwordx4 v[88:91], off, off offset:160
	scratch_load_dwordx4 v[96:99], off, off offset:176
	;; [unrolled: 1-line block ×3, first 2 shown]
	s_waitcnt vmcnt(10) lgkmcnt(3)
	v_mul_f64 v[24:25], v[4:5], v[22:23]
	v_fmac_f64_e32 v[24:25], v[6:7], v[20:21]
	v_add_f64 v[28:29], v[24:25], 0
	scratch_load_dwordx4 v[24:27], off, off offset:96
	s_waitcnt vmcnt(0) lgkmcnt(2)
	v_mul_f64 v[30:31], v[8:9], v[26:27]
	v_fmac_f64_e32 v[30:31], v[10:11], v[24:25]
	v_add_f64 v[32:33], v[28:29], v[30:31]
	scratch_load_dwordx4 v[28:31], off, off offset:112
	;; [unrolled: 5-line block ×3, first 2 shown]
	s_waitcnt vmcnt(0) lgkmcnt(0)
	v_mul_f64 v[38:39], v[16:17], v[34:35]
	v_fmac_f64_e32 v[38:39], v[18:19], v[32:33]
	v_add_f64 v[44:45], v[36:37], v[38:39]
	ds_read_b128 v[36:39], v2 offset:448
	s_waitcnt lgkmcnt(0)
	v_mul_f64 v[46:47], v[36:37], v[42:43]
	v_fmac_f64_e32 v[46:47], v[38:39], v[40:41]
	v_add_f64 v[92:93], v[44:45], v[46:47]
	ds_read_b128 v[44:47], v2 offset:464
	s_waitcnt lgkmcnt(0)
	;; [unrolled: 5-line block ×10, first 2 shown]
	v_mul_f64 v[2:3], v[148:149], v[154:155]
	v_fmac_f64_e32 v[2:3], v[150:151], v[152:153]
	v_add_f64 v[156:157], v[156:157], v[2:3]
	v_mul_f64 v[2:3], v[6:7], v[22:23]
	v_fma_f64 v[2:3], v[4:5], v[20:21], -v[2:3]
	v_mul_f64 v[4:5], v[10:11], v[26:27]
	v_add_f64 v[2:3], v[2:3], 0
	v_fma_f64 v[4:5], v[8:9], v[24:25], -v[4:5]
	v_add_f64 v[2:3], v[2:3], v[4:5]
	v_mul_f64 v[4:5], v[14:15], v[30:31]
	v_fma_f64 v[4:5], v[12:13], v[28:29], -v[4:5]
	v_add_f64 v[2:3], v[2:3], v[4:5]
	v_mul_f64 v[4:5], v[18:19], v[34:35]
	;; [unrolled: 3-line block ×12, first 2 shown]
	v_fma_f64 v[4:5], v[148:149], v[152:153], -v[4:5]
	v_add_f64 v[6:7], v[2:3], v[4:5]
	scratch_load_dwordx4 v[2:5], off, off offset:64
	s_waitcnt vmcnt(0)
	v_add_f64 v[2:3], v[2:3], -v[6:7]
	v_add_f64 v[4:5], v[4:5], -v[156:157]
	scratch_store_dwordx4 off, v[2:5], off offset:64
	s_and_saveexec_b64 s[2:3], vcc
	s_cbranch_execz .LBB18_121
; %bb.120:
	scratch_load_dwordx4 v[2:5], off, s15
	v_mov_b32_e32 v6, 0
	v_mov_b32_e32 v7, v6
	;; [unrolled: 1-line block ×4, first 2 shown]
	scratch_store_dwordx4 off, v[6:9], off offset:48
	s_waitcnt vmcnt(1)
	ds_write_b128 v86, v[2:5]
.LBB18_121:
	s_or_b64 exec, exec, s[2:3]
	s_waitcnt lgkmcnt(0)
	; wave barrier
	scratch_load_dwordx4 v[4:7], off, off offset:64
	scratch_load_dwordx4 v[8:11], off, off offset:80
	;; [unrolled: 1-line block ×16, first 2 shown]
	v_mov_b32_e32 v2, 0
	ds_read_b128 v[108:111], v2 offset:368
	ds_read_b128 v[112:115], v2 offset:384
	ds_read_b128 v[116:119], v2 offset:400
	ds_read_b128 v[120:123], v2 offset:416
	ds_read_b128 v[124:127], v2 offset:432
	ds_read_b128 v[128:131], v2 offset:448
	ds_read_b128 v[132:135], v2 offset:464
	ds_read_b128 v[136:139], v2 offset:480
	ds_read_b128 v[140:143], v2 offset:496
	ds_read_b128 v[144:147], v2 offset:512
	ds_read_b128 v[148:151], v2 offset:528
	ds_read_b128 v[152:155], v2 offset:544
	ds_read_b128 v[156:159], v2 offset:560
	ds_read_b128 v[160:163], v2 offset:576
	ds_read_b128 v[164:167], v2 offset:592
	v_cmp_lt_u32_e32 vcc, 2, v1
	s_waitcnt vmcnt(15) lgkmcnt(14)
	v_mul_f64 v[168:169], v[108:109], v[6:7]
	v_mul_f64 v[6:7], v[110:111], v[6:7]
	s_waitcnt vmcnt(14) lgkmcnt(13)
	v_mul_f64 v[170:171], v[112:113], v[10:11]
	v_mul_f64 v[10:11], v[114:115], v[10:11]
	v_fmac_f64_e32 v[168:169], v[110:111], v[4:5]
	v_fma_f64 v[4:5], v[108:109], v[4:5], -v[6:7]
	s_waitcnt vmcnt(13) lgkmcnt(12)
	v_mul_f64 v[172:173], v[116:117], v[14:15]
	v_mul_f64 v[14:15], v[118:119], v[14:15]
	v_fma_f64 v[6:7], v[112:113], v[8:9], -v[10:11]
	v_add_f64 v[4:5], v[4:5], 0
	s_waitcnt vmcnt(12) lgkmcnt(11)
	v_mul_f64 v[174:175], v[120:121], v[18:19]
	v_mul_f64 v[18:19], v[122:123], v[18:19]
	v_fmac_f64_e32 v[170:171], v[114:115], v[8:9]
	v_fma_f64 v[8:9], v[116:117], v[12:13], -v[14:15]
	v_add_f64 v[4:5], v[4:5], v[6:7]
	s_waitcnt vmcnt(11) lgkmcnt(10)
	v_mul_f64 v[176:177], v[124:125], v[22:23]
	v_mul_f64 v[22:23], v[126:127], v[22:23]
	v_fma_f64 v[10:11], v[120:121], v[16:17], -v[18:19]
	v_add_f64 v[4:5], v[4:5], v[8:9]
	s_waitcnt vmcnt(10) lgkmcnt(9)
	v_mul_f64 v[178:179], v[128:129], v[30:31]
	v_mul_f64 v[30:31], v[130:131], v[30:31]
	v_fmac_f64_e32 v[172:173], v[118:119], v[12:13]
	v_fma_f64 v[12:13], v[124:125], v[20:21], -v[22:23]
	v_add_f64 v[4:5], v[4:5], v[10:11]
	v_fma_f64 v[14:15], v[128:129], v[28:29], -v[30:31]
	v_add_f64 v[4:5], v[4:5], v[12:13]
	s_waitcnt vmcnt(9) lgkmcnt(8)
	v_mul_f64 v[8:9], v[134:135], v[26:27]
	v_add_f64 v[4:5], v[4:5], v[14:15]
	v_fma_f64 v[8:9], v[132:133], v[24:25], -v[8:9]
	v_add_f64 v[4:5], v[4:5], v[8:9]
	s_waitcnt vmcnt(8) lgkmcnt(7)
	v_mul_f64 v[8:9], v[138:139], v[34:35]
	v_fma_f64 v[8:9], v[136:137], v[32:33], -v[8:9]
	v_fmac_f64_e32 v[174:175], v[122:123], v[16:17]
	v_add_f64 v[16:17], v[168:169], 0
	v_add_f64 v[4:5], v[4:5], v[8:9]
	s_waitcnt vmcnt(7) lgkmcnt(6)
	v_mul_f64 v[8:9], v[142:143], v[38:39]
	v_add_f64 v[16:17], v[16:17], v[170:171]
	v_fma_f64 v[8:9], v[140:141], v[36:37], -v[8:9]
	v_add_f64 v[6:7], v[16:17], v[172:173]
	v_add_f64 v[4:5], v[4:5], v[8:9]
	s_waitcnt vmcnt(6) lgkmcnt(5)
	v_mul_f64 v[8:9], v[146:147], v[42:43]
	v_fmac_f64_e32 v[176:177], v[126:127], v[20:21]
	v_add_f64 v[6:7], v[6:7], v[174:175]
	v_fma_f64 v[8:9], v[144:145], v[40:41], -v[8:9]
	v_mul_f64 v[180:181], v[132:133], v[26:27]
	v_fmac_f64_e32 v[178:179], v[130:131], v[28:29]
	v_add_f64 v[6:7], v[6:7], v[176:177]
	v_add_f64 v[4:5], v[4:5], v[8:9]
	s_waitcnt vmcnt(5) lgkmcnt(4)
	v_mul_f64 v[8:9], v[150:151], v[46:47]
	v_mul_f64 v[182:183], v[136:137], v[34:35]
	v_fmac_f64_e32 v[180:181], v[134:135], v[24:25]
	v_add_f64 v[6:7], v[6:7], v[178:179]
	v_fma_f64 v[8:9], v[148:149], v[44:45], -v[8:9]
	v_mul_f64 v[184:185], v[140:141], v[38:39]
	v_fmac_f64_e32 v[182:183], v[138:139], v[32:33]
	v_add_f64 v[6:7], v[6:7], v[180:181]
	v_add_f64 v[4:5], v[4:5], v[8:9]
	s_waitcnt vmcnt(4) lgkmcnt(3)
	v_mul_f64 v[8:9], v[154:155], v[90:91]
	;; [unrolled: 10-line block ×4, first 2 shown]
	v_mul_f64 v[194:195], v[160:161], v[98:99]
	v_fmac_f64_e32 v[192:193], v[158:159], v[92:93]
	v_add_f64 v[6:7], v[6:7], v[190:191]
	v_fma_f64 v[8:9], v[160:161], v[96:97], -v[8:9]
	s_waitcnt vmcnt(1) lgkmcnt(0)
	v_mul_f64 v[196:197], v[164:165], v[102:103]
	v_fmac_f64_e32 v[194:195], v[162:163], v[96:97]
	v_add_f64 v[6:7], v[6:7], v[192:193]
	v_add_f64 v[4:5], v[4:5], v[8:9]
	v_mul_f64 v[8:9], v[166:167], v[102:103]
	v_fmac_f64_e32 v[196:197], v[166:167], v[100:101]
	v_add_f64 v[6:7], v[6:7], v[194:195]
	v_fma_f64 v[8:9], v[164:165], v[100:101], -v[8:9]
	v_add_f64 v[6:7], v[6:7], v[196:197]
	v_add_f64 v[4:5], v[4:5], v[8:9]
	s_waitcnt vmcnt(0)
	v_add_f64 v[4:5], v[104:105], -v[4:5]
	v_add_f64 v[6:7], v[106:107], -v[6:7]
	scratch_store_dwordx4 off, v[4:7], off offset:48
	s_and_saveexec_b64 s[2:3], vcc
	s_cbranch_execz .LBB18_123
; %bb.122:
	scratch_load_dwordx4 v[6:9], off, s14
	v_mov_b32_e32 v3, v2
	v_mov_b32_e32 v4, v2
	;; [unrolled: 1-line block ×3, first 2 shown]
	scratch_store_dwordx4 off, v[2:5], off offset:32
	s_waitcnt vmcnt(1)
	ds_write_b128 v86, v[6:9]
.LBB18_123:
	s_or_b64 exec, exec, s[2:3]
	s_waitcnt lgkmcnt(0)
	; wave barrier
	scratch_load_dwordx4 v[4:7], off, off offset:48
	scratch_load_dwordx4 v[8:11], off, off offset:64
	;; [unrolled: 1-line block ×16, first 2 shown]
	ds_read_b128 v[108:111], v2 offset:352
	ds_read_b128 v[112:115], v2 offset:368
	;; [unrolled: 1-line block ×16, first 2 shown]
	scratch_load_dwordx4 v[172:175], off, off offset:32
	v_cmp_lt_u32_e32 vcc, 1, v1
	s_waitcnt vmcnt(16) lgkmcnt(14)
	v_mul_f64 v[2:3], v[108:109], v[6:7]
	s_waitcnt vmcnt(15)
	v_mul_f64 v[176:177], v[112:113], v[10:11]
	v_fmac_f64_e32 v[2:3], v[110:111], v[4:5]
	s_waitcnt vmcnt(14) lgkmcnt(13)
	v_mul_f64 v[178:179], v[116:117], v[18:19]
	v_fmac_f64_e32 v[176:177], v[114:115], v[8:9]
	v_add_f64 v[2:3], v[2:3], 0
	s_waitcnt vmcnt(13) lgkmcnt(12)
	v_mul_f64 v[180:181], v[120:121], v[14:15]
	v_fmac_f64_e32 v[178:179], v[118:119], v[16:17]
	v_add_f64 v[2:3], v[2:3], v[176:177]
	;; [unrolled: 4-line block ×10, first 2 shown]
	v_mul_f64 v[6:7], v[110:111], v[6:7]
	s_waitcnt vmcnt(4) lgkmcnt(3)
	v_mul_f64 v[198:199], v[156:157], v[94:95]
	v_fmac_f64_e32 v[196:197], v[154:155], v[88:89]
	v_add_f64 v[2:3], v[2:3], v[194:195]
	s_waitcnt vmcnt(3) lgkmcnt(2)
	v_mul_f64 v[200:201], v[160:161], v[98:99]
	v_mul_f64 v[10:11], v[114:115], v[10:11]
	v_fma_f64 v[4:5], v[108:109], v[4:5], -v[6:7]
	v_fmac_f64_e32 v[198:199], v[158:159], v[92:93]
	v_add_f64 v[2:3], v[2:3], v[196:197]
	s_waitcnt vmcnt(2) lgkmcnt(1)
	v_mul_f64 v[202:203], v[164:165], v[102:103]
	v_mul_f64 v[18:19], v[118:119], v[18:19]
	v_fma_f64 v[6:7], v[112:113], v[8:9], -v[10:11]
	v_fmac_f64_e32 v[200:201], v[162:163], v[96:97]
	v_add_f64 v[4:5], v[4:5], 0
	v_add_f64 v[2:3], v[2:3], v[198:199]
	s_waitcnt vmcnt(1) lgkmcnt(0)
	v_mul_f64 v[204:205], v[168:169], v[106:107]
	v_mul_f64 v[14:15], v[122:123], v[14:15]
	v_fma_f64 v[8:9], v[116:117], v[16:17], -v[18:19]
	v_fmac_f64_e32 v[202:203], v[166:167], v[100:101]
	v_add_f64 v[4:5], v[4:5], v[6:7]
	v_add_f64 v[2:3], v[2:3], v[200:201]
	v_mul_f64 v[26:27], v[126:127], v[26:27]
	v_fmac_f64_e32 v[204:205], v[170:171], v[104:105]
	v_fma_f64 v[10:11], v[120:121], v[12:13], -v[14:15]
	v_add_f64 v[4:5], v[4:5], v[8:9]
	v_add_f64 v[2:3], v[2:3], v[202:203]
	v_fma_f64 v[12:13], v[124:125], v[24:25], -v[26:27]
	v_add_f64 v[4:5], v[4:5], v[10:11]
	v_add_f64 v[6:7], v[2:3], v[204:205]
	v_mul_f64 v[2:3], v[130:131], v[22:23]
	v_add_f64 v[4:5], v[4:5], v[12:13]
	v_fma_f64 v[2:3], v[128:129], v[20:21], -v[2:3]
	v_add_f64 v[2:3], v[4:5], v[2:3]
	v_mul_f64 v[4:5], v[134:135], v[30:31]
	v_fma_f64 v[4:5], v[132:133], v[28:29], -v[4:5]
	v_add_f64 v[2:3], v[2:3], v[4:5]
	v_mul_f64 v[4:5], v[138:139], v[34:35]
	;; [unrolled: 3-line block ×10, first 2 shown]
	v_fma_f64 v[4:5], v[168:169], v[104:105], -v[4:5]
	v_add_f64 v[2:3], v[2:3], v[4:5]
	s_waitcnt vmcnt(0)
	v_add_f64 v[2:3], v[172:173], -v[2:3]
	v_add_f64 v[4:5], v[174:175], -v[6:7]
	scratch_store_dwordx4 off, v[2:5], off offset:32
	s_and_saveexec_b64 s[2:3], vcc
	s_cbranch_execz .LBB18_125
; %bb.124:
	scratch_load_dwordx4 v[2:5], off, s18
	v_mov_b32_e32 v6, 0
	v_mov_b32_e32 v7, v6
	;; [unrolled: 1-line block ×4, first 2 shown]
	scratch_store_dwordx4 off, v[6:9], off offset:16
	s_waitcnt vmcnt(1)
	ds_write_b128 v86, v[2:5]
.LBB18_125:
	s_or_b64 exec, exec, s[2:3]
	s_waitcnt lgkmcnt(0)
	; wave barrier
	scratch_load_dwordx4 v[4:7], off, off offset:32
	scratch_load_dwordx4 v[8:11], off, off offset:48
	;; [unrolled: 1-line block ×18, first 2 shown]
	v_mov_b32_e32 v2, 0
	ds_read_b128 v[116:119], v2 offset:336
	ds_read_b128 v[120:123], v2 offset:352
	ds_read_b128 v[124:127], v2 offset:368
	ds_read_b128 v[128:131], v2 offset:384
	ds_read_b128 v[132:135], v2 offset:400
	ds_read_b128 v[136:139], v2 offset:416
	ds_read_b128 v[140:143], v2 offset:432
	ds_read_b128 v[144:147], v2 offset:448
	ds_read_b128 v[148:151], v2 offset:464
	ds_read_b128 v[152:155], v2 offset:480
	ds_read_b128 v[156:159], v2 offset:496
	ds_read_b128 v[160:163], v2 offset:512
	ds_read_b128 v[164:167], v2 offset:528
	ds_read_b128 v[168:171], v2 offset:544
	ds_read_b128 v[172:175], v2 offset:560
	ds_read_b128 v[176:179], v2 offset:576
	ds_read_b128 v[180:183], v2 offset:592
	v_cmp_ne_u32_e32 vcc, 0, v1
	s_waitcnt vmcnt(17) lgkmcnt(14)
	v_mul_f64 v[184:185], v[116:117], v[6:7]
	v_mul_f64 v[6:7], v[118:119], v[6:7]
	s_waitcnt vmcnt(16)
	v_mul_f64 v[186:187], v[120:121], v[10:11]
	v_mul_f64 v[10:11], v[122:123], v[10:11]
	v_fmac_f64_e32 v[184:185], v[118:119], v[4:5]
	v_fma_f64 v[4:5], v[116:117], v[4:5], -v[6:7]
	s_waitcnt vmcnt(15)
	v_mul_f64 v[188:189], v[124:125], v[18:19]
	v_mul_f64 v[18:19], v[126:127], v[18:19]
	v_fma_f64 v[6:7], v[120:121], v[8:9], -v[10:11]
	v_add_f64 v[4:5], v[4:5], 0
	s_waitcnt vmcnt(14) lgkmcnt(13)
	v_mul_f64 v[190:191], v[128:129], v[14:15]
	v_mul_f64 v[14:15], v[130:131], v[14:15]
	v_fmac_f64_e32 v[186:187], v[122:123], v[8:9]
	v_fma_f64 v[8:9], v[124:125], v[16:17], -v[18:19]
	v_add_f64 v[4:5], v[4:5], v[6:7]
	v_add_f64 v[4:5], v[4:5], v[8:9]
	v_fma_f64 v[8:9], v[128:129], v[12:13], -v[14:15]
	v_add_f64 v[4:5], v[4:5], v[8:9]
	s_waitcnt vmcnt(13) lgkmcnt(12)
	v_mul_f64 v[8:9], v[134:135], v[22:23]
	v_fma_f64 v[8:9], v[132:133], v[20:21], -v[8:9]
	v_add_f64 v[4:5], v[4:5], v[8:9]
	s_waitcnt vmcnt(12) lgkmcnt(11)
	v_mul_f64 v[8:9], v[138:139], v[26:27]
	;; [unrolled: 4-line block ×5, first 2 shown]
	v_fma_f64 v[8:9], v[148:149], v[36:37], -v[8:9]
	v_add_f64 v[10:11], v[184:185], 0
	v_add_f64 v[4:5], v[4:5], v[8:9]
	s_waitcnt vmcnt(8) lgkmcnt(7)
	v_mul_f64 v[8:9], v[154:155], v[42:43]
	v_fmac_f64_e32 v[188:189], v[126:127], v[16:17]
	v_add_f64 v[10:11], v[10:11], v[186:187]
	v_fma_f64 v[8:9], v[152:153], v[40:41], -v[8:9]
	v_mul_f64 v[192:193], v[132:133], v[22:23]
	v_fmac_f64_e32 v[190:191], v[130:131], v[12:13]
	v_add_f64 v[6:7], v[10:11], v[188:189]
	v_add_f64 v[4:5], v[4:5], v[8:9]
	s_waitcnt vmcnt(7) lgkmcnt(6)
	v_mul_f64 v[8:9], v[158:159], v[46:47]
	v_mul_f64 v[194:195], v[136:137], v[26:27]
	v_fmac_f64_e32 v[192:193], v[134:135], v[20:21]
	v_add_f64 v[6:7], v[6:7], v[190:191]
	v_fma_f64 v[8:9], v[156:157], v[44:45], -v[8:9]
	v_mul_f64 v[196:197], v[140:141], v[30:31]
	v_fmac_f64_e32 v[194:195], v[138:139], v[24:25]
	v_add_f64 v[6:7], v[6:7], v[192:193]
	v_add_f64 v[4:5], v[4:5], v[8:9]
	s_waitcnt vmcnt(6) lgkmcnt(5)
	v_mul_f64 v[8:9], v[162:163], v[90:91]
	;; [unrolled: 10-line block ×6, first 2 shown]
	v_mul_f64 v[214:215], v[176:177], v[106:107]
	v_fmac_f64_e32 v[212:213], v[174:175], v[100:101]
	v_add_f64 v[6:7], v[6:7], v[210:211]
	v_fma_f64 v[8:9], v[176:177], v[104:105], -v[8:9]
	s_waitcnt vmcnt(1) lgkmcnt(0)
	v_mul_f64 v[216:217], v[180:181], v[110:111]
	v_fmac_f64_e32 v[214:215], v[178:179], v[104:105]
	v_add_f64 v[6:7], v[6:7], v[212:213]
	v_add_f64 v[4:5], v[4:5], v[8:9]
	v_mul_f64 v[8:9], v[182:183], v[110:111]
	v_fmac_f64_e32 v[216:217], v[182:183], v[108:109]
	v_add_f64 v[6:7], v[6:7], v[214:215]
	v_fma_f64 v[8:9], v[180:181], v[108:109], -v[8:9]
	v_add_f64 v[6:7], v[6:7], v[216:217]
	v_add_f64 v[4:5], v[4:5], v[8:9]
	s_waitcnt vmcnt(0)
	v_add_f64 v[4:5], v[112:113], -v[4:5]
	v_add_f64 v[6:7], v[114:115], -v[6:7]
	scratch_store_dwordx4 off, v[4:7], off offset:16
	s_and_saveexec_b64 s[2:3], vcc
	s_cbranch_execz .LBB18_127
; %bb.126:
	scratch_load_dwordx4 v[6:9], off, off
	v_mov_b32_e32 v3, v2
	v_mov_b32_e32 v4, v2
	;; [unrolled: 1-line block ×3, first 2 shown]
	scratch_store_dwordx4 off, v[2:5], off
	s_waitcnt vmcnt(1)
	ds_write_b128 v86, v[6:9]
.LBB18_127:
	s_or_b64 exec, exec, s[2:3]
	s_waitcnt lgkmcnt(0)
	; wave barrier
	scratch_load_dwordx4 v[4:7], off, off offset:16
	scratch_load_dwordx4 v[12:15], off, off offset:32
	;; [unrolled: 1-line block ×18, first 2 shown]
	ds_read_b128 v[114:117], v2 offset:320
	ds_read_b128 v[118:121], v2 offset:336
	;; [unrolled: 1-line block ×18, first 2 shown]
	scratch_load_dwordx4 v[186:189], off, off
	s_and_b64 vcc, exec, s[22:23]
	s_waitcnt vmcnt(18) lgkmcnt(14)
	v_mul_f64 v[2:3], v[114:115], v[6:7]
	s_waitcnt vmcnt(17)
	v_mul_f64 v[190:191], v[118:119], v[14:15]
	v_fmac_f64_e32 v[2:3], v[116:117], v[4:5]
	s_waitcnt vmcnt(16)
	v_mul_f64 v[192:193], v[122:123], v[10:11]
	v_fmac_f64_e32 v[190:191], v[120:121], v[12:13]
	v_add_f64 v[2:3], v[2:3], 0
	s_waitcnt vmcnt(15)
	v_mul_f64 v[194:195], v[126:127], v[18:19]
	v_fmac_f64_e32 v[192:193], v[124:125], v[8:9]
	v_add_f64 v[2:3], v[2:3], v[190:191]
	s_waitcnt vmcnt(14) lgkmcnt(13)
	v_mul_f64 v[196:197], v[130:131], v[22:23]
	v_fmac_f64_e32 v[194:195], v[128:129], v[16:17]
	v_add_f64 v[2:3], v[2:3], v[192:193]
	s_waitcnt vmcnt(13) lgkmcnt(12)
	v_mul_f64 v[198:199], v[134:135], v[26:27]
	v_fmac_f64_e32 v[196:197], v[132:133], v[20:21]
	v_add_f64 v[2:3], v[2:3], v[194:195]
	s_waitcnt vmcnt(12) lgkmcnt(11)
	v_mul_f64 v[200:201], v[138:139], v[30:31]
	v_fmac_f64_e32 v[198:199], v[136:137], v[24:25]
	v_add_f64 v[2:3], v[2:3], v[196:197]
	s_waitcnt vmcnt(11) lgkmcnt(10)
	v_mul_f64 v[202:203], v[142:143], v[34:35]
	v_fmac_f64_e32 v[200:201], v[140:141], v[28:29]
	v_add_f64 v[2:3], v[2:3], v[198:199]
	s_waitcnt vmcnt(10) lgkmcnt(9)
	v_mul_f64 v[204:205], v[146:147], v[38:39]
	v_fmac_f64_e32 v[202:203], v[144:145], v[32:33]
	v_add_f64 v[2:3], v[2:3], v[200:201]
	s_waitcnt vmcnt(9) lgkmcnt(8)
	v_mul_f64 v[206:207], v[150:151], v[42:43]
	v_fmac_f64_e32 v[204:205], v[148:149], v[36:37]
	v_add_f64 v[2:3], v[2:3], v[202:203]
	s_waitcnt vmcnt(8) lgkmcnt(7)
	v_mul_f64 v[208:209], v[154:155], v[46:47]
	v_fmac_f64_e32 v[206:207], v[152:153], v[40:41]
	v_add_f64 v[2:3], v[2:3], v[204:205]
	s_waitcnt vmcnt(7) lgkmcnt(6)
	v_mul_f64 v[210:211], v[158:159], v[88:89]
	v_fmac_f64_e32 v[208:209], v[156:157], v[44:45]
	v_add_f64 v[2:3], v[2:3], v[206:207]
	s_waitcnt vmcnt(6) lgkmcnt(5)
	v_mul_f64 v[212:213], v[162:163], v[92:93]
	v_fmac_f64_e32 v[210:211], v[160:161], v[86:87]
	v_add_f64 v[2:3], v[2:3], v[208:209]
	s_waitcnt vmcnt(5) lgkmcnt(4)
	v_mul_f64 v[214:215], v[166:167], v[96:97]
	v_fmac_f64_e32 v[212:213], v[164:165], v[90:91]
	v_add_f64 v[2:3], v[2:3], v[210:211]
	s_waitcnt vmcnt(4) lgkmcnt(3)
	v_mul_f64 v[216:217], v[170:171], v[100:101]
	v_fmac_f64_e32 v[214:215], v[168:169], v[94:95]
	v_add_f64 v[2:3], v[2:3], v[212:213]
	s_waitcnt vmcnt(3) lgkmcnt(2)
	v_mul_f64 v[218:219], v[174:175], v[104:105]
	v_fmac_f64_e32 v[216:217], v[172:173], v[98:99]
	v_add_f64 v[2:3], v[2:3], v[214:215]
	s_waitcnt vmcnt(2) lgkmcnt(1)
	v_mul_f64 v[220:221], v[178:179], v[108:109]
	v_mul_f64 v[6:7], v[116:117], v[6:7]
	v_fmac_f64_e32 v[218:219], v[176:177], v[102:103]
	v_add_f64 v[2:3], v[2:3], v[216:217]
	s_waitcnt vmcnt(1) lgkmcnt(0)
	v_mul_f64 v[222:223], v[182:183], v[112:113]
	v_mul_f64 v[14:15], v[120:121], v[14:15]
	v_fmac_f64_e32 v[220:221], v[180:181], v[106:107]
	v_fma_f64 v[4:5], v[114:115], v[4:5], -v[6:7]
	v_add_f64 v[2:3], v[2:3], v[218:219]
	v_mul_f64 v[10:11], v[124:125], v[10:11]
	v_fmac_f64_e32 v[222:223], v[184:185], v[110:111]
	v_fma_f64 v[6:7], v[118:119], v[12:13], -v[14:15]
	v_add_f64 v[4:5], v[4:5], 0
	v_add_f64 v[2:3], v[2:3], v[220:221]
	;; [unrolled: 1-line block ×4, first 2 shown]
	v_fma_f64 v[2:3], v[122:123], v[8:9], -v[10:11]
	v_add_f64 v[2:3], v[4:5], v[2:3]
	v_mul_f64 v[4:5], v[128:129], v[18:19]
	v_fma_f64 v[4:5], v[126:127], v[16:17], -v[4:5]
	v_add_f64 v[2:3], v[2:3], v[4:5]
	v_mul_f64 v[4:5], v[132:133], v[22:23]
	;; [unrolled: 3-line block ×15, first 2 shown]
	v_fma_f64 v[4:5], v[182:183], v[110:111], -v[4:5]
	v_add_f64 v[2:3], v[2:3], v[4:5]
	s_waitcnt vmcnt(0)
	v_add_f64 v[2:3], v[186:187], -v[2:3]
	v_add_f64 v[4:5], v[188:189], -v[6:7]
	scratch_store_dwordx4 off, v[2:5], off
	s_cbranch_vccz .LBB18_164
; %bb.128:
	s_nop 0
	v_mov_b32_e32 v2, 0
	global_load_dword v3, v2, s[20:21] offset:68
	s_load_dwordx2 s[2:3], s[0:1], 0x4
	v_bfe_u32 v4, v0, 10, 10
	v_bfe_u32 v0, v0, 20, 10
	s_waitcnt lgkmcnt(0)
	s_lshr_b32 s0, s2, 16
	s_mul_i32 s0, s0, s3
	v_mul_u32_u24_e32 v1, s0, v1
	v_mul_u32_u24_e32 v4, s3, v4
	v_add3_u32 v0, v1, v4, v0
	v_mov_b32_e32 v1, 0x268
	v_lshl_add_u32 v0, v0, 4, v1
	s_waitcnt vmcnt(0)
	v_readfirstlane_b32 s0, v3
	s_add_i32 s0, s0, -1
	s_cmp_lg_u32 s0, 17
	s_cbranch_scc0 .LBB18_130
; %bb.129:
	s_lshl_b32 s0, s0, 4
	scratch_load_dwordx4 v[4:7], off, s29
	scratch_load_dwordx4 v[8:11], off, s0
	s_waitcnt vmcnt(1)
	ds_write2_b64 v0, v[4:5], v[6:7] offset1:1
	s_waitcnt vmcnt(0)
	scratch_store_dwordx4 off, v[8:11], s29
	scratch_store_dwordx4 off, v[4:7], s0
.LBB18_130:
	global_load_dword v1, v2, s[20:21] offset:64
	s_waitcnt vmcnt(0)
	v_readfirstlane_b32 s0, v1
	s_add_i32 s0, s0, -1
	s_cmp_eq_u32 s0, 16
	s_cbranch_scc1 .LBB18_132
; %bb.131:
	s_lshl_b32 s0, s0, 4
	scratch_load_dwordx4 v[2:5], off, s26
	scratch_load_dwordx4 v[6:9], off, s0
	s_waitcnt vmcnt(1)
	ds_write2_b64 v0, v[2:3], v[4:5] offset1:1
	s_waitcnt vmcnt(0)
	scratch_store_dwordx4 off, v[6:9], s26
	scratch_store_dwordx4 off, v[2:5], s0
.LBB18_132:
	v_mov_b32_e32 v1, 0
	global_load_dword v2, v1, s[20:21] offset:60
	s_waitcnt vmcnt(0)
	v_readfirstlane_b32 s0, v2
	s_add_i32 s0, s0, -1
	s_cmp_eq_u32 s0, 15
	s_cbranch_scc1 .LBB18_134
; %bb.133:
	s_lshl_b32 s0, s0, 4
	scratch_load_dwordx4 v[2:5], off, s31
	scratch_load_dwordx4 v[6:9], off, s0
	s_waitcnt vmcnt(1)
	ds_write2_b64 v0, v[2:3], v[4:5] offset1:1
	s_waitcnt vmcnt(0)
	scratch_store_dwordx4 off, v[6:9], s31
	scratch_store_dwordx4 off, v[2:5], s0
.LBB18_134:
	global_load_dword v1, v1, s[20:21] offset:56
	s_waitcnt vmcnt(0)
	v_readfirstlane_b32 s0, v1
	s_add_i32 s0, s0, -1
	s_cmp_eq_u32 s0, 14
	s_cbranch_scc1 .LBB18_136
; %bb.135:
	s_lshl_b32 s0, s0, 4
	scratch_load_dwordx4 v[2:5], off, s36
	scratch_load_dwordx4 v[6:9], off, s0
	s_waitcnt vmcnt(1)
	ds_write2_b64 v0, v[2:3], v[4:5] offset1:1
	s_waitcnt vmcnt(0)
	scratch_store_dwordx4 off, v[6:9], s36
	scratch_store_dwordx4 off, v[2:5], s0
.LBB18_136:
	v_mov_b32_e32 v1, 0
	global_load_dword v2, v1, s[20:21] offset:52
	s_waitcnt vmcnt(0)
	v_readfirstlane_b32 s0, v2
	s_add_i32 s0, s0, -1
	s_cmp_eq_u32 s0, 13
	s_cbranch_scc1 .LBB18_138
; %bb.137:
	s_lshl_b32 s0, s0, 4
	scratch_load_dwordx4 v[2:5], off, s35
	scratch_load_dwordx4 v[6:9], off, s0
	s_waitcnt vmcnt(1)
	ds_write2_b64 v0, v[2:3], v[4:5] offset1:1
	s_waitcnt vmcnt(0)
	scratch_store_dwordx4 off, v[6:9], s35
	scratch_store_dwordx4 off, v[2:5], s0
.LBB18_138:
	;; [unrolled: 33-line block ×8, first 2 shown]
	global_load_dword v1, v1, s[20:21]
	s_waitcnt vmcnt(0)
	v_readfirstlane_b32 s0, v1
	s_add_i32 s0, s0, -1
	s_cmp_eq_u32 s0, 0
	s_cbranch_scc1 .LBB18_164
; %bb.163:
	s_lshl_b32 s0, s0, 4
	scratch_load_dwordx4 v[2:5], off, off
	scratch_load_dwordx4 v[6:9], off, s0
	s_waitcnt vmcnt(1)
	ds_write2_b64 v0, v[2:3], v[4:5] offset1:1
	s_waitcnt vmcnt(0)
	scratch_store_dwordx4 off, v[6:9], off
	scratch_store_dwordx4 off, v[2:5], s0
.LBB18_164:
	scratch_load_dwordx4 v[0:3], off, off
	s_nop 0
	scratch_load_dwordx4 v[4:7], off, s18
	scratch_load_dwordx4 v[8:11], off, s14
	;; [unrolled: 1-line block ×15, first 2 shown]
                                        ; kill: killed $sgpr36
                                        ; kill: killed $sgpr18
                                        ; kill: killed $sgpr28
                                        ; kill: killed $sgpr35
                                        ; kill: killed $sgpr25
                                        ; kill: killed $sgpr34
                                        ; kill: killed $sgpr19
                                        ; kill: killed $sgpr30
                                        ; kill: killed $sgpr16
                                        ; kill: killed $sgpr27
                                        ; kill: killed $sgpr15
                                        ; kill: killed $sgpr24
                                        ; kill: killed $sgpr31
                                        ; kill: killed $sgpr14
                                        ; kill: killed $sgpr17
	scratch_load_dwordx4 v[102:105], off, s26
	scratch_load_dwordx4 v[106:109], off, s29
	;; [unrolled: 1-line block ×3, first 2 shown]
	s_waitcnt vmcnt(18)
	global_store_dwordx4 v[48:49], v[0:3], off
	s_waitcnt vmcnt(18)
	global_store_dwordx4 v[50:51], v[4:7], off
	;; [unrolled: 2-line block ×19, first 2 shown]
	s_endpgm
	.section	.rodata,"a",@progbits
	.p2align	6, 0x0
	.amdhsa_kernel _ZN9rocsolver6v33100L18getri_kernel_smallILi19E19rocblas_complex_numIdEPS3_EEvT1_iilPiilS6_bb
		.amdhsa_group_segment_fixed_size 1640
		.amdhsa_private_segment_fixed_size 320
		.amdhsa_kernarg_size 60
		.amdhsa_user_sgpr_count 4
		.amdhsa_user_sgpr_dispatch_ptr 1
		.amdhsa_user_sgpr_queue_ptr 0
		.amdhsa_user_sgpr_kernarg_segment_ptr 1
		.amdhsa_user_sgpr_dispatch_id 0
		.amdhsa_user_sgpr_kernarg_preload_length 0
		.amdhsa_user_sgpr_kernarg_preload_offset 0
		.amdhsa_user_sgpr_private_segment_size 0
		.amdhsa_uses_dynamic_stack 0
		.amdhsa_enable_private_segment 1
		.amdhsa_system_sgpr_workgroup_id_x 1
		.amdhsa_system_sgpr_workgroup_id_y 0
		.amdhsa_system_sgpr_workgroup_id_z 0
		.amdhsa_system_sgpr_workgroup_info 0
		.amdhsa_system_vgpr_workitem_id 2
		.amdhsa_next_free_vgpr 224
		.amdhsa_next_free_sgpr 37
		.amdhsa_accum_offset 224
		.amdhsa_reserve_vcc 1
		.amdhsa_float_round_mode_32 0
		.amdhsa_float_round_mode_16_64 0
		.amdhsa_float_denorm_mode_32 3
		.amdhsa_float_denorm_mode_16_64 3
		.amdhsa_dx10_clamp 1
		.amdhsa_ieee_mode 1
		.amdhsa_fp16_overflow 0
		.amdhsa_tg_split 0
		.amdhsa_exception_fp_ieee_invalid_op 0
		.amdhsa_exception_fp_denorm_src 0
		.amdhsa_exception_fp_ieee_div_zero 0
		.amdhsa_exception_fp_ieee_overflow 0
		.amdhsa_exception_fp_ieee_underflow 0
		.amdhsa_exception_fp_ieee_inexact 0
		.amdhsa_exception_int_div_zero 0
	.end_amdhsa_kernel
	.section	.text._ZN9rocsolver6v33100L18getri_kernel_smallILi19E19rocblas_complex_numIdEPS3_EEvT1_iilPiilS6_bb,"axG",@progbits,_ZN9rocsolver6v33100L18getri_kernel_smallILi19E19rocblas_complex_numIdEPS3_EEvT1_iilPiilS6_bb,comdat
.Lfunc_end18:
	.size	_ZN9rocsolver6v33100L18getri_kernel_smallILi19E19rocblas_complex_numIdEPS3_EEvT1_iilPiilS6_bb, .Lfunc_end18-_ZN9rocsolver6v33100L18getri_kernel_smallILi19E19rocblas_complex_numIdEPS3_EEvT1_iilPiilS6_bb
                                        ; -- End function
	.set _ZN9rocsolver6v33100L18getri_kernel_smallILi19E19rocblas_complex_numIdEPS3_EEvT1_iilPiilS6_bb.num_vgpr, 224
	.set _ZN9rocsolver6v33100L18getri_kernel_smallILi19E19rocblas_complex_numIdEPS3_EEvT1_iilPiilS6_bb.num_agpr, 0
	.set _ZN9rocsolver6v33100L18getri_kernel_smallILi19E19rocblas_complex_numIdEPS3_EEvT1_iilPiilS6_bb.numbered_sgpr, 37
	.set _ZN9rocsolver6v33100L18getri_kernel_smallILi19E19rocblas_complex_numIdEPS3_EEvT1_iilPiilS6_bb.num_named_barrier, 0
	.set _ZN9rocsolver6v33100L18getri_kernel_smallILi19E19rocblas_complex_numIdEPS3_EEvT1_iilPiilS6_bb.private_seg_size, 320
	.set _ZN9rocsolver6v33100L18getri_kernel_smallILi19E19rocblas_complex_numIdEPS3_EEvT1_iilPiilS6_bb.uses_vcc, 1
	.set _ZN9rocsolver6v33100L18getri_kernel_smallILi19E19rocblas_complex_numIdEPS3_EEvT1_iilPiilS6_bb.uses_flat_scratch, 0
	.set _ZN9rocsolver6v33100L18getri_kernel_smallILi19E19rocblas_complex_numIdEPS3_EEvT1_iilPiilS6_bb.has_dyn_sized_stack, 0
	.set _ZN9rocsolver6v33100L18getri_kernel_smallILi19E19rocblas_complex_numIdEPS3_EEvT1_iilPiilS6_bb.has_recursion, 0
	.set _ZN9rocsolver6v33100L18getri_kernel_smallILi19E19rocblas_complex_numIdEPS3_EEvT1_iilPiilS6_bb.has_indirect_call, 0
	.section	.AMDGPU.csdata,"",@progbits
; Kernel info:
; codeLenInByte = 20272
; TotalNumSgprs: 43
; NumVgprs: 224
; NumAgprs: 0
; TotalNumVgprs: 224
; ScratchSize: 320
; MemoryBound: 0
; FloatMode: 240
; IeeeMode: 1
; LDSByteSize: 1640 bytes/workgroup (compile time only)
; SGPRBlocks: 5
; VGPRBlocks: 27
; NumSGPRsForWavesPerEU: 43
; NumVGPRsForWavesPerEU: 224
; AccumOffset: 224
; Occupancy: 2
; WaveLimiterHint : 1
; COMPUTE_PGM_RSRC2:SCRATCH_EN: 1
; COMPUTE_PGM_RSRC2:USER_SGPR: 4
; COMPUTE_PGM_RSRC2:TRAP_HANDLER: 0
; COMPUTE_PGM_RSRC2:TGID_X_EN: 1
; COMPUTE_PGM_RSRC2:TGID_Y_EN: 0
; COMPUTE_PGM_RSRC2:TGID_Z_EN: 0
; COMPUTE_PGM_RSRC2:TIDIG_COMP_CNT: 2
; COMPUTE_PGM_RSRC3_GFX90A:ACCUM_OFFSET: 55
; COMPUTE_PGM_RSRC3_GFX90A:TG_SPLIT: 0
	.section	.text._ZN9rocsolver6v33100L18getri_kernel_smallILi20E19rocblas_complex_numIdEPS3_EEvT1_iilPiilS6_bb,"axG",@progbits,_ZN9rocsolver6v33100L18getri_kernel_smallILi20E19rocblas_complex_numIdEPS3_EEvT1_iilPiilS6_bb,comdat
	.globl	_ZN9rocsolver6v33100L18getri_kernel_smallILi20E19rocblas_complex_numIdEPS3_EEvT1_iilPiilS6_bb ; -- Begin function _ZN9rocsolver6v33100L18getri_kernel_smallILi20E19rocblas_complex_numIdEPS3_EEvT1_iilPiilS6_bb
	.p2align	8
	.type	_ZN9rocsolver6v33100L18getri_kernel_smallILi20E19rocblas_complex_numIdEPS3_EEvT1_iilPiilS6_bb,@function
_ZN9rocsolver6v33100L18getri_kernel_smallILi20E19rocblas_complex_numIdEPS3_EEvT1_iilPiilS6_bb: ; @_ZN9rocsolver6v33100L18getri_kernel_smallILi20E19rocblas_complex_numIdEPS3_EEvT1_iilPiilS6_bb
; %bb.0:
	v_and_b32_e32 v1, 0x3ff, v0
	v_cmp_gt_u32_e32 vcc, 20, v1
	s_and_saveexec_b64 s[6:7], vcc
	s_cbranch_execz .LBB19_94
; %bb.1:
	s_load_dword s6, s[2:3], 0x38
	s_load_dwordx4 s[16:19], s[2:3], 0x10
	s_load_dwordx4 s[8:11], s[2:3], 0x28
                                        ; implicit-def: $sgpr20_sgpr21
	s_waitcnt lgkmcnt(0)
	s_bitcmp1_b32 s6, 8
	s_cselect_b64 s[22:23], -1, 0
	s_ashr_i32 s5, s4, 31
	s_bfe_u32 s6, s6, 0x10008
	s_cmp_eq_u32 s6, 0
	s_cbranch_scc1 .LBB19_3
; %bb.2:
	s_load_dword s6, s[2:3], 0x20
	s_mul_i32 s7, s8, s5
	s_mul_hi_u32 s12, s8, s4
	s_mul_i32 s9, s9, s4
	s_add_i32 s12, s12, s7
	s_add_i32 s9, s12, s9
	s_mul_i32 s8, s8, s4
	s_waitcnt lgkmcnt(0)
	s_ashr_i32 s7, s6, 31
	s_lshl_b64 s[8:9], s[8:9], 2
	s_add_u32 s8, s18, s8
	s_addc_u32 s9, s19, s9
	s_lshl_b64 s[6:7], s[6:7], 2
	s_add_u32 s20, s8, s6
	s_addc_u32 s21, s9, s7
.LBB19_3:
	s_load_dwordx4 s[12:15], s[2:3], 0x0
	s_load_dword s6, s[2:3], 0x38
	s_mul_i32 s7, s16, s5
	s_mul_hi_u32 s8, s16, s4
	s_add_i32 s7, s8, s7
	s_mul_i32 s8, s17, s4
	s_add_i32 s9, s7, s8
	s_mul_i32 s8, s16, s4
	s_waitcnt lgkmcnt(0)
	s_ashr_i32 s3, s14, 31
	s_lshl_b64 s[8:9], s[8:9], 4
	s_mov_b32 s2, s14
	s_add_u32 s7, s12, s8
	s_addc_u32 s8, s13, s9
	s_lshl_b64 s[2:3], s[2:3], 4
	s_add_u32 s2, s7, s2
	s_addc_u32 s3, s8, s3
	s_add_i32 s7, s15, s15
	v_add_u32_e32 v16, s7, v1
	v_ashrrev_i32_e32 v17, 31, v16
	v_lshl_add_u64 v[58:59], v[16:17], 4, s[2:3]
	v_add_u32_e32 v16, s15, v16
	v_add_u32_e32 v18, s15, v16
	v_add_u32_e32 v24, s15, v18
	v_add_u32_e32 v26, s15, v24
	v_add_u32_e32 v32, s15, v26
	v_add_u32_e32 v34, s15, v32
	v_add_u32_e32 v40, s15, v34
	v_add_u32_e32 v48, s15, v40
	v_ashrrev_i32_e32 v49, 31, v48
	v_lshl_add_u64 v[74:75], v[48:49], 4, s[2:3]
	v_add_u32_e32 v48, s15, v48
	v_add_u32_e32 v50, s15, v48
	;; [unrolled: 1-line block ×3, first 2 shown]
	v_ashrrev_i32_e32 v53, 31, v52
	v_add_u32_e32 v82, s15, v52
	v_lshl_add_u64 v[80:81], v[52:53], 4, s[2:3]
	v_add_u32_e32 v52, s15, v82
	v_ashrrev_i32_e32 v53, 31, v52
	v_lshl_add_u64 v[84:85], v[52:53], 4, s[2:3]
	v_add_u32_e32 v52, s15, v52
	v_ashrrev_i32_e32 v53, 31, v52
	v_add_u32_e32 v88, s15, v52
	v_lshl_add_u64 v[86:87], v[52:53], 4, s[2:3]
	v_add_u32_e32 v52, s15, v88
	v_ashrrev_i32_e32 v53, 31, v52
	v_lshlrev_b32_e32 v14, 4, v1
	v_mov_b32_e32 v15, 0
	v_lshl_add_u64 v[90:91], v[52:53], 4, s[2:3]
	v_add_u32_e32 v52, s15, v52
	v_lshl_add_u64 v[54:55], s[2:3], 0, v[14:15]
	s_ashr_i32 s9, s15, 31
	s_mov_b32 s8, s15
	v_ashrrev_i32_e32 v17, 31, v16
	v_ashrrev_i32_e32 v25, 31, v24
	;; [unrolled: 1-line block ×7, first 2 shown]
	v_lshl_add_u64 v[56:57], s[8:9], 4, v[54:55]
	v_lshl_add_u64 v[60:61], v[16:17], 4, s[2:3]
	v_ashrrev_i32_e32 v19, 31, v18
	v_lshl_add_u64 v[64:65], v[24:25], 4, s[2:3]
	v_ashrrev_i32_e32 v27, 31, v26
	v_lshl_add_u64 v[68:69], v[32:33], 4, s[2:3]
	v_ashrrev_i32_e32 v35, 31, v34
	v_lshl_add_u64 v[72:73], v[40:41], 4, s[2:3]
	v_lshl_add_u64 v[76:77], v[48:49], 4, s[2:3]
	v_ashrrev_i32_e32 v51, 31, v50
	v_ashrrev_i32_e32 v83, 31, v82
	v_lshl_add_u64 v[88:89], v[88:89], 4, s[2:3]
	v_lshl_add_u64 v[92:93], v[52:53], 4, s[2:3]
	global_load_dwordx4 v[2:5], v14, s[2:3]
	global_load_dwordx4 v[6:9], v[56:57], off
	global_load_dwordx4 v[10:13], v[58:59], off
	v_lshl_add_u64 v[62:63], v[18:19], 4, s[2:3]
	global_load_dwordx4 v[16:19], v[60:61], off
	global_load_dwordx4 v[20:23], v[62:63], off
	v_lshl_add_u64 v[66:67], v[26:27], 4, s[2:3]
	;; [unrolled: 3-line block ×3, first 2 shown]
	global_load_dwordx4 v[32:35], v[68:69], off
	global_load_dwordx4 v[36:39], v[70:71], off
	;; [unrolled: 1-line block ×4, first 2 shown]
	v_lshl_add_u64 v[78:79], v[50:51], 4, s[2:3]
	global_load_dwordx4 v[48:51], v[76:77], off
	global_load_dwordx4 v[94:97], v[78:79], off
	v_lshl_add_u64 v[82:83], v[82:83], 4, s[2:3]
	global_load_dwordx4 v[98:101], v[80:81], off
	global_load_dwordx4 v[102:105], v[82:83], off
	;; [unrolled: 1-line block ×7, first 2 shown]
	s_mov_b32 s18, 16
	s_mov_b32 s14, 32
	;; [unrolled: 1-line block ×4, first 2 shown]
	s_movk_i32 s19, 0x50
	s_movk_i32 s26, 0x60
	;; [unrolled: 1-line block ×15, first 2 shown]
	s_bitcmp0_b32 s6, 0
	s_mov_b64 s[6:7], -1
	s_waitcnt vmcnt(19)
	scratch_store_dwordx4 off, v[2:5], off
	s_waitcnt vmcnt(19)
	scratch_store_dwordx4 off, v[6:9], off offset:16
	s_waitcnt vmcnt(19)
	scratch_store_dwordx4 off, v[10:13], off offset:32
	;; [unrolled: 2-line block ×19, first 2 shown]
	s_cbranch_scc1 .LBB19_92
; %bb.4:
	v_cmp_eq_u32_e64 s[2:3], 0, v1
	s_and_saveexec_b64 s[6:7], s[2:3]
; %bb.5:
	v_mov_b32_e32 v2, 0
	ds_write_b32 v2, v2 offset:640
; %bb.6:
	s_or_b64 exec, exec, s[6:7]
	s_waitcnt lgkmcnt(0)
	; wave barrier
	scratch_load_dwordx4 v[2:5], v14, off
	s_waitcnt vmcnt(0)
	v_cmp_eq_f64_e32 vcc, 0, v[2:3]
	v_cmp_eq_f64_e64 s[6:7], 0, v[4:5]
	s_and_b64 s[6:7], vcc, s[6:7]
	s_and_saveexec_b64 s[8:9], s[6:7]
	s_cbranch_execz .LBB19_10
; %bb.7:
	v_mov_b32_e32 v2, 0
	ds_read_b32 v4, v2 offset:640
	v_add_u32_e32 v3, 1, v1
	s_waitcnt lgkmcnt(0)
	v_readfirstlane_b32 s6, v4
	s_cmp_eq_u32 s6, 0
	s_cselect_b64 s[12:13], -1, 0
	v_cmp_gt_i32_e32 vcc, s6, v3
	s_or_b64 s[12:13], s[12:13], vcc
	s_and_b64 exec, exec, s[12:13]
	s_cbranch_execz .LBB19_10
; %bb.8:
	s_mov_b64 s[12:13], 0
	v_mov_b32_e32 v4, s6
.LBB19_9:                               ; =>This Inner Loop Header: Depth=1
	ds_cmpst_rtn_b32 v4, v2, v4, v3 offset:640
	s_waitcnt lgkmcnt(0)
	v_cmp_ne_u32_e32 vcc, 0, v4
	v_cmp_le_i32_e64 s[6:7], v4, v3
	s_and_b64 s[6:7], vcc, s[6:7]
	s_and_b64 s[6:7], exec, s[6:7]
	s_or_b64 s[12:13], s[6:7], s[12:13]
	s_andn2_b64 exec, exec, s[12:13]
	s_cbranch_execnz .LBB19_9
.LBB19_10:
	s_or_b64 exec, exec, s[8:9]
	v_mov_b32_e32 v3, 0
	; wave barrier
	ds_read_b32 v2, v3 offset:640
	s_and_saveexec_b64 s[6:7], s[2:3]
	s_cbranch_execz .LBB19_12
; %bb.11:
	s_lshl_b64 s[8:9], s[4:5], 2
	s_add_u32 s8, s10, s8
	s_addc_u32 s9, s11, s9
	s_waitcnt lgkmcnt(0)
	global_store_dword v3, v2, s[8:9]
.LBB19_12:
	s_or_b64 exec, exec, s[6:7]
	s_waitcnt lgkmcnt(0)
	v_cmp_ne_u32_e32 vcc, 0, v2
	s_mov_b64 s[6:7], 0
	s_cbranch_vccnz .LBB19_92
; %bb.13:
	v_mov_b32_e32 v15, v14
	scratch_load_dwordx4 v[2:5], v15, off
                                        ; implicit-def: $vgpr6_vgpr7
                                        ; implicit-def: $vgpr10_vgpr11
	s_waitcnt vmcnt(0)
	v_cmp_ngt_f64_e64 s[6:7], |v[2:3]|, |v[4:5]|
	s_and_saveexec_b64 s[8:9], s[6:7]
	s_xor_b64 s[6:7], exec, s[8:9]
	s_cbranch_execz .LBB19_15
; %bb.14:
	v_div_scale_f64 v[6:7], s[8:9], v[4:5], v[4:5], v[2:3]
	v_rcp_f64_e32 v[8:9], v[6:7]
	v_div_scale_f64 v[10:11], vcc, v[2:3], v[4:5], v[2:3]
	v_fma_f64 v[12:13], -v[6:7], v[8:9], 1.0
	v_fmac_f64_e32 v[8:9], v[8:9], v[12:13]
	v_fma_f64 v[12:13], -v[6:7], v[8:9], 1.0
	v_fmac_f64_e32 v[8:9], v[8:9], v[12:13]
	v_mul_f64 v[12:13], v[10:11], v[8:9]
	v_fma_f64 v[6:7], -v[6:7], v[12:13], v[10:11]
	v_div_fmas_f64 v[6:7], v[6:7], v[8:9], v[12:13]
	v_div_fixup_f64 v[6:7], v[6:7], v[4:5], v[2:3]
	v_fmac_f64_e32 v[4:5], v[2:3], v[6:7]
	v_div_scale_f64 v[2:3], s[8:9], v[4:5], v[4:5], 1.0
	v_rcp_f64_e32 v[8:9], v[2:3]
	s_nop 0
	v_fma_f64 v[10:11], -v[2:3], v[8:9], 1.0
	v_fmac_f64_e32 v[8:9], v[8:9], v[10:11]
	v_fma_f64 v[10:11], -v[2:3], v[8:9], 1.0
	v_fmac_f64_e32 v[8:9], v[8:9], v[10:11]
	v_div_scale_f64 v[10:11], vcc, 1.0, v[4:5], 1.0
	v_mul_f64 v[12:13], v[10:11], v[8:9]
	v_fma_f64 v[2:3], -v[2:3], v[12:13], v[10:11]
	s_nop 1
	v_div_fmas_f64 v[2:3], v[2:3], v[8:9], v[12:13]
	v_div_fixup_f64 v[8:9], v[2:3], v[4:5], 1.0
	v_mul_f64 v[6:7], v[6:7], v[8:9]
	v_xor_b32_e32 v9, 0x80000000, v9
	v_xor_b32_e32 v11, 0x80000000, v7
	v_mov_b32_e32 v10, v6
                                        ; implicit-def: $vgpr2_vgpr3
.LBB19_15:
	s_andn2_saveexec_b64 s[6:7], s[6:7]
	s_cbranch_execz .LBB19_17
; %bb.16:
	v_div_scale_f64 v[6:7], s[8:9], v[2:3], v[2:3], v[4:5]
	v_rcp_f64_e32 v[8:9], v[6:7]
	v_div_scale_f64 v[10:11], vcc, v[4:5], v[2:3], v[4:5]
	v_fma_f64 v[12:13], -v[6:7], v[8:9], 1.0
	v_fmac_f64_e32 v[8:9], v[8:9], v[12:13]
	v_fma_f64 v[12:13], -v[6:7], v[8:9], 1.0
	v_fmac_f64_e32 v[8:9], v[8:9], v[12:13]
	v_mul_f64 v[12:13], v[10:11], v[8:9]
	v_fma_f64 v[6:7], -v[6:7], v[12:13], v[10:11]
	v_div_fmas_f64 v[6:7], v[6:7], v[8:9], v[12:13]
	v_div_fixup_f64 v[8:9], v[6:7], v[2:3], v[4:5]
	v_fmac_f64_e32 v[2:3], v[4:5], v[8:9]
	v_div_scale_f64 v[4:5], s[8:9], v[2:3], v[2:3], 1.0
	v_rcp_f64_e32 v[6:7], v[4:5]
	s_nop 0
	v_fma_f64 v[10:11], -v[4:5], v[6:7], 1.0
	v_fmac_f64_e32 v[6:7], v[6:7], v[10:11]
	v_fma_f64 v[10:11], -v[4:5], v[6:7], 1.0
	v_fmac_f64_e32 v[6:7], v[6:7], v[10:11]
	v_div_scale_f64 v[10:11], vcc, 1.0, v[2:3], 1.0
	v_mul_f64 v[12:13], v[10:11], v[6:7]
	v_fma_f64 v[4:5], -v[4:5], v[12:13], v[10:11]
	s_nop 1
	v_div_fmas_f64 v[4:5], v[4:5], v[6:7], v[12:13]
	v_div_fixup_f64 v[6:7], v[4:5], v[2:3], 1.0
	v_xor_b32_e32 v11, 0x80000000, v7
	v_mov_b32_e32 v10, v6
	v_mul_f64 v[8:9], v[8:9], -v[6:7]
.LBB19_17:
	s_or_b64 exec, exec, s[6:7]
	scratch_store_dwordx4 v15, v[6:9], off
	scratch_load_dwordx4 v[2:5], off, s18
	v_xor_b32_e32 v13, 0x80000000, v9
	v_mov_b32_e32 v12, v8
	v_add_u32_e32 v6, 0x140, v14
	ds_write_b128 v14, v[10:13]
	s_waitcnt vmcnt(0)
	ds_write_b128 v14, v[2:5] offset:320
	s_waitcnt lgkmcnt(0)
	; wave barrier
	s_and_saveexec_b64 s[6:7], s[2:3]
	s_cbranch_execz .LBB19_19
; %bb.18:
	scratch_load_dwordx4 v[2:5], v15, off
	ds_read_b128 v[8:11], v6
	v_mov_b32_e32 v7, 0
	ds_read_b128 v[16:19], v7 offset:16
	s_waitcnt vmcnt(0) lgkmcnt(1)
	v_mul_f64 v[12:13], v[10:11], v[4:5]
	v_mul_f64 v[4:5], v[8:9], v[4:5]
	v_fma_f64 v[8:9], v[8:9], v[2:3], -v[12:13]
	v_fmac_f64_e32 v[4:5], v[10:11], v[2:3]
	v_add_f64 v[2:3], v[8:9], 0
	v_add_f64 v[8:9], v[4:5], 0
	s_waitcnt lgkmcnt(0)
	v_mul_f64 v[10:11], v[8:9], v[18:19]
	v_mul_f64 v[4:5], v[2:3], v[18:19]
	v_fma_f64 v[2:3], v[2:3], v[16:17], -v[10:11]
	v_fmac_f64_e32 v[4:5], v[8:9], v[16:17]
	scratch_store_dwordx4 off, v[2:5], off offset:16
.LBB19_19:
	s_or_b64 exec, exec, s[6:7]
	; wave barrier
	scratch_load_dwordx4 v[2:5], off, s14
	v_cmp_gt_u32_e32 vcc, 2, v1
	s_waitcnt vmcnt(0)
	ds_write_b128 v6, v[2:5]
	s_waitcnt lgkmcnt(0)
	; wave barrier
	s_and_saveexec_b64 s[6:7], vcc
	s_cbranch_execz .LBB19_23
; %bb.20:
	scratch_load_dwordx4 v[2:5], v15, off
	ds_read_b128 v[8:11], v6
	s_waitcnt vmcnt(0) lgkmcnt(0)
	v_mul_f64 v[12:13], v[10:11], v[4:5]
	v_mul_f64 v[16:17], v[8:9], v[4:5]
	v_fma_f64 v[4:5], v[8:9], v[2:3], -v[12:13]
	v_fmac_f64_e32 v[16:17], v[10:11], v[2:3]
	v_add_f64 v[4:5], v[4:5], 0
	v_add_f64 v[2:3], v[16:17], 0
	s_and_saveexec_b64 s[8:9], s[2:3]
	s_cbranch_execz .LBB19_22
; %bb.21:
	scratch_load_dwordx4 v[8:11], off, off offset:16
	v_mov_b32_e32 v7, 0
	ds_read_b128 v[16:19], v7 offset:336
	s_waitcnt vmcnt(0) lgkmcnt(0)
	v_mul_f64 v[12:13], v[16:17], v[10:11]
	v_mul_f64 v[10:11], v[18:19], v[10:11]
	v_fmac_f64_e32 v[12:13], v[18:19], v[8:9]
	v_fma_f64 v[8:9], v[16:17], v[8:9], -v[10:11]
	v_add_f64 v[2:3], v[2:3], v[12:13]
	v_add_f64 v[4:5], v[4:5], v[8:9]
.LBB19_22:
	s_or_b64 exec, exec, s[8:9]
	v_mov_b32_e32 v7, 0
	ds_read_b128 v[8:11], v7 offset:32
	s_waitcnt lgkmcnt(0)
	v_mul_f64 v[16:17], v[2:3], v[10:11]
	v_mul_f64 v[12:13], v[4:5], v[10:11]
	v_fma_f64 v[10:11], v[4:5], v[8:9], -v[16:17]
	v_fmac_f64_e32 v[12:13], v[2:3], v[8:9]
	scratch_store_dwordx4 off, v[10:13], off offset:32
.LBB19_23:
	s_or_b64 exec, exec, s[6:7]
	; wave barrier
	scratch_load_dwordx4 v[2:5], off, s15
	v_cmp_gt_u32_e32 vcc, 3, v1
	v_add_u32_e32 v7, -1, v1
	s_waitcnt vmcnt(0)
	ds_write_b128 v6, v[2:5]
	s_waitcnt lgkmcnt(0)
	; wave barrier
	s_and_saveexec_b64 s[2:3], vcc
	s_cbranch_execz .LBB19_27
; %bb.24:
	v_add_u32_e32 v8, -1, v1
	v_add_u32_e32 v9, 0x140, v14
	v_mov_b32_e32 v10, v14
	v_mov_b64_e32 v[2:3], 0
	s_mov_b64 s[6:7], 0
	v_mov_b64_e32 v[4:5], 0
.LBB19_25:                              ; =>This Inner Loop Header: Depth=1
	scratch_load_dwordx4 v[16:19], v10, off
	ds_read_b128 v[20:23], v9
	v_add_u32_e32 v8, 1, v8
	v_cmp_lt_u32_e32 vcc, 1, v8
	v_add_u32_e32 v9, 16, v9
	v_add_u32_e32 v10, 16, v10
	s_or_b64 s[6:7], vcc, s[6:7]
	s_waitcnt vmcnt(0) lgkmcnt(0)
	v_mul_f64 v[12:13], v[22:23], v[18:19]
	v_mul_f64 v[18:19], v[20:21], v[18:19]
	v_fma_f64 v[12:13], v[20:21], v[16:17], -v[12:13]
	v_fmac_f64_e32 v[18:19], v[22:23], v[16:17]
	v_add_f64 v[4:5], v[4:5], v[12:13]
	v_add_f64 v[2:3], v[2:3], v[18:19]
	s_andn2_b64 exec, exec, s[6:7]
	s_cbranch_execnz .LBB19_25
; %bb.26:
	s_or_b64 exec, exec, s[6:7]
	v_mov_b32_e32 v8, 0
	ds_read_b128 v[8:11], v8 offset:48
	s_waitcnt lgkmcnt(0)
	v_mul_f64 v[16:17], v[2:3], v[10:11]
	v_mul_f64 v[12:13], v[4:5], v[10:11]
	v_fma_f64 v[10:11], v[4:5], v[8:9], -v[16:17]
	v_fmac_f64_e32 v[12:13], v[2:3], v[8:9]
	scratch_store_dwordx4 off, v[10:13], off offset:48
.LBB19_27:
	s_or_b64 exec, exec, s[2:3]
	; wave barrier
	scratch_load_dwordx4 v[2:5], off, s16
	v_cmp_gt_u32_e32 vcc, 4, v1
	s_waitcnt vmcnt(0)
	ds_write_b128 v6, v[2:5]
	s_waitcnt lgkmcnt(0)
	; wave barrier
	s_and_saveexec_b64 s[2:3], vcc
	s_cbranch_execz .LBB19_31
; %bb.28:
	v_add_u32_e32 v8, -1, v1
	v_add_u32_e32 v9, 0x140, v14
	v_mov_b32_e32 v10, v14
	v_mov_b64_e32 v[2:3], 0
	s_mov_b64 s[6:7], 0
	v_mov_b64_e32 v[4:5], 0
.LBB19_29:                              ; =>This Inner Loop Header: Depth=1
	scratch_load_dwordx4 v[16:19], v10, off
	ds_read_b128 v[20:23], v9
	v_add_u32_e32 v8, 1, v8
	v_cmp_lt_u32_e32 vcc, 2, v8
	v_add_u32_e32 v9, 16, v9
	v_add_u32_e32 v10, 16, v10
	s_or_b64 s[6:7], vcc, s[6:7]
	s_waitcnt vmcnt(0) lgkmcnt(0)
	v_mul_f64 v[12:13], v[22:23], v[18:19]
	v_mul_f64 v[18:19], v[20:21], v[18:19]
	v_fma_f64 v[12:13], v[20:21], v[16:17], -v[12:13]
	v_fmac_f64_e32 v[18:19], v[22:23], v[16:17]
	v_add_f64 v[4:5], v[4:5], v[12:13]
	v_add_f64 v[2:3], v[2:3], v[18:19]
	s_andn2_b64 exec, exec, s[6:7]
	s_cbranch_execnz .LBB19_29
; %bb.30:
	s_or_b64 exec, exec, s[6:7]
	v_mov_b32_e32 v8, 0
	ds_read_b128 v[8:11], v8 offset:64
	s_waitcnt lgkmcnt(0)
	v_mul_f64 v[16:17], v[2:3], v[10:11]
	v_mul_f64 v[12:13], v[4:5], v[10:11]
	v_fma_f64 v[10:11], v[4:5], v[8:9], -v[16:17]
	v_fmac_f64_e32 v[12:13], v[2:3], v[8:9]
	scratch_store_dwordx4 off, v[10:13], off offset:64
.LBB19_31:
	s_or_b64 exec, exec, s[2:3]
	; wave barrier
	scratch_load_dwordx4 v[2:5], off, s19
	v_cmp_gt_u32_e32 vcc, 5, v1
	;; [unrolled: 45-line block ×15, first 2 shown]
	s_waitcnt vmcnt(0)
	ds_write_b128 v6, v[2:5]
	s_waitcnt lgkmcnt(0)
	; wave barrier
	s_and_saveexec_b64 s[2:3], vcc
	s_cbranch_execz .LBB19_87
; %bb.84:
	v_add_u32_e32 v8, -1, v1
	v_add_u32_e32 v9, 0x140, v14
	v_mov_b32_e32 v10, v14
	v_mov_b64_e32 v[2:3], 0
	s_mov_b64 s[6:7], 0
	v_mov_b64_e32 v[4:5], 0
.LBB19_85:                              ; =>This Inner Loop Header: Depth=1
	scratch_load_dwordx4 v[16:19], v10, off
	ds_read_b128 v[20:23], v9
	v_add_u32_e32 v8, 1, v8
	v_cmp_lt_u32_e32 vcc, 16, v8
	v_add_u32_e32 v9, 16, v9
	v_add_u32_e32 v10, 16, v10
	s_or_b64 s[6:7], vcc, s[6:7]
	s_waitcnt vmcnt(0) lgkmcnt(0)
	v_mul_f64 v[12:13], v[22:23], v[18:19]
	v_mul_f64 v[18:19], v[20:21], v[18:19]
	v_fma_f64 v[12:13], v[20:21], v[16:17], -v[12:13]
	v_fmac_f64_e32 v[18:19], v[22:23], v[16:17]
	v_add_f64 v[4:5], v[4:5], v[12:13]
	v_add_f64 v[2:3], v[2:3], v[18:19]
	s_andn2_b64 exec, exec, s[6:7]
	s_cbranch_execnz .LBB19_85
; %bb.86:
	s_or_b64 exec, exec, s[6:7]
	v_mov_b32_e32 v8, 0
	ds_read_b128 v[8:11], v8 offset:288
	s_waitcnt lgkmcnt(0)
	v_mul_f64 v[16:17], v[2:3], v[10:11]
	v_mul_f64 v[12:13], v[4:5], v[10:11]
	v_fma_f64 v[10:11], v[4:5], v[8:9], -v[16:17]
	v_fmac_f64_e32 v[12:13], v[2:3], v[8:9]
	scratch_store_dwordx4 off, v[10:13], off offset:288
.LBB19_87:
	s_or_b64 exec, exec, s[2:3]
	; wave barrier
	scratch_load_dwordx4 v[2:5], off, s34
	v_cmp_ne_u32_e32 vcc, 19, v1
	s_waitcnt vmcnt(0)
	ds_write_b128 v6, v[2:5]
	s_waitcnt lgkmcnt(0)
	; wave barrier
	s_and_saveexec_b64 s[2:3], vcc
	s_cbranch_execz .LBB19_91
; %bb.88:
	v_add_u32_e32 v6, 0x140, v14
	v_mov_b32_e32 v8, v14
	v_mov_b64_e32 v[2:3], 0
	s_mov_b64 s[6:7], 0
	v_mov_b64_e32 v[4:5], 0
.LBB19_89:                              ; =>This Inner Loop Header: Depth=1
	scratch_load_dwordx4 v[10:13], v8, off
	ds_read_b128 v[14:17], v6
	v_add_u32_e32 v7, 1, v7
	v_cmp_lt_u32_e32 vcc, 17, v7
	v_add_u32_e32 v6, 16, v6
	v_add_u32_e32 v8, 16, v8
	s_or_b64 s[6:7], vcc, s[6:7]
	s_waitcnt vmcnt(0) lgkmcnt(0)
	v_mul_f64 v[18:19], v[16:17], v[12:13]
	v_mul_f64 v[12:13], v[14:15], v[12:13]
	v_fma_f64 v[14:15], v[14:15], v[10:11], -v[18:19]
	v_fmac_f64_e32 v[12:13], v[16:17], v[10:11]
	v_add_f64 v[4:5], v[4:5], v[14:15]
	v_add_f64 v[2:3], v[2:3], v[12:13]
	s_andn2_b64 exec, exec, s[6:7]
	s_cbranch_execnz .LBB19_89
; %bb.90:
	s_or_b64 exec, exec, s[6:7]
	v_mov_b32_e32 v6, 0
	ds_read_b128 v[6:9], v6 offset:304
	s_waitcnt lgkmcnt(0)
	v_mul_f64 v[12:13], v[2:3], v[8:9]
	v_mul_f64 v[10:11], v[4:5], v[8:9]
	v_fma_f64 v[8:9], v[4:5], v[6:7], -v[12:13]
	v_fmac_f64_e32 v[10:11], v[2:3], v[6:7]
	scratch_store_dwordx4 off, v[8:11], off offset:304
.LBB19_91:
	s_or_b64 exec, exec, s[2:3]
	s_mov_b64 s[6:7], -1
	; wave barrier
.LBB19_92:
	s_and_b64 vcc, exec, s[6:7]
	s_cbranch_vccz .LBB19_94
; %bb.93:
	s_lshl_b64 s[2:3], s[4:5], 2
	s_add_u32 s2, s10, s2
	s_addc_u32 s3, s11, s3
	v_mov_b32_e32 v2, 0
	global_load_dword v2, v2, s[2:3]
	s_waitcnt vmcnt(0)
	v_cmp_ne_u32_e32 vcc, 0, v2
	s_cbranch_vccz .LBB19_95
.LBB19_94:
	s_endpgm
.LBB19_95:
	v_mov_b32_e32 v2, 0x140
	v_lshl_add_u32 v48, v1, 4, v2
	v_cmp_eq_u32_e32 vcc, 19, v1
	s_and_saveexec_b64 s[2:3], vcc
	s_cbranch_execz .LBB19_97
; %bb.96:
	scratch_load_dwordx4 v[2:5], off, s30
	v_mov_b32_e32 v6, 0
	v_mov_b32_e32 v7, v6
	;; [unrolled: 1-line block ×4, first 2 shown]
	scratch_store_dwordx4 off, v[6:9], off offset:288
	s_waitcnt vmcnt(1)
	ds_write_b128 v48, v[2:5]
.LBB19_97:
	s_or_b64 exec, exec, s[2:3]
	s_waitcnt lgkmcnt(0)
	; wave barrier
	scratch_load_dwordx4 v[4:7], off, off offset:304
	scratch_load_dwordx4 v[8:11], off, off offset:288
	v_mov_b32_e32 v2, 0
	ds_read_b128 v[12:15], v2 offset:624
	v_cmp_lt_u32_e32 vcc, 17, v1
	s_waitcnt vmcnt(1) lgkmcnt(0)
	v_mul_f64 v[16:17], v[12:13], v[6:7]
	v_mul_f64 v[6:7], v[14:15], v[6:7]
	v_fmac_f64_e32 v[16:17], v[14:15], v[4:5]
	v_fma_f64 v[4:5], v[12:13], v[4:5], -v[6:7]
	v_add_f64 v[6:7], v[16:17], 0
	v_add_f64 v[4:5], v[4:5], 0
	s_waitcnt vmcnt(0)
	v_add_f64 v[4:5], v[8:9], -v[4:5]
	v_add_f64 v[6:7], v[10:11], -v[6:7]
	scratch_store_dwordx4 off, v[4:7], off offset:288
	s_and_saveexec_b64 s[2:3], vcc
	s_cbranch_execz .LBB19_99
; %bb.98:
	scratch_load_dwordx4 v[6:9], off, s27
	v_mov_b32_e32 v3, v2
	v_mov_b32_e32 v4, v2
	;; [unrolled: 1-line block ×3, first 2 shown]
	scratch_store_dwordx4 off, v[2:5], off offset:272
	s_waitcnt vmcnt(1)
	ds_write_b128 v48, v[6:9]
.LBB19_99:
	s_or_b64 exec, exec, s[2:3]
	s_waitcnt lgkmcnt(0)
	; wave barrier
	scratch_load_dwordx4 v[4:7], off, off offset:288
	scratch_load_dwordx4 v[8:11], off, off offset:304
	;; [unrolled: 1-line block ×3, first 2 shown]
	ds_read_b128 v[16:19], v2 offset:608
	ds_read_b128 v[20:23], v2 offset:624
	v_cmp_lt_u32_e32 vcc, 16, v1
	s_waitcnt vmcnt(2) lgkmcnt(1)
	v_mul_f64 v[2:3], v[16:17], v[6:7]
	v_mul_f64 v[6:7], v[18:19], v[6:7]
	s_waitcnt vmcnt(1) lgkmcnt(0)
	v_mul_f64 v[24:25], v[20:21], v[10:11]
	v_mul_f64 v[10:11], v[22:23], v[10:11]
	v_fmac_f64_e32 v[2:3], v[18:19], v[4:5]
	v_fma_f64 v[4:5], v[16:17], v[4:5], -v[6:7]
	v_fmac_f64_e32 v[24:25], v[22:23], v[8:9]
	v_fma_f64 v[6:7], v[20:21], v[8:9], -v[10:11]
	v_add_f64 v[2:3], v[2:3], 0
	v_add_f64 v[4:5], v[4:5], 0
	;; [unrolled: 1-line block ×4, first 2 shown]
	s_waitcnt vmcnt(0)
	v_add_f64 v[2:3], v[12:13], -v[2:3]
	v_add_f64 v[4:5], v[14:15], -v[8:9]
	scratch_store_dwordx4 off, v[2:5], off offset:272
	s_and_saveexec_b64 s[2:3], vcc
	s_cbranch_execz .LBB19_101
; %bb.100:
	scratch_load_dwordx4 v[2:5], off, s24
	v_mov_b32_e32 v6, 0
	v_mov_b32_e32 v7, v6
	;; [unrolled: 1-line block ×4, first 2 shown]
	scratch_store_dwordx4 off, v[6:9], off offset:256
	s_waitcnt vmcnt(1)
	ds_write_b128 v48, v[2:5]
.LBB19_101:
	s_or_b64 exec, exec, s[2:3]
	s_waitcnt lgkmcnt(0)
	; wave barrier
	scratch_load_dwordx4 v[4:7], off, off offset:272
	scratch_load_dwordx4 v[8:11], off, off offset:288
	;; [unrolled: 1-line block ×4, first 2 shown]
	v_mov_b32_e32 v2, 0
	ds_read_b128 v[20:23], v2 offset:592
	ds_read_b128 v[24:27], v2 offset:608
	;; [unrolled: 1-line block ×3, first 2 shown]
	v_cmp_lt_u32_e32 vcc, 15, v1
	s_waitcnt vmcnt(3) lgkmcnt(2)
	v_mul_f64 v[32:33], v[20:21], v[6:7]
	v_mul_f64 v[6:7], v[22:23], v[6:7]
	s_waitcnt vmcnt(2) lgkmcnt(1)
	v_mul_f64 v[34:35], v[24:25], v[10:11]
	v_mul_f64 v[10:11], v[26:27], v[10:11]
	v_fmac_f64_e32 v[32:33], v[22:23], v[4:5]
	v_fma_f64 v[4:5], v[20:21], v[4:5], -v[6:7]
	s_waitcnt vmcnt(1) lgkmcnt(0)
	v_mul_f64 v[36:37], v[28:29], v[14:15]
	v_mul_f64 v[14:15], v[30:31], v[14:15]
	v_fmac_f64_e32 v[34:35], v[26:27], v[8:9]
	v_fma_f64 v[6:7], v[24:25], v[8:9], -v[10:11]
	v_add_f64 v[10:11], v[32:33], 0
	v_add_f64 v[4:5], v[4:5], 0
	v_fmac_f64_e32 v[36:37], v[30:31], v[12:13]
	v_fma_f64 v[8:9], v[28:29], v[12:13], -v[14:15]
	v_add_f64 v[10:11], v[10:11], v[34:35]
	v_add_f64 v[4:5], v[4:5], v[6:7]
	;; [unrolled: 1-line block ×4, first 2 shown]
	s_waitcnt vmcnt(0)
	v_add_f64 v[4:5], v[16:17], -v[4:5]
	v_add_f64 v[6:7], v[18:19], -v[6:7]
	scratch_store_dwordx4 off, v[4:7], off offset:256
	s_and_saveexec_b64 s[2:3], vcc
	s_cbranch_execz .LBB19_103
; %bb.102:
	scratch_load_dwordx4 v[6:9], off, s33
	v_mov_b32_e32 v3, v2
	v_mov_b32_e32 v4, v2
	;; [unrolled: 1-line block ×3, first 2 shown]
	scratch_store_dwordx4 off, v[2:5], off offset:240
	s_waitcnt vmcnt(1)
	ds_write_b128 v48, v[6:9]
.LBB19_103:
	s_or_b64 exec, exec, s[2:3]
	s_waitcnt lgkmcnt(0)
	; wave barrier
	scratch_load_dwordx4 v[4:7], off, off offset:256
	scratch_load_dwordx4 v[8:11], off, off offset:272
	;; [unrolled: 1-line block ×5, first 2 shown]
	ds_read_b128 v[24:27], v2 offset:576
	ds_read_b128 v[28:31], v2 offset:592
	ds_read_b128 v[32:35], v2 offset:608
	ds_read_b128 v[36:39], v2 offset:624
	v_cmp_lt_u32_e32 vcc, 14, v1
	s_waitcnt vmcnt(4) lgkmcnt(3)
	v_mul_f64 v[2:3], v[24:25], v[6:7]
	v_mul_f64 v[6:7], v[26:27], v[6:7]
	s_waitcnt vmcnt(3) lgkmcnt(2)
	v_mul_f64 v[40:41], v[28:29], v[10:11]
	v_mul_f64 v[10:11], v[30:31], v[10:11]
	v_fmac_f64_e32 v[2:3], v[26:27], v[4:5]
	v_fma_f64 v[4:5], v[24:25], v[4:5], -v[6:7]
	s_waitcnt vmcnt(2) lgkmcnt(1)
	v_mul_f64 v[42:43], v[32:33], v[14:15]
	v_mul_f64 v[14:15], v[34:35], v[14:15]
	v_fmac_f64_e32 v[40:41], v[30:31], v[8:9]
	v_fma_f64 v[6:7], v[28:29], v[8:9], -v[10:11]
	v_add_f64 v[2:3], v[2:3], 0
	v_add_f64 v[4:5], v[4:5], 0
	s_waitcnt vmcnt(1) lgkmcnt(0)
	v_mul_f64 v[44:45], v[36:37], v[18:19]
	v_mul_f64 v[18:19], v[38:39], v[18:19]
	v_fmac_f64_e32 v[42:43], v[34:35], v[12:13]
	v_fma_f64 v[8:9], v[32:33], v[12:13], -v[14:15]
	v_add_f64 v[2:3], v[2:3], v[40:41]
	v_add_f64 v[4:5], v[4:5], v[6:7]
	v_fmac_f64_e32 v[44:45], v[38:39], v[16:17]
	v_fma_f64 v[10:11], v[36:37], v[16:17], -v[18:19]
	v_add_f64 v[2:3], v[2:3], v[42:43]
	v_add_f64 v[4:5], v[4:5], v[8:9]
	;; [unrolled: 1-line block ×4, first 2 shown]
	s_waitcnt vmcnt(0)
	v_add_f64 v[2:3], v[20:21], -v[2:3]
	v_add_f64 v[4:5], v[22:23], -v[6:7]
	scratch_store_dwordx4 off, v[2:5], off offset:240
	s_and_saveexec_b64 s[2:3], vcc
	s_cbranch_execz .LBB19_105
; %bb.104:
	scratch_load_dwordx4 v[2:5], off, s37
	v_mov_b32_e32 v6, 0
	v_mov_b32_e32 v7, v6
	;; [unrolled: 1-line block ×4, first 2 shown]
	scratch_store_dwordx4 off, v[6:9], off offset:224
	s_waitcnt vmcnt(1)
	ds_write_b128 v48, v[2:5]
.LBB19_105:
	s_or_b64 exec, exec, s[2:3]
	s_waitcnt lgkmcnt(0)
	; wave barrier
	scratch_load_dwordx4 v[4:7], off, off offset:240
	scratch_load_dwordx4 v[8:11], off, off offset:256
	scratch_load_dwordx4 v[12:15], off, off offset:272
	scratch_load_dwordx4 v[16:19], off, off offset:288
	scratch_load_dwordx4 v[20:23], off, off offset:304
	scratch_load_dwordx4 v[24:27], off, off offset:224
	v_mov_b32_e32 v2, 0
	ds_read_b128 v[28:31], v2 offset:560
	ds_read_b128 v[32:35], v2 offset:576
	;; [unrolled: 1-line block ×5, first 2 shown]
	v_cmp_lt_u32_e32 vcc, 13, v1
	s_waitcnt vmcnt(5) lgkmcnt(4)
	v_mul_f64 v[50:51], v[28:29], v[6:7]
	v_mul_f64 v[6:7], v[30:31], v[6:7]
	s_waitcnt vmcnt(4) lgkmcnt(3)
	v_mul_f64 v[52:53], v[32:33], v[10:11]
	s_waitcnt vmcnt(3) lgkmcnt(2)
	v_mul_f64 v[94:95], v[36:37], v[14:15]
	v_mul_f64 v[10:11], v[34:35], v[10:11]
	;; [unrolled: 1-line block ×3, first 2 shown]
	v_fmac_f64_e32 v[50:51], v[30:31], v[4:5]
	v_fma_f64 v[4:5], v[28:29], v[4:5], -v[6:7]
	v_fmac_f64_e32 v[52:53], v[34:35], v[8:9]
	v_fma_f64 v[6:7], v[32:33], v[8:9], -v[10:11]
	v_fma_f64 v[8:9], v[36:37], v[12:13], -v[14:15]
	v_add_f64 v[14:15], v[50:51], 0
	v_add_f64 v[4:5], v[4:5], 0
	s_waitcnt vmcnt(2) lgkmcnt(1)
	v_mul_f64 v[96:97], v[40:41], v[18:19]
	v_mul_f64 v[18:19], v[42:43], v[18:19]
	v_fmac_f64_e32 v[94:95], v[38:39], v[12:13]
	v_add_f64 v[14:15], v[14:15], v[52:53]
	v_add_f64 v[4:5], v[4:5], v[6:7]
	s_waitcnt vmcnt(1) lgkmcnt(0)
	v_mul_f64 v[98:99], v[44:45], v[22:23]
	v_mul_f64 v[22:23], v[46:47], v[22:23]
	v_fmac_f64_e32 v[96:97], v[42:43], v[16:17]
	v_fma_f64 v[10:11], v[40:41], v[16:17], -v[18:19]
	v_add_f64 v[6:7], v[14:15], v[94:95]
	v_add_f64 v[4:5], v[4:5], v[8:9]
	v_fmac_f64_e32 v[98:99], v[46:47], v[20:21]
	v_fma_f64 v[12:13], v[44:45], v[20:21], -v[22:23]
	v_add_f64 v[6:7], v[6:7], v[96:97]
	v_add_f64 v[4:5], v[4:5], v[10:11]
	;; [unrolled: 1-line block ×4, first 2 shown]
	s_waitcnt vmcnt(0)
	v_add_f64 v[4:5], v[24:25], -v[4:5]
	v_add_f64 v[6:7], v[26:27], -v[6:7]
	scratch_store_dwordx4 off, v[4:7], off offset:224
	s_and_saveexec_b64 s[2:3], vcc
	s_cbranch_execz .LBB19_107
; %bb.106:
	scratch_load_dwordx4 v[6:9], off, s36
	v_mov_b32_e32 v3, v2
	v_mov_b32_e32 v4, v2
	;; [unrolled: 1-line block ×3, first 2 shown]
	scratch_store_dwordx4 off, v[2:5], off offset:208
	s_waitcnt vmcnt(1)
	ds_write_b128 v48, v[6:9]
.LBB19_107:
	s_or_b64 exec, exec, s[2:3]
	s_waitcnt lgkmcnt(0)
	; wave barrier
	scratch_load_dwordx4 v[4:7], off, off offset:224
	scratch_load_dwordx4 v[8:11], off, off offset:240
	;; [unrolled: 1-line block ×7, first 2 shown]
	ds_read_b128 v[32:35], v2 offset:544
	ds_read_b128 v[36:39], v2 offset:560
	;; [unrolled: 1-line block ×6, first 2 shown]
	v_cmp_lt_u32_e32 vcc, 12, v1
	s_waitcnt vmcnt(6) lgkmcnt(5)
	v_mul_f64 v[2:3], v[32:33], v[6:7]
	v_mul_f64 v[6:7], v[34:35], v[6:7]
	s_waitcnt vmcnt(5) lgkmcnt(4)
	v_mul_f64 v[98:99], v[36:37], v[10:11]
	v_mul_f64 v[10:11], v[38:39], v[10:11]
	v_fmac_f64_e32 v[2:3], v[34:35], v[4:5]
	v_fma_f64 v[4:5], v[32:33], v[4:5], -v[6:7]
	s_waitcnt vmcnt(4) lgkmcnt(3)
	v_mul_f64 v[100:101], v[40:41], v[14:15]
	v_mul_f64 v[14:15], v[42:43], v[14:15]
	v_fmac_f64_e32 v[98:99], v[38:39], v[8:9]
	v_fma_f64 v[6:7], v[36:37], v[8:9], -v[10:11]
	v_add_f64 v[2:3], v[2:3], 0
	v_add_f64 v[4:5], v[4:5], 0
	s_waitcnt vmcnt(3) lgkmcnt(2)
	v_mul_f64 v[102:103], v[44:45], v[18:19]
	v_mul_f64 v[18:19], v[46:47], v[18:19]
	v_fmac_f64_e32 v[100:101], v[42:43], v[12:13]
	v_fma_f64 v[8:9], v[40:41], v[12:13], -v[14:15]
	v_add_f64 v[2:3], v[2:3], v[98:99]
	v_add_f64 v[4:5], v[4:5], v[6:7]
	;; [unrolled: 7-line block ×4, first 2 shown]
	v_fmac_f64_e32 v[106:107], v[96:97], v[24:25]
	v_fma_f64 v[14:15], v[94:95], v[24:25], -v[26:27]
	v_add_f64 v[2:3], v[2:3], v[104:105]
	v_add_f64 v[4:5], v[4:5], v[12:13]
	;; [unrolled: 1-line block ×4, first 2 shown]
	s_waitcnt vmcnt(0)
	v_add_f64 v[2:3], v[28:29], -v[2:3]
	v_add_f64 v[4:5], v[30:31], -v[6:7]
	scratch_store_dwordx4 off, v[2:5], off offset:208
	s_and_saveexec_b64 s[2:3], vcc
	s_cbranch_execz .LBB19_109
; %bb.108:
	scratch_load_dwordx4 v[2:5], off, s35
	v_mov_b32_e32 v6, 0
	v_mov_b32_e32 v7, v6
	;; [unrolled: 1-line block ×4, first 2 shown]
	scratch_store_dwordx4 off, v[6:9], off offset:192
	s_waitcnt vmcnt(1)
	ds_write_b128 v48, v[2:5]
.LBB19_109:
	s_or_b64 exec, exec, s[2:3]
	s_waitcnt lgkmcnt(0)
	; wave barrier
	scratch_load_dwordx4 v[4:7], off, off offset:208
	scratch_load_dwordx4 v[8:11], off, off offset:224
	scratch_load_dwordx4 v[12:15], off, off offset:240
	scratch_load_dwordx4 v[16:19], off, off offset:256
	scratch_load_dwordx4 v[20:23], off, off offset:272
	scratch_load_dwordx4 v[24:27], off, off offset:288
	scratch_load_dwordx4 v[28:31], off, off offset:304
	scratch_load_dwordx4 v[32:35], off, off offset:192
	v_mov_b32_e32 v2, 0
	ds_read_b128 v[36:39], v2 offset:528
	ds_read_b128 v[40:43], v2 offset:544
	;; [unrolled: 1-line block ×7, first 2 shown]
	v_cmp_lt_u32_e32 vcc, 11, v1
	s_waitcnt vmcnt(7) lgkmcnt(6)
	v_mul_f64 v[106:107], v[36:37], v[6:7]
	v_mul_f64 v[6:7], v[38:39], v[6:7]
	s_waitcnt vmcnt(6) lgkmcnt(5)
	v_mul_f64 v[108:109], v[40:41], v[10:11]
	s_waitcnt vmcnt(4) lgkmcnt(3)
	v_mul_f64 v[112:113], v[50:51], v[18:19]
	v_mul_f64 v[10:11], v[42:43], v[10:11]
	;; [unrolled: 1-line block ×3, first 2 shown]
	v_fmac_f64_e32 v[106:107], v[38:39], v[4:5]
	v_fma_f64 v[4:5], v[36:37], v[4:5], -v[6:7]
	v_mul_f64 v[110:111], v[44:45], v[14:15]
	v_mul_f64 v[14:15], v[46:47], v[14:15]
	v_fmac_f64_e32 v[108:109], v[42:43], v[8:9]
	v_fma_f64 v[6:7], v[40:41], v[8:9], -v[10:11]
	v_fma_f64 v[10:11], v[50:51], v[16:17], -v[18:19]
	v_add_f64 v[18:19], v[106:107], 0
	v_add_f64 v[4:5], v[4:5], 0
	v_fmac_f64_e32 v[110:111], v[46:47], v[12:13]
	v_fma_f64 v[8:9], v[44:45], v[12:13], -v[14:15]
	v_add_f64 v[18:19], v[18:19], v[108:109]
	v_add_f64 v[4:5], v[4:5], v[6:7]
	s_waitcnt vmcnt(3) lgkmcnt(2)
	v_mul_f64 v[114:115], v[94:95], v[22:23]
	v_mul_f64 v[22:23], v[96:97], v[22:23]
	v_fmac_f64_e32 v[112:113], v[52:53], v[16:17]
	v_add_f64 v[6:7], v[18:19], v[110:111]
	v_add_f64 v[4:5], v[4:5], v[8:9]
	s_waitcnt vmcnt(2) lgkmcnt(1)
	v_mul_f64 v[116:117], v[98:99], v[26:27]
	v_mul_f64 v[26:27], v[100:101], v[26:27]
	v_fmac_f64_e32 v[114:115], v[96:97], v[20:21]
	v_fma_f64 v[12:13], v[94:95], v[20:21], -v[22:23]
	v_add_f64 v[6:7], v[6:7], v[112:113]
	v_add_f64 v[4:5], v[4:5], v[10:11]
	s_waitcnt vmcnt(1) lgkmcnt(0)
	v_mul_f64 v[118:119], v[102:103], v[30:31]
	v_mul_f64 v[30:31], v[104:105], v[30:31]
	v_fmac_f64_e32 v[116:117], v[100:101], v[24:25]
	v_fma_f64 v[14:15], v[98:99], v[24:25], -v[26:27]
	v_add_f64 v[6:7], v[6:7], v[114:115]
	v_add_f64 v[4:5], v[4:5], v[12:13]
	v_fmac_f64_e32 v[118:119], v[104:105], v[28:29]
	v_fma_f64 v[16:17], v[102:103], v[28:29], -v[30:31]
	v_add_f64 v[6:7], v[6:7], v[116:117]
	v_add_f64 v[4:5], v[4:5], v[14:15]
	;; [unrolled: 1-line block ×4, first 2 shown]
	s_waitcnt vmcnt(0)
	v_add_f64 v[4:5], v[32:33], -v[4:5]
	v_add_f64 v[6:7], v[34:35], -v[6:7]
	scratch_store_dwordx4 off, v[4:7], off offset:192
	s_and_saveexec_b64 s[2:3], vcc
	s_cbranch_execz .LBB19_111
; %bb.110:
	scratch_load_dwordx4 v[6:9], off, s31
	v_mov_b32_e32 v3, v2
	v_mov_b32_e32 v4, v2
	;; [unrolled: 1-line block ×3, first 2 shown]
	scratch_store_dwordx4 off, v[2:5], off offset:176
	s_waitcnt vmcnt(1)
	ds_write_b128 v48, v[6:9]
.LBB19_111:
	s_or_b64 exec, exec, s[2:3]
	s_waitcnt lgkmcnt(0)
	; wave barrier
	ds_read_b128 v[4:7], v2 offset:512
	ds_read_b128 v[8:11], v2 offset:528
	;; [unrolled: 1-line block ×4, first 2 shown]
	scratch_load_dwordx4 v[20:23], off, off offset:192
	scratch_load_dwordx4 v[40:43], off, off offset:256
	v_cmp_lt_u32_e32 vcc, 10, v1
	scratch_load_dwordx4 v[50:53], off, off offset:272
	scratch_load_dwordx4 v[98:101], off, off offset:288
	;; [unrolled: 1-line block ×3, first 2 shown]
	s_waitcnt vmcnt(4) lgkmcnt(3)
	v_mul_f64 v[24:25], v[4:5], v[22:23]
	v_fmac_f64_e32 v[24:25], v[6:7], v[20:21]
	v_add_f64 v[28:29], v[24:25], 0
	scratch_load_dwordx4 v[24:27], off, off offset:208
	s_waitcnt vmcnt(0) lgkmcnt(2)
	v_mul_f64 v[30:31], v[8:9], v[26:27]
	v_fmac_f64_e32 v[30:31], v[10:11], v[24:25]
	v_add_f64 v[32:33], v[28:29], v[30:31]
	scratch_load_dwordx4 v[28:31], off, off offset:224
	;; [unrolled: 5-line block ×3, first 2 shown]
	s_waitcnt vmcnt(0) lgkmcnt(0)
	v_mul_f64 v[38:39], v[16:17], v[34:35]
	v_fmac_f64_e32 v[38:39], v[18:19], v[32:33]
	v_add_f64 v[44:45], v[36:37], v[38:39]
	ds_read_b128 v[36:39], v2 offset:576
	s_waitcnt lgkmcnt(0)
	v_mul_f64 v[46:47], v[36:37], v[42:43]
	v_fmac_f64_e32 v[46:47], v[38:39], v[40:41]
	v_add_f64 v[94:95], v[44:45], v[46:47]
	ds_read_b128 v[44:47], v2 offset:592
	s_waitcnt lgkmcnt(0)
	;; [unrolled: 5-line block ×4, first 2 shown]
	v_mul_f64 v[2:3], v[102:103], v[108:109]
	v_fmac_f64_e32 v[2:3], v[104:105], v[106:107]
	v_add_f64 v[110:111], v[110:111], v[2:3]
	v_mul_f64 v[2:3], v[6:7], v[22:23]
	v_fma_f64 v[2:3], v[4:5], v[20:21], -v[2:3]
	v_mul_f64 v[4:5], v[10:11], v[26:27]
	v_add_f64 v[2:3], v[2:3], 0
	v_fma_f64 v[4:5], v[8:9], v[24:25], -v[4:5]
	v_add_f64 v[2:3], v[2:3], v[4:5]
	v_mul_f64 v[4:5], v[14:15], v[30:31]
	v_fma_f64 v[4:5], v[12:13], v[28:29], -v[4:5]
	v_add_f64 v[2:3], v[2:3], v[4:5]
	v_mul_f64 v[4:5], v[18:19], v[34:35]
	;; [unrolled: 3-line block ×6, first 2 shown]
	v_fma_f64 v[4:5], v[102:103], v[106:107], -v[4:5]
	v_add_f64 v[6:7], v[2:3], v[4:5]
	scratch_load_dwordx4 v[2:5], off, off offset:176
	s_waitcnt vmcnt(0)
	v_add_f64 v[2:3], v[2:3], -v[6:7]
	v_add_f64 v[4:5], v[4:5], -v[110:111]
	scratch_store_dwordx4 off, v[2:5], off offset:176
	s_and_saveexec_b64 s[2:3], vcc
	s_cbranch_execz .LBB19_113
; %bb.112:
	scratch_load_dwordx4 v[2:5], off, s28
	v_mov_b32_e32 v6, 0
	v_mov_b32_e32 v7, v6
	;; [unrolled: 1-line block ×4, first 2 shown]
	scratch_store_dwordx4 off, v[6:9], off offset:160
	s_waitcnt vmcnt(1)
	ds_write_b128 v48, v[2:5]
.LBB19_113:
	s_or_b64 exec, exec, s[2:3]
	v_mov_b32_e32 v2, 0
	s_waitcnt lgkmcnt(0)
	; wave barrier
	ds_read_b128 v[4:7], v2 offset:496
	ds_read_b128 v[8:11], v2 offset:512
	;; [unrolled: 1-line block ×4, first 2 shown]
	scratch_load_dwordx4 v[20:23], off, off offset:176
	scratch_load_dwordx4 v[40:43], off, off offset:240
	;; [unrolled: 1-line block ×3, first 2 shown]
	v_cmp_lt_u32_e32 vcc, 9, v1
	scratch_load_dwordx4 v[50:53], off, off offset:256
	scratch_load_dwordx4 v[98:101], off, off offset:272
	;; [unrolled: 1-line block ×3, first 2 shown]
	s_waitcnt vmcnt(5) lgkmcnt(3)
	v_mul_f64 v[24:25], v[4:5], v[22:23]
	v_fmac_f64_e32 v[24:25], v[6:7], v[20:21]
	v_add_f64 v[28:29], v[24:25], 0
	scratch_load_dwordx4 v[24:27], off, off offset:192
	v_mul_f64 v[6:7], v[6:7], v[22:23]
	v_fma_f64 v[4:5], v[4:5], v[20:21], -v[6:7]
	v_add_f64 v[4:5], v[4:5], 0
	s_waitcnt vmcnt(0) lgkmcnt(2)
	v_mul_f64 v[30:31], v[8:9], v[26:27]
	v_fmac_f64_e32 v[30:31], v[10:11], v[24:25]
	v_add_f64 v[32:33], v[28:29], v[30:31]
	scratch_load_dwordx4 v[28:31], off, off offset:208
	v_mul_f64 v[6:7], v[10:11], v[26:27]
	v_fma_f64 v[6:7], v[8:9], v[24:25], -v[6:7]
	v_add_f64 v[4:5], v[4:5], v[6:7]
	;; [unrolled: 8-line block ×3, first 2 shown]
	s_waitcnt vmcnt(0) lgkmcnt(0)
	v_mul_f64 v[38:39], v[16:17], v[34:35]
	v_fmac_f64_e32 v[38:39], v[18:19], v[32:33]
	v_add_f64 v[44:45], v[36:37], v[38:39]
	ds_read_b128 v[36:39], v2 offset:560
	v_mul_f64 v[6:7], v[18:19], v[34:35]
	v_fma_f64 v[6:7], v[16:17], v[32:33], -v[6:7]
	v_add_f64 v[4:5], v[4:5], v[6:7]
	s_waitcnt lgkmcnt(0)
	v_mul_f64 v[46:47], v[36:37], v[42:43]
	v_fmac_f64_e32 v[46:47], v[38:39], v[40:41]
	v_add_f64 v[94:95], v[44:45], v[46:47]
	ds_read_b128 v[44:47], v2 offset:576
	v_mul_f64 v[6:7], v[38:39], v[42:43]
	v_fma_f64 v[6:7], v[36:37], v[40:41], -v[6:7]
	v_add_f64 v[4:5], v[4:5], v[6:7]
	s_waitcnt lgkmcnt(0)
	;; [unrolled: 8-line block ×5, first 2 shown]
	v_mul_f64 v[6:7], v[112:113], v[116:117]
	v_fma_f64 v[6:7], v[110:111], v[114:115], -v[6:7]
	v_add_f64 v[8:9], v[4:5], v[6:7]
	scratch_load_dwordx4 v[4:7], off, off offset:160
	v_mul_f64 v[120:121], v[110:111], v[116:117]
	v_fmac_f64_e32 v[120:121], v[112:113], v[114:115]
	v_add_f64 v[118:119], v[118:119], v[120:121]
	s_waitcnt vmcnt(0)
	v_add_f64 v[4:5], v[4:5], -v[8:9]
	v_add_f64 v[6:7], v[6:7], -v[118:119]
	scratch_store_dwordx4 off, v[4:7], off offset:160
	s_and_saveexec_b64 s[2:3], vcc
	s_cbranch_execz .LBB19_115
; %bb.114:
	scratch_load_dwordx4 v[6:9], off, s25
	v_mov_b32_e32 v3, v2
	v_mov_b32_e32 v4, v2
	;; [unrolled: 1-line block ×3, first 2 shown]
	scratch_store_dwordx4 off, v[2:5], off offset:144
	s_waitcnt vmcnt(1)
	ds_write_b128 v48, v[6:9]
.LBB19_115:
	s_or_b64 exec, exec, s[2:3]
	s_waitcnt lgkmcnt(0)
	; wave barrier
	scratch_load_dwordx4 v[4:7], off, off offset:160
	scratch_load_dwordx4 v[8:11], off, off offset:176
	;; [unrolled: 1-line block ×11, first 2 shown]
	ds_read_b128 v[50:53], v2 offset:480
	ds_read_b128 v[94:97], v2 offset:496
	ds_read_b128 v[98:101], v2 offset:512
	ds_read_b128 v[102:105], v2 offset:528
	ds_read_b128 v[106:109], v2 offset:544
	ds_read_b128 v[110:113], v2 offset:560
	ds_read_b128 v[114:117], v2 offset:576
	ds_read_b128 v[118:121], v2 offset:592
	ds_read_b128 v[122:125], v2 offset:608
	ds_read_b128 v[126:129], v2 offset:624
	v_cmp_lt_u32_e32 vcc, 8, v1
	s_waitcnt vmcnt(10) lgkmcnt(9)
	v_mul_f64 v[2:3], v[50:51], v[6:7]
	v_mul_f64 v[6:7], v[52:53], v[6:7]
	s_waitcnt vmcnt(9) lgkmcnt(8)
	v_mul_f64 v[130:131], v[94:95], v[10:11]
	v_mul_f64 v[10:11], v[96:97], v[10:11]
	v_fmac_f64_e32 v[2:3], v[52:53], v[4:5]
	v_fma_f64 v[4:5], v[50:51], v[4:5], -v[6:7]
	s_waitcnt vmcnt(8) lgkmcnt(7)
	v_mul_f64 v[132:133], v[98:99], v[14:15]
	v_mul_f64 v[14:15], v[100:101], v[14:15]
	v_fmac_f64_e32 v[130:131], v[96:97], v[8:9]
	v_fma_f64 v[6:7], v[94:95], v[8:9], -v[10:11]
	v_add_f64 v[2:3], v[2:3], 0
	v_add_f64 v[4:5], v[4:5], 0
	s_waitcnt vmcnt(7) lgkmcnt(6)
	v_mul_f64 v[134:135], v[102:103], v[18:19]
	v_mul_f64 v[18:19], v[104:105], v[18:19]
	v_fmac_f64_e32 v[132:133], v[100:101], v[12:13]
	v_fma_f64 v[8:9], v[98:99], v[12:13], -v[14:15]
	v_add_f64 v[2:3], v[2:3], v[130:131]
	v_add_f64 v[4:5], v[4:5], v[6:7]
	;; [unrolled: 7-line block ×8, first 2 shown]
	v_fmac_f64_e32 v[146:147], v[128:129], v[40:41]
	v_fma_f64 v[22:23], v[126:127], v[40:41], -v[42:43]
	v_add_f64 v[2:3], v[2:3], v[144:145]
	v_add_f64 v[4:5], v[4:5], v[20:21]
	;; [unrolled: 1-line block ×4, first 2 shown]
	s_waitcnt vmcnt(0)
	v_add_f64 v[2:3], v[44:45], -v[2:3]
	v_add_f64 v[4:5], v[46:47], -v[6:7]
	scratch_store_dwordx4 off, v[2:5], off offset:144
	s_and_saveexec_b64 s[2:3], vcc
	s_cbranch_execz .LBB19_117
; %bb.116:
	scratch_load_dwordx4 v[2:5], off, s17
	v_mov_b32_e32 v6, 0
	v_mov_b32_e32 v7, v6
	;; [unrolled: 1-line block ×4, first 2 shown]
	scratch_store_dwordx4 off, v[6:9], off offset:128
	s_waitcnt vmcnt(1)
	ds_write_b128 v48, v[2:5]
.LBB19_117:
	s_or_b64 exec, exec, s[2:3]
	s_waitcnt lgkmcnt(0)
	; wave barrier
	scratch_load_dwordx4 v[4:7], off, off offset:144
	scratch_load_dwordx4 v[8:11], off, off offset:160
	;; [unrolled: 1-line block ×12, first 2 shown]
	v_mov_b32_e32 v2, 0
	ds_read_b128 v[94:97], v2 offset:464
	ds_read_b128 v[98:101], v2 offset:480
	;; [unrolled: 1-line block ×11, first 2 shown]
	v_cmp_lt_u32_e32 vcc, 7, v1
	s_waitcnt vmcnt(11) lgkmcnt(10)
	v_mul_f64 v[138:139], v[94:95], v[6:7]
	v_mul_f64 v[6:7], v[96:97], v[6:7]
	s_waitcnt vmcnt(10) lgkmcnt(9)
	v_mul_f64 v[140:141], v[98:99], v[10:11]
	s_waitcnt vmcnt(9) lgkmcnt(8)
	v_mul_f64 v[142:143], v[102:103], v[14:15]
	v_mul_f64 v[10:11], v[100:101], v[10:11]
	s_waitcnt vmcnt(6) lgkmcnt(5)
	v_mul_f64 v[148:149], v[114:115], v[26:27]
	v_mul_f64 v[14:15], v[104:105], v[14:15]
	;; [unrolled: 1-line block ×3, first 2 shown]
	v_fmac_f64_e32 v[138:139], v[96:97], v[4:5]
	v_fma_f64 v[4:5], v[94:95], v[4:5], -v[6:7]
	v_fmac_f64_e32 v[140:141], v[100:101], v[8:9]
	v_fma_f64 v[6:7], v[98:99], v[8:9], -v[10:11]
	v_fma_f64 v[8:9], v[102:103], v[12:13], -v[14:15]
	;; [unrolled: 1-line block ×3, first 2 shown]
	v_add_f64 v[26:27], v[138:139], 0
	v_add_f64 v[4:5], v[4:5], 0
	v_mul_f64 v[144:145], v[106:107], v[18:19]
	v_mul_f64 v[18:19], v[108:109], v[18:19]
	v_fmac_f64_e32 v[142:143], v[104:105], v[12:13]
	v_add_f64 v[26:27], v[26:27], v[140:141]
	v_add_f64 v[4:5], v[4:5], v[6:7]
	v_mul_f64 v[146:147], v[110:111], v[22:23]
	v_mul_f64 v[22:23], v[112:113], v[22:23]
	v_fmac_f64_e32 v[144:145], v[108:109], v[16:17]
	v_fma_f64 v[10:11], v[106:107], v[16:17], -v[18:19]
	v_add_f64 v[6:7], v[26:27], v[142:143]
	v_add_f64 v[4:5], v[4:5], v[8:9]
	v_fmac_f64_e32 v[146:147], v[112:113], v[20:21]
	v_fma_f64 v[12:13], v[110:111], v[20:21], -v[22:23]
	v_add_f64 v[6:7], v[6:7], v[144:145]
	v_add_f64 v[4:5], v[4:5], v[10:11]
	s_waitcnt vmcnt(5) lgkmcnt(4)
	v_mul_f64 v[150:151], v[118:119], v[30:31]
	v_mul_f64 v[30:31], v[120:121], v[30:31]
	v_fmac_f64_e32 v[148:149], v[116:117], v[24:25]
	v_add_f64 v[6:7], v[6:7], v[146:147]
	v_add_f64 v[4:5], v[4:5], v[12:13]
	s_waitcnt vmcnt(4) lgkmcnt(3)
	v_mul_f64 v[152:153], v[122:123], v[34:35]
	v_mul_f64 v[34:35], v[124:125], v[34:35]
	v_fmac_f64_e32 v[150:151], v[120:121], v[28:29]
	v_fma_f64 v[16:17], v[118:119], v[28:29], -v[30:31]
	v_add_f64 v[6:7], v[6:7], v[148:149]
	v_add_f64 v[4:5], v[4:5], v[14:15]
	s_waitcnt vmcnt(3) lgkmcnt(2)
	v_mul_f64 v[154:155], v[126:127], v[38:39]
	v_mul_f64 v[38:39], v[128:129], v[38:39]
	v_fmac_f64_e32 v[152:153], v[124:125], v[32:33]
	v_fma_f64 v[18:19], v[122:123], v[32:33], -v[34:35]
	;; [unrolled: 7-line block ×4, first 2 shown]
	v_add_f64 v[6:7], v[6:7], v[154:155]
	v_add_f64 v[4:5], v[4:5], v[20:21]
	v_fmac_f64_e32 v[158:159], v[136:137], v[44:45]
	v_fma_f64 v[24:25], v[134:135], v[44:45], -v[46:47]
	v_add_f64 v[6:7], v[6:7], v[156:157]
	v_add_f64 v[4:5], v[4:5], v[22:23]
	;; [unrolled: 1-line block ×4, first 2 shown]
	s_waitcnt vmcnt(0)
	v_add_f64 v[4:5], v[50:51], -v[4:5]
	v_add_f64 v[6:7], v[52:53], -v[6:7]
	scratch_store_dwordx4 off, v[4:7], off offset:128
	s_and_saveexec_b64 s[2:3], vcc
	s_cbranch_execz .LBB19_119
; %bb.118:
	scratch_load_dwordx4 v[6:9], off, s29
	v_mov_b32_e32 v3, v2
	v_mov_b32_e32 v4, v2
	;; [unrolled: 1-line block ×3, first 2 shown]
	scratch_store_dwordx4 off, v[2:5], off offset:112
	s_waitcnt vmcnt(1)
	ds_write_b128 v48, v[6:9]
.LBB19_119:
	s_or_b64 exec, exec, s[2:3]
	s_waitcnt lgkmcnt(0)
	; wave barrier
	ds_read_b128 v[4:7], v2 offset:448
	ds_read_b128 v[8:11], v2 offset:464
	;; [unrolled: 1-line block ×4, first 2 shown]
	scratch_load_dwordx4 v[20:23], off, off offset:128
	scratch_load_dwordx4 v[40:43], off, off offset:192
	;; [unrolled: 1-line block ×6, first 2 shown]
	v_cmp_lt_u32_e32 vcc, 6, v1
	scratch_load_dwordx4 v[50:53], off, off offset:208
	scratch_load_dwordx4 v[98:101], off, off offset:224
	;; [unrolled: 1-line block ×3, first 2 shown]
	s_waitcnt vmcnt(8) lgkmcnt(3)
	v_mul_f64 v[24:25], v[4:5], v[22:23]
	v_fmac_f64_e32 v[24:25], v[6:7], v[20:21]
	v_add_f64 v[28:29], v[24:25], 0
	scratch_load_dwordx4 v[24:27], off, off offset:144
	s_waitcnt vmcnt(0) lgkmcnt(2)
	v_mul_f64 v[30:31], v[8:9], v[26:27]
	v_fmac_f64_e32 v[30:31], v[10:11], v[24:25]
	v_add_f64 v[32:33], v[28:29], v[30:31]
	scratch_load_dwordx4 v[28:31], off, off offset:160
	;; [unrolled: 5-line block ×3, first 2 shown]
	s_waitcnt vmcnt(0) lgkmcnt(0)
	v_mul_f64 v[38:39], v[16:17], v[34:35]
	v_fmac_f64_e32 v[38:39], v[18:19], v[32:33]
	v_add_f64 v[44:45], v[36:37], v[38:39]
	ds_read_b128 v[36:39], v2 offset:512
	s_waitcnt lgkmcnt(0)
	v_mul_f64 v[46:47], v[36:37], v[42:43]
	v_fmac_f64_e32 v[46:47], v[38:39], v[40:41]
	v_add_f64 v[94:95], v[44:45], v[46:47]
	ds_read_b128 v[44:47], v2 offset:528
	s_waitcnt lgkmcnt(0)
	;; [unrolled: 5-line block ×8, first 2 shown]
	v_mul_f64 v[2:3], v[134:135], v[140:141]
	v_fmac_f64_e32 v[2:3], v[136:137], v[138:139]
	v_add_f64 v[142:143], v[142:143], v[2:3]
	v_mul_f64 v[2:3], v[6:7], v[22:23]
	v_fma_f64 v[2:3], v[4:5], v[20:21], -v[2:3]
	v_mul_f64 v[4:5], v[10:11], v[26:27]
	v_add_f64 v[2:3], v[2:3], 0
	v_fma_f64 v[4:5], v[8:9], v[24:25], -v[4:5]
	v_add_f64 v[2:3], v[2:3], v[4:5]
	v_mul_f64 v[4:5], v[14:15], v[30:31]
	v_fma_f64 v[4:5], v[12:13], v[28:29], -v[4:5]
	v_add_f64 v[2:3], v[2:3], v[4:5]
	v_mul_f64 v[4:5], v[18:19], v[34:35]
	;; [unrolled: 3-line block ×10, first 2 shown]
	v_fma_f64 v[4:5], v[134:135], v[138:139], -v[4:5]
	v_add_f64 v[6:7], v[2:3], v[4:5]
	scratch_load_dwordx4 v[2:5], off, off offset:112
	s_waitcnt vmcnt(0)
	v_add_f64 v[2:3], v[2:3], -v[6:7]
	v_add_f64 v[4:5], v[4:5], -v[142:143]
	scratch_store_dwordx4 off, v[2:5], off offset:112
	s_and_saveexec_b64 s[2:3], vcc
	s_cbranch_execz .LBB19_121
; %bb.120:
	scratch_load_dwordx4 v[2:5], off, s26
	v_mov_b32_e32 v6, 0
	v_mov_b32_e32 v7, v6
	;; [unrolled: 1-line block ×4, first 2 shown]
	scratch_store_dwordx4 off, v[6:9], off offset:96
	s_waitcnt vmcnt(1)
	ds_write_b128 v48, v[2:5]
.LBB19_121:
	s_or_b64 exec, exec, s[2:3]
	v_mov_b32_e32 v2, 0
	s_waitcnt lgkmcnt(0)
	; wave barrier
	ds_read_b128 v[4:7], v2 offset:432
	ds_read_b128 v[8:11], v2 offset:448
	;; [unrolled: 1-line block ×4, first 2 shown]
	scratch_load_dwordx4 v[20:23], off, off offset:112
	scratch_load_dwordx4 v[40:43], off, off offset:176
	;; [unrolled: 1-line block ×7, first 2 shown]
	v_cmp_lt_u32_e32 vcc, 5, v1
	scratch_load_dwordx4 v[50:53], off, off offset:192
	scratch_load_dwordx4 v[98:101], off, off offset:208
	;; [unrolled: 1-line block ×3, first 2 shown]
	s_waitcnt vmcnt(9) lgkmcnt(3)
	v_mul_f64 v[24:25], v[4:5], v[22:23]
	v_fmac_f64_e32 v[24:25], v[6:7], v[20:21]
	v_add_f64 v[28:29], v[24:25], 0
	scratch_load_dwordx4 v[24:27], off, off offset:128
	v_mul_f64 v[6:7], v[6:7], v[22:23]
	v_fma_f64 v[4:5], v[4:5], v[20:21], -v[6:7]
	v_add_f64 v[4:5], v[4:5], 0
	s_waitcnt vmcnt(0) lgkmcnt(2)
	v_mul_f64 v[30:31], v[8:9], v[26:27]
	v_fmac_f64_e32 v[30:31], v[10:11], v[24:25]
	v_add_f64 v[32:33], v[28:29], v[30:31]
	scratch_load_dwordx4 v[28:31], off, off offset:144
	v_mul_f64 v[6:7], v[10:11], v[26:27]
	v_fma_f64 v[6:7], v[8:9], v[24:25], -v[6:7]
	v_add_f64 v[4:5], v[4:5], v[6:7]
	;; [unrolled: 8-line block ×3, first 2 shown]
	s_waitcnt vmcnt(0) lgkmcnt(0)
	v_mul_f64 v[38:39], v[16:17], v[34:35]
	v_fmac_f64_e32 v[38:39], v[18:19], v[32:33]
	v_add_f64 v[44:45], v[36:37], v[38:39]
	ds_read_b128 v[36:39], v2 offset:496
	v_mul_f64 v[6:7], v[18:19], v[34:35]
	v_fma_f64 v[6:7], v[16:17], v[32:33], -v[6:7]
	v_add_f64 v[4:5], v[4:5], v[6:7]
	s_waitcnt lgkmcnt(0)
	v_mul_f64 v[46:47], v[36:37], v[42:43]
	v_fmac_f64_e32 v[46:47], v[38:39], v[40:41]
	v_add_f64 v[94:95], v[44:45], v[46:47]
	ds_read_b128 v[44:47], v2 offset:512
	v_mul_f64 v[6:7], v[38:39], v[42:43]
	v_fma_f64 v[6:7], v[36:37], v[40:41], -v[6:7]
	v_add_f64 v[4:5], v[4:5], v[6:7]
	s_waitcnt lgkmcnt(0)
	;; [unrolled: 8-line block ×9, first 2 shown]
	v_mul_f64 v[6:7], v[144:145], v[148:149]
	v_fma_f64 v[6:7], v[142:143], v[146:147], -v[6:7]
	v_add_f64 v[8:9], v[4:5], v[6:7]
	scratch_load_dwordx4 v[4:7], off, off offset:96
	v_mul_f64 v[152:153], v[142:143], v[148:149]
	v_fmac_f64_e32 v[152:153], v[144:145], v[146:147]
	v_add_f64 v[150:151], v[150:151], v[152:153]
	s_waitcnt vmcnt(0)
	v_add_f64 v[4:5], v[4:5], -v[8:9]
	v_add_f64 v[6:7], v[6:7], -v[150:151]
	scratch_store_dwordx4 off, v[4:7], off offset:96
	s_and_saveexec_b64 s[2:3], vcc
	s_cbranch_execz .LBB19_123
; %bb.122:
	scratch_load_dwordx4 v[6:9], off, s19
	v_mov_b32_e32 v3, v2
	v_mov_b32_e32 v4, v2
	;; [unrolled: 1-line block ×3, first 2 shown]
	scratch_store_dwordx4 off, v[2:5], off offset:80
	s_waitcnt vmcnt(1)
	ds_write_b128 v48, v[6:9]
.LBB19_123:
	s_or_b64 exec, exec, s[2:3]
	s_waitcnt lgkmcnt(0)
	; wave barrier
	ds_read_b128 v[4:7], v2 offset:416
	ds_read_b128 v[8:11], v2 offset:432
	;; [unrolled: 1-line block ×4, first 2 shown]
	scratch_load_dwordx4 v[20:23], off, off offset:96
	scratch_load_dwordx4 v[40:43], off, off offset:160
	;; [unrolled: 1-line block ×8, first 2 shown]
	v_cmp_lt_u32_e32 vcc, 4, v1
	scratch_load_dwordx4 v[50:53], off, off offset:176
	scratch_load_dwordx4 v[98:101], off, off offset:192
	;; [unrolled: 1-line block ×3, first 2 shown]
	s_waitcnt vmcnt(10) lgkmcnt(3)
	v_mul_f64 v[24:25], v[4:5], v[22:23]
	v_fmac_f64_e32 v[24:25], v[6:7], v[20:21]
	v_add_f64 v[28:29], v[24:25], 0
	scratch_load_dwordx4 v[24:27], off, off offset:112
	s_waitcnt vmcnt(0) lgkmcnt(2)
	v_mul_f64 v[30:31], v[8:9], v[26:27]
	v_fmac_f64_e32 v[30:31], v[10:11], v[24:25]
	v_add_f64 v[32:33], v[28:29], v[30:31]
	scratch_load_dwordx4 v[28:31], off, off offset:128
	;; [unrolled: 5-line block ×3, first 2 shown]
	s_waitcnt vmcnt(0) lgkmcnt(0)
	v_mul_f64 v[38:39], v[16:17], v[34:35]
	v_fmac_f64_e32 v[38:39], v[18:19], v[32:33]
	v_add_f64 v[44:45], v[36:37], v[38:39]
	ds_read_b128 v[36:39], v2 offset:480
	s_waitcnt lgkmcnt(0)
	v_mul_f64 v[46:47], v[36:37], v[42:43]
	v_fmac_f64_e32 v[46:47], v[38:39], v[40:41]
	v_add_f64 v[94:95], v[44:45], v[46:47]
	ds_read_b128 v[44:47], v2 offset:496
	s_waitcnt lgkmcnt(0)
	;; [unrolled: 5-line block ×10, first 2 shown]
	v_mul_f64 v[2:3], v[150:151], v[156:157]
	v_fmac_f64_e32 v[2:3], v[152:153], v[154:155]
	v_add_f64 v[158:159], v[158:159], v[2:3]
	v_mul_f64 v[2:3], v[6:7], v[22:23]
	v_fma_f64 v[2:3], v[4:5], v[20:21], -v[2:3]
	v_mul_f64 v[4:5], v[10:11], v[26:27]
	v_add_f64 v[2:3], v[2:3], 0
	v_fma_f64 v[4:5], v[8:9], v[24:25], -v[4:5]
	v_add_f64 v[2:3], v[2:3], v[4:5]
	v_mul_f64 v[4:5], v[14:15], v[30:31]
	v_fma_f64 v[4:5], v[12:13], v[28:29], -v[4:5]
	v_add_f64 v[2:3], v[2:3], v[4:5]
	v_mul_f64 v[4:5], v[18:19], v[34:35]
	;; [unrolled: 3-line block ×12, first 2 shown]
	v_fma_f64 v[4:5], v[150:151], v[154:155], -v[4:5]
	v_add_f64 v[6:7], v[2:3], v[4:5]
	scratch_load_dwordx4 v[2:5], off, off offset:80
	s_waitcnt vmcnt(0)
	v_add_f64 v[2:3], v[2:3], -v[6:7]
	v_add_f64 v[4:5], v[4:5], -v[158:159]
	scratch_store_dwordx4 off, v[2:5], off offset:80
	s_and_saveexec_b64 s[2:3], vcc
	s_cbranch_execz .LBB19_125
; %bb.124:
	scratch_load_dwordx4 v[2:5], off, s16
	v_mov_b32_e32 v6, 0
	v_mov_b32_e32 v7, v6
	;; [unrolled: 1-line block ×4, first 2 shown]
	scratch_store_dwordx4 off, v[6:9], off offset:64
	s_waitcnt vmcnt(1)
	ds_write_b128 v48, v[2:5]
.LBB19_125:
	s_or_b64 exec, exec, s[2:3]
	s_waitcnt lgkmcnt(0)
	; wave barrier
	scratch_load_dwordx4 v[4:7], off, off offset:80
	scratch_load_dwordx4 v[12:15], off, off offset:96
	;; [unrolled: 1-line block ×16, first 2 shown]
	v_mov_b32_e32 v2, 0
	ds_read_b128 v[110:113], v2 offset:400
	ds_read_b128 v[114:117], v2 offset:416
	;; [unrolled: 1-line block ×15, first 2 shown]
	v_cmp_lt_u32_e32 vcc, 3, v1
	s_waitcnt vmcnt(15) lgkmcnt(14)
	v_mul_f64 v[170:171], v[110:111], v[6:7]
	v_mul_f64 v[6:7], v[112:113], v[6:7]
	s_waitcnt vmcnt(14) lgkmcnt(13)
	v_mul_f64 v[172:173], v[114:115], v[14:15]
	v_mul_f64 v[14:15], v[116:117], v[14:15]
	v_fmac_f64_e32 v[170:171], v[112:113], v[4:5]
	v_fma_f64 v[4:5], v[110:111], v[4:5], -v[6:7]
	s_waitcnt vmcnt(13) lgkmcnt(12)
	v_mul_f64 v[174:175], v[118:119], v[10:11]
	v_mul_f64 v[10:11], v[120:121], v[10:11]
	v_fma_f64 v[6:7], v[114:115], v[12:13], -v[14:15]
	v_add_f64 v[4:5], v[4:5], 0
	s_waitcnt vmcnt(12) lgkmcnt(11)
	v_mul_f64 v[176:177], v[122:123], v[18:19]
	v_mul_f64 v[18:19], v[124:125], v[18:19]
	v_fmac_f64_e32 v[174:175], v[120:121], v[8:9]
	v_fma_f64 v[8:9], v[118:119], v[8:9], -v[10:11]
	v_add_f64 v[4:5], v[4:5], v[6:7]
	s_waitcnt vmcnt(11) lgkmcnt(10)
	v_mul_f64 v[178:179], v[126:127], v[22:23]
	v_mul_f64 v[22:23], v[128:129], v[22:23]
	v_fma_f64 v[10:11], v[122:123], v[16:17], -v[18:19]
	v_add_f64 v[4:5], v[4:5], v[8:9]
	s_waitcnt vmcnt(10) lgkmcnt(9)
	v_mul_f64 v[180:181], v[130:131], v[30:31]
	v_mul_f64 v[30:31], v[132:133], v[30:31]
	v_fmac_f64_e32 v[172:173], v[116:117], v[12:13]
	v_fma_f64 v[12:13], v[126:127], v[20:21], -v[22:23]
	v_add_f64 v[4:5], v[4:5], v[10:11]
	v_fma_f64 v[14:15], v[130:131], v[28:29], -v[30:31]
	v_add_f64 v[4:5], v[4:5], v[12:13]
	s_waitcnt vmcnt(9) lgkmcnt(8)
	v_mul_f64 v[8:9], v[136:137], v[26:27]
	v_add_f64 v[4:5], v[4:5], v[14:15]
	v_fma_f64 v[8:9], v[134:135], v[24:25], -v[8:9]
	v_add_f64 v[4:5], v[4:5], v[8:9]
	s_waitcnt vmcnt(8) lgkmcnt(7)
	v_mul_f64 v[8:9], v[140:141], v[34:35]
	v_fma_f64 v[8:9], v[138:139], v[32:33], -v[8:9]
	v_fmac_f64_e32 v[176:177], v[124:125], v[16:17]
	v_add_f64 v[16:17], v[170:171], 0
	v_add_f64 v[4:5], v[4:5], v[8:9]
	s_waitcnt vmcnt(7) lgkmcnt(6)
	v_mul_f64 v[8:9], v[144:145], v[38:39]
	v_add_f64 v[16:17], v[16:17], v[172:173]
	v_fma_f64 v[8:9], v[142:143], v[36:37], -v[8:9]
	v_add_f64 v[6:7], v[16:17], v[174:175]
	v_add_f64 v[4:5], v[4:5], v[8:9]
	s_waitcnt vmcnt(6) lgkmcnt(5)
	v_mul_f64 v[8:9], v[148:149], v[42:43]
	v_fmac_f64_e32 v[178:179], v[128:129], v[20:21]
	v_add_f64 v[6:7], v[6:7], v[176:177]
	v_fma_f64 v[8:9], v[146:147], v[40:41], -v[8:9]
	v_mul_f64 v[182:183], v[134:135], v[26:27]
	v_fmac_f64_e32 v[180:181], v[132:133], v[28:29]
	v_add_f64 v[6:7], v[6:7], v[178:179]
	v_add_f64 v[4:5], v[4:5], v[8:9]
	s_waitcnt vmcnt(5) lgkmcnt(4)
	v_mul_f64 v[8:9], v[152:153], v[46:47]
	v_mul_f64 v[184:185], v[138:139], v[34:35]
	v_fmac_f64_e32 v[182:183], v[136:137], v[24:25]
	v_add_f64 v[6:7], v[6:7], v[180:181]
	v_fma_f64 v[8:9], v[150:151], v[44:45], -v[8:9]
	v_mul_f64 v[186:187], v[142:143], v[38:39]
	v_fmac_f64_e32 v[184:185], v[140:141], v[32:33]
	v_add_f64 v[6:7], v[6:7], v[182:183]
	v_add_f64 v[4:5], v[4:5], v[8:9]
	s_waitcnt vmcnt(4) lgkmcnt(3)
	v_mul_f64 v[8:9], v[156:157], v[52:53]
	;; [unrolled: 10-line block ×4, first 2 shown]
	v_mul_f64 v[196:197], v[162:163], v[100:101]
	v_fmac_f64_e32 v[194:195], v[160:161], v[94:95]
	v_add_f64 v[6:7], v[6:7], v[192:193]
	v_fma_f64 v[8:9], v[162:163], v[98:99], -v[8:9]
	s_waitcnt vmcnt(1) lgkmcnt(0)
	v_mul_f64 v[198:199], v[166:167], v[104:105]
	v_fmac_f64_e32 v[196:197], v[164:165], v[98:99]
	v_add_f64 v[6:7], v[6:7], v[194:195]
	v_add_f64 v[4:5], v[4:5], v[8:9]
	v_mul_f64 v[8:9], v[168:169], v[104:105]
	v_fmac_f64_e32 v[198:199], v[168:169], v[102:103]
	v_add_f64 v[6:7], v[6:7], v[196:197]
	v_fma_f64 v[8:9], v[166:167], v[102:103], -v[8:9]
	v_add_f64 v[6:7], v[6:7], v[198:199]
	v_add_f64 v[4:5], v[4:5], v[8:9]
	s_waitcnt vmcnt(0)
	v_add_f64 v[4:5], v[106:107], -v[4:5]
	v_add_f64 v[6:7], v[108:109], -v[6:7]
	scratch_store_dwordx4 off, v[4:7], off offset:64
	s_and_saveexec_b64 s[2:3], vcc
	s_cbranch_execz .LBB19_127
; %bb.126:
	scratch_load_dwordx4 v[6:9], off, s15
	v_mov_b32_e32 v3, v2
	v_mov_b32_e32 v4, v2
	;; [unrolled: 1-line block ×3, first 2 shown]
	scratch_store_dwordx4 off, v[2:5], off offset:48
	s_waitcnt vmcnt(1)
	ds_write_b128 v48, v[6:9]
.LBB19_127:
	s_or_b64 exec, exec, s[2:3]
	s_waitcnt lgkmcnt(0)
	; wave barrier
	scratch_load_dwordx4 v[4:7], off, off offset:64
	scratch_load_dwordx4 v[8:11], off, off offset:80
	;; [unrolled: 1-line block ×16, first 2 shown]
	ds_read_b128 v[110:113], v2 offset:384
	ds_read_b128 v[114:117], v2 offset:400
	;; [unrolled: 1-line block ×16, first 2 shown]
	scratch_load_dwordx4 v[174:177], off, off offset:48
	v_cmp_lt_u32_e32 vcc, 2, v1
	s_waitcnt vmcnt(16) lgkmcnt(14)
	v_mul_f64 v[2:3], v[110:111], v[6:7]
	s_waitcnt vmcnt(15)
	v_mul_f64 v[178:179], v[114:115], v[10:11]
	v_fmac_f64_e32 v[2:3], v[112:113], v[4:5]
	s_waitcnt vmcnt(14) lgkmcnt(13)
	v_mul_f64 v[180:181], v[118:119], v[14:15]
	v_fmac_f64_e32 v[178:179], v[116:117], v[8:9]
	v_add_f64 v[2:3], v[2:3], 0
	s_waitcnt vmcnt(13) lgkmcnt(12)
	v_mul_f64 v[182:183], v[122:123], v[18:19]
	v_fmac_f64_e32 v[180:181], v[120:121], v[12:13]
	v_add_f64 v[2:3], v[2:3], v[178:179]
	;; [unrolled: 4-line block ×10, first 2 shown]
	s_waitcnt vmcnt(4) lgkmcnt(3)
	v_mul_f64 v[200:201], v[158:159], v[96:97]
	v_mul_f64 v[6:7], v[112:113], v[6:7]
	v_fmac_f64_e32 v[198:199], v[156:157], v[50:51]
	v_add_f64 v[2:3], v[2:3], v[196:197]
	s_waitcnt vmcnt(3) lgkmcnt(2)
	v_mul_f64 v[202:203], v[162:163], v[100:101]
	v_mul_f64 v[10:11], v[116:117], v[10:11]
	v_fmac_f64_e32 v[200:201], v[160:161], v[94:95]
	v_fma_f64 v[4:5], v[110:111], v[4:5], -v[6:7]
	v_add_f64 v[2:3], v[2:3], v[198:199]
	s_waitcnt vmcnt(2) lgkmcnt(1)
	v_mul_f64 v[204:205], v[166:167], v[104:105]
	v_mul_f64 v[14:15], v[120:121], v[14:15]
	v_fmac_f64_e32 v[202:203], v[164:165], v[98:99]
	v_fma_f64 v[6:7], v[114:115], v[8:9], -v[10:11]
	v_add_f64 v[4:5], v[4:5], 0
	v_add_f64 v[2:3], v[2:3], v[200:201]
	s_waitcnt vmcnt(1) lgkmcnt(0)
	v_mul_f64 v[206:207], v[170:171], v[108:109]
	v_mul_f64 v[18:19], v[124:125], v[18:19]
	v_fmac_f64_e32 v[204:205], v[168:169], v[102:103]
	v_fma_f64 v[8:9], v[118:119], v[12:13], -v[14:15]
	v_add_f64 v[4:5], v[4:5], v[6:7]
	v_add_f64 v[2:3], v[2:3], v[202:203]
	v_mul_f64 v[26:27], v[128:129], v[26:27]
	v_fmac_f64_e32 v[206:207], v[172:173], v[106:107]
	v_fma_f64 v[10:11], v[122:123], v[16:17], -v[18:19]
	v_add_f64 v[4:5], v[4:5], v[8:9]
	v_add_f64 v[2:3], v[2:3], v[204:205]
	v_fma_f64 v[12:13], v[126:127], v[24:25], -v[26:27]
	v_add_f64 v[4:5], v[4:5], v[10:11]
	v_add_f64 v[6:7], v[2:3], v[206:207]
	v_mul_f64 v[2:3], v[132:133], v[22:23]
	v_add_f64 v[4:5], v[4:5], v[12:13]
	v_fma_f64 v[2:3], v[130:131], v[20:21], -v[2:3]
	v_add_f64 v[2:3], v[4:5], v[2:3]
	v_mul_f64 v[4:5], v[136:137], v[30:31]
	v_fma_f64 v[4:5], v[134:135], v[28:29], -v[4:5]
	v_add_f64 v[2:3], v[2:3], v[4:5]
	v_mul_f64 v[4:5], v[140:141], v[34:35]
	v_fma_f64 v[4:5], v[138:139], v[32:33], -v[4:5]
	v_add_f64 v[2:3], v[2:3], v[4:5]
	v_mul_f64 v[4:5], v[144:145], v[38:39]
	v_fma_f64 v[4:5], v[142:143], v[36:37], -v[4:5]
	v_add_f64 v[2:3], v[2:3], v[4:5]
	v_mul_f64 v[4:5], v[148:149], v[42:43]
	v_fma_f64 v[4:5], v[146:147], v[40:41], -v[4:5]
	v_add_f64 v[2:3], v[2:3], v[4:5]
	v_mul_f64 v[4:5], v[152:153], v[46:47]
	v_fma_f64 v[4:5], v[150:151], v[44:45], -v[4:5]
	v_add_f64 v[2:3], v[2:3], v[4:5]
	v_mul_f64 v[4:5], v[156:157], v[52:53]
	v_fma_f64 v[4:5], v[154:155], v[50:51], -v[4:5]
	v_add_f64 v[2:3], v[2:3], v[4:5]
	v_mul_f64 v[4:5], v[160:161], v[96:97]
	v_fma_f64 v[4:5], v[158:159], v[94:95], -v[4:5]
	v_add_f64 v[2:3], v[2:3], v[4:5]
	v_mul_f64 v[4:5], v[164:165], v[100:101]
	v_fma_f64 v[4:5], v[162:163], v[98:99], -v[4:5]
	v_add_f64 v[2:3], v[2:3], v[4:5]
	v_mul_f64 v[4:5], v[168:169], v[104:105]
	v_fma_f64 v[4:5], v[166:167], v[102:103], -v[4:5]
	v_add_f64 v[2:3], v[2:3], v[4:5]
	v_mul_f64 v[4:5], v[172:173], v[108:109]
	v_fma_f64 v[4:5], v[170:171], v[106:107], -v[4:5]
	v_add_f64 v[2:3], v[2:3], v[4:5]
	s_waitcnt vmcnt(0)
	v_add_f64 v[2:3], v[174:175], -v[2:3]
	v_add_f64 v[4:5], v[176:177], -v[6:7]
	scratch_store_dwordx4 off, v[2:5], off offset:48
	s_and_saveexec_b64 s[2:3], vcc
	s_cbranch_execz .LBB19_129
; %bb.128:
	scratch_load_dwordx4 v[2:5], off, s14
	v_mov_b32_e32 v6, 0
	v_mov_b32_e32 v7, v6
	;; [unrolled: 1-line block ×4, first 2 shown]
	scratch_store_dwordx4 off, v[6:9], off offset:32
	s_waitcnt vmcnt(1)
	ds_write_b128 v48, v[2:5]
.LBB19_129:
	s_or_b64 exec, exec, s[2:3]
	s_waitcnt lgkmcnt(0)
	; wave barrier
	scratch_load_dwordx4 v[4:7], off, off offset:48
	scratch_load_dwordx4 v[8:11], off, off offset:64
	;; [unrolled: 1-line block ×18, first 2 shown]
	v_mov_b32_e32 v2, 0
	ds_read_b128 v[118:121], v2 offset:368
	ds_read_b128 v[122:125], v2 offset:384
	;; [unrolled: 1-line block ×17, first 2 shown]
	v_cmp_lt_u32_e32 vcc, 1, v1
	s_waitcnt vmcnt(17) lgkmcnt(14)
	v_mul_f64 v[186:187], v[118:119], v[6:7]
	v_mul_f64 v[6:7], v[120:121], v[6:7]
	s_waitcnt vmcnt(16)
	v_mul_f64 v[188:189], v[122:123], v[10:11]
	v_mul_f64 v[10:11], v[124:125], v[10:11]
	v_fmac_f64_e32 v[186:187], v[120:121], v[4:5]
	v_fma_f64 v[4:5], v[118:119], v[4:5], -v[6:7]
	s_waitcnt vmcnt(15)
	v_mul_f64 v[190:191], v[126:127], v[18:19]
	v_mul_f64 v[18:19], v[128:129], v[18:19]
	v_fma_f64 v[6:7], v[122:123], v[8:9], -v[10:11]
	v_add_f64 v[4:5], v[4:5], 0
	s_waitcnt vmcnt(14) lgkmcnt(13)
	v_mul_f64 v[192:193], v[130:131], v[14:15]
	v_mul_f64 v[14:15], v[132:133], v[14:15]
	v_fmac_f64_e32 v[188:189], v[124:125], v[8:9]
	v_fma_f64 v[8:9], v[126:127], v[16:17], -v[18:19]
	v_add_f64 v[4:5], v[4:5], v[6:7]
	v_add_f64 v[4:5], v[4:5], v[8:9]
	v_fma_f64 v[8:9], v[130:131], v[12:13], -v[14:15]
	v_add_f64 v[4:5], v[4:5], v[8:9]
	s_waitcnt vmcnt(13) lgkmcnt(12)
	v_mul_f64 v[8:9], v[136:137], v[22:23]
	v_fma_f64 v[8:9], v[134:135], v[20:21], -v[8:9]
	v_add_f64 v[4:5], v[4:5], v[8:9]
	s_waitcnt vmcnt(12) lgkmcnt(11)
	v_mul_f64 v[8:9], v[140:141], v[26:27]
	;; [unrolled: 4-line block ×5, first 2 shown]
	v_fma_f64 v[8:9], v[150:151], v[36:37], -v[8:9]
	v_add_f64 v[10:11], v[186:187], 0
	v_add_f64 v[4:5], v[4:5], v[8:9]
	s_waitcnt vmcnt(8) lgkmcnt(7)
	v_mul_f64 v[8:9], v[156:157], v[42:43]
	v_fmac_f64_e32 v[190:191], v[128:129], v[16:17]
	v_add_f64 v[10:11], v[10:11], v[188:189]
	v_fma_f64 v[8:9], v[154:155], v[40:41], -v[8:9]
	v_mul_f64 v[194:195], v[134:135], v[22:23]
	v_fmac_f64_e32 v[192:193], v[132:133], v[12:13]
	v_add_f64 v[6:7], v[10:11], v[190:191]
	v_add_f64 v[4:5], v[4:5], v[8:9]
	s_waitcnt vmcnt(7) lgkmcnt(6)
	v_mul_f64 v[8:9], v[160:161], v[46:47]
	v_mul_f64 v[196:197], v[138:139], v[26:27]
	v_fmac_f64_e32 v[194:195], v[136:137], v[20:21]
	v_add_f64 v[6:7], v[6:7], v[192:193]
	v_fma_f64 v[8:9], v[158:159], v[44:45], -v[8:9]
	v_mul_f64 v[198:199], v[142:143], v[30:31]
	v_fmac_f64_e32 v[196:197], v[140:141], v[24:25]
	v_add_f64 v[6:7], v[6:7], v[194:195]
	v_add_f64 v[4:5], v[4:5], v[8:9]
	s_waitcnt vmcnt(6) lgkmcnt(5)
	v_mul_f64 v[8:9], v[164:165], v[52:53]
	;; [unrolled: 10-line block ×6, first 2 shown]
	v_mul_f64 v[216:217], v[178:179], v[108:109]
	v_fmac_f64_e32 v[214:215], v[176:177], v[102:103]
	v_add_f64 v[6:7], v[6:7], v[212:213]
	v_fma_f64 v[8:9], v[178:179], v[106:107], -v[8:9]
	s_waitcnt vmcnt(1) lgkmcnt(0)
	v_mul_f64 v[218:219], v[182:183], v[112:113]
	v_fmac_f64_e32 v[216:217], v[180:181], v[106:107]
	v_add_f64 v[6:7], v[6:7], v[214:215]
	v_add_f64 v[4:5], v[4:5], v[8:9]
	v_mul_f64 v[8:9], v[184:185], v[112:113]
	v_fmac_f64_e32 v[218:219], v[184:185], v[110:111]
	v_add_f64 v[6:7], v[6:7], v[216:217]
	v_fma_f64 v[8:9], v[182:183], v[110:111], -v[8:9]
	v_add_f64 v[6:7], v[6:7], v[218:219]
	v_add_f64 v[4:5], v[4:5], v[8:9]
	s_waitcnt vmcnt(0)
	v_add_f64 v[4:5], v[114:115], -v[4:5]
	v_add_f64 v[6:7], v[116:117], -v[6:7]
	scratch_store_dwordx4 off, v[4:7], off offset:32
	s_and_saveexec_b64 s[2:3], vcc
	s_cbranch_execz .LBB19_131
; %bb.130:
	scratch_load_dwordx4 v[6:9], off, s18
	v_mov_b32_e32 v3, v2
	v_mov_b32_e32 v4, v2
	;; [unrolled: 1-line block ×3, first 2 shown]
	scratch_store_dwordx4 off, v[2:5], off offset:16
	s_waitcnt vmcnt(1)
	ds_write_b128 v48, v[6:9]
.LBB19_131:
	s_or_b64 exec, exec, s[2:3]
	s_waitcnt lgkmcnt(0)
	; wave barrier
	scratch_load_dwordx4 v[4:7], off, off offset:32
	scratch_load_dwordx4 v[12:15], off, off offset:48
	;; [unrolled: 1-line block ×18, first 2 shown]
	ds_read_b128 v[118:121], v2 offset:352
	ds_read_b128 v[122:125], v2 offset:368
	;; [unrolled: 1-line block ×18, first 2 shown]
	scratch_load_dwordx4 v[190:193], off, off offset:16
	v_cmp_ne_u32_e32 vcc, 0, v1
	s_waitcnt vmcnt(18) lgkmcnt(14)
	v_mul_f64 v[2:3], v[118:119], v[6:7]
	s_waitcnt vmcnt(17)
	v_mul_f64 v[194:195], v[122:123], v[14:15]
	v_fmac_f64_e32 v[2:3], v[120:121], v[4:5]
	s_waitcnt vmcnt(16)
	v_mul_f64 v[196:197], v[126:127], v[10:11]
	v_fmac_f64_e32 v[194:195], v[124:125], v[12:13]
	v_add_f64 v[2:3], v[2:3], 0
	s_waitcnt vmcnt(15)
	v_mul_f64 v[198:199], v[130:131], v[18:19]
	v_fmac_f64_e32 v[196:197], v[128:129], v[8:9]
	v_add_f64 v[2:3], v[2:3], v[194:195]
	s_waitcnt vmcnt(14) lgkmcnt(13)
	v_mul_f64 v[200:201], v[134:135], v[22:23]
	v_fmac_f64_e32 v[198:199], v[132:133], v[16:17]
	v_add_f64 v[2:3], v[2:3], v[196:197]
	s_waitcnt vmcnt(13) lgkmcnt(12)
	;; [unrolled: 4-line block ×13, first 2 shown]
	v_mul_f64 v[224:225], v[182:183], v[112:113]
	v_mul_f64 v[6:7], v[120:121], v[6:7]
	v_fmac_f64_e32 v[222:223], v[180:181], v[106:107]
	v_add_f64 v[2:3], v[2:3], v[220:221]
	s_waitcnt vmcnt(1) lgkmcnt(0)
	v_mul_f64 v[226:227], v[186:187], v[116:117]
	v_mul_f64 v[14:15], v[124:125], v[14:15]
	v_fmac_f64_e32 v[224:225], v[184:185], v[110:111]
	v_fma_f64 v[4:5], v[118:119], v[4:5], -v[6:7]
	v_add_f64 v[2:3], v[2:3], v[222:223]
	v_mul_f64 v[10:11], v[128:129], v[10:11]
	v_fmac_f64_e32 v[226:227], v[188:189], v[114:115]
	v_fma_f64 v[6:7], v[122:123], v[12:13], -v[14:15]
	v_add_f64 v[4:5], v[4:5], 0
	v_add_f64 v[2:3], v[2:3], v[224:225]
	v_add_f64 v[4:5], v[4:5], v[6:7]
	v_add_f64 v[6:7], v[2:3], v[226:227]
	v_fma_f64 v[2:3], v[126:127], v[8:9], -v[10:11]
	v_add_f64 v[2:3], v[4:5], v[2:3]
	v_mul_f64 v[4:5], v[132:133], v[18:19]
	v_fma_f64 v[4:5], v[130:131], v[16:17], -v[4:5]
	v_add_f64 v[2:3], v[2:3], v[4:5]
	v_mul_f64 v[4:5], v[136:137], v[22:23]
	;; [unrolled: 3-line block ×15, first 2 shown]
	v_fma_f64 v[4:5], v[186:187], v[114:115], -v[4:5]
	v_add_f64 v[2:3], v[2:3], v[4:5]
	s_waitcnt vmcnt(0)
	v_add_f64 v[2:3], v[190:191], -v[2:3]
	v_add_f64 v[4:5], v[192:193], -v[6:7]
	scratch_store_dwordx4 off, v[2:5], off offset:16
	s_and_saveexec_b64 s[2:3], vcc
	s_cbranch_execz .LBB19_133
; %bb.132:
	scratch_load_dwordx4 v[2:5], off, off
	v_mov_b32_e32 v6, 0
	v_mov_b32_e32 v7, v6
	;; [unrolled: 1-line block ×4, first 2 shown]
	scratch_store_dwordx4 off, v[6:9], off
	s_waitcnt vmcnt(1)
	ds_write_b128 v48, v[2:5]
.LBB19_133:
	s_or_b64 exec, exec, s[2:3]
	s_waitcnt lgkmcnt(0)
	; wave barrier
	scratch_load_dwordx4 v[6:9], off, off offset:16
	scratch_load_dwordx4 v[2:5], off, off offset:32
	;; [unrolled: 1-line block ×19, first 2 shown]
	scratch_load_dwordx4 v[120:123], off, off
	v_mov_b32_e32 v94, 0
	ds_read_b128 v[124:127], v94 offset:336
	ds_read_b128 v[128:131], v94 offset:352
	;; [unrolled: 1-line block ×19, first 2 shown]
	s_and_b64 vcc, exec, s[22:23]
	s_waitcnt vmcnt(19) lgkmcnt(14)
	v_mul_f64 v[200:201], v[124:125], v[8:9]
	v_mul_f64 v[8:9], v[126:127], v[8:9]
	s_waitcnt vmcnt(18)
	v_mul_f64 v[202:203], v[128:129], v[4:5]
	v_fmac_f64_e32 v[200:201], v[126:127], v[6:7]
	v_fma_f64 v[6:7], v[124:125], v[6:7], -v[8:9]
	v_mul_f64 v[4:5], v[130:131], v[4:5]
	v_fmac_f64_e32 v[202:203], v[130:131], v[2:3]
	v_add_f64 v[6:7], v[6:7], 0
	v_fma_f64 v[2:3], v[128:129], v[2:3], -v[4:5]
	s_waitcnt vmcnt(17)
	v_mul_f64 v[4:5], v[134:135], v[12:13]
	v_add_f64 v[2:3], v[6:7], v[2:3]
	v_fma_f64 v[4:5], v[132:133], v[10:11], -v[4:5]
	v_add_f64 v[2:3], v[2:3], v[4:5]
	s_waitcnt vmcnt(16)
	v_mul_f64 v[4:5], v[138:139], v[16:17]
	v_fma_f64 v[4:5], v[136:137], v[14:15], -v[4:5]
	v_add_f64 v[2:3], v[2:3], v[4:5]
	s_waitcnt vmcnt(15)
	v_mul_f64 v[4:5], v[142:143], v[20:21]
	v_fma_f64 v[4:5], v[140:141], v[18:19], -v[4:5]
	v_add_f64 v[2:3], v[2:3], v[4:5]
	s_waitcnt vmcnt(14) lgkmcnt(13)
	v_mul_f64 v[4:5], v[146:147], v[24:25]
	v_fma_f64 v[4:5], v[144:145], v[22:23], -v[4:5]
	v_add_f64 v[2:3], v[2:3], v[4:5]
	s_waitcnt vmcnt(13) lgkmcnt(12)
	;; [unrolled: 4-line block ×5, first 2 shown]
	v_mul_f64 v[4:5], v[162:163], v[40:41]
	v_fma_f64 v[4:5], v[160:161], v[38:39], -v[4:5]
	v_mul_f64 v[204:205], v[132:133], v[12:13]
	v_add_f64 v[8:9], v[200:201], 0
	v_add_f64 v[2:3], v[2:3], v[4:5]
	s_waitcnt vmcnt(9) lgkmcnt(8)
	v_mul_f64 v[4:5], v[166:167], v[44:45]
	v_mul_f64 v[206:207], v[136:137], v[16:17]
	v_fmac_f64_e32 v[204:205], v[134:135], v[10:11]
	v_add_f64 v[8:9], v[8:9], v[202:203]
	v_fma_f64 v[4:5], v[164:165], v[42:43], -v[4:5]
	v_mul_f64 v[208:209], v[140:141], v[20:21]
	v_fmac_f64_e32 v[206:207], v[138:139], v[14:15]
	v_add_f64 v[8:9], v[8:9], v[204:205]
	v_add_f64 v[2:3], v[2:3], v[4:5]
	s_waitcnt vmcnt(8) lgkmcnt(7)
	v_mul_f64 v[4:5], v[170:171], v[48:49]
	v_mul_f64 v[210:211], v[144:145], v[24:25]
	v_fmac_f64_e32 v[208:209], v[142:143], v[18:19]
	v_add_f64 v[8:9], v[8:9], v[206:207]
	v_fma_f64 v[4:5], v[168:169], v[46:47], -v[4:5]
	v_mul_f64 v[212:213], v[148:149], v[28:29]
	v_fmac_f64_e32 v[210:211], v[146:147], v[22:23]
	;; [unrolled: 10-line block ×7, first 2 shown]
	v_add_f64 v[8:9], v[8:9], v[228:229]
	v_add_f64 v[2:3], v[2:3], v[4:5]
	s_waitcnt vmcnt(2) lgkmcnt(1)
	v_mul_f64 v[4:5], v[194:195], v[114:115]
	v_mul_f64 v[234:235], v[192:193], v[114:115]
	v_fmac_f64_e32 v[232:233], v[190:191], v[108:109]
	v_add_f64 v[8:9], v[8:9], v[230:231]
	v_fma_f64 v[4:5], v[192:193], v[112:113], -v[4:5]
	s_waitcnt vmcnt(1) lgkmcnt(0)
	v_mul_f64 v[236:237], v[196:197], v[118:119]
	v_fmac_f64_e32 v[234:235], v[194:195], v[112:113]
	v_add_f64 v[8:9], v[8:9], v[232:233]
	v_add_f64 v[2:3], v[2:3], v[4:5]
	v_mul_f64 v[4:5], v[198:199], v[118:119]
	v_fmac_f64_e32 v[236:237], v[198:199], v[116:117]
	v_add_f64 v[8:9], v[8:9], v[234:235]
	v_fma_f64 v[4:5], v[196:197], v[116:117], -v[4:5]
	v_add_f64 v[8:9], v[8:9], v[236:237]
	v_add_f64 v[2:3], v[2:3], v[4:5]
	s_waitcnt vmcnt(0)
	v_add_f64 v[2:3], v[120:121], -v[2:3]
	v_add_f64 v[4:5], v[122:123], -v[8:9]
	scratch_store_dwordx4 off, v[2:5], off
	s_cbranch_vccz .LBB19_172
; %bb.134:
	global_load_dword v2, v94, s[20:21] offset:72
	s_load_dwordx2 s[2:3], s[0:1], 0x4
	v_bfe_u32 v3, v0, 10, 10
	v_bfe_u32 v0, v0, 20, 10
	s_waitcnt lgkmcnt(0)
	s_lshr_b32 s0, s2, 16
	s_mul_i32 s0, s0, s3
	v_mul_u32_u24_e32 v1, s0, v1
	v_mul_u32_u24_e32 v3, s3, v3
	v_add3_u32 v0, v1, v3, v0
	v_mov_b32_e32 v1, 0x288
	v_lshl_add_u32 v0, v0, 4, v1
	s_waitcnt vmcnt(0)
	v_readfirstlane_b32 s0, v2
	s_add_i32 s0, s0, -1
	s_cmp_lg_u32 s0, 18
	s_cbranch_scc0 .LBB19_136
; %bb.135:
	s_lshl_b32 s0, s0, 4
	scratch_load_dwordx4 v[2:5], off, s30
	scratch_load_dwordx4 v[6:9], off, s0
	s_waitcnt vmcnt(1)
	ds_write2_b64 v0, v[2:3], v[4:5] offset1:1
	s_waitcnt vmcnt(0)
	scratch_store_dwordx4 off, v[6:9], s30
	scratch_store_dwordx4 off, v[2:5], s0
.LBB19_136:
	v_mov_b32_e32 v1, 0
	global_load_dword v2, v1, s[20:21] offset:68
	s_waitcnt vmcnt(0)
	v_readfirstlane_b32 s0, v2
	s_add_i32 s0, s0, -1
	s_cmp_eq_u32 s0, 17
	s_cbranch_scc1 .LBB19_138
; %bb.137:
	s_lshl_b32 s0, s0, 4
	scratch_load_dwordx4 v[2:5], off, s27
	scratch_load_dwordx4 v[6:9], off, s0
	s_waitcnt vmcnt(1)
	ds_write2_b64 v0, v[2:3], v[4:5] offset1:1
	s_waitcnt vmcnt(0)
	scratch_store_dwordx4 off, v[6:9], s27
	scratch_store_dwordx4 off, v[2:5], s0
.LBB19_138:
	global_load_dword v1, v1, s[20:21] offset:64
	s_waitcnt vmcnt(0)
	v_readfirstlane_b32 s0, v1
	s_add_i32 s0, s0, -1
	s_cmp_eq_u32 s0, 16
	s_cbranch_scc1 .LBB19_140
; %bb.139:
	s_lshl_b32 s0, s0, 4
	scratch_load_dwordx4 v[2:5], off, s24
	scratch_load_dwordx4 v[6:9], off, s0
	s_waitcnt vmcnt(1)
	ds_write2_b64 v0, v[2:3], v[4:5] offset1:1
	s_waitcnt vmcnt(0)
	scratch_store_dwordx4 off, v[6:9], s24
	scratch_store_dwordx4 off, v[2:5], s0
.LBB19_140:
	v_mov_b32_e32 v1, 0
	global_load_dword v2, v1, s[20:21] offset:60
	s_waitcnt vmcnt(0)
	v_readfirstlane_b32 s0, v2
	s_add_i32 s0, s0, -1
	s_cmp_eq_u32 s0, 15
	s_cbranch_scc1 .LBB19_142
; %bb.141:
	s_lshl_b32 s0, s0, 4
	scratch_load_dwordx4 v[2:5], off, s33
	scratch_load_dwordx4 v[6:9], off, s0
	s_waitcnt vmcnt(1)
	ds_write2_b64 v0, v[2:3], v[4:5] offset1:1
	s_waitcnt vmcnt(0)
	scratch_store_dwordx4 off, v[6:9], s33
	scratch_store_dwordx4 off, v[2:5], s0
.LBB19_142:
	global_load_dword v1, v1, s[20:21] offset:56
	s_waitcnt vmcnt(0)
	v_readfirstlane_b32 s0, v1
	s_add_i32 s0, s0, -1
	s_cmp_eq_u32 s0, 14
	s_cbranch_scc1 .LBB19_144
; %bb.143:
	s_lshl_b32 s0, s0, 4
	scratch_load_dwordx4 v[2:5], off, s37
	scratch_load_dwordx4 v[6:9], off, s0
	s_waitcnt vmcnt(1)
	ds_write2_b64 v0, v[2:3], v[4:5] offset1:1
	s_waitcnt vmcnt(0)
	scratch_store_dwordx4 off, v[6:9], s37
	scratch_store_dwordx4 off, v[2:5], s0
.LBB19_144:
	;; [unrolled: 33-line block ×8, first 2 shown]
	v_mov_b32_e32 v1, 0
	global_load_dword v2, v1, s[20:21] offset:4
	s_waitcnt vmcnt(0)
	v_readfirstlane_b32 s0, v2
	s_add_i32 s0, s0, -1
	s_cmp_eq_u32 s0, 1
	s_cbranch_scc1 .LBB19_170
; %bb.169:
	s_lshl_b32 s0, s0, 4
	scratch_load_dwordx4 v[2:5], off, s18
	scratch_load_dwordx4 v[6:9], off, s0
	s_waitcnt vmcnt(1)
	ds_write2_b64 v0, v[2:3], v[4:5] offset1:1
	s_waitcnt vmcnt(0)
	scratch_store_dwordx4 off, v[6:9], s18
	scratch_store_dwordx4 off, v[2:5], s0
.LBB19_170:
	global_load_dword v1, v1, s[20:21]
	s_waitcnt vmcnt(0)
	v_readfirstlane_b32 s0, v1
	s_add_i32 s0, s0, -1
	s_cmp_eq_u32 s0, 0
	s_cbranch_scc1 .LBB19_172
; %bb.171:
	s_lshl_b32 s0, s0, 4
	scratch_load_dwordx4 v[2:5], off, off
	scratch_load_dwordx4 v[6:9], off, s0
	s_waitcnt vmcnt(1)
	ds_write2_b64 v0, v[2:3], v[4:5] offset1:1
	s_waitcnt vmcnt(0)
	scratch_store_dwordx4 off, v[6:9], off
	scratch_store_dwordx4 off, v[2:5], s0
.LBB19_172:
	scratch_load_dwordx4 v[0:3], off, off
	s_nop 0
	scratch_load_dwordx4 v[4:7], off, s18
	scratch_load_dwordx4 v[8:11], off, s14
	;; [unrolled: 1-line block ×15, first 2 shown]
                                        ; kill: killed $sgpr37
                                        ; kill: killed $sgpr18
                                        ; kill: killed $sgpr29
                                        ; kill: killed $sgpr36
                                        ; kill: killed $sgpr26
                                        ; kill: killed $sgpr35
                                        ; kill: killed $sgpr19
                                        ; kill: killed $sgpr31
                                        ; kill: killed $sgpr16
                                        ; kill: killed $sgpr28
                                        ; kill: killed $sgpr15
                                        ; kill: killed $sgpr25
                                        ; kill: killed $sgpr33
                                        ; kill: killed $sgpr14
                                        ; kill: killed $sgpr17
	scratch_load_dwordx4 v[106:109], off, s24
	scratch_load_dwordx4 v[110:113], off, s27
	scratch_load_dwordx4 v[114:117], off, s30
	scratch_load_dwordx4 v[118:121], off, s34
	s_waitcnt vmcnt(19)
	global_store_dwordx4 v[54:55], v[0:3], off
	s_waitcnt vmcnt(19)
	global_store_dwordx4 v[56:57], v[4:7], off
	;; [unrolled: 2-line block ×20, first 2 shown]
	s_endpgm
	.section	.rodata,"a",@progbits
	.p2align	6, 0x0
	.amdhsa_kernel _ZN9rocsolver6v33100L18getri_kernel_smallILi20E19rocblas_complex_numIdEPS3_EEvT1_iilPiilS6_bb
		.amdhsa_group_segment_fixed_size 1672
		.amdhsa_private_segment_fixed_size 336
		.amdhsa_kernarg_size 60
		.amdhsa_user_sgpr_count 4
		.amdhsa_user_sgpr_dispatch_ptr 1
		.amdhsa_user_sgpr_queue_ptr 0
		.amdhsa_user_sgpr_kernarg_segment_ptr 1
		.amdhsa_user_sgpr_dispatch_id 0
		.amdhsa_user_sgpr_kernarg_preload_length 0
		.amdhsa_user_sgpr_kernarg_preload_offset 0
		.amdhsa_user_sgpr_private_segment_size 0
		.amdhsa_uses_dynamic_stack 0
		.amdhsa_enable_private_segment 1
		.amdhsa_system_sgpr_workgroup_id_x 1
		.amdhsa_system_sgpr_workgroup_id_y 0
		.amdhsa_system_sgpr_workgroup_id_z 0
		.amdhsa_system_sgpr_workgroup_info 0
		.amdhsa_system_vgpr_workitem_id 2
		.amdhsa_next_free_vgpr 238
		.amdhsa_next_free_sgpr 38
		.amdhsa_accum_offset 240
		.amdhsa_reserve_vcc 1
		.amdhsa_float_round_mode_32 0
		.amdhsa_float_round_mode_16_64 0
		.amdhsa_float_denorm_mode_32 3
		.amdhsa_float_denorm_mode_16_64 3
		.amdhsa_dx10_clamp 1
		.amdhsa_ieee_mode 1
		.amdhsa_fp16_overflow 0
		.amdhsa_tg_split 0
		.amdhsa_exception_fp_ieee_invalid_op 0
		.amdhsa_exception_fp_denorm_src 0
		.amdhsa_exception_fp_ieee_div_zero 0
		.amdhsa_exception_fp_ieee_overflow 0
		.amdhsa_exception_fp_ieee_underflow 0
		.amdhsa_exception_fp_ieee_inexact 0
		.amdhsa_exception_int_div_zero 0
	.end_amdhsa_kernel
	.section	.text._ZN9rocsolver6v33100L18getri_kernel_smallILi20E19rocblas_complex_numIdEPS3_EEvT1_iilPiilS6_bb,"axG",@progbits,_ZN9rocsolver6v33100L18getri_kernel_smallILi20E19rocblas_complex_numIdEPS3_EEvT1_iilPiilS6_bb,comdat
.Lfunc_end19:
	.size	_ZN9rocsolver6v33100L18getri_kernel_smallILi20E19rocblas_complex_numIdEPS3_EEvT1_iilPiilS6_bb, .Lfunc_end19-_ZN9rocsolver6v33100L18getri_kernel_smallILi20E19rocblas_complex_numIdEPS3_EEvT1_iilPiilS6_bb
                                        ; -- End function
	.set _ZN9rocsolver6v33100L18getri_kernel_smallILi20E19rocblas_complex_numIdEPS3_EEvT1_iilPiilS6_bb.num_vgpr, 238
	.set _ZN9rocsolver6v33100L18getri_kernel_smallILi20E19rocblas_complex_numIdEPS3_EEvT1_iilPiilS6_bb.num_agpr, 0
	.set _ZN9rocsolver6v33100L18getri_kernel_smallILi20E19rocblas_complex_numIdEPS3_EEvT1_iilPiilS6_bb.numbered_sgpr, 38
	.set _ZN9rocsolver6v33100L18getri_kernel_smallILi20E19rocblas_complex_numIdEPS3_EEvT1_iilPiilS6_bb.num_named_barrier, 0
	.set _ZN9rocsolver6v33100L18getri_kernel_smallILi20E19rocblas_complex_numIdEPS3_EEvT1_iilPiilS6_bb.private_seg_size, 336
	.set _ZN9rocsolver6v33100L18getri_kernel_smallILi20E19rocblas_complex_numIdEPS3_EEvT1_iilPiilS6_bb.uses_vcc, 1
	.set _ZN9rocsolver6v33100L18getri_kernel_smallILi20E19rocblas_complex_numIdEPS3_EEvT1_iilPiilS6_bb.uses_flat_scratch, 0
	.set _ZN9rocsolver6v33100L18getri_kernel_smallILi20E19rocblas_complex_numIdEPS3_EEvT1_iilPiilS6_bb.has_dyn_sized_stack, 0
	.set _ZN9rocsolver6v33100L18getri_kernel_smallILi20E19rocblas_complex_numIdEPS3_EEvT1_iilPiilS6_bb.has_recursion, 0
	.set _ZN9rocsolver6v33100L18getri_kernel_smallILi20E19rocblas_complex_numIdEPS3_EEvT1_iilPiilS6_bb.has_indirect_call, 0
	.section	.AMDGPU.csdata,"",@progbits
; Kernel info:
; codeLenInByte = 21944
; TotalNumSgprs: 44
; NumVgprs: 238
; NumAgprs: 0
; TotalNumVgprs: 238
; ScratchSize: 336
; MemoryBound: 0
; FloatMode: 240
; IeeeMode: 1
; LDSByteSize: 1672 bytes/workgroup (compile time only)
; SGPRBlocks: 5
; VGPRBlocks: 29
; NumSGPRsForWavesPerEU: 44
; NumVGPRsForWavesPerEU: 238
; AccumOffset: 240
; Occupancy: 2
; WaveLimiterHint : 1
; COMPUTE_PGM_RSRC2:SCRATCH_EN: 1
; COMPUTE_PGM_RSRC2:USER_SGPR: 4
; COMPUTE_PGM_RSRC2:TRAP_HANDLER: 0
; COMPUTE_PGM_RSRC2:TGID_X_EN: 1
; COMPUTE_PGM_RSRC2:TGID_Y_EN: 0
; COMPUTE_PGM_RSRC2:TGID_Z_EN: 0
; COMPUTE_PGM_RSRC2:TIDIG_COMP_CNT: 2
; COMPUTE_PGM_RSRC3_GFX90A:ACCUM_OFFSET: 59
; COMPUTE_PGM_RSRC3_GFX90A:TG_SPLIT: 0
	.section	.text._ZN9rocsolver6v33100L18getri_kernel_smallILi21E19rocblas_complex_numIdEPS3_EEvT1_iilPiilS6_bb,"axG",@progbits,_ZN9rocsolver6v33100L18getri_kernel_smallILi21E19rocblas_complex_numIdEPS3_EEvT1_iilPiilS6_bb,comdat
	.globl	_ZN9rocsolver6v33100L18getri_kernel_smallILi21E19rocblas_complex_numIdEPS3_EEvT1_iilPiilS6_bb ; -- Begin function _ZN9rocsolver6v33100L18getri_kernel_smallILi21E19rocblas_complex_numIdEPS3_EEvT1_iilPiilS6_bb
	.p2align	8
	.type	_ZN9rocsolver6v33100L18getri_kernel_smallILi21E19rocblas_complex_numIdEPS3_EEvT1_iilPiilS6_bb,@function
_ZN9rocsolver6v33100L18getri_kernel_smallILi21E19rocblas_complex_numIdEPS3_EEvT1_iilPiilS6_bb: ; @_ZN9rocsolver6v33100L18getri_kernel_smallILi21E19rocblas_complex_numIdEPS3_EEvT1_iilPiilS6_bb
; %bb.0:
	v_and_b32_e32 v1, 0x3ff, v0
	v_cmp_gt_u32_e32 vcc, 21, v1
	s_and_saveexec_b64 s[6:7], vcc
	s_cbranch_execz .LBB20_98
; %bb.1:
	s_load_dword s6, s[2:3], 0x38
	s_load_dwordx4 s[16:19], s[2:3], 0x10
	s_load_dwordx4 s[8:11], s[2:3], 0x28
                                        ; implicit-def: $sgpr20_sgpr21
	s_waitcnt lgkmcnt(0)
	s_bitcmp1_b32 s6, 8
	s_cselect_b64 s[22:23], -1, 0
	s_ashr_i32 s5, s4, 31
	s_bfe_u32 s6, s6, 0x10008
	s_cmp_eq_u32 s6, 0
	s_cbranch_scc1 .LBB20_3
; %bb.2:
	s_load_dword s6, s[2:3], 0x20
	s_mul_i32 s7, s8, s5
	s_mul_hi_u32 s12, s8, s4
	s_mul_i32 s9, s9, s4
	s_add_i32 s12, s12, s7
	s_add_i32 s9, s12, s9
	s_mul_i32 s8, s8, s4
	s_waitcnt lgkmcnt(0)
	s_ashr_i32 s7, s6, 31
	s_lshl_b64 s[8:9], s[8:9], 2
	s_add_u32 s8, s18, s8
	s_addc_u32 s9, s19, s9
	s_lshl_b64 s[6:7], s[6:7], 2
	s_add_u32 s20, s8, s6
	s_addc_u32 s21, s9, s7
.LBB20_3:
	s_load_dwordx4 s[12:15], s[2:3], 0x0
	s_load_dword s6, s[2:3], 0x38
	s_mul_i32 s7, s16, s5
	s_mul_hi_u32 s8, s16, s4
	s_add_i32 s7, s8, s7
	s_mul_i32 s8, s17, s4
	s_add_i32 s9, s7, s8
	s_mul_i32 s8, s16, s4
	s_waitcnt lgkmcnt(0)
	s_ashr_i32 s3, s14, 31
	s_lshl_b64 s[8:9], s[8:9], 4
	s_mov_b32 s2, s14
	s_add_u32 s7, s12, s8
	s_addc_u32 s8, s13, s9
	s_lshl_b64 s[2:3], s[2:3], 4
	s_add_u32 s2, s7, s2
	s_addc_u32 s3, s8, s3
	s_add_i32 s7, s15, s15
	v_add_u32_e32 v16, s7, v1
	v_ashrrev_i32_e32 v17, 31, v16
	v_lshl_add_u64 v[68:69], v[16:17], 4, s[2:3]
	v_add_u32_e32 v16, s15, v16
	v_add_u32_e32 v24, s15, v16
	v_ashrrev_i32_e32 v25, 31, v24
	v_lshl_add_u64 v[72:73], v[24:25], 4, s[2:3]
	v_add_u32_e32 v24, s15, v24
	v_add_u32_e32 v32, s15, v24
	v_ashrrev_i32_e32 v33, 31, v32
	v_lshl_add_u64 v[76:77], v[32:33], 4, s[2:3]
	v_add_u32_e32 v32, s15, v32
	v_ashrrev_i32_e32 v33, 31, v32
	v_lshl_add_u64 v[78:79], v[32:33], 4, s[2:3]
	v_add_u32_e32 v32, s15, v32
	v_add_u32_e32 v40, s15, v32
	;; [unrolled: 1-line block ×6, first 2 shown]
	v_ashrrev_i32_e32 v57, 31, v56
	v_lshl_add_u64 v[90:91], v[56:57], 4, s[2:3]
	v_add_u32_e32 v56, s15, v56
	v_add_u32_e32 v94, s15, v56
	;; [unrolled: 1-line block ×6, first 2 shown]
	v_ashrrev_i32_e32 v101, 31, v100
	v_ashrrev_i32_e32 v103, 31, v102
	;; [unrolled: 1-line block ×3, first 2 shown]
	v_lshlrev_b32_e32 v14, 4, v1
	v_mov_b32_e32 v15, 0
	v_lshl_add_u64 v[98:99], v[100:101], 4, s[2:3]
	v_lshl_add_u64 v[100:101], v[102:103], 4, s[2:3]
	v_lshl_add_u64 v[102:103], v[104:105], 4, s[2:3]
	v_add_u32_e32 v104, s15, v104
	v_lshl_add_u64 v[64:65], s[2:3], 0, v[14:15]
	s_ashr_i32 s9, s15, 31
	s_mov_b32 s8, s15
	v_ashrrev_i32_e32 v17, 31, v16
	v_ashrrev_i32_e32 v25, 31, v24
	;; [unrolled: 1-line block ×6, first 2 shown]
	v_lshl_add_u64 v[66:67], s[8:9], 4, v[64:65]
	v_lshl_add_u64 v[70:71], v[16:17], 4, s[2:3]
	;; [unrolled: 1-line block ×3, first 2 shown]
	v_ashrrev_i32_e32 v33, 31, v32
	v_lshl_add_u64 v[82:83], v[40:41], 4, s[2:3]
	v_ashrrev_i32_e32 v43, 31, v42
	v_lshl_add_u64 v[86:87], v[48:49], 4, s[2:3]
	v_ashrrev_i32_e32 v51, 31, v50
	v_ashrrev_i32_e32 v57, 31, v56
	v_lshl_add_u64 v[94:95], v[94:95], 4, s[2:3]
	v_ashrrev_i32_e32 v97, 31, v96
	v_lshl_add_u64 v[104:105], v[104:105], 4, s[2:3]
	global_load_dwordx4 v[2:5], v14, s[2:3]
	global_load_dwordx4 v[6:9], v[66:67], off
	global_load_dwordx4 v[10:13], v[68:69], off
	;; [unrolled: 1-line block ×6, first 2 shown]
	v_lshl_add_u64 v[80:81], v[32:33], 4, s[2:3]
	global_load_dwordx4 v[32:35], v[78:79], off
	global_load_dwordx4 v[36:39], v[80:81], off
	v_lshl_add_u64 v[84:85], v[42:43], 4, s[2:3]
	global_load_dwordx4 v[40:43], v[82:83], off
	global_load_dwordx4 v[44:47], v[84:85], off
	;; [unrolled: 3-line block ×5, first 2 shown]
	global_load_dwordx4 v[114:117], v[98:99], off
	global_load_dwordx4 v[118:121], v[100:101], off
	;; [unrolled: 1-line block ×4, first 2 shown]
	s_mov_b32 s19, 16
	s_mov_b32 s14, 32
	;; [unrolled: 1-line block ×4, first 2 shown]
	s_movk_i32 s24, 0x50
	s_movk_i32 s27, 0x60
	;; [unrolled: 1-line block ×16, first 2 shown]
	s_bitcmp0_b32 s6, 0
	s_mov_b64 s[6:7], -1
	s_waitcnt vmcnt(20)
	scratch_store_dwordx4 off, v[2:5], off
	s_waitcnt vmcnt(20)
	scratch_store_dwordx4 off, v[6:9], off offset:16
	s_waitcnt vmcnt(20)
	scratch_store_dwordx4 off, v[10:13], off offset:32
	;; [unrolled: 2-line block ×20, first 2 shown]
	s_cbranch_scc1 .LBB20_96
; %bb.4:
	v_cmp_eq_u32_e64 s[2:3], 0, v1
	s_and_saveexec_b64 s[6:7], s[2:3]
; %bb.5:
	v_mov_b32_e32 v2, 0
	ds_write_b32 v2, v2 offset:672
; %bb.6:
	s_or_b64 exec, exec, s[6:7]
	s_waitcnt lgkmcnt(0)
	; wave barrier
	scratch_load_dwordx4 v[2:5], v14, off
	s_waitcnt vmcnt(0)
	v_cmp_eq_f64_e32 vcc, 0, v[2:3]
	v_cmp_eq_f64_e64 s[6:7], 0, v[4:5]
	s_and_b64 s[6:7], vcc, s[6:7]
	s_and_saveexec_b64 s[8:9], s[6:7]
	s_cbranch_execz .LBB20_10
; %bb.7:
	v_mov_b32_e32 v2, 0
	ds_read_b32 v4, v2 offset:672
	v_add_u32_e32 v3, 1, v1
	s_waitcnt lgkmcnt(0)
	v_readfirstlane_b32 s6, v4
	s_cmp_eq_u32 s6, 0
	s_cselect_b64 s[12:13], -1, 0
	v_cmp_gt_i32_e32 vcc, s6, v3
	s_or_b64 s[12:13], s[12:13], vcc
	s_and_b64 exec, exec, s[12:13]
	s_cbranch_execz .LBB20_10
; %bb.8:
	s_mov_b64 s[12:13], 0
	v_mov_b32_e32 v4, s6
.LBB20_9:                               ; =>This Inner Loop Header: Depth=1
	ds_cmpst_rtn_b32 v4, v2, v4, v3 offset:672
	s_waitcnt lgkmcnt(0)
	v_cmp_ne_u32_e32 vcc, 0, v4
	v_cmp_le_i32_e64 s[6:7], v4, v3
	s_and_b64 s[6:7], vcc, s[6:7]
	s_and_b64 s[6:7], exec, s[6:7]
	s_or_b64 s[12:13], s[6:7], s[12:13]
	s_andn2_b64 exec, exec, s[12:13]
	s_cbranch_execnz .LBB20_9
.LBB20_10:
	s_or_b64 exec, exec, s[8:9]
	v_mov_b32_e32 v3, 0
	; wave barrier
	ds_read_b32 v2, v3 offset:672
	s_and_saveexec_b64 s[6:7], s[2:3]
	s_cbranch_execz .LBB20_12
; %bb.11:
	s_lshl_b64 s[8:9], s[4:5], 2
	s_add_u32 s8, s10, s8
	s_addc_u32 s9, s11, s9
	s_waitcnt lgkmcnt(0)
	global_store_dword v3, v2, s[8:9]
.LBB20_12:
	s_or_b64 exec, exec, s[6:7]
	s_waitcnt lgkmcnt(0)
	v_cmp_ne_u32_e32 vcc, 0, v2
	s_mov_b64 s[6:7], 0
	s_cbranch_vccnz .LBB20_96
; %bb.13:
	v_mov_b32_e32 v15, v14
	scratch_load_dwordx4 v[2:5], v15, off
                                        ; implicit-def: $vgpr6_vgpr7
                                        ; implicit-def: $vgpr10_vgpr11
	s_waitcnt vmcnt(0)
	v_cmp_ngt_f64_e64 s[6:7], |v[2:3]|, |v[4:5]|
	s_and_saveexec_b64 s[8:9], s[6:7]
	s_xor_b64 s[6:7], exec, s[8:9]
	s_cbranch_execz .LBB20_15
; %bb.14:
	v_div_scale_f64 v[6:7], s[8:9], v[4:5], v[4:5], v[2:3]
	v_rcp_f64_e32 v[8:9], v[6:7]
	v_div_scale_f64 v[10:11], vcc, v[2:3], v[4:5], v[2:3]
	v_fma_f64 v[12:13], -v[6:7], v[8:9], 1.0
	v_fmac_f64_e32 v[8:9], v[8:9], v[12:13]
	v_fma_f64 v[12:13], -v[6:7], v[8:9], 1.0
	v_fmac_f64_e32 v[8:9], v[8:9], v[12:13]
	v_mul_f64 v[12:13], v[10:11], v[8:9]
	v_fma_f64 v[6:7], -v[6:7], v[12:13], v[10:11]
	v_div_fmas_f64 v[6:7], v[6:7], v[8:9], v[12:13]
	v_div_fixup_f64 v[6:7], v[6:7], v[4:5], v[2:3]
	v_fmac_f64_e32 v[4:5], v[2:3], v[6:7]
	v_div_scale_f64 v[2:3], s[8:9], v[4:5], v[4:5], 1.0
	v_rcp_f64_e32 v[8:9], v[2:3]
	s_nop 0
	v_fma_f64 v[10:11], -v[2:3], v[8:9], 1.0
	v_fmac_f64_e32 v[8:9], v[8:9], v[10:11]
	v_fma_f64 v[10:11], -v[2:3], v[8:9], 1.0
	v_fmac_f64_e32 v[8:9], v[8:9], v[10:11]
	v_div_scale_f64 v[10:11], vcc, 1.0, v[4:5], 1.0
	v_mul_f64 v[12:13], v[10:11], v[8:9]
	v_fma_f64 v[2:3], -v[2:3], v[12:13], v[10:11]
	s_nop 1
	v_div_fmas_f64 v[2:3], v[2:3], v[8:9], v[12:13]
	v_div_fixup_f64 v[8:9], v[2:3], v[4:5], 1.0
	v_mul_f64 v[6:7], v[6:7], v[8:9]
	v_xor_b32_e32 v9, 0x80000000, v9
	v_xor_b32_e32 v11, 0x80000000, v7
	v_mov_b32_e32 v10, v6
                                        ; implicit-def: $vgpr2_vgpr3
.LBB20_15:
	s_andn2_saveexec_b64 s[6:7], s[6:7]
	s_cbranch_execz .LBB20_17
; %bb.16:
	v_div_scale_f64 v[6:7], s[8:9], v[2:3], v[2:3], v[4:5]
	v_rcp_f64_e32 v[8:9], v[6:7]
	v_div_scale_f64 v[10:11], vcc, v[4:5], v[2:3], v[4:5]
	v_fma_f64 v[12:13], -v[6:7], v[8:9], 1.0
	v_fmac_f64_e32 v[8:9], v[8:9], v[12:13]
	v_fma_f64 v[12:13], -v[6:7], v[8:9], 1.0
	v_fmac_f64_e32 v[8:9], v[8:9], v[12:13]
	v_mul_f64 v[12:13], v[10:11], v[8:9]
	v_fma_f64 v[6:7], -v[6:7], v[12:13], v[10:11]
	v_div_fmas_f64 v[6:7], v[6:7], v[8:9], v[12:13]
	v_div_fixup_f64 v[8:9], v[6:7], v[2:3], v[4:5]
	v_fmac_f64_e32 v[2:3], v[4:5], v[8:9]
	v_div_scale_f64 v[4:5], s[8:9], v[2:3], v[2:3], 1.0
	v_rcp_f64_e32 v[6:7], v[4:5]
	s_nop 0
	v_fma_f64 v[10:11], -v[4:5], v[6:7], 1.0
	v_fmac_f64_e32 v[6:7], v[6:7], v[10:11]
	v_fma_f64 v[10:11], -v[4:5], v[6:7], 1.0
	v_fmac_f64_e32 v[6:7], v[6:7], v[10:11]
	v_div_scale_f64 v[10:11], vcc, 1.0, v[2:3], 1.0
	v_mul_f64 v[12:13], v[10:11], v[6:7]
	v_fma_f64 v[4:5], -v[4:5], v[12:13], v[10:11]
	s_nop 1
	v_div_fmas_f64 v[4:5], v[4:5], v[6:7], v[12:13]
	v_div_fixup_f64 v[6:7], v[4:5], v[2:3], 1.0
	v_xor_b32_e32 v11, 0x80000000, v7
	v_mov_b32_e32 v10, v6
	v_mul_f64 v[8:9], v[8:9], -v[6:7]
.LBB20_17:
	s_or_b64 exec, exec, s[6:7]
	scratch_store_dwordx4 v15, v[6:9], off
	scratch_load_dwordx4 v[2:5], off, s19
	v_xor_b32_e32 v13, 0x80000000, v9
	v_mov_b32_e32 v12, v8
	v_add_u32_e32 v6, 0x150, v14
	ds_write_b128 v14, v[10:13]
	s_waitcnt vmcnt(0)
	ds_write_b128 v14, v[2:5] offset:336
	s_waitcnt lgkmcnt(0)
	; wave barrier
	s_and_saveexec_b64 s[6:7], s[2:3]
	s_cbranch_execz .LBB20_19
; %bb.18:
	scratch_load_dwordx4 v[2:5], v15, off
	ds_read_b128 v[8:11], v6
	v_mov_b32_e32 v7, 0
	ds_read_b128 v[16:19], v7 offset:16
	s_waitcnt vmcnt(0) lgkmcnt(1)
	v_mul_f64 v[12:13], v[10:11], v[4:5]
	v_mul_f64 v[4:5], v[8:9], v[4:5]
	v_fma_f64 v[8:9], v[8:9], v[2:3], -v[12:13]
	v_fmac_f64_e32 v[4:5], v[10:11], v[2:3]
	v_add_f64 v[2:3], v[8:9], 0
	v_add_f64 v[8:9], v[4:5], 0
	s_waitcnt lgkmcnt(0)
	v_mul_f64 v[10:11], v[8:9], v[18:19]
	v_mul_f64 v[4:5], v[2:3], v[18:19]
	v_fma_f64 v[2:3], v[2:3], v[16:17], -v[10:11]
	v_fmac_f64_e32 v[4:5], v[8:9], v[16:17]
	scratch_store_dwordx4 off, v[2:5], off offset:16
.LBB20_19:
	s_or_b64 exec, exec, s[6:7]
	; wave barrier
	scratch_load_dwordx4 v[2:5], off, s14
	v_cmp_gt_u32_e32 vcc, 2, v1
	s_waitcnt vmcnt(0)
	ds_write_b128 v6, v[2:5]
	s_waitcnt lgkmcnt(0)
	; wave barrier
	s_and_saveexec_b64 s[6:7], vcc
	s_cbranch_execz .LBB20_23
; %bb.20:
	scratch_load_dwordx4 v[2:5], v15, off
	ds_read_b128 v[8:11], v6
	s_waitcnt vmcnt(0) lgkmcnt(0)
	v_mul_f64 v[12:13], v[10:11], v[4:5]
	v_mul_f64 v[16:17], v[8:9], v[4:5]
	v_fma_f64 v[4:5], v[8:9], v[2:3], -v[12:13]
	v_fmac_f64_e32 v[16:17], v[10:11], v[2:3]
	v_add_f64 v[4:5], v[4:5], 0
	v_add_f64 v[2:3], v[16:17], 0
	s_and_saveexec_b64 s[8:9], s[2:3]
	s_cbranch_execz .LBB20_22
; %bb.21:
	scratch_load_dwordx4 v[8:11], off, off offset:16
	v_mov_b32_e32 v7, 0
	ds_read_b128 v[16:19], v7 offset:352
	s_waitcnt vmcnt(0) lgkmcnt(0)
	v_mul_f64 v[12:13], v[16:17], v[10:11]
	v_mul_f64 v[10:11], v[18:19], v[10:11]
	v_fmac_f64_e32 v[12:13], v[18:19], v[8:9]
	v_fma_f64 v[8:9], v[16:17], v[8:9], -v[10:11]
	v_add_f64 v[2:3], v[2:3], v[12:13]
	v_add_f64 v[4:5], v[4:5], v[8:9]
.LBB20_22:
	s_or_b64 exec, exec, s[8:9]
	v_mov_b32_e32 v7, 0
	ds_read_b128 v[8:11], v7 offset:32
	s_waitcnt lgkmcnt(0)
	v_mul_f64 v[16:17], v[2:3], v[10:11]
	v_mul_f64 v[12:13], v[4:5], v[10:11]
	v_fma_f64 v[10:11], v[4:5], v[8:9], -v[16:17]
	v_fmac_f64_e32 v[12:13], v[2:3], v[8:9]
	scratch_store_dwordx4 off, v[10:13], off offset:32
.LBB20_23:
	s_or_b64 exec, exec, s[6:7]
	; wave barrier
	scratch_load_dwordx4 v[2:5], off, s15
	v_cmp_gt_u32_e32 vcc, 3, v1
	v_add_u32_e32 v7, -1, v1
	s_waitcnt vmcnt(0)
	ds_write_b128 v6, v[2:5]
	s_waitcnt lgkmcnt(0)
	; wave barrier
	s_and_saveexec_b64 s[2:3], vcc
	s_cbranch_execz .LBB20_27
; %bb.24:
	v_add_u32_e32 v8, -1, v1
	v_add_u32_e32 v9, 0x150, v14
	v_mov_b32_e32 v10, v14
	v_mov_b64_e32 v[2:3], 0
	s_mov_b64 s[6:7], 0
	v_mov_b64_e32 v[4:5], 0
.LBB20_25:                              ; =>This Inner Loop Header: Depth=1
	scratch_load_dwordx4 v[16:19], v10, off
	ds_read_b128 v[20:23], v9
	v_add_u32_e32 v8, 1, v8
	v_cmp_lt_u32_e32 vcc, 1, v8
	v_add_u32_e32 v9, 16, v9
	v_add_u32_e32 v10, 16, v10
	s_or_b64 s[6:7], vcc, s[6:7]
	s_waitcnt vmcnt(0) lgkmcnt(0)
	v_mul_f64 v[12:13], v[22:23], v[18:19]
	v_mul_f64 v[18:19], v[20:21], v[18:19]
	v_fma_f64 v[12:13], v[20:21], v[16:17], -v[12:13]
	v_fmac_f64_e32 v[18:19], v[22:23], v[16:17]
	v_add_f64 v[4:5], v[4:5], v[12:13]
	v_add_f64 v[2:3], v[2:3], v[18:19]
	s_andn2_b64 exec, exec, s[6:7]
	s_cbranch_execnz .LBB20_25
; %bb.26:
	s_or_b64 exec, exec, s[6:7]
	v_mov_b32_e32 v8, 0
	ds_read_b128 v[8:11], v8 offset:48
	s_waitcnt lgkmcnt(0)
	v_mul_f64 v[16:17], v[2:3], v[10:11]
	v_mul_f64 v[12:13], v[4:5], v[10:11]
	v_fma_f64 v[10:11], v[4:5], v[8:9], -v[16:17]
	v_fmac_f64_e32 v[12:13], v[2:3], v[8:9]
	scratch_store_dwordx4 off, v[10:13], off offset:48
.LBB20_27:
	s_or_b64 exec, exec, s[2:3]
	; wave barrier
	scratch_load_dwordx4 v[2:5], off, s16
	v_cmp_gt_u32_e32 vcc, 4, v1
	s_waitcnt vmcnt(0)
	ds_write_b128 v6, v[2:5]
	s_waitcnt lgkmcnt(0)
	; wave barrier
	s_and_saveexec_b64 s[2:3], vcc
	s_cbranch_execz .LBB20_31
; %bb.28:
	v_add_u32_e32 v8, -1, v1
	v_add_u32_e32 v9, 0x150, v14
	v_mov_b32_e32 v10, v14
	v_mov_b64_e32 v[2:3], 0
	s_mov_b64 s[6:7], 0
	v_mov_b64_e32 v[4:5], 0
.LBB20_29:                              ; =>This Inner Loop Header: Depth=1
	scratch_load_dwordx4 v[16:19], v10, off
	ds_read_b128 v[20:23], v9
	v_add_u32_e32 v8, 1, v8
	v_cmp_lt_u32_e32 vcc, 2, v8
	v_add_u32_e32 v9, 16, v9
	v_add_u32_e32 v10, 16, v10
	s_or_b64 s[6:7], vcc, s[6:7]
	s_waitcnt vmcnt(0) lgkmcnt(0)
	v_mul_f64 v[12:13], v[22:23], v[18:19]
	v_mul_f64 v[18:19], v[20:21], v[18:19]
	v_fma_f64 v[12:13], v[20:21], v[16:17], -v[12:13]
	v_fmac_f64_e32 v[18:19], v[22:23], v[16:17]
	v_add_f64 v[4:5], v[4:5], v[12:13]
	v_add_f64 v[2:3], v[2:3], v[18:19]
	s_andn2_b64 exec, exec, s[6:7]
	s_cbranch_execnz .LBB20_29
; %bb.30:
	s_or_b64 exec, exec, s[6:7]
	v_mov_b32_e32 v8, 0
	ds_read_b128 v[8:11], v8 offset:64
	s_waitcnt lgkmcnt(0)
	v_mul_f64 v[16:17], v[2:3], v[10:11]
	v_mul_f64 v[12:13], v[4:5], v[10:11]
	v_fma_f64 v[10:11], v[4:5], v[8:9], -v[16:17]
	v_fmac_f64_e32 v[12:13], v[2:3], v[8:9]
	scratch_store_dwordx4 off, v[10:13], off offset:64
.LBB20_31:
	s_or_b64 exec, exec, s[2:3]
	; wave barrier
	scratch_load_dwordx4 v[2:5], off, s24
	v_cmp_gt_u32_e32 vcc, 5, v1
	;; [unrolled: 45-line block ×16, first 2 shown]
	s_waitcnt vmcnt(0)
	ds_write_b128 v6, v[2:5]
	s_waitcnt lgkmcnt(0)
	; wave barrier
	s_and_saveexec_b64 s[2:3], vcc
	s_cbranch_execz .LBB20_91
; %bb.88:
	v_add_u32_e32 v8, -1, v1
	v_add_u32_e32 v9, 0x150, v14
	v_mov_b32_e32 v10, v14
	v_mov_b64_e32 v[2:3], 0
	s_mov_b64 s[6:7], 0
	v_mov_b64_e32 v[4:5], 0
.LBB20_89:                              ; =>This Inner Loop Header: Depth=1
	scratch_load_dwordx4 v[16:19], v10, off
	ds_read_b128 v[20:23], v9
	v_add_u32_e32 v8, 1, v8
	v_cmp_lt_u32_e32 vcc, 17, v8
	v_add_u32_e32 v9, 16, v9
	v_add_u32_e32 v10, 16, v10
	s_or_b64 s[6:7], vcc, s[6:7]
	s_waitcnt vmcnt(0) lgkmcnt(0)
	v_mul_f64 v[12:13], v[22:23], v[18:19]
	v_mul_f64 v[18:19], v[20:21], v[18:19]
	v_fma_f64 v[12:13], v[20:21], v[16:17], -v[12:13]
	v_fmac_f64_e32 v[18:19], v[22:23], v[16:17]
	v_add_f64 v[4:5], v[4:5], v[12:13]
	v_add_f64 v[2:3], v[2:3], v[18:19]
	s_andn2_b64 exec, exec, s[6:7]
	s_cbranch_execnz .LBB20_89
; %bb.90:
	s_or_b64 exec, exec, s[6:7]
	v_mov_b32_e32 v8, 0
	ds_read_b128 v[8:11], v8 offset:304
	s_waitcnt lgkmcnt(0)
	v_mul_f64 v[16:17], v[2:3], v[10:11]
	v_mul_f64 v[12:13], v[4:5], v[10:11]
	v_fma_f64 v[10:11], v[4:5], v[8:9], -v[16:17]
	v_fmac_f64_e32 v[12:13], v[2:3], v[8:9]
	scratch_store_dwordx4 off, v[10:13], off offset:304
.LBB20_91:
	s_or_b64 exec, exec, s[2:3]
	; wave barrier
	scratch_load_dwordx4 v[2:5], off, s34
	v_cmp_ne_u32_e32 vcc, 20, v1
	s_waitcnt vmcnt(0)
	ds_write_b128 v6, v[2:5]
	s_waitcnt lgkmcnt(0)
	; wave barrier
	s_and_saveexec_b64 s[2:3], vcc
	s_cbranch_execz .LBB20_95
; %bb.92:
	v_add_u32_e32 v6, 0x150, v14
	v_mov_b32_e32 v8, v14
	v_mov_b64_e32 v[2:3], 0
	s_mov_b64 s[6:7], 0
	v_mov_b64_e32 v[4:5], 0
.LBB20_93:                              ; =>This Inner Loop Header: Depth=1
	scratch_load_dwordx4 v[10:13], v8, off
	ds_read_b128 v[14:17], v6
	v_add_u32_e32 v7, 1, v7
	v_cmp_lt_u32_e32 vcc, 18, v7
	v_add_u32_e32 v6, 16, v6
	v_add_u32_e32 v8, 16, v8
	s_or_b64 s[6:7], vcc, s[6:7]
	s_waitcnt vmcnt(0) lgkmcnt(0)
	v_mul_f64 v[18:19], v[16:17], v[12:13]
	v_mul_f64 v[12:13], v[14:15], v[12:13]
	v_fma_f64 v[14:15], v[14:15], v[10:11], -v[18:19]
	v_fmac_f64_e32 v[12:13], v[16:17], v[10:11]
	v_add_f64 v[4:5], v[4:5], v[14:15]
	v_add_f64 v[2:3], v[2:3], v[12:13]
	s_andn2_b64 exec, exec, s[6:7]
	s_cbranch_execnz .LBB20_93
; %bb.94:
	s_or_b64 exec, exec, s[6:7]
	v_mov_b32_e32 v6, 0
	ds_read_b128 v[6:9], v6 offset:320
	s_waitcnt lgkmcnt(0)
	v_mul_f64 v[12:13], v[2:3], v[8:9]
	v_mul_f64 v[10:11], v[4:5], v[8:9]
	v_fma_f64 v[8:9], v[4:5], v[6:7], -v[12:13]
	v_fmac_f64_e32 v[10:11], v[2:3], v[6:7]
	scratch_store_dwordx4 off, v[8:11], off offset:320
.LBB20_95:
	s_or_b64 exec, exec, s[2:3]
	s_mov_b64 s[6:7], -1
	; wave barrier
.LBB20_96:
	s_and_b64 vcc, exec, s[6:7]
	s_cbranch_vccz .LBB20_98
; %bb.97:
	s_lshl_b64 s[2:3], s[4:5], 2
	s_add_u32 s2, s10, s2
	s_addc_u32 s3, s11, s3
	v_mov_b32_e32 v2, 0
	global_load_dword v2, v2, s[2:3]
	s_waitcnt vmcnt(0)
	v_cmp_ne_u32_e32 vcc, 0, v2
	s_cbranch_vccz .LBB20_99
.LBB20_98:
	s_endpgm
.LBB20_99:
	v_mov_b32_e32 v2, 0x150
	v_lshl_add_u32 v56, v1, 4, v2
	v_cmp_eq_u32_e32 vcc, 20, v1
	s_and_saveexec_b64 s[2:3], vcc
	s_cbranch_execz .LBB20_101
; %bb.100:
	scratch_load_dwordx4 v[2:5], off, s31
	v_mov_b32_e32 v6, 0
	v_mov_b32_e32 v7, v6
	;; [unrolled: 1-line block ×4, first 2 shown]
	scratch_store_dwordx4 off, v[6:9], off offset:304
	s_waitcnt vmcnt(1)
	ds_write_b128 v56, v[2:5]
.LBB20_101:
	s_or_b64 exec, exec, s[2:3]
	s_waitcnt lgkmcnt(0)
	; wave barrier
	scratch_load_dwordx4 v[4:7], off, off offset:320
	scratch_load_dwordx4 v[8:11], off, off offset:304
	v_mov_b32_e32 v2, 0
	ds_read_b128 v[12:15], v2 offset:656
	v_cmp_lt_u32_e32 vcc, 18, v1
	s_waitcnt vmcnt(1) lgkmcnt(0)
	v_mul_f64 v[16:17], v[12:13], v[6:7]
	v_mul_f64 v[6:7], v[14:15], v[6:7]
	v_fmac_f64_e32 v[16:17], v[14:15], v[4:5]
	v_fma_f64 v[4:5], v[12:13], v[4:5], -v[6:7]
	v_add_f64 v[6:7], v[16:17], 0
	v_add_f64 v[4:5], v[4:5], 0
	s_waitcnt vmcnt(0)
	v_add_f64 v[4:5], v[8:9], -v[4:5]
	v_add_f64 v[6:7], v[10:11], -v[6:7]
	scratch_store_dwordx4 off, v[4:7], off offset:304
	s_and_saveexec_b64 s[2:3], vcc
	s_cbranch_execz .LBB20_103
; %bb.102:
	scratch_load_dwordx4 v[6:9], off, s28
	v_mov_b32_e32 v3, v2
	v_mov_b32_e32 v4, v2
	;; [unrolled: 1-line block ×3, first 2 shown]
	scratch_store_dwordx4 off, v[2:5], off offset:288
	s_waitcnt vmcnt(1)
	ds_write_b128 v56, v[6:9]
.LBB20_103:
	s_or_b64 exec, exec, s[2:3]
	s_waitcnt lgkmcnt(0)
	; wave barrier
	scratch_load_dwordx4 v[4:7], off, off offset:304
	scratch_load_dwordx4 v[8:11], off, off offset:320
	;; [unrolled: 1-line block ×3, first 2 shown]
	ds_read_b128 v[16:19], v2 offset:640
	ds_read_b128 v[20:23], v2 offset:656
	v_cmp_lt_u32_e32 vcc, 17, v1
	s_waitcnt vmcnt(2) lgkmcnt(1)
	v_mul_f64 v[2:3], v[16:17], v[6:7]
	v_mul_f64 v[6:7], v[18:19], v[6:7]
	s_waitcnt vmcnt(1) lgkmcnt(0)
	v_mul_f64 v[24:25], v[20:21], v[10:11]
	v_mul_f64 v[10:11], v[22:23], v[10:11]
	v_fmac_f64_e32 v[2:3], v[18:19], v[4:5]
	v_fma_f64 v[4:5], v[16:17], v[4:5], -v[6:7]
	v_fmac_f64_e32 v[24:25], v[22:23], v[8:9]
	v_fma_f64 v[6:7], v[20:21], v[8:9], -v[10:11]
	v_add_f64 v[2:3], v[2:3], 0
	v_add_f64 v[4:5], v[4:5], 0
	;; [unrolled: 1-line block ×4, first 2 shown]
	s_waitcnt vmcnt(0)
	v_add_f64 v[2:3], v[12:13], -v[2:3]
	v_add_f64 v[4:5], v[14:15], -v[8:9]
	scratch_store_dwordx4 off, v[2:5], off offset:288
	s_and_saveexec_b64 s[2:3], vcc
	s_cbranch_execz .LBB20_105
; %bb.104:
	scratch_load_dwordx4 v[2:5], off, s25
	v_mov_b32_e32 v6, 0
	v_mov_b32_e32 v7, v6
	;; [unrolled: 1-line block ×4, first 2 shown]
	scratch_store_dwordx4 off, v[6:9], off offset:272
	s_waitcnt vmcnt(1)
	ds_write_b128 v56, v[2:5]
.LBB20_105:
	s_or_b64 exec, exec, s[2:3]
	s_waitcnt lgkmcnt(0)
	; wave barrier
	scratch_load_dwordx4 v[4:7], off, off offset:288
	scratch_load_dwordx4 v[8:11], off, off offset:304
	;; [unrolled: 1-line block ×4, first 2 shown]
	v_mov_b32_e32 v2, 0
	ds_read_b128 v[20:23], v2 offset:624
	ds_read_b128 v[24:27], v2 offset:640
	ds_read_b128 v[28:31], v2 offset:656
	v_cmp_lt_u32_e32 vcc, 16, v1
	s_waitcnt vmcnt(3) lgkmcnt(2)
	v_mul_f64 v[32:33], v[20:21], v[6:7]
	v_mul_f64 v[6:7], v[22:23], v[6:7]
	s_waitcnt vmcnt(2) lgkmcnt(1)
	v_mul_f64 v[34:35], v[24:25], v[10:11]
	v_mul_f64 v[10:11], v[26:27], v[10:11]
	v_fmac_f64_e32 v[32:33], v[22:23], v[4:5]
	v_fma_f64 v[4:5], v[20:21], v[4:5], -v[6:7]
	s_waitcnt vmcnt(1) lgkmcnt(0)
	v_mul_f64 v[36:37], v[28:29], v[14:15]
	v_mul_f64 v[14:15], v[30:31], v[14:15]
	v_fmac_f64_e32 v[34:35], v[26:27], v[8:9]
	v_fma_f64 v[6:7], v[24:25], v[8:9], -v[10:11]
	v_add_f64 v[10:11], v[32:33], 0
	v_add_f64 v[4:5], v[4:5], 0
	v_fmac_f64_e32 v[36:37], v[30:31], v[12:13]
	v_fma_f64 v[8:9], v[28:29], v[12:13], -v[14:15]
	v_add_f64 v[10:11], v[10:11], v[34:35]
	v_add_f64 v[4:5], v[4:5], v[6:7]
	;; [unrolled: 1-line block ×4, first 2 shown]
	s_waitcnt vmcnt(0)
	v_add_f64 v[4:5], v[16:17], -v[4:5]
	v_add_f64 v[6:7], v[18:19], -v[6:7]
	scratch_store_dwordx4 off, v[4:7], off offset:272
	s_and_saveexec_b64 s[2:3], vcc
	s_cbranch_execz .LBB20_107
; %bb.106:
	scratch_load_dwordx4 v[6:9], off, s18
	v_mov_b32_e32 v3, v2
	v_mov_b32_e32 v4, v2
	;; [unrolled: 1-line block ×3, first 2 shown]
	scratch_store_dwordx4 off, v[2:5], off offset:256
	s_waitcnt vmcnt(1)
	ds_write_b128 v56, v[6:9]
.LBB20_107:
	s_or_b64 exec, exec, s[2:3]
	s_waitcnt lgkmcnt(0)
	; wave barrier
	scratch_load_dwordx4 v[4:7], off, off offset:272
	scratch_load_dwordx4 v[8:11], off, off offset:288
	;; [unrolled: 1-line block ×5, first 2 shown]
	ds_read_b128 v[24:27], v2 offset:608
	ds_read_b128 v[28:31], v2 offset:624
	;; [unrolled: 1-line block ×4, first 2 shown]
	v_cmp_lt_u32_e32 vcc, 15, v1
	s_waitcnt vmcnt(4) lgkmcnt(3)
	v_mul_f64 v[2:3], v[24:25], v[6:7]
	v_mul_f64 v[6:7], v[26:27], v[6:7]
	s_waitcnt vmcnt(3) lgkmcnt(2)
	v_mul_f64 v[40:41], v[28:29], v[10:11]
	v_mul_f64 v[10:11], v[30:31], v[10:11]
	v_fmac_f64_e32 v[2:3], v[26:27], v[4:5]
	v_fma_f64 v[4:5], v[24:25], v[4:5], -v[6:7]
	s_waitcnt vmcnt(2) lgkmcnt(1)
	v_mul_f64 v[42:43], v[32:33], v[14:15]
	v_mul_f64 v[14:15], v[34:35], v[14:15]
	v_fmac_f64_e32 v[40:41], v[30:31], v[8:9]
	v_fma_f64 v[6:7], v[28:29], v[8:9], -v[10:11]
	v_add_f64 v[2:3], v[2:3], 0
	v_add_f64 v[4:5], v[4:5], 0
	s_waitcnt vmcnt(1) lgkmcnt(0)
	v_mul_f64 v[44:45], v[36:37], v[18:19]
	v_mul_f64 v[18:19], v[38:39], v[18:19]
	v_fmac_f64_e32 v[42:43], v[34:35], v[12:13]
	v_fma_f64 v[8:9], v[32:33], v[12:13], -v[14:15]
	v_add_f64 v[2:3], v[2:3], v[40:41]
	v_add_f64 v[4:5], v[4:5], v[6:7]
	v_fmac_f64_e32 v[44:45], v[38:39], v[16:17]
	v_fma_f64 v[10:11], v[36:37], v[16:17], -v[18:19]
	v_add_f64 v[2:3], v[2:3], v[42:43]
	v_add_f64 v[4:5], v[4:5], v[8:9]
	;; [unrolled: 1-line block ×4, first 2 shown]
	s_waitcnt vmcnt(0)
	v_add_f64 v[2:3], v[20:21], -v[2:3]
	v_add_f64 v[4:5], v[22:23], -v[6:7]
	scratch_store_dwordx4 off, v[2:5], off offset:256
	s_and_saveexec_b64 s[2:3], vcc
	s_cbranch_execz .LBB20_109
; %bb.108:
	scratch_load_dwordx4 v[2:5], off, s35
	v_mov_b32_e32 v6, 0
	v_mov_b32_e32 v7, v6
	;; [unrolled: 1-line block ×4, first 2 shown]
	scratch_store_dwordx4 off, v[6:9], off offset:240
	s_waitcnt vmcnt(1)
	ds_write_b128 v56, v[2:5]
.LBB20_109:
	s_or_b64 exec, exec, s[2:3]
	s_waitcnt lgkmcnt(0)
	; wave barrier
	scratch_load_dwordx4 v[4:7], off, off offset:256
	scratch_load_dwordx4 v[8:11], off, off offset:272
	;; [unrolled: 1-line block ×6, first 2 shown]
	v_mov_b32_e32 v2, 0
	ds_read_b128 v[28:31], v2 offset:592
	ds_read_b128 v[32:35], v2 offset:608
	;; [unrolled: 1-line block ×5, first 2 shown]
	v_cmp_lt_u32_e32 vcc, 14, v1
	s_waitcnt vmcnt(5) lgkmcnt(4)
	v_mul_f64 v[48:49], v[28:29], v[6:7]
	v_mul_f64 v[6:7], v[30:31], v[6:7]
	s_waitcnt vmcnt(4) lgkmcnt(3)
	v_mul_f64 v[50:51], v[32:33], v[10:11]
	s_waitcnt vmcnt(3) lgkmcnt(2)
	v_mul_f64 v[52:53], v[36:37], v[14:15]
	v_mul_f64 v[10:11], v[34:35], v[10:11]
	;; [unrolled: 1-line block ×3, first 2 shown]
	v_fmac_f64_e32 v[48:49], v[30:31], v[4:5]
	v_fma_f64 v[4:5], v[28:29], v[4:5], -v[6:7]
	v_fmac_f64_e32 v[50:51], v[34:35], v[8:9]
	v_fma_f64 v[6:7], v[32:33], v[8:9], -v[10:11]
	v_fma_f64 v[8:9], v[36:37], v[12:13], -v[14:15]
	v_add_f64 v[14:15], v[48:49], 0
	v_add_f64 v[4:5], v[4:5], 0
	s_waitcnt vmcnt(2) lgkmcnt(1)
	v_mul_f64 v[54:55], v[40:41], v[18:19]
	v_mul_f64 v[18:19], v[42:43], v[18:19]
	v_fmac_f64_e32 v[52:53], v[38:39], v[12:13]
	v_add_f64 v[14:15], v[14:15], v[50:51]
	v_add_f64 v[4:5], v[4:5], v[6:7]
	s_waitcnt vmcnt(1) lgkmcnt(0)
	v_mul_f64 v[58:59], v[44:45], v[22:23]
	v_mul_f64 v[22:23], v[46:47], v[22:23]
	v_fmac_f64_e32 v[54:55], v[42:43], v[16:17]
	v_fma_f64 v[10:11], v[40:41], v[16:17], -v[18:19]
	v_add_f64 v[6:7], v[14:15], v[52:53]
	v_add_f64 v[4:5], v[4:5], v[8:9]
	v_fmac_f64_e32 v[58:59], v[46:47], v[20:21]
	v_fma_f64 v[12:13], v[44:45], v[20:21], -v[22:23]
	v_add_f64 v[6:7], v[6:7], v[54:55]
	v_add_f64 v[4:5], v[4:5], v[10:11]
	;; [unrolled: 1-line block ×4, first 2 shown]
	s_waitcnt vmcnt(0)
	v_add_f64 v[4:5], v[24:25], -v[4:5]
	v_add_f64 v[6:7], v[26:27], -v[6:7]
	scratch_store_dwordx4 off, v[4:7], off offset:240
	s_and_saveexec_b64 s[2:3], vcc
	s_cbranch_execz .LBB20_111
; %bb.110:
	scratch_load_dwordx4 v[6:9], off, s38
	v_mov_b32_e32 v3, v2
	v_mov_b32_e32 v4, v2
	;; [unrolled: 1-line block ×3, first 2 shown]
	scratch_store_dwordx4 off, v[2:5], off offset:224
	s_waitcnt vmcnt(1)
	ds_write_b128 v56, v[6:9]
.LBB20_111:
	s_or_b64 exec, exec, s[2:3]
	s_waitcnt lgkmcnt(0)
	; wave barrier
	scratch_load_dwordx4 v[4:7], off, off offset:240
	scratch_load_dwordx4 v[8:11], off, off offset:256
	;; [unrolled: 1-line block ×7, first 2 shown]
	ds_read_b128 v[32:35], v2 offset:576
	ds_read_b128 v[36:39], v2 offset:592
	;; [unrolled: 1-line block ×6, first 2 shown]
	v_cmp_lt_u32_e32 vcc, 13, v1
	s_waitcnt vmcnt(6) lgkmcnt(5)
	v_mul_f64 v[2:3], v[32:33], v[6:7]
	v_mul_f64 v[6:7], v[34:35], v[6:7]
	s_waitcnt vmcnt(5) lgkmcnt(4)
	v_mul_f64 v[58:59], v[36:37], v[10:11]
	v_mul_f64 v[10:11], v[38:39], v[10:11]
	v_fmac_f64_e32 v[2:3], v[34:35], v[4:5]
	v_fma_f64 v[4:5], v[32:33], v[4:5], -v[6:7]
	s_waitcnt vmcnt(4) lgkmcnt(3)
	v_mul_f64 v[60:61], v[40:41], v[14:15]
	v_mul_f64 v[14:15], v[42:43], v[14:15]
	v_fmac_f64_e32 v[58:59], v[38:39], v[8:9]
	v_fma_f64 v[6:7], v[36:37], v[8:9], -v[10:11]
	v_add_f64 v[2:3], v[2:3], 0
	v_add_f64 v[4:5], v[4:5], 0
	s_waitcnt vmcnt(3) lgkmcnt(2)
	v_mul_f64 v[62:63], v[44:45], v[18:19]
	v_mul_f64 v[18:19], v[46:47], v[18:19]
	v_fmac_f64_e32 v[60:61], v[42:43], v[12:13]
	v_fma_f64 v[8:9], v[40:41], v[12:13], -v[14:15]
	v_add_f64 v[2:3], v[2:3], v[58:59]
	v_add_f64 v[4:5], v[4:5], v[6:7]
	;; [unrolled: 7-line block ×4, first 2 shown]
	v_fmac_f64_e32 v[108:109], v[54:55], v[24:25]
	v_fma_f64 v[14:15], v[52:53], v[24:25], -v[26:27]
	v_add_f64 v[2:3], v[2:3], v[106:107]
	v_add_f64 v[4:5], v[4:5], v[12:13]
	;; [unrolled: 1-line block ×4, first 2 shown]
	s_waitcnt vmcnt(0)
	v_add_f64 v[2:3], v[28:29], -v[2:3]
	v_add_f64 v[4:5], v[30:31], -v[6:7]
	scratch_store_dwordx4 off, v[2:5], off offset:224
	s_and_saveexec_b64 s[2:3], vcc
	s_cbranch_execz .LBB20_113
; %bb.112:
	scratch_load_dwordx4 v[2:5], off, s37
	v_mov_b32_e32 v6, 0
	v_mov_b32_e32 v7, v6
	;; [unrolled: 1-line block ×4, first 2 shown]
	scratch_store_dwordx4 off, v[6:9], off offset:208
	s_waitcnt vmcnt(1)
	ds_write_b128 v56, v[2:5]
.LBB20_113:
	s_or_b64 exec, exec, s[2:3]
	s_waitcnt lgkmcnt(0)
	; wave barrier
	scratch_load_dwordx4 v[4:7], off, off offset:224
	scratch_load_dwordx4 v[8:11], off, off offset:240
	;; [unrolled: 1-line block ×8, first 2 shown]
	v_mov_b32_e32 v2, 0
	ds_read_b128 v[36:39], v2 offset:560
	ds_read_b128 v[40:43], v2 offset:576
	ds_read_b128 v[44:47], v2 offset:592
	ds_read_b128 v[48:51], v2 offset:608
	ds_read_b128 v[52:55], v2 offset:624
	ds_read_b128 v[58:61], v2 offset:640
	ds_read_b128 v[106:109], v2 offset:656
	v_cmp_lt_u32_e32 vcc, 12, v1
	s_waitcnt vmcnt(7) lgkmcnt(6)
	v_mul_f64 v[62:63], v[36:37], v[6:7]
	v_mul_f64 v[6:7], v[38:39], v[6:7]
	s_waitcnt vmcnt(6) lgkmcnt(5)
	v_mul_f64 v[110:111], v[40:41], v[10:11]
	s_waitcnt vmcnt(4) lgkmcnt(3)
	v_mul_f64 v[114:115], v[48:49], v[18:19]
	v_mul_f64 v[10:11], v[42:43], v[10:11]
	v_mul_f64 v[18:19], v[50:51], v[18:19]
	v_fmac_f64_e32 v[62:63], v[38:39], v[4:5]
	v_fma_f64 v[4:5], v[36:37], v[4:5], -v[6:7]
	v_mul_f64 v[112:113], v[44:45], v[14:15]
	v_mul_f64 v[14:15], v[46:47], v[14:15]
	v_fmac_f64_e32 v[110:111], v[42:43], v[8:9]
	v_fma_f64 v[6:7], v[40:41], v[8:9], -v[10:11]
	v_fma_f64 v[10:11], v[48:49], v[16:17], -v[18:19]
	v_add_f64 v[18:19], v[62:63], 0
	v_add_f64 v[4:5], v[4:5], 0
	v_fmac_f64_e32 v[112:113], v[46:47], v[12:13]
	v_fma_f64 v[8:9], v[44:45], v[12:13], -v[14:15]
	v_add_f64 v[18:19], v[18:19], v[110:111]
	v_add_f64 v[4:5], v[4:5], v[6:7]
	s_waitcnt vmcnt(3) lgkmcnt(2)
	v_mul_f64 v[116:117], v[52:53], v[22:23]
	v_mul_f64 v[22:23], v[54:55], v[22:23]
	v_fmac_f64_e32 v[114:115], v[50:51], v[16:17]
	v_add_f64 v[6:7], v[18:19], v[112:113]
	v_add_f64 v[4:5], v[4:5], v[8:9]
	s_waitcnt vmcnt(2) lgkmcnt(1)
	v_mul_f64 v[118:119], v[58:59], v[26:27]
	v_mul_f64 v[26:27], v[60:61], v[26:27]
	v_fmac_f64_e32 v[116:117], v[54:55], v[20:21]
	v_fma_f64 v[12:13], v[52:53], v[20:21], -v[22:23]
	v_add_f64 v[6:7], v[6:7], v[114:115]
	v_add_f64 v[4:5], v[4:5], v[10:11]
	s_waitcnt vmcnt(1) lgkmcnt(0)
	v_mul_f64 v[120:121], v[106:107], v[30:31]
	v_mul_f64 v[30:31], v[108:109], v[30:31]
	v_fmac_f64_e32 v[118:119], v[60:61], v[24:25]
	v_fma_f64 v[14:15], v[58:59], v[24:25], -v[26:27]
	v_add_f64 v[6:7], v[6:7], v[116:117]
	v_add_f64 v[4:5], v[4:5], v[12:13]
	v_fmac_f64_e32 v[120:121], v[108:109], v[28:29]
	v_fma_f64 v[16:17], v[106:107], v[28:29], -v[30:31]
	v_add_f64 v[6:7], v[6:7], v[118:119]
	v_add_f64 v[4:5], v[4:5], v[14:15]
	;; [unrolled: 1-line block ×4, first 2 shown]
	s_waitcnt vmcnt(0)
	v_add_f64 v[4:5], v[32:33], -v[4:5]
	v_add_f64 v[6:7], v[34:35], -v[6:7]
	scratch_store_dwordx4 off, v[4:7], off offset:208
	s_and_saveexec_b64 s[2:3], vcc
	s_cbranch_execz .LBB20_115
; %bb.114:
	scratch_load_dwordx4 v[6:9], off, s36
	v_mov_b32_e32 v3, v2
	v_mov_b32_e32 v4, v2
	;; [unrolled: 1-line block ×3, first 2 shown]
	scratch_store_dwordx4 off, v[2:5], off offset:192
	s_waitcnt vmcnt(1)
	ds_write_b128 v56, v[6:9]
.LBB20_115:
	s_or_b64 exec, exec, s[2:3]
	s_waitcnt lgkmcnt(0)
	; wave barrier
	ds_read_b128 v[4:7], v2 offset:544
	ds_read_b128 v[8:11], v2 offset:560
	;; [unrolled: 1-line block ×4, first 2 shown]
	scratch_load_dwordx4 v[20:23], off, off offset:208
	scratch_load_dwordx4 v[40:43], off, off offset:272
	v_cmp_lt_u32_e32 vcc, 11, v1
	scratch_load_dwordx4 v[48:51], off, off offset:288
	scratch_load_dwordx4 v[58:61], off, off offset:304
	scratch_load_dwordx4 v[110:113], off, off offset:320
	s_waitcnt vmcnt(4) lgkmcnt(3)
	v_mul_f64 v[24:25], v[4:5], v[22:23]
	v_fmac_f64_e32 v[24:25], v[6:7], v[20:21]
	v_add_f64 v[28:29], v[24:25], 0
	scratch_load_dwordx4 v[24:27], off, off offset:224
	s_waitcnt vmcnt(0) lgkmcnt(2)
	v_mul_f64 v[30:31], v[8:9], v[26:27]
	v_fmac_f64_e32 v[30:31], v[10:11], v[24:25]
	v_add_f64 v[32:33], v[28:29], v[30:31]
	scratch_load_dwordx4 v[28:31], off, off offset:240
	;; [unrolled: 5-line block ×3, first 2 shown]
	s_waitcnt vmcnt(0) lgkmcnt(0)
	v_mul_f64 v[38:39], v[16:17], v[34:35]
	v_fmac_f64_e32 v[38:39], v[18:19], v[32:33]
	v_add_f64 v[44:45], v[36:37], v[38:39]
	ds_read_b128 v[36:39], v2 offset:608
	s_waitcnt lgkmcnt(0)
	v_mul_f64 v[46:47], v[36:37], v[42:43]
	v_fmac_f64_e32 v[46:47], v[38:39], v[40:41]
	v_add_f64 v[52:53], v[44:45], v[46:47]
	ds_read_b128 v[44:47], v2 offset:624
	s_waitcnt lgkmcnt(0)
	;; [unrolled: 5-line block ×4, first 2 shown]
	v_mul_f64 v[2:3], v[106:107], v[112:113]
	v_fmac_f64_e32 v[2:3], v[108:109], v[110:111]
	v_add_f64 v[62:63], v[62:63], v[2:3]
	v_mul_f64 v[2:3], v[6:7], v[22:23]
	v_fma_f64 v[2:3], v[4:5], v[20:21], -v[2:3]
	v_mul_f64 v[4:5], v[10:11], v[26:27]
	v_add_f64 v[2:3], v[2:3], 0
	v_fma_f64 v[4:5], v[8:9], v[24:25], -v[4:5]
	v_add_f64 v[2:3], v[2:3], v[4:5]
	v_mul_f64 v[4:5], v[14:15], v[30:31]
	v_fma_f64 v[4:5], v[12:13], v[28:29], -v[4:5]
	v_add_f64 v[2:3], v[2:3], v[4:5]
	v_mul_f64 v[4:5], v[18:19], v[34:35]
	;; [unrolled: 3-line block ×6, first 2 shown]
	v_fma_f64 v[4:5], v[106:107], v[110:111], -v[4:5]
	v_add_f64 v[6:7], v[2:3], v[4:5]
	scratch_load_dwordx4 v[2:5], off, off offset:192
	s_waitcnt vmcnt(0)
	v_add_f64 v[2:3], v[2:3], -v[6:7]
	v_add_f64 v[4:5], v[4:5], -v[62:63]
	scratch_store_dwordx4 off, v[2:5], off offset:192
	s_and_saveexec_b64 s[2:3], vcc
	s_cbranch_execz .LBB20_117
; %bb.116:
	scratch_load_dwordx4 v[2:5], off, s33
	v_mov_b32_e32 v6, 0
	v_mov_b32_e32 v7, v6
	;; [unrolled: 1-line block ×4, first 2 shown]
	scratch_store_dwordx4 off, v[6:9], off offset:176
	s_waitcnt vmcnt(1)
	ds_write_b128 v56, v[2:5]
.LBB20_117:
	s_or_b64 exec, exec, s[2:3]
	v_mov_b32_e32 v2, 0
	s_waitcnt lgkmcnt(0)
	; wave barrier
	ds_read_b128 v[4:7], v2 offset:528
	ds_read_b128 v[8:11], v2 offset:544
	;; [unrolled: 1-line block ×4, first 2 shown]
	scratch_load_dwordx4 v[20:23], off, off offset:192
	scratch_load_dwordx4 v[40:43], off, off offset:256
	;; [unrolled: 1-line block ×3, first 2 shown]
	v_cmp_lt_u32_e32 vcc, 10, v1
	scratch_load_dwordx4 v[48:51], off, off offset:272
	scratch_load_dwordx4 v[58:61], off, off offset:288
	;; [unrolled: 1-line block ×3, first 2 shown]
	s_waitcnt vmcnt(5) lgkmcnt(3)
	v_mul_f64 v[24:25], v[4:5], v[22:23]
	v_fmac_f64_e32 v[24:25], v[6:7], v[20:21]
	v_add_f64 v[28:29], v[24:25], 0
	scratch_load_dwordx4 v[24:27], off, off offset:208
	v_mul_f64 v[6:7], v[6:7], v[22:23]
	v_fma_f64 v[4:5], v[4:5], v[20:21], -v[6:7]
	v_add_f64 v[4:5], v[4:5], 0
	s_waitcnt vmcnt(0) lgkmcnt(2)
	v_mul_f64 v[30:31], v[8:9], v[26:27]
	v_fmac_f64_e32 v[30:31], v[10:11], v[24:25]
	v_add_f64 v[32:33], v[28:29], v[30:31]
	scratch_load_dwordx4 v[28:31], off, off offset:224
	v_mul_f64 v[6:7], v[10:11], v[26:27]
	v_fma_f64 v[6:7], v[8:9], v[24:25], -v[6:7]
	v_add_f64 v[4:5], v[4:5], v[6:7]
	;; [unrolled: 8-line block ×3, first 2 shown]
	s_waitcnt vmcnt(0) lgkmcnt(0)
	v_mul_f64 v[38:39], v[16:17], v[34:35]
	v_fmac_f64_e32 v[38:39], v[18:19], v[32:33]
	v_add_f64 v[44:45], v[36:37], v[38:39]
	ds_read_b128 v[36:39], v2 offset:592
	v_mul_f64 v[6:7], v[18:19], v[34:35]
	v_fma_f64 v[6:7], v[16:17], v[32:33], -v[6:7]
	v_add_f64 v[4:5], v[4:5], v[6:7]
	s_waitcnt lgkmcnt(0)
	v_mul_f64 v[46:47], v[36:37], v[42:43]
	v_fmac_f64_e32 v[46:47], v[38:39], v[40:41]
	v_add_f64 v[52:53], v[44:45], v[46:47]
	ds_read_b128 v[44:47], v2 offset:608
	v_mul_f64 v[6:7], v[38:39], v[42:43]
	v_fma_f64 v[6:7], v[36:37], v[40:41], -v[6:7]
	v_add_f64 v[4:5], v[4:5], v[6:7]
	s_waitcnt lgkmcnt(0)
	;; [unrolled: 8-line block ×5, first 2 shown]
	v_mul_f64 v[6:7], v[116:117], v[120:121]
	v_fma_f64 v[6:7], v[114:115], v[118:119], -v[6:7]
	v_add_f64 v[8:9], v[4:5], v[6:7]
	scratch_load_dwordx4 v[4:7], off, off offset:176
	v_mul_f64 v[122:123], v[114:115], v[120:121]
	v_fmac_f64_e32 v[122:123], v[116:117], v[118:119]
	v_add_f64 v[62:63], v[62:63], v[122:123]
	s_waitcnt vmcnt(0)
	v_add_f64 v[4:5], v[4:5], -v[8:9]
	v_add_f64 v[6:7], v[6:7], -v[62:63]
	scratch_store_dwordx4 off, v[4:7], off offset:176
	s_and_saveexec_b64 s[2:3], vcc
	s_cbranch_execz .LBB20_119
; %bb.118:
	scratch_load_dwordx4 v[6:9], off, s29
	v_mov_b32_e32 v3, v2
	v_mov_b32_e32 v4, v2
	;; [unrolled: 1-line block ×3, first 2 shown]
	scratch_store_dwordx4 off, v[2:5], off offset:160
	s_waitcnt vmcnt(1)
	ds_write_b128 v56, v[6:9]
.LBB20_119:
	s_or_b64 exec, exec, s[2:3]
	s_waitcnt lgkmcnt(0)
	; wave barrier
	scratch_load_dwordx4 v[4:7], off, off offset:176
	scratch_load_dwordx4 v[8:11], off, off offset:192
	;; [unrolled: 1-line block ×11, first 2 shown]
	ds_read_b128 v[48:51], v2 offset:512
	ds_read_b128 v[52:55], v2 offset:528
	;; [unrolled: 1-line block ×10, first 2 shown]
	v_cmp_lt_u32_e32 vcc, 9, v1
	s_waitcnt vmcnt(10) lgkmcnt(9)
	v_mul_f64 v[2:3], v[48:49], v[6:7]
	v_mul_f64 v[6:7], v[50:51], v[6:7]
	s_waitcnt vmcnt(9) lgkmcnt(8)
	v_mul_f64 v[62:63], v[52:53], v[10:11]
	v_mul_f64 v[10:11], v[54:55], v[10:11]
	v_fmac_f64_e32 v[2:3], v[50:51], v[4:5]
	v_fma_f64 v[4:5], v[48:49], v[4:5], -v[6:7]
	s_waitcnt vmcnt(8) lgkmcnt(7)
	v_mul_f64 v[134:135], v[58:59], v[14:15]
	v_mul_f64 v[14:15], v[60:61], v[14:15]
	v_fmac_f64_e32 v[62:63], v[54:55], v[8:9]
	v_fma_f64 v[6:7], v[52:53], v[8:9], -v[10:11]
	v_add_f64 v[2:3], v[2:3], 0
	v_add_f64 v[4:5], v[4:5], 0
	s_waitcnt vmcnt(7) lgkmcnt(6)
	v_mul_f64 v[136:137], v[106:107], v[18:19]
	v_mul_f64 v[18:19], v[108:109], v[18:19]
	v_fmac_f64_e32 v[134:135], v[60:61], v[12:13]
	v_fma_f64 v[8:9], v[58:59], v[12:13], -v[14:15]
	v_add_f64 v[2:3], v[2:3], v[62:63]
	v_add_f64 v[4:5], v[4:5], v[6:7]
	s_waitcnt vmcnt(6) lgkmcnt(5)
	v_mul_f64 v[138:139], v[110:111], v[22:23]
	v_mul_f64 v[22:23], v[112:113], v[22:23]
	v_fmac_f64_e32 v[136:137], v[108:109], v[16:17]
	v_fma_f64 v[10:11], v[106:107], v[16:17], -v[18:19]
	v_add_f64 v[2:3], v[2:3], v[134:135]
	v_add_f64 v[4:5], v[4:5], v[8:9]
	s_waitcnt vmcnt(5) lgkmcnt(4)
	v_mul_f64 v[140:141], v[114:115], v[26:27]
	v_mul_f64 v[26:27], v[116:117], v[26:27]
	v_fmac_f64_e32 v[138:139], v[112:113], v[20:21]
	v_fma_f64 v[12:13], v[110:111], v[20:21], -v[22:23]
	v_add_f64 v[2:3], v[2:3], v[136:137]
	v_add_f64 v[4:5], v[4:5], v[10:11]
	s_waitcnt vmcnt(4) lgkmcnt(3)
	v_mul_f64 v[142:143], v[118:119], v[30:31]
	v_mul_f64 v[30:31], v[120:121], v[30:31]
	v_fmac_f64_e32 v[140:141], v[116:117], v[24:25]
	v_fma_f64 v[14:15], v[114:115], v[24:25], -v[26:27]
	v_add_f64 v[2:3], v[2:3], v[138:139]
	v_add_f64 v[4:5], v[4:5], v[12:13]
	s_waitcnt vmcnt(3) lgkmcnt(2)
	v_mul_f64 v[144:145], v[122:123], v[34:35]
	v_mul_f64 v[34:35], v[124:125], v[34:35]
	v_fmac_f64_e32 v[142:143], v[120:121], v[28:29]
	v_fma_f64 v[16:17], v[118:119], v[28:29], -v[30:31]
	v_add_f64 v[2:3], v[2:3], v[140:141]
	v_add_f64 v[4:5], v[4:5], v[14:15]
	s_waitcnt vmcnt(2) lgkmcnt(1)
	v_mul_f64 v[146:147], v[126:127], v[38:39]
	v_mul_f64 v[38:39], v[128:129], v[38:39]
	v_fmac_f64_e32 v[144:145], v[124:125], v[32:33]
	v_fma_f64 v[18:19], v[122:123], v[32:33], -v[34:35]
	v_add_f64 v[2:3], v[2:3], v[142:143]
	v_add_f64 v[4:5], v[4:5], v[16:17]
	s_waitcnt vmcnt(1) lgkmcnt(0)
	v_mul_f64 v[148:149], v[130:131], v[42:43]
	v_mul_f64 v[42:43], v[132:133], v[42:43]
	v_fmac_f64_e32 v[146:147], v[128:129], v[36:37]
	v_fma_f64 v[20:21], v[126:127], v[36:37], -v[38:39]
	v_add_f64 v[2:3], v[2:3], v[144:145]
	v_add_f64 v[4:5], v[4:5], v[18:19]
	v_fmac_f64_e32 v[148:149], v[132:133], v[40:41]
	v_fma_f64 v[22:23], v[130:131], v[40:41], -v[42:43]
	v_add_f64 v[2:3], v[2:3], v[146:147]
	v_add_f64 v[4:5], v[4:5], v[20:21]
	;; [unrolled: 1-line block ×4, first 2 shown]
	s_waitcnt vmcnt(0)
	v_add_f64 v[2:3], v[44:45], -v[2:3]
	v_add_f64 v[4:5], v[46:47], -v[6:7]
	scratch_store_dwordx4 off, v[2:5], off offset:160
	s_and_saveexec_b64 s[2:3], vcc
	s_cbranch_execz .LBB20_121
; %bb.120:
	scratch_load_dwordx4 v[2:5], off, s26
	v_mov_b32_e32 v6, 0
	v_mov_b32_e32 v7, v6
	v_mov_b32_e32 v8, v6
	v_mov_b32_e32 v9, v6
	scratch_store_dwordx4 off, v[6:9], off offset:144
	s_waitcnt vmcnt(1)
	ds_write_b128 v56, v[2:5]
.LBB20_121:
	s_or_b64 exec, exec, s[2:3]
	s_waitcnt lgkmcnt(0)
	; wave barrier
	scratch_load_dwordx4 v[4:7], off, off offset:160
	scratch_load_dwordx4 v[8:11], off, off offset:176
	;; [unrolled: 1-line block ×12, first 2 shown]
	v_mov_b32_e32 v2, 0
	ds_read_b128 v[52:55], v2 offset:496
	ds_read_b128 v[58:61], v2 offset:512
	;; [unrolled: 1-line block ×11, first 2 shown]
	v_cmp_lt_u32_e32 vcc, 8, v1
	s_waitcnt vmcnt(11) lgkmcnt(10)
	v_mul_f64 v[62:63], v[52:53], v[6:7]
	v_mul_f64 v[6:7], v[54:55], v[6:7]
	s_waitcnt vmcnt(10) lgkmcnt(9)
	v_mul_f64 v[142:143], v[58:59], v[10:11]
	s_waitcnt vmcnt(9) lgkmcnt(8)
	v_mul_f64 v[144:145], v[106:107], v[14:15]
	v_mul_f64 v[10:11], v[60:61], v[10:11]
	s_waitcnt vmcnt(6) lgkmcnt(5)
	v_mul_f64 v[150:151], v[118:119], v[26:27]
	v_mul_f64 v[14:15], v[108:109], v[14:15]
	;; [unrolled: 1-line block ×3, first 2 shown]
	v_fmac_f64_e32 v[62:63], v[54:55], v[4:5]
	v_fma_f64 v[4:5], v[52:53], v[4:5], -v[6:7]
	v_fmac_f64_e32 v[142:143], v[60:61], v[8:9]
	v_fma_f64 v[6:7], v[58:59], v[8:9], -v[10:11]
	v_fma_f64 v[8:9], v[106:107], v[12:13], -v[14:15]
	;; [unrolled: 1-line block ×3, first 2 shown]
	v_add_f64 v[26:27], v[62:63], 0
	v_add_f64 v[4:5], v[4:5], 0
	v_mul_f64 v[146:147], v[110:111], v[18:19]
	v_mul_f64 v[18:19], v[112:113], v[18:19]
	v_fmac_f64_e32 v[144:145], v[108:109], v[12:13]
	v_add_f64 v[26:27], v[26:27], v[142:143]
	v_add_f64 v[4:5], v[4:5], v[6:7]
	v_mul_f64 v[148:149], v[114:115], v[22:23]
	v_mul_f64 v[22:23], v[116:117], v[22:23]
	v_fmac_f64_e32 v[146:147], v[112:113], v[16:17]
	v_fma_f64 v[10:11], v[110:111], v[16:17], -v[18:19]
	v_add_f64 v[6:7], v[26:27], v[144:145]
	v_add_f64 v[4:5], v[4:5], v[8:9]
	v_fmac_f64_e32 v[148:149], v[116:117], v[20:21]
	v_fma_f64 v[12:13], v[114:115], v[20:21], -v[22:23]
	v_add_f64 v[6:7], v[6:7], v[146:147]
	v_add_f64 v[4:5], v[4:5], v[10:11]
	s_waitcnt vmcnt(5) lgkmcnt(4)
	v_mul_f64 v[152:153], v[122:123], v[30:31]
	v_mul_f64 v[30:31], v[124:125], v[30:31]
	v_fmac_f64_e32 v[150:151], v[120:121], v[24:25]
	v_add_f64 v[6:7], v[6:7], v[148:149]
	v_add_f64 v[4:5], v[4:5], v[12:13]
	s_waitcnt vmcnt(4) lgkmcnt(3)
	v_mul_f64 v[154:155], v[126:127], v[34:35]
	v_mul_f64 v[34:35], v[128:129], v[34:35]
	v_fmac_f64_e32 v[152:153], v[124:125], v[28:29]
	v_fma_f64 v[16:17], v[122:123], v[28:29], -v[30:31]
	v_add_f64 v[6:7], v[6:7], v[150:151]
	v_add_f64 v[4:5], v[4:5], v[14:15]
	s_waitcnt vmcnt(3) lgkmcnt(2)
	v_mul_f64 v[156:157], v[130:131], v[38:39]
	v_mul_f64 v[38:39], v[132:133], v[38:39]
	v_fmac_f64_e32 v[154:155], v[128:129], v[32:33]
	v_fma_f64 v[18:19], v[126:127], v[32:33], -v[34:35]
	;; [unrolled: 7-line block ×4, first 2 shown]
	v_add_f64 v[6:7], v[6:7], v[156:157]
	v_add_f64 v[4:5], v[4:5], v[20:21]
	v_fmac_f64_e32 v[160:161], v[140:141], v[44:45]
	v_fma_f64 v[24:25], v[138:139], v[44:45], -v[46:47]
	v_add_f64 v[6:7], v[6:7], v[158:159]
	v_add_f64 v[4:5], v[4:5], v[22:23]
	;; [unrolled: 1-line block ×4, first 2 shown]
	s_waitcnt vmcnt(0)
	v_add_f64 v[4:5], v[48:49], -v[4:5]
	v_add_f64 v[6:7], v[50:51], -v[6:7]
	scratch_store_dwordx4 off, v[4:7], off offset:144
	s_and_saveexec_b64 s[2:3], vcc
	s_cbranch_execz .LBB20_123
; %bb.122:
	scratch_load_dwordx4 v[6:9], off, s17
	v_mov_b32_e32 v3, v2
	v_mov_b32_e32 v4, v2
	;; [unrolled: 1-line block ×3, first 2 shown]
	scratch_store_dwordx4 off, v[2:5], off offset:128
	s_waitcnt vmcnt(1)
	ds_write_b128 v56, v[6:9]
.LBB20_123:
	s_or_b64 exec, exec, s[2:3]
	s_waitcnt lgkmcnt(0)
	; wave barrier
	ds_read_b128 v[4:7], v2 offset:480
	ds_read_b128 v[8:11], v2 offset:496
	;; [unrolled: 1-line block ×4, first 2 shown]
	scratch_load_dwordx4 v[20:23], off, off offset:144
	scratch_load_dwordx4 v[40:43], off, off offset:208
	;; [unrolled: 1-line block ×6, first 2 shown]
	v_cmp_lt_u32_e32 vcc, 7, v1
	scratch_load_dwordx4 v[48:51], off, off offset:224
	scratch_load_dwordx4 v[58:61], off, off offset:240
	;; [unrolled: 1-line block ×3, first 2 shown]
	s_waitcnt vmcnt(8) lgkmcnt(3)
	v_mul_f64 v[24:25], v[4:5], v[22:23]
	v_fmac_f64_e32 v[24:25], v[6:7], v[20:21]
	v_add_f64 v[28:29], v[24:25], 0
	scratch_load_dwordx4 v[24:27], off, off offset:160
	s_waitcnt vmcnt(0) lgkmcnt(2)
	v_mul_f64 v[30:31], v[8:9], v[26:27]
	v_fmac_f64_e32 v[30:31], v[10:11], v[24:25]
	v_add_f64 v[32:33], v[28:29], v[30:31]
	scratch_load_dwordx4 v[28:31], off, off offset:176
	;; [unrolled: 5-line block ×3, first 2 shown]
	s_waitcnt vmcnt(0) lgkmcnt(0)
	v_mul_f64 v[38:39], v[16:17], v[34:35]
	v_fmac_f64_e32 v[38:39], v[18:19], v[32:33]
	v_add_f64 v[44:45], v[36:37], v[38:39]
	ds_read_b128 v[36:39], v2 offset:544
	s_waitcnt lgkmcnt(0)
	v_mul_f64 v[46:47], v[36:37], v[42:43]
	v_fmac_f64_e32 v[46:47], v[38:39], v[40:41]
	v_add_f64 v[52:53], v[44:45], v[46:47]
	ds_read_b128 v[44:47], v2 offset:560
	s_waitcnt lgkmcnt(0)
	;; [unrolled: 5-line block ×8, first 2 shown]
	v_mul_f64 v[2:3], v[138:139], v[144:145]
	v_fmac_f64_e32 v[2:3], v[140:141], v[142:143]
	v_add_f64 v[62:63], v[62:63], v[2:3]
	v_mul_f64 v[2:3], v[6:7], v[22:23]
	v_fma_f64 v[2:3], v[4:5], v[20:21], -v[2:3]
	v_mul_f64 v[4:5], v[10:11], v[26:27]
	v_add_f64 v[2:3], v[2:3], 0
	v_fma_f64 v[4:5], v[8:9], v[24:25], -v[4:5]
	v_add_f64 v[2:3], v[2:3], v[4:5]
	v_mul_f64 v[4:5], v[14:15], v[30:31]
	v_fma_f64 v[4:5], v[12:13], v[28:29], -v[4:5]
	v_add_f64 v[2:3], v[2:3], v[4:5]
	v_mul_f64 v[4:5], v[18:19], v[34:35]
	;; [unrolled: 3-line block ×10, first 2 shown]
	v_fma_f64 v[4:5], v[138:139], v[142:143], -v[4:5]
	v_add_f64 v[6:7], v[2:3], v[4:5]
	scratch_load_dwordx4 v[2:5], off, off offset:128
	s_waitcnt vmcnt(0)
	v_add_f64 v[2:3], v[2:3], -v[6:7]
	v_add_f64 v[4:5], v[4:5], -v[62:63]
	scratch_store_dwordx4 off, v[2:5], off offset:128
	s_and_saveexec_b64 s[2:3], vcc
	s_cbranch_execz .LBB20_125
; %bb.124:
	scratch_load_dwordx4 v[2:5], off, s30
	v_mov_b32_e32 v6, 0
	v_mov_b32_e32 v7, v6
	;; [unrolled: 1-line block ×4, first 2 shown]
	scratch_store_dwordx4 off, v[6:9], off offset:112
	s_waitcnt vmcnt(1)
	ds_write_b128 v56, v[2:5]
.LBB20_125:
	s_or_b64 exec, exec, s[2:3]
	v_mov_b32_e32 v2, 0
	s_waitcnt lgkmcnt(0)
	; wave barrier
	ds_read_b128 v[4:7], v2 offset:464
	ds_read_b128 v[8:11], v2 offset:480
	;; [unrolled: 1-line block ×4, first 2 shown]
	scratch_load_dwordx4 v[20:23], off, off offset:128
	scratch_load_dwordx4 v[40:43], off, off offset:192
	;; [unrolled: 1-line block ×7, first 2 shown]
	v_cmp_lt_u32_e32 vcc, 6, v1
	scratch_load_dwordx4 v[48:51], off, off offset:208
	scratch_load_dwordx4 v[58:61], off, off offset:224
	;; [unrolled: 1-line block ×3, first 2 shown]
	s_waitcnt vmcnt(9) lgkmcnt(3)
	v_mul_f64 v[24:25], v[4:5], v[22:23]
	v_fmac_f64_e32 v[24:25], v[6:7], v[20:21]
	v_add_f64 v[28:29], v[24:25], 0
	scratch_load_dwordx4 v[24:27], off, off offset:144
	v_mul_f64 v[6:7], v[6:7], v[22:23]
	v_fma_f64 v[4:5], v[4:5], v[20:21], -v[6:7]
	v_add_f64 v[4:5], v[4:5], 0
	s_waitcnt vmcnt(0) lgkmcnt(2)
	v_mul_f64 v[30:31], v[8:9], v[26:27]
	v_fmac_f64_e32 v[30:31], v[10:11], v[24:25]
	v_add_f64 v[32:33], v[28:29], v[30:31]
	scratch_load_dwordx4 v[28:31], off, off offset:160
	v_mul_f64 v[6:7], v[10:11], v[26:27]
	v_fma_f64 v[6:7], v[8:9], v[24:25], -v[6:7]
	v_add_f64 v[4:5], v[4:5], v[6:7]
	;; [unrolled: 8-line block ×3, first 2 shown]
	s_waitcnt vmcnt(0) lgkmcnt(0)
	v_mul_f64 v[38:39], v[16:17], v[34:35]
	v_fmac_f64_e32 v[38:39], v[18:19], v[32:33]
	v_add_f64 v[44:45], v[36:37], v[38:39]
	ds_read_b128 v[36:39], v2 offset:528
	v_mul_f64 v[6:7], v[18:19], v[34:35]
	v_fma_f64 v[6:7], v[16:17], v[32:33], -v[6:7]
	v_add_f64 v[4:5], v[4:5], v[6:7]
	s_waitcnt lgkmcnt(0)
	v_mul_f64 v[46:47], v[36:37], v[42:43]
	v_fmac_f64_e32 v[46:47], v[38:39], v[40:41]
	v_add_f64 v[52:53], v[44:45], v[46:47]
	ds_read_b128 v[44:47], v2 offset:544
	v_mul_f64 v[6:7], v[38:39], v[42:43]
	v_fma_f64 v[6:7], v[36:37], v[40:41], -v[6:7]
	v_add_f64 v[4:5], v[4:5], v[6:7]
	s_waitcnt lgkmcnt(0)
	;; [unrolled: 8-line block ×9, first 2 shown]
	v_mul_f64 v[6:7], v[148:149], v[152:153]
	v_fma_f64 v[6:7], v[146:147], v[150:151], -v[6:7]
	v_add_f64 v[8:9], v[4:5], v[6:7]
	scratch_load_dwordx4 v[4:7], off, off offset:112
	v_mul_f64 v[154:155], v[146:147], v[152:153]
	v_fmac_f64_e32 v[154:155], v[148:149], v[150:151]
	v_add_f64 v[62:63], v[62:63], v[154:155]
	s_waitcnt vmcnt(0)
	v_add_f64 v[4:5], v[4:5], -v[8:9]
	v_add_f64 v[6:7], v[6:7], -v[62:63]
	scratch_store_dwordx4 off, v[4:7], off offset:112
	s_and_saveexec_b64 s[2:3], vcc
	s_cbranch_execz .LBB20_127
; %bb.126:
	scratch_load_dwordx4 v[6:9], off, s27
	v_mov_b32_e32 v3, v2
	v_mov_b32_e32 v4, v2
	v_mov_b32_e32 v5, v2
	scratch_store_dwordx4 off, v[2:5], off offset:96
	s_waitcnt vmcnt(1)
	ds_write_b128 v56, v[6:9]
.LBB20_127:
	s_or_b64 exec, exec, s[2:3]
	s_waitcnt lgkmcnt(0)
	; wave barrier
	ds_read_b128 v[4:7], v2 offset:448
	ds_read_b128 v[8:11], v2 offset:464
	;; [unrolled: 1-line block ×4, first 2 shown]
	scratch_load_dwordx4 v[20:23], off, off offset:112
	scratch_load_dwordx4 v[40:43], off, off offset:176
	;; [unrolled: 1-line block ×8, first 2 shown]
	v_cmp_lt_u32_e32 vcc, 5, v1
	scratch_load_dwordx4 v[48:51], off, off offset:192
	scratch_load_dwordx4 v[58:61], off, off offset:208
	;; [unrolled: 1-line block ×3, first 2 shown]
	s_waitcnt vmcnt(10) lgkmcnt(3)
	v_mul_f64 v[24:25], v[4:5], v[22:23]
	v_fmac_f64_e32 v[24:25], v[6:7], v[20:21]
	v_add_f64 v[28:29], v[24:25], 0
	scratch_load_dwordx4 v[24:27], off, off offset:128
	s_waitcnt vmcnt(0) lgkmcnt(2)
	v_mul_f64 v[30:31], v[8:9], v[26:27]
	v_fmac_f64_e32 v[30:31], v[10:11], v[24:25]
	v_add_f64 v[32:33], v[28:29], v[30:31]
	scratch_load_dwordx4 v[28:31], off, off offset:144
	;; [unrolled: 5-line block ×3, first 2 shown]
	s_waitcnt vmcnt(0) lgkmcnt(0)
	v_mul_f64 v[38:39], v[16:17], v[34:35]
	v_fmac_f64_e32 v[38:39], v[18:19], v[32:33]
	v_add_f64 v[44:45], v[36:37], v[38:39]
	ds_read_b128 v[36:39], v2 offset:512
	s_waitcnt lgkmcnt(0)
	v_mul_f64 v[46:47], v[36:37], v[42:43]
	v_fmac_f64_e32 v[46:47], v[38:39], v[40:41]
	v_add_f64 v[52:53], v[44:45], v[46:47]
	ds_read_b128 v[44:47], v2 offset:528
	s_waitcnt lgkmcnt(0)
	;; [unrolled: 5-line block ×10, first 2 shown]
	v_mul_f64 v[2:3], v[154:155], v[160:161]
	v_fmac_f64_e32 v[2:3], v[156:157], v[158:159]
	v_add_f64 v[62:63], v[62:63], v[2:3]
	v_mul_f64 v[2:3], v[6:7], v[22:23]
	v_fma_f64 v[2:3], v[4:5], v[20:21], -v[2:3]
	v_mul_f64 v[4:5], v[10:11], v[26:27]
	v_add_f64 v[2:3], v[2:3], 0
	v_fma_f64 v[4:5], v[8:9], v[24:25], -v[4:5]
	v_add_f64 v[2:3], v[2:3], v[4:5]
	v_mul_f64 v[4:5], v[14:15], v[30:31]
	v_fma_f64 v[4:5], v[12:13], v[28:29], -v[4:5]
	v_add_f64 v[2:3], v[2:3], v[4:5]
	v_mul_f64 v[4:5], v[18:19], v[34:35]
	;; [unrolled: 3-line block ×12, first 2 shown]
	v_fma_f64 v[4:5], v[154:155], v[158:159], -v[4:5]
	v_add_f64 v[6:7], v[2:3], v[4:5]
	scratch_load_dwordx4 v[2:5], off, off offset:96
	s_waitcnt vmcnt(0)
	v_add_f64 v[2:3], v[2:3], -v[6:7]
	v_add_f64 v[4:5], v[4:5], -v[62:63]
	scratch_store_dwordx4 off, v[2:5], off offset:96
	s_and_saveexec_b64 s[2:3], vcc
	s_cbranch_execz .LBB20_129
; %bb.128:
	scratch_load_dwordx4 v[2:5], off, s24
	v_mov_b32_e32 v6, 0
	v_mov_b32_e32 v7, v6
	;; [unrolled: 1-line block ×4, first 2 shown]
	scratch_store_dwordx4 off, v[6:9], off offset:80
	s_waitcnt vmcnt(1)
	ds_write_b128 v56, v[2:5]
.LBB20_129:
	s_or_b64 exec, exec, s[2:3]
	s_waitcnt lgkmcnt(0)
	; wave barrier
	scratch_load_dwordx4 v[4:7], off, off offset:96
	scratch_load_dwordx4 v[12:15], off, off offset:112
	;; [unrolled: 1-line block ×16, first 2 shown]
	v_mov_b32_e32 v2, 0
	ds_read_b128 v[114:117], v2 offset:432
	ds_read_b128 v[118:121], v2 offset:448
	;; [unrolled: 1-line block ×15, first 2 shown]
	v_cmp_lt_u32_e32 vcc, 4, v1
	s_waitcnt vmcnt(15) lgkmcnt(14)
	v_mul_f64 v[62:63], v[114:115], v[6:7]
	v_mul_f64 v[6:7], v[116:117], v[6:7]
	s_waitcnt vmcnt(14) lgkmcnt(13)
	v_mul_f64 v[174:175], v[118:119], v[14:15]
	v_mul_f64 v[14:15], v[120:121], v[14:15]
	v_fmac_f64_e32 v[62:63], v[116:117], v[4:5]
	v_fma_f64 v[4:5], v[114:115], v[4:5], -v[6:7]
	s_waitcnt vmcnt(13) lgkmcnt(12)
	v_mul_f64 v[176:177], v[122:123], v[10:11]
	v_mul_f64 v[10:11], v[124:125], v[10:11]
	v_fma_f64 v[6:7], v[118:119], v[12:13], -v[14:15]
	v_add_f64 v[4:5], v[4:5], 0
	s_waitcnt vmcnt(12) lgkmcnt(11)
	v_mul_f64 v[178:179], v[126:127], v[18:19]
	v_mul_f64 v[18:19], v[128:129], v[18:19]
	v_fmac_f64_e32 v[176:177], v[124:125], v[8:9]
	v_fma_f64 v[8:9], v[122:123], v[8:9], -v[10:11]
	v_add_f64 v[4:5], v[4:5], v[6:7]
	s_waitcnt vmcnt(11) lgkmcnt(10)
	v_mul_f64 v[180:181], v[130:131], v[22:23]
	v_mul_f64 v[22:23], v[132:133], v[22:23]
	v_fma_f64 v[10:11], v[126:127], v[16:17], -v[18:19]
	v_add_f64 v[4:5], v[4:5], v[8:9]
	s_waitcnt vmcnt(10) lgkmcnt(9)
	v_mul_f64 v[182:183], v[134:135], v[30:31]
	v_mul_f64 v[30:31], v[136:137], v[30:31]
	v_fmac_f64_e32 v[174:175], v[120:121], v[12:13]
	v_fma_f64 v[12:13], v[130:131], v[20:21], -v[22:23]
	v_add_f64 v[4:5], v[4:5], v[10:11]
	v_fma_f64 v[14:15], v[134:135], v[28:29], -v[30:31]
	v_add_f64 v[4:5], v[4:5], v[12:13]
	s_waitcnt vmcnt(9) lgkmcnt(8)
	v_mul_f64 v[8:9], v[140:141], v[26:27]
	v_add_f64 v[4:5], v[4:5], v[14:15]
	v_fma_f64 v[8:9], v[138:139], v[24:25], -v[8:9]
	v_add_f64 v[4:5], v[4:5], v[8:9]
	s_waitcnt vmcnt(8) lgkmcnt(7)
	v_mul_f64 v[8:9], v[144:145], v[34:35]
	v_fma_f64 v[8:9], v[142:143], v[32:33], -v[8:9]
	v_fmac_f64_e32 v[178:179], v[128:129], v[16:17]
	v_add_f64 v[16:17], v[62:63], 0
	v_add_f64 v[4:5], v[4:5], v[8:9]
	s_waitcnt vmcnt(7) lgkmcnt(6)
	v_mul_f64 v[8:9], v[148:149], v[38:39]
	v_add_f64 v[16:17], v[16:17], v[174:175]
	v_fma_f64 v[8:9], v[146:147], v[36:37], -v[8:9]
	v_add_f64 v[6:7], v[16:17], v[176:177]
	v_add_f64 v[4:5], v[4:5], v[8:9]
	s_waitcnt vmcnt(6) lgkmcnt(5)
	v_mul_f64 v[8:9], v[152:153], v[42:43]
	v_fmac_f64_e32 v[180:181], v[132:133], v[20:21]
	v_add_f64 v[6:7], v[6:7], v[178:179]
	v_fma_f64 v[8:9], v[150:151], v[40:41], -v[8:9]
	v_mul_f64 v[184:185], v[138:139], v[26:27]
	v_fmac_f64_e32 v[182:183], v[136:137], v[28:29]
	v_add_f64 v[6:7], v[6:7], v[180:181]
	v_add_f64 v[4:5], v[4:5], v[8:9]
	s_waitcnt vmcnt(5) lgkmcnt(4)
	v_mul_f64 v[8:9], v[156:157], v[46:47]
	v_mul_f64 v[186:187], v[142:143], v[34:35]
	v_fmac_f64_e32 v[184:185], v[140:141], v[24:25]
	v_add_f64 v[6:7], v[6:7], v[182:183]
	v_fma_f64 v[8:9], v[154:155], v[44:45], -v[8:9]
	v_mul_f64 v[188:189], v[146:147], v[38:39]
	v_fmac_f64_e32 v[186:187], v[144:145], v[32:33]
	v_add_f64 v[6:7], v[6:7], v[184:185]
	v_add_f64 v[4:5], v[4:5], v[8:9]
	s_waitcnt vmcnt(4) lgkmcnt(3)
	v_mul_f64 v[8:9], v[160:161], v[50:51]
	;; [unrolled: 10-line block ×4, first 2 shown]
	v_mul_f64 v[198:199], v[166:167], v[60:61]
	v_fmac_f64_e32 v[196:197], v[164:165], v[52:53]
	v_add_f64 v[6:7], v[6:7], v[194:195]
	v_fma_f64 v[8:9], v[166:167], v[58:59], -v[8:9]
	s_waitcnt vmcnt(1) lgkmcnt(0)
	v_mul_f64 v[200:201], v[170:171], v[108:109]
	v_fmac_f64_e32 v[198:199], v[168:169], v[58:59]
	v_add_f64 v[6:7], v[6:7], v[196:197]
	v_add_f64 v[4:5], v[4:5], v[8:9]
	v_mul_f64 v[8:9], v[172:173], v[108:109]
	v_fmac_f64_e32 v[200:201], v[172:173], v[106:107]
	v_add_f64 v[6:7], v[6:7], v[198:199]
	v_fma_f64 v[8:9], v[170:171], v[106:107], -v[8:9]
	v_add_f64 v[6:7], v[6:7], v[200:201]
	v_add_f64 v[4:5], v[4:5], v[8:9]
	s_waitcnt vmcnt(0)
	v_add_f64 v[4:5], v[110:111], -v[4:5]
	v_add_f64 v[6:7], v[112:113], -v[6:7]
	scratch_store_dwordx4 off, v[4:7], off offset:80
	s_and_saveexec_b64 s[2:3], vcc
	s_cbranch_execz .LBB20_131
; %bb.130:
	scratch_load_dwordx4 v[6:9], off, s16
	v_mov_b32_e32 v3, v2
	v_mov_b32_e32 v4, v2
	v_mov_b32_e32 v5, v2
	scratch_store_dwordx4 off, v[2:5], off offset:64
	s_waitcnt vmcnt(1)
	ds_write_b128 v56, v[6:9]
.LBB20_131:
	s_or_b64 exec, exec, s[2:3]
	s_waitcnt lgkmcnt(0)
	; wave barrier
	scratch_load_dwordx4 v[4:7], off, off offset:80
	scratch_load_dwordx4 v[8:11], off, off offset:96
	;; [unrolled: 1-line block ×16, first 2 shown]
	ds_read_b128 v[114:117], v2 offset:416
	ds_read_b128 v[118:121], v2 offset:432
	;; [unrolled: 1-line block ×16, first 2 shown]
	scratch_load_dwordx4 v[178:181], off, off offset:64
	v_cmp_lt_u32_e32 vcc, 3, v1
	s_waitcnt vmcnt(16) lgkmcnt(14)
	v_mul_f64 v[2:3], v[114:115], v[6:7]
	s_waitcnt vmcnt(15)
	v_mul_f64 v[62:63], v[118:119], v[10:11]
	v_fmac_f64_e32 v[2:3], v[116:117], v[4:5]
	s_waitcnt vmcnt(14) lgkmcnt(13)
	v_mul_f64 v[182:183], v[122:123], v[14:15]
	v_fmac_f64_e32 v[62:63], v[120:121], v[8:9]
	v_add_f64 v[2:3], v[2:3], 0
	s_waitcnt vmcnt(13) lgkmcnt(12)
	v_mul_f64 v[184:185], v[126:127], v[18:19]
	v_fmac_f64_e32 v[182:183], v[124:125], v[12:13]
	v_add_f64 v[2:3], v[2:3], v[62:63]
	;; [unrolled: 4-line block ×10, first 2 shown]
	s_waitcnt vmcnt(4) lgkmcnt(3)
	v_mul_f64 v[202:203], v[162:163], v[54:55]
	v_mul_f64 v[6:7], v[116:117], v[6:7]
	v_fmac_f64_e32 v[200:201], v[160:161], v[48:49]
	v_add_f64 v[2:3], v[2:3], v[198:199]
	s_waitcnt vmcnt(3) lgkmcnt(2)
	v_mul_f64 v[204:205], v[166:167], v[60:61]
	v_mul_f64 v[10:11], v[120:121], v[10:11]
	v_fmac_f64_e32 v[202:203], v[164:165], v[52:53]
	v_fma_f64 v[4:5], v[114:115], v[4:5], -v[6:7]
	v_add_f64 v[2:3], v[2:3], v[200:201]
	s_waitcnt vmcnt(2) lgkmcnt(1)
	v_mul_f64 v[206:207], v[170:171], v[108:109]
	v_mul_f64 v[14:15], v[124:125], v[14:15]
	v_fmac_f64_e32 v[204:205], v[168:169], v[58:59]
	v_fma_f64 v[6:7], v[118:119], v[8:9], -v[10:11]
	v_add_f64 v[4:5], v[4:5], 0
	v_add_f64 v[2:3], v[2:3], v[202:203]
	s_waitcnt vmcnt(1) lgkmcnt(0)
	v_mul_f64 v[208:209], v[174:175], v[112:113]
	v_mul_f64 v[18:19], v[128:129], v[18:19]
	v_fmac_f64_e32 v[206:207], v[172:173], v[106:107]
	v_fma_f64 v[8:9], v[122:123], v[12:13], -v[14:15]
	v_add_f64 v[4:5], v[4:5], v[6:7]
	v_add_f64 v[2:3], v[2:3], v[204:205]
	v_mul_f64 v[26:27], v[132:133], v[26:27]
	v_fmac_f64_e32 v[208:209], v[176:177], v[110:111]
	v_fma_f64 v[10:11], v[126:127], v[16:17], -v[18:19]
	v_add_f64 v[4:5], v[4:5], v[8:9]
	v_add_f64 v[2:3], v[2:3], v[206:207]
	v_fma_f64 v[12:13], v[130:131], v[24:25], -v[26:27]
	v_add_f64 v[4:5], v[4:5], v[10:11]
	v_add_f64 v[6:7], v[2:3], v[208:209]
	v_mul_f64 v[2:3], v[136:137], v[22:23]
	v_add_f64 v[4:5], v[4:5], v[12:13]
	v_fma_f64 v[2:3], v[134:135], v[20:21], -v[2:3]
	v_add_f64 v[2:3], v[4:5], v[2:3]
	v_mul_f64 v[4:5], v[140:141], v[30:31]
	v_fma_f64 v[4:5], v[138:139], v[28:29], -v[4:5]
	v_add_f64 v[2:3], v[2:3], v[4:5]
	v_mul_f64 v[4:5], v[144:145], v[34:35]
	;; [unrolled: 3-line block ×10, first 2 shown]
	v_fma_f64 v[4:5], v[174:175], v[110:111], -v[4:5]
	v_add_f64 v[2:3], v[2:3], v[4:5]
	s_waitcnt vmcnt(0)
	v_add_f64 v[2:3], v[178:179], -v[2:3]
	v_add_f64 v[4:5], v[180:181], -v[6:7]
	scratch_store_dwordx4 off, v[2:5], off offset:64
	s_and_saveexec_b64 s[2:3], vcc
	s_cbranch_execz .LBB20_133
; %bb.132:
	scratch_load_dwordx4 v[2:5], off, s15
	v_mov_b32_e32 v6, 0
	v_mov_b32_e32 v7, v6
	;; [unrolled: 1-line block ×4, first 2 shown]
	scratch_store_dwordx4 off, v[6:9], off offset:48
	s_waitcnt vmcnt(1)
	ds_write_b128 v56, v[2:5]
.LBB20_133:
	s_or_b64 exec, exec, s[2:3]
	s_waitcnt lgkmcnt(0)
	; wave barrier
	scratch_load_dwordx4 v[4:7], off, off offset:64
	scratch_load_dwordx4 v[8:11], off, off offset:80
	;; [unrolled: 1-line block ×18, first 2 shown]
	v_mov_b32_e32 v2, 0
	ds_read_b128 v[122:125], v2 offset:400
	ds_read_b128 v[126:129], v2 offset:416
	;; [unrolled: 1-line block ×17, first 2 shown]
	v_cmp_lt_u32_e32 vcc, 2, v1
	s_waitcnt vmcnt(17) lgkmcnt(14)
	v_mul_f64 v[62:63], v[122:123], v[6:7]
	v_mul_f64 v[6:7], v[124:125], v[6:7]
	s_waitcnt vmcnt(16)
	v_mul_f64 v[190:191], v[126:127], v[10:11]
	v_mul_f64 v[10:11], v[128:129], v[10:11]
	v_fmac_f64_e32 v[62:63], v[124:125], v[4:5]
	v_fma_f64 v[4:5], v[122:123], v[4:5], -v[6:7]
	s_waitcnt vmcnt(15)
	v_mul_f64 v[192:193], v[130:131], v[18:19]
	v_mul_f64 v[18:19], v[132:133], v[18:19]
	v_fma_f64 v[6:7], v[126:127], v[8:9], -v[10:11]
	v_add_f64 v[4:5], v[4:5], 0
	s_waitcnt vmcnt(14) lgkmcnt(13)
	v_mul_f64 v[194:195], v[134:135], v[14:15]
	v_mul_f64 v[14:15], v[136:137], v[14:15]
	v_fmac_f64_e32 v[190:191], v[128:129], v[8:9]
	v_fma_f64 v[8:9], v[130:131], v[16:17], -v[18:19]
	v_add_f64 v[4:5], v[4:5], v[6:7]
	v_add_f64 v[4:5], v[4:5], v[8:9]
	v_fma_f64 v[8:9], v[134:135], v[12:13], -v[14:15]
	v_add_f64 v[4:5], v[4:5], v[8:9]
	s_waitcnt vmcnt(13) lgkmcnt(12)
	v_mul_f64 v[8:9], v[140:141], v[22:23]
	v_fma_f64 v[8:9], v[138:139], v[20:21], -v[8:9]
	v_add_f64 v[4:5], v[4:5], v[8:9]
	s_waitcnt vmcnt(12) lgkmcnt(11)
	v_mul_f64 v[8:9], v[144:145], v[26:27]
	v_fma_f64 v[8:9], v[142:143], v[24:25], -v[8:9]
	v_add_f64 v[4:5], v[4:5], v[8:9]
	s_waitcnt vmcnt(11) lgkmcnt(10)
	v_mul_f64 v[8:9], v[148:149], v[30:31]
	v_fma_f64 v[8:9], v[146:147], v[28:29], -v[8:9]
	v_add_f64 v[4:5], v[4:5], v[8:9]
	s_waitcnt vmcnt(10) lgkmcnt(9)
	v_mul_f64 v[8:9], v[152:153], v[34:35]
	v_fma_f64 v[8:9], v[150:151], v[32:33], -v[8:9]
	v_add_f64 v[4:5], v[4:5], v[8:9]
	s_waitcnt vmcnt(9) lgkmcnt(8)
	v_mul_f64 v[8:9], v[156:157], v[38:39]
	v_fma_f64 v[8:9], v[154:155], v[36:37], -v[8:9]
	v_add_f64 v[10:11], v[62:63], 0
	v_add_f64 v[4:5], v[4:5], v[8:9]
	s_waitcnt vmcnt(8) lgkmcnt(7)
	v_mul_f64 v[8:9], v[160:161], v[42:43]
	v_fmac_f64_e32 v[192:193], v[132:133], v[16:17]
	v_add_f64 v[10:11], v[10:11], v[190:191]
	v_fma_f64 v[8:9], v[158:159], v[40:41], -v[8:9]
	v_mul_f64 v[196:197], v[138:139], v[22:23]
	v_fmac_f64_e32 v[194:195], v[136:137], v[12:13]
	v_add_f64 v[6:7], v[10:11], v[192:193]
	v_add_f64 v[4:5], v[4:5], v[8:9]
	s_waitcnt vmcnt(7) lgkmcnt(6)
	v_mul_f64 v[8:9], v[164:165], v[46:47]
	v_mul_f64 v[198:199], v[142:143], v[26:27]
	v_fmac_f64_e32 v[196:197], v[140:141], v[20:21]
	v_add_f64 v[6:7], v[6:7], v[194:195]
	v_fma_f64 v[8:9], v[162:163], v[44:45], -v[8:9]
	v_mul_f64 v[200:201], v[146:147], v[30:31]
	v_fmac_f64_e32 v[198:199], v[144:145], v[24:25]
	v_add_f64 v[6:7], v[6:7], v[196:197]
	v_add_f64 v[4:5], v[4:5], v[8:9]
	s_waitcnt vmcnt(6) lgkmcnt(5)
	v_mul_f64 v[8:9], v[168:169], v[50:51]
	;; [unrolled: 10-line block ×6, first 2 shown]
	v_mul_f64 v[218:219], v[182:183], v[112:113]
	v_fmac_f64_e32 v[216:217], v[180:181], v[106:107]
	v_add_f64 v[6:7], v[6:7], v[214:215]
	v_fma_f64 v[8:9], v[182:183], v[110:111], -v[8:9]
	s_waitcnt vmcnt(1) lgkmcnt(0)
	v_mul_f64 v[220:221], v[186:187], v[116:117]
	v_fmac_f64_e32 v[218:219], v[184:185], v[110:111]
	v_add_f64 v[6:7], v[6:7], v[216:217]
	v_add_f64 v[4:5], v[4:5], v[8:9]
	v_mul_f64 v[8:9], v[188:189], v[116:117]
	v_fmac_f64_e32 v[220:221], v[188:189], v[114:115]
	v_add_f64 v[6:7], v[6:7], v[218:219]
	v_fma_f64 v[8:9], v[186:187], v[114:115], -v[8:9]
	v_add_f64 v[6:7], v[6:7], v[220:221]
	v_add_f64 v[4:5], v[4:5], v[8:9]
	s_waitcnt vmcnt(0)
	v_add_f64 v[4:5], v[118:119], -v[4:5]
	v_add_f64 v[6:7], v[120:121], -v[6:7]
	scratch_store_dwordx4 off, v[4:7], off offset:48
	s_and_saveexec_b64 s[2:3], vcc
	s_cbranch_execz .LBB20_135
; %bb.134:
	scratch_load_dwordx4 v[6:9], off, s14
	v_mov_b32_e32 v3, v2
	v_mov_b32_e32 v4, v2
	;; [unrolled: 1-line block ×3, first 2 shown]
	scratch_store_dwordx4 off, v[2:5], off offset:32
	s_waitcnt vmcnt(1)
	ds_write_b128 v56, v[6:9]
.LBB20_135:
	s_or_b64 exec, exec, s[2:3]
	s_waitcnt lgkmcnt(0)
	; wave barrier
	scratch_load_dwordx4 v[4:7], off, off offset:48
	scratch_load_dwordx4 v[12:15], off, off offset:64
	;; [unrolled: 1-line block ×18, first 2 shown]
	ds_read_b128 v[122:125], v2 offset:384
	ds_read_b128 v[126:129], v2 offset:400
	;; [unrolled: 1-line block ×18, first 2 shown]
	scratch_load_dwordx4 v[194:197], off, off offset:32
	v_cmp_lt_u32_e32 vcc, 1, v1
	s_waitcnt vmcnt(18) lgkmcnt(14)
	v_mul_f64 v[2:3], v[122:123], v[6:7]
	s_waitcnt vmcnt(17)
	v_mul_f64 v[62:63], v[126:127], v[14:15]
	v_fmac_f64_e32 v[2:3], v[124:125], v[4:5]
	s_waitcnt vmcnt(16)
	v_mul_f64 v[198:199], v[130:131], v[10:11]
	v_fmac_f64_e32 v[62:63], v[128:129], v[12:13]
	v_add_f64 v[2:3], v[2:3], 0
	s_waitcnt vmcnt(15)
	v_mul_f64 v[200:201], v[134:135], v[18:19]
	v_fmac_f64_e32 v[198:199], v[132:133], v[8:9]
	v_add_f64 v[2:3], v[2:3], v[62:63]
	s_waitcnt vmcnt(14) lgkmcnt(13)
	v_mul_f64 v[202:203], v[138:139], v[22:23]
	v_fmac_f64_e32 v[200:201], v[136:137], v[16:17]
	v_add_f64 v[2:3], v[2:3], v[198:199]
	s_waitcnt vmcnt(13) lgkmcnt(12)
	;; [unrolled: 4-line block ×13, first 2 shown]
	v_mul_f64 v[226:227], v[186:187], v[116:117]
	v_mul_f64 v[6:7], v[124:125], v[6:7]
	v_fmac_f64_e32 v[224:225], v[184:185], v[110:111]
	v_add_f64 v[2:3], v[2:3], v[222:223]
	s_waitcnt vmcnt(1) lgkmcnt(0)
	v_mul_f64 v[228:229], v[190:191], v[120:121]
	v_mul_f64 v[14:15], v[128:129], v[14:15]
	v_fmac_f64_e32 v[226:227], v[188:189], v[114:115]
	v_fma_f64 v[4:5], v[122:123], v[4:5], -v[6:7]
	v_add_f64 v[2:3], v[2:3], v[224:225]
	v_mul_f64 v[10:11], v[132:133], v[10:11]
	v_fmac_f64_e32 v[228:229], v[192:193], v[118:119]
	v_fma_f64 v[6:7], v[126:127], v[12:13], -v[14:15]
	v_add_f64 v[4:5], v[4:5], 0
	v_add_f64 v[2:3], v[2:3], v[226:227]
	;; [unrolled: 1-line block ×4, first 2 shown]
	v_fma_f64 v[2:3], v[130:131], v[8:9], -v[10:11]
	v_add_f64 v[2:3], v[4:5], v[2:3]
	v_mul_f64 v[4:5], v[136:137], v[18:19]
	v_fma_f64 v[4:5], v[134:135], v[16:17], -v[4:5]
	v_add_f64 v[2:3], v[2:3], v[4:5]
	v_mul_f64 v[4:5], v[140:141], v[22:23]
	;; [unrolled: 3-line block ×15, first 2 shown]
	v_fma_f64 v[4:5], v[190:191], v[118:119], -v[4:5]
	v_add_f64 v[2:3], v[2:3], v[4:5]
	s_waitcnt vmcnt(0)
	v_add_f64 v[2:3], v[194:195], -v[2:3]
	v_add_f64 v[4:5], v[196:197], -v[6:7]
	scratch_store_dwordx4 off, v[2:5], off offset:32
	s_and_saveexec_b64 s[2:3], vcc
	s_cbranch_execz .LBB20_137
; %bb.136:
	scratch_load_dwordx4 v[2:5], off, s19
	v_mov_b32_e32 v6, 0
	v_mov_b32_e32 v7, v6
	;; [unrolled: 1-line block ×4, first 2 shown]
	scratch_store_dwordx4 off, v[6:9], off offset:16
	s_waitcnt vmcnt(1)
	ds_write_b128 v56, v[2:5]
.LBB20_137:
	s_or_b64 exec, exec, s[2:3]
	s_waitcnt lgkmcnt(0)
	; wave barrier
	scratch_load_dwordx4 v[8:11], off, off offset:32
	scratch_load_dwordx4 v[4:7], off, off offset:48
	;; [unrolled: 1-line block ×20, first 2 shown]
	v_mov_b32_e32 v2, 0
	ds_read_b128 v[130:133], v2 offset:368
	ds_read_b128 v[134:137], v2 offset:384
	;; [unrolled: 1-line block ×19, first 2 shown]
	v_cmp_ne_u32_e32 vcc, 0, v1
	s_waitcnt vmcnt(19) lgkmcnt(14)
	v_mul_f64 v[62:63], v[130:131], v[10:11]
	v_mul_f64 v[10:11], v[132:133], v[10:11]
	s_waitcnt vmcnt(18)
	v_mul_f64 v[206:207], v[134:135], v[6:7]
	v_fmac_f64_e32 v[62:63], v[132:133], v[8:9]
	v_fma_f64 v[8:9], v[130:131], v[8:9], -v[10:11]
	v_mul_f64 v[6:7], v[136:137], v[6:7]
	v_fmac_f64_e32 v[206:207], v[136:137], v[4:5]
	v_add_f64 v[8:9], v[8:9], 0
	v_fma_f64 v[4:5], v[134:135], v[4:5], -v[6:7]
	s_waitcnt vmcnt(17)
	v_mul_f64 v[6:7], v[140:141], v[14:15]
	v_add_f64 v[4:5], v[8:9], v[4:5]
	v_fma_f64 v[6:7], v[138:139], v[12:13], -v[6:7]
	v_add_f64 v[4:5], v[4:5], v[6:7]
	s_waitcnt vmcnt(16)
	v_mul_f64 v[6:7], v[144:145], v[18:19]
	v_fma_f64 v[6:7], v[142:143], v[16:17], -v[6:7]
	v_add_f64 v[4:5], v[4:5], v[6:7]
	s_waitcnt vmcnt(15)
	v_mul_f64 v[6:7], v[148:149], v[22:23]
	v_fma_f64 v[6:7], v[146:147], v[20:21], -v[6:7]
	v_add_f64 v[4:5], v[4:5], v[6:7]
	s_waitcnt vmcnt(14) lgkmcnt(13)
	v_mul_f64 v[6:7], v[152:153], v[26:27]
	v_fma_f64 v[6:7], v[150:151], v[24:25], -v[6:7]
	v_add_f64 v[4:5], v[4:5], v[6:7]
	s_waitcnt vmcnt(13) lgkmcnt(12)
	;; [unrolled: 4-line block ×5, first 2 shown]
	v_mul_f64 v[6:7], v[168:169], v[42:43]
	v_fma_f64 v[6:7], v[166:167], v[40:41], -v[6:7]
	v_mul_f64 v[208:209], v[138:139], v[14:15]
	v_add_f64 v[10:11], v[62:63], 0
	v_add_f64 v[4:5], v[4:5], v[6:7]
	s_waitcnt vmcnt(9) lgkmcnt(8)
	v_mul_f64 v[6:7], v[172:173], v[46:47]
	v_mul_f64 v[210:211], v[142:143], v[18:19]
	v_fmac_f64_e32 v[208:209], v[140:141], v[12:13]
	v_add_f64 v[10:11], v[10:11], v[206:207]
	v_fma_f64 v[6:7], v[170:171], v[44:45], -v[6:7]
	v_mul_f64 v[212:213], v[146:147], v[22:23]
	v_fmac_f64_e32 v[210:211], v[144:145], v[16:17]
	v_add_f64 v[10:11], v[10:11], v[208:209]
	v_add_f64 v[4:5], v[4:5], v[6:7]
	s_waitcnt vmcnt(8) lgkmcnt(7)
	v_mul_f64 v[6:7], v[176:177], v[50:51]
	v_mul_f64 v[214:215], v[150:151], v[26:27]
	v_fmac_f64_e32 v[212:213], v[148:149], v[20:21]
	v_add_f64 v[10:11], v[10:11], v[210:211]
	v_fma_f64 v[6:7], v[174:175], v[48:49], -v[6:7]
	v_mul_f64 v[216:217], v[154:155], v[30:31]
	v_fmac_f64_e32 v[214:215], v[152:153], v[24:25]
	;; [unrolled: 10-line block ×7, first 2 shown]
	v_add_f64 v[10:11], v[10:11], v[232:233]
	v_add_f64 v[4:5], v[4:5], v[6:7]
	s_waitcnt vmcnt(2) lgkmcnt(1)
	v_mul_f64 v[6:7], v[200:201], v[120:121]
	v_mul_f64 v[238:239], v[198:199], v[120:121]
	v_fmac_f64_e32 v[236:237], v[196:197], v[114:115]
	v_add_f64 v[10:11], v[10:11], v[234:235]
	v_fma_f64 v[6:7], v[198:199], v[118:119], -v[6:7]
	s_waitcnt vmcnt(1) lgkmcnt(0)
	v_mul_f64 v[240:241], v[202:203], v[124:125]
	v_fmac_f64_e32 v[238:239], v[200:201], v[118:119]
	v_add_f64 v[10:11], v[10:11], v[236:237]
	v_add_f64 v[4:5], v[4:5], v[6:7]
	v_mul_f64 v[6:7], v[204:205], v[124:125]
	v_fmac_f64_e32 v[240:241], v[204:205], v[122:123]
	v_add_f64 v[10:11], v[10:11], v[238:239]
	v_fma_f64 v[6:7], v[202:203], v[122:123], -v[6:7]
	v_add_f64 v[10:11], v[10:11], v[240:241]
	v_add_f64 v[4:5], v[4:5], v[6:7]
	s_waitcnt vmcnt(0)
	v_add_f64 v[4:5], v[126:127], -v[4:5]
	v_add_f64 v[6:7], v[128:129], -v[10:11]
	scratch_store_dwordx4 off, v[4:7], off offset:16
	s_and_saveexec_b64 s[2:3], vcc
	s_cbranch_execz .LBB20_139
; %bb.138:
	scratch_load_dwordx4 v[6:9], off, off
	v_mov_b32_e32 v3, v2
	v_mov_b32_e32 v4, v2
	;; [unrolled: 1-line block ×3, first 2 shown]
	scratch_store_dwordx4 off, v[2:5], off
	s_waitcnt vmcnt(1)
	ds_write_b128 v56, v[6:9]
.LBB20_139:
	s_or_b64 exec, exec, s[2:3]
	s_waitcnt lgkmcnt(0)
	; wave barrier
	scratch_load_dwordx4 v[4:7], off, off offset:16
	scratch_load_dwordx4 v[8:11], off, off offset:32
	;; [unrolled: 1-line block ×20, first 2 shown]
	ds_read_b128 v[126:129], v2 offset:352
	ds_read_b128 v[130:133], v2 offset:368
	;; [unrolled: 1-line block ×20, first 2 shown]
	scratch_load_dwordx4 v[206:209], off, off
	s_and_b64 vcc, exec, s[22:23]
	s_waitcnt vmcnt(20) lgkmcnt(14)
	v_mul_f64 v[2:3], v[126:127], v[6:7]
	s_waitcnt vmcnt(19)
	v_mul_f64 v[210:211], v[130:131], v[10:11]
	v_fmac_f64_e32 v[2:3], v[128:129], v[4:5]
	s_waitcnt vmcnt(18)
	v_mul_f64 v[212:213], v[134:135], v[14:15]
	v_fmac_f64_e32 v[210:211], v[132:133], v[8:9]
	v_add_f64 v[2:3], v[2:3], 0
	s_waitcnt vmcnt(17)
	v_mul_f64 v[214:215], v[138:139], v[18:19]
	v_fmac_f64_e32 v[212:213], v[136:137], v[12:13]
	v_add_f64 v[2:3], v[2:3], v[210:211]
	;; [unrolled: 4-line block ×4, first 2 shown]
	s_waitcnt vmcnt(14) lgkmcnt(13)
	v_mul_f64 v[220:221], v[150:151], v[30:31]
	v_fmac_f64_e32 v[218:219], v[148:149], v[24:25]
	v_add_f64 v[2:3], v[2:3], v[216:217]
	s_waitcnt vmcnt(13) lgkmcnt(12)
	v_mul_f64 v[222:223], v[154:155], v[34:35]
	v_fmac_f64_e32 v[220:221], v[152:153], v[28:29]
	v_add_f64 v[2:3], v[2:3], v[218:219]
	s_waitcnt vmcnt(12) lgkmcnt(11)
	v_mul_f64 v[224:225], v[158:159], v[38:39]
	v_fmac_f64_e32 v[222:223], v[156:157], v[32:33]
	v_add_f64 v[2:3], v[2:3], v[220:221]
	s_waitcnt vmcnt(11) lgkmcnt(10)
	v_mul_f64 v[226:227], v[162:163], v[42:43]
	v_fmac_f64_e32 v[224:225], v[160:161], v[36:37]
	v_add_f64 v[2:3], v[2:3], v[222:223]
	s_waitcnt vmcnt(10) lgkmcnt(9)
	v_mul_f64 v[228:229], v[166:167], v[46:47]
	v_fmac_f64_e32 v[226:227], v[164:165], v[40:41]
	v_add_f64 v[2:3], v[2:3], v[224:225]
	s_waitcnt vmcnt(9) lgkmcnt(8)
	v_mul_f64 v[230:231], v[170:171], v[50:51]
	v_fmac_f64_e32 v[228:229], v[168:169], v[44:45]
	v_add_f64 v[2:3], v[2:3], v[226:227]
	s_waitcnt vmcnt(8) lgkmcnt(7)
	v_mul_f64 v[232:233], v[174:175], v[54:55]
	v_fmac_f64_e32 v[230:231], v[172:173], v[48:49]
	v_add_f64 v[2:3], v[2:3], v[228:229]
	s_waitcnt vmcnt(7) lgkmcnt(6)
	v_mul_f64 v[234:235], v[178:179], v[58:59]
	v_fmac_f64_e32 v[232:233], v[176:177], v[52:53]
	v_add_f64 v[2:3], v[2:3], v[230:231]
	s_waitcnt vmcnt(6) lgkmcnt(5)
	v_mul_f64 v[236:237], v[182:183], v[62:63]
	v_fmac_f64_e32 v[234:235], v[180:181], v[56:57]
	v_add_f64 v[2:3], v[2:3], v[232:233]
	s_waitcnt vmcnt(5) lgkmcnt(4)
	v_mul_f64 v[238:239], v[186:187], v[108:109]
	v_fmac_f64_e32 v[236:237], v[184:185], v[60:61]
	v_add_f64 v[2:3], v[2:3], v[234:235]
	s_waitcnt vmcnt(4) lgkmcnt(3)
	v_mul_f64 v[240:241], v[190:191], v[112:113]
	v_fmac_f64_e32 v[238:239], v[188:189], v[106:107]
	v_add_f64 v[2:3], v[2:3], v[236:237]
	s_waitcnt vmcnt(3) lgkmcnt(2)
	v_mul_f64 v[242:243], v[194:195], v[116:117]
	v_fmac_f64_e32 v[240:241], v[192:193], v[110:111]
	v_add_f64 v[2:3], v[2:3], v[238:239]
	s_waitcnt vmcnt(2) lgkmcnt(1)
	v_mul_f64 v[244:245], v[198:199], v[120:121]
	v_fmac_f64_e32 v[242:243], v[196:197], v[114:115]
	v_add_f64 v[2:3], v[2:3], v[240:241]
	s_waitcnt vmcnt(1) lgkmcnt(0)
	v_mul_f64 v[246:247], v[202:203], v[124:125]
	v_fmac_f64_e32 v[244:245], v[200:201], v[118:119]
	v_add_f64 v[2:3], v[2:3], v[242:243]
	v_add_f64 v[2:3], v[2:3], v[244:245]
	v_fmac_f64_e32 v[246:247], v[204:205], v[122:123]
	v_add_f64 v[210:211], v[2:3], v[246:247]
	v_mul_f64 v[2:3], v[128:129], v[6:7]
	v_fma_f64 v[2:3], v[126:127], v[4:5], -v[2:3]
	v_mul_f64 v[4:5], v[132:133], v[10:11]
	v_add_f64 v[2:3], v[2:3], 0
	v_fma_f64 v[4:5], v[130:131], v[8:9], -v[4:5]
	v_add_f64 v[2:3], v[2:3], v[4:5]
	v_mul_f64 v[4:5], v[136:137], v[14:15]
	v_fma_f64 v[4:5], v[134:135], v[12:13], -v[4:5]
	v_add_f64 v[2:3], v[2:3], v[4:5]
	v_mul_f64 v[4:5], v[140:141], v[18:19]
	;; [unrolled: 3-line block ×18, first 2 shown]
	v_fma_f64 v[4:5], v[202:203], v[122:123], -v[4:5]
	v_add_f64 v[2:3], v[2:3], v[4:5]
	s_waitcnt vmcnt(0)
	v_add_f64 v[2:3], v[206:207], -v[2:3]
	v_add_f64 v[4:5], v[208:209], -v[210:211]
	scratch_store_dwordx4 off, v[2:5], off
	s_cbranch_vccz .LBB20_180
; %bb.140:
	s_nop 0
	v_mov_b32_e32 v2, 0
	global_load_dword v3, v2, s[20:21] offset:76
	s_load_dwordx2 s[2:3], s[0:1], 0x4
	v_bfe_u32 v4, v0, 10, 10
	v_bfe_u32 v0, v0, 20, 10
	s_waitcnt lgkmcnt(0)
	s_lshr_b32 s0, s2, 16
	s_mul_i32 s0, s0, s3
	v_mul_u32_u24_e32 v1, s0, v1
	v_mul_u32_u24_e32 v4, s3, v4
	v_add3_u32 v0, v1, v4, v0
	v_mov_b32_e32 v1, 0x2a8
	v_lshl_add_u32 v0, v0, 4, v1
	s_waitcnt vmcnt(0)
	v_readfirstlane_b32 s0, v3
	s_add_i32 s0, s0, -1
	s_cmp_lg_u32 s0, 19
	s_cbranch_scc0 .LBB20_142
; %bb.141:
	s_lshl_b32 s0, s0, 4
	scratch_load_dwordx4 v[4:7], off, s31
	scratch_load_dwordx4 v[8:11], off, s0
	s_waitcnt vmcnt(1)
	ds_write2_b64 v0, v[4:5], v[6:7] offset1:1
	s_waitcnt vmcnt(0)
	scratch_store_dwordx4 off, v[8:11], s31
	scratch_store_dwordx4 off, v[4:7], s0
.LBB20_142:
	global_load_dword v1, v2, s[20:21] offset:72
	s_waitcnt vmcnt(0)
	v_readfirstlane_b32 s0, v1
	s_add_i32 s0, s0, -1
	s_cmp_eq_u32 s0, 18
	s_cbranch_scc1 .LBB20_144
; %bb.143:
	s_lshl_b32 s0, s0, 4
	scratch_load_dwordx4 v[2:5], off, s28
	scratch_load_dwordx4 v[6:9], off, s0
	s_waitcnt vmcnt(1)
	ds_write2_b64 v0, v[2:3], v[4:5] offset1:1
	s_waitcnt vmcnt(0)
	scratch_store_dwordx4 off, v[6:9], s28
	scratch_store_dwordx4 off, v[2:5], s0
.LBB20_144:
	v_mov_b32_e32 v1, 0
	global_load_dword v2, v1, s[20:21] offset:68
	s_waitcnt vmcnt(0)
	v_readfirstlane_b32 s0, v2
	s_add_i32 s0, s0, -1
	s_cmp_eq_u32 s0, 17
	s_cbranch_scc1 .LBB20_146
; %bb.145:
	s_lshl_b32 s0, s0, 4
	scratch_load_dwordx4 v[2:5], off, s25
	scratch_load_dwordx4 v[6:9], off, s0
	s_waitcnt vmcnt(1)
	ds_write2_b64 v0, v[2:3], v[4:5] offset1:1
	s_waitcnt vmcnt(0)
	scratch_store_dwordx4 off, v[6:9], s25
	scratch_store_dwordx4 off, v[2:5], s0
.LBB20_146:
	global_load_dword v1, v1, s[20:21] offset:64
	s_waitcnt vmcnt(0)
	v_readfirstlane_b32 s0, v1
	s_add_i32 s0, s0, -1
	s_cmp_eq_u32 s0, 16
	s_cbranch_scc1 .LBB20_148
; %bb.147:
	s_lshl_b32 s0, s0, 4
	scratch_load_dwordx4 v[2:5], off, s18
	scratch_load_dwordx4 v[6:9], off, s0
	s_waitcnt vmcnt(1)
	ds_write2_b64 v0, v[2:3], v[4:5] offset1:1
	s_waitcnt vmcnt(0)
	scratch_store_dwordx4 off, v[6:9], s18
	scratch_store_dwordx4 off, v[2:5], s0
.LBB20_148:
	v_mov_b32_e32 v1, 0
	global_load_dword v2, v1, s[20:21] offset:60
	s_waitcnt vmcnt(0)
	v_readfirstlane_b32 s0, v2
	s_add_i32 s0, s0, -1
	s_cmp_eq_u32 s0, 15
	s_cbranch_scc1 .LBB20_150
; %bb.149:
	s_lshl_b32 s0, s0, 4
	scratch_load_dwordx4 v[2:5], off, s35
	scratch_load_dwordx4 v[6:9], off, s0
	s_waitcnt vmcnt(1)
	ds_write2_b64 v0, v[2:3], v[4:5] offset1:1
	s_waitcnt vmcnt(0)
	scratch_store_dwordx4 off, v[6:9], s35
	scratch_store_dwordx4 off, v[2:5], s0
.LBB20_150:
	;; [unrolled: 33-line block ×9, first 2 shown]
	global_load_dword v1, v1, s[20:21]
	s_waitcnt vmcnt(0)
	v_readfirstlane_b32 s0, v1
	s_add_i32 s0, s0, -1
	s_cmp_eq_u32 s0, 0
	s_cbranch_scc1 .LBB20_180
; %bb.179:
	s_lshl_b32 s0, s0, 4
	scratch_load_dwordx4 v[2:5], off, off
	scratch_load_dwordx4 v[6:9], off, s0
	s_waitcnt vmcnt(1)
	ds_write2_b64 v0, v[2:3], v[4:5] offset1:1
	s_waitcnt vmcnt(0)
	scratch_store_dwordx4 off, v[6:9], off
	scratch_store_dwordx4 off, v[2:5], s0
.LBB20_180:
	scratch_load_dwordx4 v[0:3], off, off
	s_nop 0
	scratch_load_dwordx4 v[4:7], off, s19
	scratch_load_dwordx4 v[8:11], off, s14
	;; [unrolled: 1-line block ×15, first 2 shown]
                                        ; kill: killed $sgpr38
                                        ; kill: killed $sgpr19
                                        ; kill: killed $sgpr30
                                        ; kill: killed $sgpr37
                                        ; kill: killed $sgpr27
                                        ; kill: killed $sgpr36
                                        ; kill: killed $sgpr24
                                        ; kill: killed $sgpr33
                                        ; kill: killed $sgpr16
                                        ; kill: killed $sgpr29
                                        ; kill: killed $sgpr15
                                        ; kill: killed $sgpr26
                                        ; kill: killed $sgpr35
                                        ; kill: killed $sgpr14
                                        ; kill: killed $sgpr17
	scratch_load_dwordx4 v[106:109], off, s18
	scratch_load_dwordx4 v[110:113], off, s25
	;; [unrolled: 1-line block ×5, first 2 shown]
	s_waitcnt vmcnt(20)
	global_store_dwordx4 v[64:65], v[0:3], off
	s_waitcnt vmcnt(20)
	global_store_dwordx4 v[66:67], v[4:7], off
	;; [unrolled: 2-line block ×21, first 2 shown]
	s_endpgm
	.section	.rodata,"a",@progbits
	.p2align	6, 0x0
	.amdhsa_kernel _ZN9rocsolver6v33100L18getri_kernel_smallILi21E19rocblas_complex_numIdEPS3_EEvT1_iilPiilS6_bb
		.amdhsa_group_segment_fixed_size 1704
		.amdhsa_private_segment_fixed_size 352
		.amdhsa_kernarg_size 60
		.amdhsa_user_sgpr_count 4
		.amdhsa_user_sgpr_dispatch_ptr 1
		.amdhsa_user_sgpr_queue_ptr 0
		.amdhsa_user_sgpr_kernarg_segment_ptr 1
		.amdhsa_user_sgpr_dispatch_id 0
		.amdhsa_user_sgpr_kernarg_preload_length 0
		.amdhsa_user_sgpr_kernarg_preload_offset 0
		.amdhsa_user_sgpr_private_segment_size 0
		.amdhsa_uses_dynamic_stack 0
		.amdhsa_enable_private_segment 1
		.amdhsa_system_sgpr_workgroup_id_x 1
		.amdhsa_system_sgpr_workgroup_id_y 0
		.amdhsa_system_sgpr_workgroup_id_z 0
		.amdhsa_system_sgpr_workgroup_info 0
		.amdhsa_system_vgpr_workitem_id 2
		.amdhsa_next_free_vgpr 248
		.amdhsa_next_free_sgpr 39
		.amdhsa_accum_offset 248
		.amdhsa_reserve_vcc 1
		.amdhsa_float_round_mode_32 0
		.amdhsa_float_round_mode_16_64 0
		.amdhsa_float_denorm_mode_32 3
		.amdhsa_float_denorm_mode_16_64 3
		.amdhsa_dx10_clamp 1
		.amdhsa_ieee_mode 1
		.amdhsa_fp16_overflow 0
		.amdhsa_tg_split 0
		.amdhsa_exception_fp_ieee_invalid_op 0
		.amdhsa_exception_fp_denorm_src 0
		.amdhsa_exception_fp_ieee_div_zero 0
		.amdhsa_exception_fp_ieee_overflow 0
		.amdhsa_exception_fp_ieee_underflow 0
		.amdhsa_exception_fp_ieee_inexact 0
		.amdhsa_exception_int_div_zero 0
	.end_amdhsa_kernel
	.section	.text._ZN9rocsolver6v33100L18getri_kernel_smallILi21E19rocblas_complex_numIdEPS3_EEvT1_iilPiilS6_bb,"axG",@progbits,_ZN9rocsolver6v33100L18getri_kernel_smallILi21E19rocblas_complex_numIdEPS3_EEvT1_iilPiilS6_bb,comdat
.Lfunc_end20:
	.size	_ZN9rocsolver6v33100L18getri_kernel_smallILi21E19rocblas_complex_numIdEPS3_EEvT1_iilPiilS6_bb, .Lfunc_end20-_ZN9rocsolver6v33100L18getri_kernel_smallILi21E19rocblas_complex_numIdEPS3_EEvT1_iilPiilS6_bb
                                        ; -- End function
	.set _ZN9rocsolver6v33100L18getri_kernel_smallILi21E19rocblas_complex_numIdEPS3_EEvT1_iilPiilS6_bb.num_vgpr, 248
	.set _ZN9rocsolver6v33100L18getri_kernel_smallILi21E19rocblas_complex_numIdEPS3_EEvT1_iilPiilS6_bb.num_agpr, 0
	.set _ZN9rocsolver6v33100L18getri_kernel_smallILi21E19rocblas_complex_numIdEPS3_EEvT1_iilPiilS6_bb.numbered_sgpr, 39
	.set _ZN9rocsolver6v33100L18getri_kernel_smallILi21E19rocblas_complex_numIdEPS3_EEvT1_iilPiilS6_bb.num_named_barrier, 0
	.set _ZN9rocsolver6v33100L18getri_kernel_smallILi21E19rocblas_complex_numIdEPS3_EEvT1_iilPiilS6_bb.private_seg_size, 352
	.set _ZN9rocsolver6v33100L18getri_kernel_smallILi21E19rocblas_complex_numIdEPS3_EEvT1_iilPiilS6_bb.uses_vcc, 1
	.set _ZN9rocsolver6v33100L18getri_kernel_smallILi21E19rocblas_complex_numIdEPS3_EEvT1_iilPiilS6_bb.uses_flat_scratch, 0
	.set _ZN9rocsolver6v33100L18getri_kernel_smallILi21E19rocblas_complex_numIdEPS3_EEvT1_iilPiilS6_bb.has_dyn_sized_stack, 0
	.set _ZN9rocsolver6v33100L18getri_kernel_smallILi21E19rocblas_complex_numIdEPS3_EEvT1_iilPiilS6_bb.has_recursion, 0
	.set _ZN9rocsolver6v33100L18getri_kernel_smallILi21E19rocblas_complex_numIdEPS3_EEvT1_iilPiilS6_bb.has_indirect_call, 0
	.section	.AMDGPU.csdata,"",@progbits
; Kernel info:
; codeLenInByte = 23684
; TotalNumSgprs: 45
; NumVgprs: 248
; NumAgprs: 0
; TotalNumVgprs: 248
; ScratchSize: 352
; MemoryBound: 0
; FloatMode: 240
; IeeeMode: 1
; LDSByteSize: 1704 bytes/workgroup (compile time only)
; SGPRBlocks: 5
; VGPRBlocks: 30
; NumSGPRsForWavesPerEU: 45
; NumVGPRsForWavesPerEU: 248
; AccumOffset: 248
; Occupancy: 2
; WaveLimiterHint : 1
; COMPUTE_PGM_RSRC2:SCRATCH_EN: 1
; COMPUTE_PGM_RSRC2:USER_SGPR: 4
; COMPUTE_PGM_RSRC2:TRAP_HANDLER: 0
; COMPUTE_PGM_RSRC2:TGID_X_EN: 1
; COMPUTE_PGM_RSRC2:TGID_Y_EN: 0
; COMPUTE_PGM_RSRC2:TGID_Z_EN: 0
; COMPUTE_PGM_RSRC2:TIDIG_COMP_CNT: 2
; COMPUTE_PGM_RSRC3_GFX90A:ACCUM_OFFSET: 61
; COMPUTE_PGM_RSRC3_GFX90A:TG_SPLIT: 0
	.section	.text._ZN9rocsolver6v33100L18getri_kernel_smallILi22E19rocblas_complex_numIdEPS3_EEvT1_iilPiilS6_bb,"axG",@progbits,_ZN9rocsolver6v33100L18getri_kernel_smallILi22E19rocblas_complex_numIdEPS3_EEvT1_iilPiilS6_bb,comdat
	.globl	_ZN9rocsolver6v33100L18getri_kernel_smallILi22E19rocblas_complex_numIdEPS3_EEvT1_iilPiilS6_bb ; -- Begin function _ZN9rocsolver6v33100L18getri_kernel_smallILi22E19rocblas_complex_numIdEPS3_EEvT1_iilPiilS6_bb
	.p2align	8
	.type	_ZN9rocsolver6v33100L18getri_kernel_smallILi22E19rocblas_complex_numIdEPS3_EEvT1_iilPiilS6_bb,@function
_ZN9rocsolver6v33100L18getri_kernel_smallILi22E19rocblas_complex_numIdEPS3_EEvT1_iilPiilS6_bb: ; @_ZN9rocsolver6v33100L18getri_kernel_smallILi22E19rocblas_complex_numIdEPS3_EEvT1_iilPiilS6_bb
; %bb.0:
	v_and_b32_e32 v1, 0x3ff, v0
	v_cmp_gt_u32_e32 vcc, 22, v1
	s_and_saveexec_b64 s[6:7], vcc
	s_cbranch_execz .LBB21_102
; %bb.1:
	s_load_dword s6, s[2:3], 0x38
	s_load_dwordx4 s[16:19], s[2:3], 0x10
	s_load_dwordx4 s[8:11], s[2:3], 0x28
                                        ; implicit-def: $sgpr20_sgpr21
	s_waitcnt lgkmcnt(0)
	s_bitcmp1_b32 s6, 8
	s_cselect_b64 s[22:23], -1, 0
	s_ashr_i32 s5, s4, 31
	s_bfe_u32 s6, s6, 0x10008
	s_cmp_eq_u32 s6, 0
	s_cbranch_scc1 .LBB21_3
; %bb.2:
	s_load_dword s6, s[2:3], 0x20
	s_mul_i32 s7, s8, s5
	s_mul_hi_u32 s12, s8, s4
	s_mul_i32 s9, s9, s4
	s_add_i32 s12, s12, s7
	s_add_i32 s9, s12, s9
	s_mul_i32 s8, s8, s4
	s_waitcnt lgkmcnt(0)
	s_ashr_i32 s7, s6, 31
	s_lshl_b64 s[8:9], s[8:9], 2
	s_add_u32 s8, s18, s8
	s_addc_u32 s9, s19, s9
	s_lshl_b64 s[6:7], s[6:7], 2
	s_add_u32 s20, s8, s6
	s_addc_u32 s21, s9, s7
.LBB21_3:
	s_load_dwordx4 s[12:15], s[2:3], 0x0
	s_load_dword s6, s[2:3], 0x38
	s_mul_i32 s7, s16, s5
	s_mul_hi_u32 s8, s16, s4
	s_add_i32 s7, s8, s7
	s_mul_i32 s8, s17, s4
	s_add_i32 s9, s7, s8
	s_mul_i32 s8, s16, s4
	s_waitcnt lgkmcnt(0)
	s_ashr_i32 s3, s14, 31
	s_lshl_b64 s[8:9], s[8:9], 4
	s_mov_b32 s2, s14
	s_add_u32 s7, s12, s8
	s_addc_u32 s8, s13, s9
	s_lshl_b64 s[2:3], s[2:3], 4
	s_add_u32 s2, s7, s2
	s_addc_u32 s3, s8, s3
	s_add_i32 s7, s15, s15
	v_add_u32_e32 v16, s7, v1
	v_ashrrev_i32_e32 v17, 31, v16
	v_lshl_add_u64 v[74:75], v[16:17], 4, s[2:3]
	v_add_u32_e32 v16, s15, v16
	v_add_u32_e32 v24, s15, v16
	v_ashrrev_i32_e32 v25, 31, v24
	v_lshl_add_u64 v[78:79], v[24:25], 4, s[2:3]
	v_add_u32_e32 v24, s15, v24
	v_add_u32_e32 v32, s15, v24
	v_ashrrev_i32_e32 v33, 31, v32
	v_lshl_add_u64 v[82:83], v[32:33], 4, s[2:3]
	v_add_u32_e32 v32, s15, v32
	v_add_u32_e32 v40, s15, v32
	v_ashrrev_i32_e32 v41, 31, v40
	v_lshl_add_u64 v[86:87], v[40:41], 4, s[2:3]
	v_add_u32_e32 v40, s15, v40
	v_add_u32_e32 v42, s15, v40
	v_add_u32_e32 v48, s15, v42
	v_add_u32_e32 v50, s15, v48
	v_add_u32_e32 v56, s15, v50
	v_add_u32_e32 v64, s15, v56
	v_ashrrev_i32_e32 v65, 31, v64
	v_lshl_add_u64 v[98:99], v[64:65], 4, s[2:3]
	v_add_u32_e32 v64, s15, v64
	v_add_u32_e32 v66, s15, v64
	;; [unrolled: 1-line block ×3, first 2 shown]
	v_ashrrev_i32_e32 v69, 31, v68
	v_add_u32_e32 v108, s15, v68
	v_lshl_add_u64 v[104:105], v[68:69], 4, s[2:3]
	v_add_u32_e32 v68, s15, v108
	v_ashrrev_i32_e32 v109, 31, v108
	v_ashrrev_i32_e32 v69, 31, v68
	v_lshl_add_u64 v[106:107], v[108:109], 4, s[2:3]
	v_lshl_add_u64 v[108:109], v[68:69], 4, s[2:3]
	v_add_u32_e32 v68, s15, v68
	v_ashrrev_i32_e32 v69, 31, v68
	v_lshlrev_b32_e32 v14, 4, v1
	v_mov_b32_e32 v15, 0
	v_lshl_add_u64 v[110:111], v[68:69], 4, s[2:3]
	v_add_u32_e32 v68, s15, v68
	v_lshl_add_u64 v[70:71], s[2:3], 0, v[14:15]
	s_ashr_i32 s9, s15, 31
	s_mov_b32 s8, s15
	v_ashrrev_i32_e32 v17, 31, v16
	v_ashrrev_i32_e32 v25, 31, v24
	;; [unrolled: 1-line block ×8, first 2 shown]
	v_lshl_add_u64 v[72:73], s[8:9], 4, v[70:71]
	v_lshl_add_u64 v[76:77], v[16:17], 4, s[2:3]
	;; [unrolled: 1-line block ×5, first 2 shown]
	v_ashrrev_i32_e32 v43, 31, v42
	v_lshl_add_u64 v[92:93], v[48:49], 4, s[2:3]
	v_ashrrev_i32_e32 v51, 31, v50
	v_lshl_add_u64 v[96:97], v[56:57], 4, s[2:3]
	v_lshl_add_u64 v[100:101], v[64:65], 4, s[2:3]
	v_ashrrev_i32_e32 v67, 31, v66
	v_lshl_add_u64 v[112:113], v[68:69], 4, s[2:3]
	global_load_dwordx4 v[2:5], v14, s[2:3]
	global_load_dwordx4 v[6:9], v[72:73], off
	global_load_dwordx4 v[10:13], v[74:75], off
	;; [unrolled: 1-line block ×8, first 2 shown]
	v_lshl_add_u64 v[90:91], v[42:43], 4, s[2:3]
	global_load_dwordx4 v[40:43], v[88:89], off
	global_load_dwordx4 v[44:47], v[90:91], off
	v_lshl_add_u64 v[94:95], v[50:51], 4, s[2:3]
	global_load_dwordx4 v[48:51], v[92:93], off
	global_load_dwordx4 v[52:55], v[94:95], off
	;; [unrolled: 1-line block ×4, first 2 shown]
	v_lshl_add_u64 v[102:103], v[66:67], 4, s[2:3]
	global_load_dwordx4 v[64:67], v[100:101], off
	global_load_dwordx4 v[114:117], v[102:103], off
	;; [unrolled: 1-line block ×7, first 2 shown]
	s_mov_b32 s19, 16
	s_mov_b32 s14, 32
	s_mov_b32 s15, 48
	s_mov_b32 s16, 64
	s_movk_i32 s24, 0x50
	s_movk_i32 s27, 0x60
	;; [unrolled: 1-line block ×17, first 2 shown]
	s_bitcmp0_b32 s6, 0
	s_mov_b64 s[6:7], -1
	s_waitcnt vmcnt(21)
	scratch_store_dwordx4 off, v[2:5], off
	s_waitcnt vmcnt(21)
	scratch_store_dwordx4 off, v[6:9], off offset:16
	s_waitcnt vmcnt(21)
	scratch_store_dwordx4 off, v[10:13], off offset:32
	;; [unrolled: 2-line block ×21, first 2 shown]
	s_cbranch_scc1 .LBB21_100
; %bb.4:
	v_cmp_eq_u32_e64 s[2:3], 0, v1
	s_and_saveexec_b64 s[6:7], s[2:3]
; %bb.5:
	v_mov_b32_e32 v2, 0
	ds_write_b32 v2, v2 offset:704
; %bb.6:
	s_or_b64 exec, exec, s[6:7]
	s_waitcnt lgkmcnt(0)
	; wave barrier
	scratch_load_dwordx4 v[2:5], v14, off
	s_waitcnt vmcnt(0)
	v_cmp_eq_f64_e32 vcc, 0, v[2:3]
	v_cmp_eq_f64_e64 s[6:7], 0, v[4:5]
	s_and_b64 s[6:7], vcc, s[6:7]
	s_and_saveexec_b64 s[8:9], s[6:7]
	s_cbranch_execz .LBB21_10
; %bb.7:
	v_mov_b32_e32 v2, 0
	ds_read_b32 v4, v2 offset:704
	v_add_u32_e32 v3, 1, v1
	s_waitcnt lgkmcnt(0)
	v_readfirstlane_b32 s6, v4
	s_cmp_eq_u32 s6, 0
	s_cselect_b64 s[12:13], -1, 0
	v_cmp_gt_i32_e32 vcc, s6, v3
	s_or_b64 s[12:13], s[12:13], vcc
	s_and_b64 exec, exec, s[12:13]
	s_cbranch_execz .LBB21_10
; %bb.8:
	s_mov_b64 s[12:13], 0
	v_mov_b32_e32 v4, s6
.LBB21_9:                               ; =>This Inner Loop Header: Depth=1
	ds_cmpst_rtn_b32 v4, v2, v4, v3 offset:704
	s_waitcnt lgkmcnt(0)
	v_cmp_ne_u32_e32 vcc, 0, v4
	v_cmp_le_i32_e64 s[6:7], v4, v3
	s_and_b64 s[6:7], vcc, s[6:7]
	s_and_b64 s[6:7], exec, s[6:7]
	s_or_b64 s[12:13], s[6:7], s[12:13]
	s_andn2_b64 exec, exec, s[12:13]
	s_cbranch_execnz .LBB21_9
.LBB21_10:
	s_or_b64 exec, exec, s[8:9]
	v_mov_b32_e32 v3, 0
	; wave barrier
	ds_read_b32 v2, v3 offset:704
	s_and_saveexec_b64 s[6:7], s[2:3]
	s_cbranch_execz .LBB21_12
; %bb.11:
	s_lshl_b64 s[8:9], s[4:5], 2
	s_add_u32 s8, s10, s8
	s_addc_u32 s9, s11, s9
	s_waitcnt lgkmcnt(0)
	global_store_dword v3, v2, s[8:9]
.LBB21_12:
	s_or_b64 exec, exec, s[6:7]
	s_waitcnt lgkmcnt(0)
	v_cmp_ne_u32_e32 vcc, 0, v2
	s_mov_b64 s[6:7], 0
	s_cbranch_vccnz .LBB21_100
; %bb.13:
	v_mov_b32_e32 v15, v14
	scratch_load_dwordx4 v[2:5], v15, off
                                        ; implicit-def: $vgpr6_vgpr7
                                        ; implicit-def: $vgpr10_vgpr11
	s_waitcnt vmcnt(0)
	v_cmp_ngt_f64_e64 s[6:7], |v[2:3]|, |v[4:5]|
	s_and_saveexec_b64 s[8:9], s[6:7]
	s_xor_b64 s[6:7], exec, s[8:9]
	s_cbranch_execz .LBB21_15
; %bb.14:
	v_div_scale_f64 v[6:7], s[8:9], v[4:5], v[4:5], v[2:3]
	v_rcp_f64_e32 v[8:9], v[6:7]
	v_div_scale_f64 v[10:11], vcc, v[2:3], v[4:5], v[2:3]
	v_fma_f64 v[12:13], -v[6:7], v[8:9], 1.0
	v_fmac_f64_e32 v[8:9], v[8:9], v[12:13]
	v_fma_f64 v[12:13], -v[6:7], v[8:9], 1.0
	v_fmac_f64_e32 v[8:9], v[8:9], v[12:13]
	v_mul_f64 v[12:13], v[10:11], v[8:9]
	v_fma_f64 v[6:7], -v[6:7], v[12:13], v[10:11]
	v_div_fmas_f64 v[6:7], v[6:7], v[8:9], v[12:13]
	v_div_fixup_f64 v[6:7], v[6:7], v[4:5], v[2:3]
	v_fmac_f64_e32 v[4:5], v[2:3], v[6:7]
	v_div_scale_f64 v[2:3], s[8:9], v[4:5], v[4:5], 1.0
	v_rcp_f64_e32 v[8:9], v[2:3]
	s_nop 0
	v_fma_f64 v[10:11], -v[2:3], v[8:9], 1.0
	v_fmac_f64_e32 v[8:9], v[8:9], v[10:11]
	v_fma_f64 v[10:11], -v[2:3], v[8:9], 1.0
	v_fmac_f64_e32 v[8:9], v[8:9], v[10:11]
	v_div_scale_f64 v[10:11], vcc, 1.0, v[4:5], 1.0
	v_mul_f64 v[12:13], v[10:11], v[8:9]
	v_fma_f64 v[2:3], -v[2:3], v[12:13], v[10:11]
	s_nop 1
	v_div_fmas_f64 v[2:3], v[2:3], v[8:9], v[12:13]
	v_div_fixup_f64 v[8:9], v[2:3], v[4:5], 1.0
	v_mul_f64 v[6:7], v[6:7], v[8:9]
	v_xor_b32_e32 v9, 0x80000000, v9
	v_xor_b32_e32 v11, 0x80000000, v7
	v_mov_b32_e32 v10, v6
                                        ; implicit-def: $vgpr2_vgpr3
.LBB21_15:
	s_andn2_saveexec_b64 s[6:7], s[6:7]
	s_cbranch_execz .LBB21_17
; %bb.16:
	v_div_scale_f64 v[6:7], s[8:9], v[2:3], v[2:3], v[4:5]
	v_rcp_f64_e32 v[8:9], v[6:7]
	v_div_scale_f64 v[10:11], vcc, v[4:5], v[2:3], v[4:5]
	v_fma_f64 v[12:13], -v[6:7], v[8:9], 1.0
	v_fmac_f64_e32 v[8:9], v[8:9], v[12:13]
	v_fma_f64 v[12:13], -v[6:7], v[8:9], 1.0
	v_fmac_f64_e32 v[8:9], v[8:9], v[12:13]
	v_mul_f64 v[12:13], v[10:11], v[8:9]
	v_fma_f64 v[6:7], -v[6:7], v[12:13], v[10:11]
	v_div_fmas_f64 v[6:7], v[6:7], v[8:9], v[12:13]
	v_div_fixup_f64 v[8:9], v[6:7], v[2:3], v[4:5]
	v_fmac_f64_e32 v[2:3], v[4:5], v[8:9]
	v_div_scale_f64 v[4:5], s[8:9], v[2:3], v[2:3], 1.0
	v_rcp_f64_e32 v[6:7], v[4:5]
	s_nop 0
	v_fma_f64 v[10:11], -v[4:5], v[6:7], 1.0
	v_fmac_f64_e32 v[6:7], v[6:7], v[10:11]
	v_fma_f64 v[10:11], -v[4:5], v[6:7], 1.0
	v_fmac_f64_e32 v[6:7], v[6:7], v[10:11]
	v_div_scale_f64 v[10:11], vcc, 1.0, v[2:3], 1.0
	v_mul_f64 v[12:13], v[10:11], v[6:7]
	v_fma_f64 v[4:5], -v[4:5], v[12:13], v[10:11]
	s_nop 1
	v_div_fmas_f64 v[4:5], v[4:5], v[6:7], v[12:13]
	v_div_fixup_f64 v[6:7], v[4:5], v[2:3], 1.0
	v_xor_b32_e32 v11, 0x80000000, v7
	v_mov_b32_e32 v10, v6
	v_mul_f64 v[8:9], v[8:9], -v[6:7]
.LBB21_17:
	s_or_b64 exec, exec, s[6:7]
	scratch_store_dwordx4 v15, v[6:9], off
	scratch_load_dwordx4 v[2:5], off, s19
	v_xor_b32_e32 v13, 0x80000000, v9
	v_mov_b32_e32 v12, v8
	v_add_u32_e32 v6, 0x160, v14
	ds_write_b128 v14, v[10:13]
	s_waitcnt vmcnt(0)
	ds_write_b128 v14, v[2:5] offset:352
	s_waitcnt lgkmcnt(0)
	; wave barrier
	s_and_saveexec_b64 s[6:7], s[2:3]
	s_cbranch_execz .LBB21_19
; %bb.18:
	scratch_load_dwordx4 v[2:5], v15, off
	ds_read_b128 v[8:11], v6
	v_mov_b32_e32 v7, 0
	ds_read_b128 v[16:19], v7 offset:16
	s_waitcnt vmcnt(0) lgkmcnt(1)
	v_mul_f64 v[12:13], v[10:11], v[4:5]
	v_mul_f64 v[4:5], v[8:9], v[4:5]
	v_fma_f64 v[8:9], v[8:9], v[2:3], -v[12:13]
	v_fmac_f64_e32 v[4:5], v[10:11], v[2:3]
	v_add_f64 v[2:3], v[8:9], 0
	v_add_f64 v[8:9], v[4:5], 0
	s_waitcnt lgkmcnt(0)
	v_mul_f64 v[10:11], v[8:9], v[18:19]
	v_mul_f64 v[4:5], v[2:3], v[18:19]
	v_fma_f64 v[2:3], v[2:3], v[16:17], -v[10:11]
	v_fmac_f64_e32 v[4:5], v[8:9], v[16:17]
	scratch_store_dwordx4 off, v[2:5], off offset:16
.LBB21_19:
	s_or_b64 exec, exec, s[6:7]
	; wave barrier
	scratch_load_dwordx4 v[2:5], off, s14
	v_cmp_gt_u32_e32 vcc, 2, v1
	s_waitcnt vmcnt(0)
	ds_write_b128 v6, v[2:5]
	s_waitcnt lgkmcnt(0)
	; wave barrier
	s_and_saveexec_b64 s[6:7], vcc
	s_cbranch_execz .LBB21_23
; %bb.20:
	scratch_load_dwordx4 v[2:5], v15, off
	ds_read_b128 v[8:11], v6
	s_waitcnt vmcnt(0) lgkmcnt(0)
	v_mul_f64 v[12:13], v[10:11], v[4:5]
	v_mul_f64 v[16:17], v[8:9], v[4:5]
	v_fma_f64 v[4:5], v[8:9], v[2:3], -v[12:13]
	v_fmac_f64_e32 v[16:17], v[10:11], v[2:3]
	v_add_f64 v[4:5], v[4:5], 0
	v_add_f64 v[2:3], v[16:17], 0
	s_and_saveexec_b64 s[8:9], s[2:3]
	s_cbranch_execz .LBB21_22
; %bb.21:
	scratch_load_dwordx4 v[8:11], off, off offset:16
	v_mov_b32_e32 v7, 0
	ds_read_b128 v[16:19], v7 offset:368
	s_waitcnt vmcnt(0) lgkmcnt(0)
	v_mul_f64 v[12:13], v[16:17], v[10:11]
	v_mul_f64 v[10:11], v[18:19], v[10:11]
	v_fmac_f64_e32 v[12:13], v[18:19], v[8:9]
	v_fma_f64 v[8:9], v[16:17], v[8:9], -v[10:11]
	v_add_f64 v[2:3], v[2:3], v[12:13]
	v_add_f64 v[4:5], v[4:5], v[8:9]
.LBB21_22:
	s_or_b64 exec, exec, s[8:9]
	v_mov_b32_e32 v7, 0
	ds_read_b128 v[8:11], v7 offset:32
	s_waitcnt lgkmcnt(0)
	v_mul_f64 v[16:17], v[2:3], v[10:11]
	v_mul_f64 v[12:13], v[4:5], v[10:11]
	v_fma_f64 v[10:11], v[4:5], v[8:9], -v[16:17]
	v_fmac_f64_e32 v[12:13], v[2:3], v[8:9]
	scratch_store_dwordx4 off, v[10:13], off offset:32
.LBB21_23:
	s_or_b64 exec, exec, s[6:7]
	; wave barrier
	scratch_load_dwordx4 v[2:5], off, s15
	v_cmp_gt_u32_e32 vcc, 3, v1
	v_add_u32_e32 v7, -1, v1
	s_waitcnt vmcnt(0)
	ds_write_b128 v6, v[2:5]
	s_waitcnt lgkmcnt(0)
	; wave barrier
	s_and_saveexec_b64 s[2:3], vcc
	s_cbranch_execz .LBB21_27
; %bb.24:
	v_add_u32_e32 v8, -1, v1
	v_add_u32_e32 v9, 0x160, v14
	v_mov_b32_e32 v10, v14
	v_mov_b64_e32 v[2:3], 0
	s_mov_b64 s[6:7], 0
	v_mov_b64_e32 v[4:5], 0
.LBB21_25:                              ; =>This Inner Loop Header: Depth=1
	scratch_load_dwordx4 v[16:19], v10, off
	ds_read_b128 v[20:23], v9
	v_add_u32_e32 v8, 1, v8
	v_cmp_lt_u32_e32 vcc, 1, v8
	v_add_u32_e32 v9, 16, v9
	v_add_u32_e32 v10, 16, v10
	s_or_b64 s[6:7], vcc, s[6:7]
	s_waitcnt vmcnt(0) lgkmcnt(0)
	v_mul_f64 v[12:13], v[22:23], v[18:19]
	v_mul_f64 v[18:19], v[20:21], v[18:19]
	v_fma_f64 v[12:13], v[20:21], v[16:17], -v[12:13]
	v_fmac_f64_e32 v[18:19], v[22:23], v[16:17]
	v_add_f64 v[4:5], v[4:5], v[12:13]
	v_add_f64 v[2:3], v[2:3], v[18:19]
	s_andn2_b64 exec, exec, s[6:7]
	s_cbranch_execnz .LBB21_25
; %bb.26:
	s_or_b64 exec, exec, s[6:7]
	v_mov_b32_e32 v8, 0
	ds_read_b128 v[8:11], v8 offset:48
	s_waitcnt lgkmcnt(0)
	v_mul_f64 v[16:17], v[2:3], v[10:11]
	v_mul_f64 v[12:13], v[4:5], v[10:11]
	v_fma_f64 v[10:11], v[4:5], v[8:9], -v[16:17]
	v_fmac_f64_e32 v[12:13], v[2:3], v[8:9]
	scratch_store_dwordx4 off, v[10:13], off offset:48
.LBB21_27:
	s_or_b64 exec, exec, s[2:3]
	; wave barrier
	scratch_load_dwordx4 v[2:5], off, s16
	v_cmp_gt_u32_e32 vcc, 4, v1
	s_waitcnt vmcnt(0)
	ds_write_b128 v6, v[2:5]
	s_waitcnt lgkmcnt(0)
	; wave barrier
	s_and_saveexec_b64 s[2:3], vcc
	s_cbranch_execz .LBB21_31
; %bb.28:
	v_add_u32_e32 v8, -1, v1
	v_add_u32_e32 v9, 0x160, v14
	v_mov_b32_e32 v10, v14
	v_mov_b64_e32 v[2:3], 0
	s_mov_b64 s[6:7], 0
	v_mov_b64_e32 v[4:5], 0
.LBB21_29:                              ; =>This Inner Loop Header: Depth=1
	scratch_load_dwordx4 v[16:19], v10, off
	ds_read_b128 v[20:23], v9
	v_add_u32_e32 v8, 1, v8
	v_cmp_lt_u32_e32 vcc, 2, v8
	v_add_u32_e32 v9, 16, v9
	v_add_u32_e32 v10, 16, v10
	s_or_b64 s[6:7], vcc, s[6:7]
	s_waitcnt vmcnt(0) lgkmcnt(0)
	v_mul_f64 v[12:13], v[22:23], v[18:19]
	v_mul_f64 v[18:19], v[20:21], v[18:19]
	v_fma_f64 v[12:13], v[20:21], v[16:17], -v[12:13]
	v_fmac_f64_e32 v[18:19], v[22:23], v[16:17]
	v_add_f64 v[4:5], v[4:5], v[12:13]
	v_add_f64 v[2:3], v[2:3], v[18:19]
	s_andn2_b64 exec, exec, s[6:7]
	s_cbranch_execnz .LBB21_29
; %bb.30:
	s_or_b64 exec, exec, s[6:7]
	v_mov_b32_e32 v8, 0
	ds_read_b128 v[8:11], v8 offset:64
	s_waitcnt lgkmcnt(0)
	v_mul_f64 v[16:17], v[2:3], v[10:11]
	v_mul_f64 v[12:13], v[4:5], v[10:11]
	v_fma_f64 v[10:11], v[4:5], v[8:9], -v[16:17]
	v_fmac_f64_e32 v[12:13], v[2:3], v[8:9]
	scratch_store_dwordx4 off, v[10:13], off offset:64
.LBB21_31:
	s_or_b64 exec, exec, s[2:3]
	; wave barrier
	scratch_load_dwordx4 v[2:5], off, s24
	v_cmp_gt_u32_e32 vcc, 5, v1
	;; [unrolled: 45-line block ×17, first 2 shown]
	s_waitcnt vmcnt(0)
	ds_write_b128 v6, v[2:5]
	s_waitcnt lgkmcnt(0)
	; wave barrier
	s_and_saveexec_b64 s[2:3], vcc
	s_cbranch_execz .LBB21_95
; %bb.92:
	v_add_u32_e32 v8, -1, v1
	v_add_u32_e32 v9, 0x160, v14
	v_mov_b32_e32 v10, v14
	v_mov_b64_e32 v[2:3], 0
	s_mov_b64 s[6:7], 0
	v_mov_b64_e32 v[4:5], 0
.LBB21_93:                              ; =>This Inner Loop Header: Depth=1
	scratch_load_dwordx4 v[16:19], v10, off
	ds_read_b128 v[20:23], v9
	v_add_u32_e32 v8, 1, v8
	v_cmp_lt_u32_e32 vcc, 18, v8
	v_add_u32_e32 v9, 16, v9
	v_add_u32_e32 v10, 16, v10
	s_or_b64 s[6:7], vcc, s[6:7]
	s_waitcnt vmcnt(0) lgkmcnt(0)
	v_mul_f64 v[12:13], v[22:23], v[18:19]
	v_mul_f64 v[18:19], v[20:21], v[18:19]
	v_fma_f64 v[12:13], v[20:21], v[16:17], -v[12:13]
	v_fmac_f64_e32 v[18:19], v[22:23], v[16:17]
	v_add_f64 v[4:5], v[4:5], v[12:13]
	v_add_f64 v[2:3], v[2:3], v[18:19]
	s_andn2_b64 exec, exec, s[6:7]
	s_cbranch_execnz .LBB21_93
; %bb.94:
	s_or_b64 exec, exec, s[6:7]
	v_mov_b32_e32 v8, 0
	ds_read_b128 v[8:11], v8 offset:320
	s_waitcnt lgkmcnt(0)
	v_mul_f64 v[16:17], v[2:3], v[10:11]
	v_mul_f64 v[12:13], v[4:5], v[10:11]
	v_fma_f64 v[10:11], v[4:5], v[8:9], -v[16:17]
	v_fmac_f64_e32 v[12:13], v[2:3], v[8:9]
	scratch_store_dwordx4 off, v[10:13], off offset:320
.LBB21_95:
	s_or_b64 exec, exec, s[2:3]
	; wave barrier
	scratch_load_dwordx4 v[2:5], off, s33
	v_cmp_ne_u32_e32 vcc, 21, v1
	s_waitcnt vmcnt(0)
	ds_write_b128 v6, v[2:5]
	s_waitcnt lgkmcnt(0)
	; wave barrier
	s_and_saveexec_b64 s[2:3], vcc
	s_cbranch_execz .LBB21_99
; %bb.96:
	v_add_u32_e32 v6, 0x160, v14
	v_mov_b32_e32 v8, v14
	v_mov_b64_e32 v[2:3], 0
	s_mov_b64 s[6:7], 0
	v_mov_b64_e32 v[4:5], 0
.LBB21_97:                              ; =>This Inner Loop Header: Depth=1
	scratch_load_dwordx4 v[10:13], v8, off
	ds_read_b128 v[14:17], v6
	v_add_u32_e32 v7, 1, v7
	v_cmp_lt_u32_e32 vcc, 19, v7
	v_add_u32_e32 v6, 16, v6
	v_add_u32_e32 v8, 16, v8
	s_or_b64 s[6:7], vcc, s[6:7]
	s_waitcnt vmcnt(0) lgkmcnt(0)
	v_mul_f64 v[18:19], v[16:17], v[12:13]
	v_mul_f64 v[12:13], v[14:15], v[12:13]
	v_fma_f64 v[14:15], v[14:15], v[10:11], -v[18:19]
	v_fmac_f64_e32 v[12:13], v[16:17], v[10:11]
	v_add_f64 v[4:5], v[4:5], v[14:15]
	v_add_f64 v[2:3], v[2:3], v[12:13]
	s_andn2_b64 exec, exec, s[6:7]
	s_cbranch_execnz .LBB21_97
; %bb.98:
	s_or_b64 exec, exec, s[6:7]
	v_mov_b32_e32 v6, 0
	ds_read_b128 v[6:9], v6 offset:336
	s_waitcnt lgkmcnt(0)
	v_mul_f64 v[12:13], v[2:3], v[8:9]
	v_mul_f64 v[10:11], v[4:5], v[8:9]
	v_fma_f64 v[8:9], v[4:5], v[6:7], -v[12:13]
	v_fmac_f64_e32 v[10:11], v[2:3], v[6:7]
	scratch_store_dwordx4 off, v[8:11], off offset:336
.LBB21_99:
	s_or_b64 exec, exec, s[2:3]
	s_mov_b64 s[6:7], -1
	; wave barrier
.LBB21_100:
	s_and_b64 vcc, exec, s[6:7]
	s_cbranch_vccz .LBB21_102
; %bb.101:
	s_lshl_b64 s[2:3], s[4:5], 2
	s_add_u32 s2, s10, s2
	s_addc_u32 s3, s11, s3
	v_mov_b32_e32 v2, 0
	global_load_dword v2, v2, s[2:3]
	s_waitcnt vmcnt(0)
	v_cmp_ne_u32_e32 vcc, 0, v2
	s_cbranch_vccz .LBB21_103
.LBB21_102:
	s_endpgm
.LBB21_103:
	v_mov_b32_e32 v2, 0x160
	v_lshl_add_u32 v64, v1, 4, v2
	v_cmp_eq_u32_e32 vcc, 21, v1
	s_and_saveexec_b64 s[2:3], vcc
	s_cbranch_execz .LBB21_105
; %bb.104:
	scratch_load_dwordx4 v[2:5], off, s35
	v_mov_b32_e32 v6, 0
	v_mov_b32_e32 v7, v6
	;; [unrolled: 1-line block ×4, first 2 shown]
	scratch_store_dwordx4 off, v[6:9], off offset:320
	s_waitcnt vmcnt(1)
	ds_write_b128 v64, v[2:5]
.LBB21_105:
	s_or_b64 exec, exec, s[2:3]
	s_waitcnt lgkmcnt(0)
	; wave barrier
	scratch_load_dwordx4 v[4:7], off, off offset:336
	scratch_load_dwordx4 v[8:11], off, off offset:320
	v_mov_b32_e32 v2, 0
	ds_read_b128 v[12:15], v2 offset:688
	v_cmp_lt_u32_e32 vcc, 19, v1
	s_waitcnt vmcnt(1) lgkmcnt(0)
	v_mul_f64 v[16:17], v[12:13], v[6:7]
	v_mul_f64 v[6:7], v[14:15], v[6:7]
	v_fmac_f64_e32 v[16:17], v[14:15], v[4:5]
	v_fma_f64 v[4:5], v[12:13], v[4:5], -v[6:7]
	v_add_f64 v[6:7], v[16:17], 0
	v_add_f64 v[4:5], v[4:5], 0
	s_waitcnt vmcnt(0)
	v_add_f64 v[4:5], v[8:9], -v[4:5]
	v_add_f64 v[6:7], v[10:11], -v[6:7]
	scratch_store_dwordx4 off, v[4:7], off offset:320
	s_and_saveexec_b64 s[2:3], vcc
	s_cbranch_execz .LBB21_107
; %bb.106:
	scratch_load_dwordx4 v[6:9], off, s31
	v_mov_b32_e32 v3, v2
	v_mov_b32_e32 v4, v2
	;; [unrolled: 1-line block ×3, first 2 shown]
	scratch_store_dwordx4 off, v[2:5], off offset:304
	s_waitcnt vmcnt(1)
	ds_write_b128 v64, v[6:9]
.LBB21_107:
	s_or_b64 exec, exec, s[2:3]
	s_waitcnt lgkmcnt(0)
	; wave barrier
	scratch_load_dwordx4 v[4:7], off, off offset:320
	scratch_load_dwordx4 v[8:11], off, off offset:336
	;; [unrolled: 1-line block ×3, first 2 shown]
	ds_read_b128 v[16:19], v2 offset:672
	ds_read_b128 v[20:23], v2 offset:688
	v_cmp_lt_u32_e32 vcc, 18, v1
	s_waitcnt vmcnt(2) lgkmcnt(1)
	v_mul_f64 v[2:3], v[16:17], v[6:7]
	v_mul_f64 v[6:7], v[18:19], v[6:7]
	s_waitcnt vmcnt(1) lgkmcnt(0)
	v_mul_f64 v[24:25], v[20:21], v[10:11]
	v_mul_f64 v[10:11], v[22:23], v[10:11]
	v_fmac_f64_e32 v[2:3], v[18:19], v[4:5]
	v_fma_f64 v[4:5], v[16:17], v[4:5], -v[6:7]
	v_fmac_f64_e32 v[24:25], v[22:23], v[8:9]
	v_fma_f64 v[6:7], v[20:21], v[8:9], -v[10:11]
	v_add_f64 v[2:3], v[2:3], 0
	v_add_f64 v[4:5], v[4:5], 0
	;; [unrolled: 1-line block ×4, first 2 shown]
	s_waitcnt vmcnt(0)
	v_add_f64 v[2:3], v[12:13], -v[2:3]
	v_add_f64 v[4:5], v[14:15], -v[8:9]
	scratch_store_dwordx4 off, v[2:5], off offset:304
	s_and_saveexec_b64 s[2:3], vcc
	s_cbranch_execz .LBB21_109
; %bb.108:
	scratch_load_dwordx4 v[2:5], off, s28
	v_mov_b32_e32 v6, 0
	v_mov_b32_e32 v7, v6
	;; [unrolled: 1-line block ×4, first 2 shown]
	scratch_store_dwordx4 off, v[6:9], off offset:288
	s_waitcnt vmcnt(1)
	ds_write_b128 v64, v[2:5]
.LBB21_109:
	s_or_b64 exec, exec, s[2:3]
	s_waitcnt lgkmcnt(0)
	; wave barrier
	scratch_load_dwordx4 v[4:7], off, off offset:304
	scratch_load_dwordx4 v[8:11], off, off offset:320
	;; [unrolled: 1-line block ×4, first 2 shown]
	v_mov_b32_e32 v2, 0
	ds_read_b128 v[20:23], v2 offset:656
	ds_read_b128 v[24:27], v2 offset:672
	;; [unrolled: 1-line block ×3, first 2 shown]
	v_cmp_lt_u32_e32 vcc, 17, v1
	s_waitcnt vmcnt(3) lgkmcnt(2)
	v_mul_f64 v[32:33], v[20:21], v[6:7]
	v_mul_f64 v[6:7], v[22:23], v[6:7]
	s_waitcnt vmcnt(2) lgkmcnt(1)
	v_mul_f64 v[34:35], v[24:25], v[10:11]
	v_mul_f64 v[10:11], v[26:27], v[10:11]
	v_fmac_f64_e32 v[32:33], v[22:23], v[4:5]
	v_fma_f64 v[4:5], v[20:21], v[4:5], -v[6:7]
	s_waitcnt vmcnt(1) lgkmcnt(0)
	v_mul_f64 v[36:37], v[28:29], v[14:15]
	v_mul_f64 v[14:15], v[30:31], v[14:15]
	v_fmac_f64_e32 v[34:35], v[26:27], v[8:9]
	v_fma_f64 v[6:7], v[24:25], v[8:9], -v[10:11]
	v_add_f64 v[10:11], v[32:33], 0
	v_add_f64 v[4:5], v[4:5], 0
	v_fmac_f64_e32 v[36:37], v[30:31], v[12:13]
	v_fma_f64 v[8:9], v[28:29], v[12:13], -v[14:15]
	v_add_f64 v[10:11], v[10:11], v[34:35]
	v_add_f64 v[4:5], v[4:5], v[6:7]
	;; [unrolled: 1-line block ×4, first 2 shown]
	s_waitcnt vmcnt(0)
	v_add_f64 v[4:5], v[16:17], -v[4:5]
	v_add_f64 v[6:7], v[18:19], -v[6:7]
	scratch_store_dwordx4 off, v[4:7], off offset:288
	s_and_saveexec_b64 s[2:3], vcc
	s_cbranch_execz .LBB21_111
; %bb.110:
	scratch_load_dwordx4 v[6:9], off, s25
	v_mov_b32_e32 v3, v2
	v_mov_b32_e32 v4, v2
	;; [unrolled: 1-line block ×3, first 2 shown]
	scratch_store_dwordx4 off, v[2:5], off offset:272
	s_waitcnt vmcnt(1)
	ds_write_b128 v64, v[6:9]
.LBB21_111:
	s_or_b64 exec, exec, s[2:3]
	s_waitcnt lgkmcnt(0)
	; wave barrier
	scratch_load_dwordx4 v[4:7], off, off offset:288
	scratch_load_dwordx4 v[8:11], off, off offset:304
	;; [unrolled: 1-line block ×5, first 2 shown]
	ds_read_b128 v[24:27], v2 offset:640
	ds_read_b128 v[28:31], v2 offset:656
	;; [unrolled: 1-line block ×4, first 2 shown]
	v_cmp_lt_u32_e32 vcc, 16, v1
	s_waitcnt vmcnt(4) lgkmcnt(3)
	v_mul_f64 v[2:3], v[24:25], v[6:7]
	v_mul_f64 v[6:7], v[26:27], v[6:7]
	s_waitcnt vmcnt(3) lgkmcnt(2)
	v_mul_f64 v[40:41], v[28:29], v[10:11]
	v_mul_f64 v[10:11], v[30:31], v[10:11]
	v_fmac_f64_e32 v[2:3], v[26:27], v[4:5]
	v_fma_f64 v[4:5], v[24:25], v[4:5], -v[6:7]
	s_waitcnt vmcnt(2) lgkmcnt(1)
	v_mul_f64 v[42:43], v[32:33], v[14:15]
	v_mul_f64 v[14:15], v[34:35], v[14:15]
	v_fmac_f64_e32 v[40:41], v[30:31], v[8:9]
	v_fma_f64 v[6:7], v[28:29], v[8:9], -v[10:11]
	v_add_f64 v[2:3], v[2:3], 0
	v_add_f64 v[4:5], v[4:5], 0
	s_waitcnt vmcnt(1) lgkmcnt(0)
	v_mul_f64 v[44:45], v[36:37], v[18:19]
	v_mul_f64 v[18:19], v[38:39], v[18:19]
	v_fmac_f64_e32 v[42:43], v[34:35], v[12:13]
	v_fma_f64 v[8:9], v[32:33], v[12:13], -v[14:15]
	v_add_f64 v[2:3], v[2:3], v[40:41]
	v_add_f64 v[4:5], v[4:5], v[6:7]
	v_fmac_f64_e32 v[44:45], v[38:39], v[16:17]
	v_fma_f64 v[10:11], v[36:37], v[16:17], -v[18:19]
	v_add_f64 v[2:3], v[2:3], v[42:43]
	v_add_f64 v[4:5], v[4:5], v[8:9]
	;; [unrolled: 1-line block ×4, first 2 shown]
	s_waitcnt vmcnt(0)
	v_add_f64 v[2:3], v[20:21], -v[2:3]
	v_add_f64 v[4:5], v[22:23], -v[6:7]
	scratch_store_dwordx4 off, v[2:5], off offset:272
	s_and_saveexec_b64 s[2:3], vcc
	s_cbranch_execz .LBB21_113
; %bb.112:
	scratch_load_dwordx4 v[2:5], off, s18
	v_mov_b32_e32 v6, 0
	v_mov_b32_e32 v7, v6
	;; [unrolled: 1-line block ×4, first 2 shown]
	scratch_store_dwordx4 off, v[6:9], off offset:256
	s_waitcnt vmcnt(1)
	ds_write_b128 v64, v[2:5]
.LBB21_113:
	s_or_b64 exec, exec, s[2:3]
	s_waitcnt lgkmcnt(0)
	; wave barrier
	scratch_load_dwordx4 v[4:7], off, off offset:272
	scratch_load_dwordx4 v[8:11], off, off offset:288
	;; [unrolled: 1-line block ×6, first 2 shown]
	v_mov_b32_e32 v2, 0
	ds_read_b128 v[28:31], v2 offset:624
	ds_read_b128 v[32:35], v2 offset:640
	;; [unrolled: 1-line block ×5, first 2 shown]
	v_cmp_lt_u32_e32 vcc, 15, v1
	s_waitcnt vmcnt(5) lgkmcnt(4)
	v_mul_f64 v[48:49], v[28:29], v[6:7]
	v_mul_f64 v[6:7], v[30:31], v[6:7]
	s_waitcnt vmcnt(4) lgkmcnt(3)
	v_mul_f64 v[50:51], v[32:33], v[10:11]
	s_waitcnt vmcnt(3) lgkmcnt(2)
	v_mul_f64 v[52:53], v[36:37], v[14:15]
	v_mul_f64 v[10:11], v[34:35], v[10:11]
	;; [unrolled: 1-line block ×3, first 2 shown]
	v_fmac_f64_e32 v[48:49], v[30:31], v[4:5]
	v_fma_f64 v[4:5], v[28:29], v[4:5], -v[6:7]
	v_fmac_f64_e32 v[50:51], v[34:35], v[8:9]
	v_fma_f64 v[6:7], v[32:33], v[8:9], -v[10:11]
	v_fma_f64 v[8:9], v[36:37], v[12:13], -v[14:15]
	v_add_f64 v[14:15], v[48:49], 0
	v_add_f64 v[4:5], v[4:5], 0
	s_waitcnt vmcnt(2) lgkmcnt(1)
	v_mul_f64 v[54:55], v[40:41], v[18:19]
	v_mul_f64 v[18:19], v[42:43], v[18:19]
	v_fmac_f64_e32 v[52:53], v[38:39], v[12:13]
	v_add_f64 v[14:15], v[14:15], v[50:51]
	v_add_f64 v[4:5], v[4:5], v[6:7]
	s_waitcnt vmcnt(1) lgkmcnt(0)
	v_mul_f64 v[56:57], v[44:45], v[22:23]
	v_mul_f64 v[22:23], v[46:47], v[22:23]
	v_fmac_f64_e32 v[54:55], v[42:43], v[16:17]
	v_fma_f64 v[10:11], v[40:41], v[16:17], -v[18:19]
	v_add_f64 v[6:7], v[14:15], v[52:53]
	v_add_f64 v[4:5], v[4:5], v[8:9]
	v_fmac_f64_e32 v[56:57], v[46:47], v[20:21]
	v_fma_f64 v[12:13], v[44:45], v[20:21], -v[22:23]
	v_add_f64 v[6:7], v[6:7], v[54:55]
	v_add_f64 v[4:5], v[4:5], v[10:11]
	;; [unrolled: 1-line block ×4, first 2 shown]
	s_waitcnt vmcnt(0)
	v_add_f64 v[4:5], v[24:25], -v[4:5]
	v_add_f64 v[6:7], v[26:27], -v[6:7]
	scratch_store_dwordx4 off, v[4:7], off offset:256
	s_and_saveexec_b64 s[2:3], vcc
	s_cbranch_execz .LBB21_115
; %bb.114:
	scratch_load_dwordx4 v[6:9], off, s36
	v_mov_b32_e32 v3, v2
	v_mov_b32_e32 v4, v2
	;; [unrolled: 1-line block ×3, first 2 shown]
	scratch_store_dwordx4 off, v[2:5], off offset:240
	s_waitcnt vmcnt(1)
	ds_write_b128 v64, v[6:9]
.LBB21_115:
	s_or_b64 exec, exec, s[2:3]
	s_waitcnt lgkmcnt(0)
	; wave barrier
	scratch_load_dwordx4 v[4:7], off, off offset:256
	scratch_load_dwordx4 v[8:11], off, off offset:272
	;; [unrolled: 1-line block ×7, first 2 shown]
	ds_read_b128 v[32:35], v2 offset:608
	ds_read_b128 v[36:39], v2 offset:624
	;; [unrolled: 1-line block ×6, first 2 shown]
	v_cmp_lt_u32_e32 vcc, 14, v1
	s_waitcnt vmcnt(6) lgkmcnt(5)
	v_mul_f64 v[2:3], v[32:33], v[6:7]
	v_mul_f64 v[6:7], v[34:35], v[6:7]
	s_waitcnt vmcnt(5) lgkmcnt(4)
	v_mul_f64 v[56:57], v[36:37], v[10:11]
	v_mul_f64 v[10:11], v[38:39], v[10:11]
	v_fmac_f64_e32 v[2:3], v[34:35], v[4:5]
	v_fma_f64 v[4:5], v[32:33], v[4:5], -v[6:7]
	s_waitcnt vmcnt(4) lgkmcnt(3)
	v_mul_f64 v[58:59], v[40:41], v[14:15]
	v_mul_f64 v[14:15], v[42:43], v[14:15]
	v_fmac_f64_e32 v[56:57], v[38:39], v[8:9]
	v_fma_f64 v[6:7], v[36:37], v[8:9], -v[10:11]
	v_add_f64 v[2:3], v[2:3], 0
	v_add_f64 v[4:5], v[4:5], 0
	s_waitcnt vmcnt(3) lgkmcnt(2)
	v_mul_f64 v[60:61], v[44:45], v[18:19]
	v_mul_f64 v[18:19], v[46:47], v[18:19]
	v_fmac_f64_e32 v[58:59], v[42:43], v[12:13]
	v_fma_f64 v[8:9], v[40:41], v[12:13], -v[14:15]
	v_add_f64 v[2:3], v[2:3], v[56:57]
	v_add_f64 v[4:5], v[4:5], v[6:7]
	;; [unrolled: 7-line block ×4, first 2 shown]
	v_fmac_f64_e32 v[66:67], v[54:55], v[24:25]
	v_fma_f64 v[14:15], v[52:53], v[24:25], -v[26:27]
	v_add_f64 v[2:3], v[2:3], v[62:63]
	v_add_f64 v[4:5], v[4:5], v[12:13]
	;; [unrolled: 1-line block ×4, first 2 shown]
	s_waitcnt vmcnt(0)
	v_add_f64 v[2:3], v[28:29], -v[2:3]
	v_add_f64 v[4:5], v[30:31], -v[6:7]
	scratch_store_dwordx4 off, v[2:5], off offset:240
	s_and_saveexec_b64 s[2:3], vcc
	s_cbranch_execz .LBB21_117
; %bb.116:
	scratch_load_dwordx4 v[2:5], off, s39
	v_mov_b32_e32 v6, 0
	v_mov_b32_e32 v7, v6
	;; [unrolled: 1-line block ×4, first 2 shown]
	scratch_store_dwordx4 off, v[6:9], off offset:224
	s_waitcnt vmcnt(1)
	ds_write_b128 v64, v[2:5]
.LBB21_117:
	s_or_b64 exec, exec, s[2:3]
	s_waitcnt lgkmcnt(0)
	; wave barrier
	scratch_load_dwordx4 v[4:7], off, off offset:240
	scratch_load_dwordx4 v[8:11], off, off offset:256
	;; [unrolled: 1-line block ×8, first 2 shown]
	v_mov_b32_e32 v2, 0
	ds_read_b128 v[36:39], v2 offset:592
	ds_read_b128 v[40:43], v2 offset:608
	;; [unrolled: 1-line block ×7, first 2 shown]
	v_cmp_lt_u32_e32 vcc, 13, v1
	s_waitcnt vmcnt(7) lgkmcnt(6)
	v_mul_f64 v[66:67], v[36:37], v[6:7]
	v_mul_f64 v[6:7], v[38:39], v[6:7]
	s_waitcnt vmcnt(6) lgkmcnt(5)
	v_mul_f64 v[68:69], v[40:41], v[10:11]
	s_waitcnt vmcnt(4) lgkmcnt(3)
	v_mul_f64 v[116:117], v[48:49], v[18:19]
	v_mul_f64 v[10:11], v[42:43], v[10:11]
	;; [unrolled: 1-line block ×3, first 2 shown]
	v_fmac_f64_e32 v[66:67], v[38:39], v[4:5]
	v_fma_f64 v[4:5], v[36:37], v[4:5], -v[6:7]
	v_mul_f64 v[114:115], v[44:45], v[14:15]
	v_mul_f64 v[14:15], v[46:47], v[14:15]
	v_fmac_f64_e32 v[68:69], v[42:43], v[8:9]
	v_fma_f64 v[6:7], v[40:41], v[8:9], -v[10:11]
	v_fma_f64 v[10:11], v[48:49], v[16:17], -v[18:19]
	v_add_f64 v[18:19], v[66:67], 0
	v_add_f64 v[4:5], v[4:5], 0
	v_fmac_f64_e32 v[114:115], v[46:47], v[12:13]
	v_fma_f64 v[8:9], v[44:45], v[12:13], -v[14:15]
	v_add_f64 v[18:19], v[18:19], v[68:69]
	v_add_f64 v[4:5], v[4:5], v[6:7]
	s_waitcnt vmcnt(3) lgkmcnt(2)
	v_mul_f64 v[118:119], v[52:53], v[22:23]
	v_mul_f64 v[22:23], v[54:55], v[22:23]
	v_fmac_f64_e32 v[116:117], v[50:51], v[16:17]
	v_add_f64 v[6:7], v[18:19], v[114:115]
	v_add_f64 v[4:5], v[4:5], v[8:9]
	s_waitcnt vmcnt(2) lgkmcnt(1)
	v_mul_f64 v[120:121], v[56:57], v[26:27]
	v_mul_f64 v[26:27], v[58:59], v[26:27]
	v_fmac_f64_e32 v[118:119], v[54:55], v[20:21]
	v_fma_f64 v[12:13], v[52:53], v[20:21], -v[22:23]
	v_add_f64 v[6:7], v[6:7], v[116:117]
	v_add_f64 v[4:5], v[4:5], v[10:11]
	s_waitcnt vmcnt(1) lgkmcnt(0)
	v_mul_f64 v[122:123], v[60:61], v[30:31]
	v_mul_f64 v[30:31], v[62:63], v[30:31]
	v_fmac_f64_e32 v[120:121], v[58:59], v[24:25]
	v_fma_f64 v[14:15], v[56:57], v[24:25], -v[26:27]
	v_add_f64 v[6:7], v[6:7], v[118:119]
	v_add_f64 v[4:5], v[4:5], v[12:13]
	v_fmac_f64_e32 v[122:123], v[62:63], v[28:29]
	v_fma_f64 v[16:17], v[60:61], v[28:29], -v[30:31]
	v_add_f64 v[6:7], v[6:7], v[120:121]
	v_add_f64 v[4:5], v[4:5], v[14:15]
	;; [unrolled: 1-line block ×4, first 2 shown]
	s_waitcnt vmcnt(0)
	v_add_f64 v[4:5], v[32:33], -v[4:5]
	v_add_f64 v[6:7], v[34:35], -v[6:7]
	scratch_store_dwordx4 off, v[4:7], off offset:224
	s_and_saveexec_b64 s[2:3], vcc
	s_cbranch_execz .LBB21_119
; %bb.118:
	scratch_load_dwordx4 v[6:9], off, s38
	v_mov_b32_e32 v3, v2
	v_mov_b32_e32 v4, v2
	;; [unrolled: 1-line block ×3, first 2 shown]
	scratch_store_dwordx4 off, v[2:5], off offset:208
	s_waitcnt vmcnt(1)
	ds_write_b128 v64, v[6:9]
.LBB21_119:
	s_or_b64 exec, exec, s[2:3]
	s_waitcnt lgkmcnt(0)
	; wave barrier
	ds_read_b128 v[4:7], v2 offset:576
	ds_read_b128 v[8:11], v2 offset:592
	;; [unrolled: 1-line block ×4, first 2 shown]
	scratch_load_dwordx4 v[20:23], off, off offset:224
	scratch_load_dwordx4 v[40:43], off, off offset:288
	v_cmp_lt_u32_e32 vcc, 12, v1
	scratch_load_dwordx4 v[48:51], off, off offset:304
	scratch_load_dwordx4 v[56:59], off, off offset:320
	;; [unrolled: 1-line block ×3, first 2 shown]
	s_waitcnt vmcnt(4) lgkmcnt(3)
	v_mul_f64 v[24:25], v[4:5], v[22:23]
	v_fmac_f64_e32 v[24:25], v[6:7], v[20:21]
	v_add_f64 v[28:29], v[24:25], 0
	scratch_load_dwordx4 v[24:27], off, off offset:240
	s_waitcnt vmcnt(0) lgkmcnt(2)
	v_mul_f64 v[30:31], v[8:9], v[26:27]
	v_fmac_f64_e32 v[30:31], v[10:11], v[24:25]
	v_add_f64 v[32:33], v[28:29], v[30:31]
	scratch_load_dwordx4 v[28:31], off, off offset:256
	;; [unrolled: 5-line block ×3, first 2 shown]
	s_waitcnt vmcnt(0) lgkmcnt(0)
	v_mul_f64 v[38:39], v[16:17], v[34:35]
	v_fmac_f64_e32 v[38:39], v[18:19], v[32:33]
	v_add_f64 v[44:45], v[36:37], v[38:39]
	ds_read_b128 v[36:39], v2 offset:640
	s_waitcnt lgkmcnt(0)
	v_mul_f64 v[46:47], v[36:37], v[42:43]
	v_fmac_f64_e32 v[46:47], v[38:39], v[40:41]
	v_add_f64 v[52:53], v[44:45], v[46:47]
	ds_read_b128 v[44:47], v2 offset:656
	s_waitcnt lgkmcnt(0)
	;; [unrolled: 5-line block ×4, first 2 shown]
	v_mul_f64 v[2:3], v[60:61], v[68:69]
	v_fmac_f64_e32 v[2:3], v[62:63], v[66:67]
	v_add_f64 v[114:115], v[114:115], v[2:3]
	v_mul_f64 v[2:3], v[6:7], v[22:23]
	v_fma_f64 v[2:3], v[4:5], v[20:21], -v[2:3]
	v_mul_f64 v[4:5], v[10:11], v[26:27]
	v_add_f64 v[2:3], v[2:3], 0
	v_fma_f64 v[4:5], v[8:9], v[24:25], -v[4:5]
	v_add_f64 v[2:3], v[2:3], v[4:5]
	v_mul_f64 v[4:5], v[14:15], v[30:31]
	v_fma_f64 v[4:5], v[12:13], v[28:29], -v[4:5]
	v_add_f64 v[2:3], v[2:3], v[4:5]
	v_mul_f64 v[4:5], v[18:19], v[34:35]
	v_fma_f64 v[4:5], v[16:17], v[32:33], -v[4:5]
	v_add_f64 v[2:3], v[2:3], v[4:5]
	v_mul_f64 v[4:5], v[38:39], v[42:43]
	v_fma_f64 v[4:5], v[36:37], v[40:41], -v[4:5]
	v_add_f64 v[2:3], v[2:3], v[4:5]
	v_mul_f64 v[4:5], v[46:47], v[50:51]
	v_fma_f64 v[4:5], v[44:45], v[48:49], -v[4:5]
	v_add_f64 v[2:3], v[2:3], v[4:5]
	v_mul_f64 v[4:5], v[54:55], v[58:59]
	v_fma_f64 v[4:5], v[52:53], v[56:57], -v[4:5]
	v_add_f64 v[2:3], v[2:3], v[4:5]
	v_mul_f64 v[4:5], v[62:63], v[68:69]
	v_fma_f64 v[4:5], v[60:61], v[66:67], -v[4:5]
	v_add_f64 v[6:7], v[2:3], v[4:5]
	scratch_load_dwordx4 v[2:5], off, off offset:208
	s_waitcnt vmcnt(0)
	v_add_f64 v[2:3], v[2:3], -v[6:7]
	v_add_f64 v[4:5], v[4:5], -v[114:115]
	scratch_store_dwordx4 off, v[2:5], off offset:208
	s_and_saveexec_b64 s[2:3], vcc
	s_cbranch_execz .LBB21_121
; %bb.120:
	scratch_load_dwordx4 v[2:5], off, s37
	v_mov_b32_e32 v6, 0
	v_mov_b32_e32 v7, v6
	;; [unrolled: 1-line block ×4, first 2 shown]
	scratch_store_dwordx4 off, v[6:9], off offset:192
	s_waitcnt vmcnt(1)
	ds_write_b128 v64, v[2:5]
.LBB21_121:
	s_or_b64 exec, exec, s[2:3]
	v_mov_b32_e32 v2, 0
	s_waitcnt lgkmcnt(0)
	; wave barrier
	ds_read_b128 v[4:7], v2 offset:560
	ds_read_b128 v[8:11], v2 offset:576
	;; [unrolled: 1-line block ×4, first 2 shown]
	scratch_load_dwordx4 v[20:23], off, off offset:208
	scratch_load_dwordx4 v[40:43], off, off offset:272
	;; [unrolled: 1-line block ×3, first 2 shown]
	v_cmp_lt_u32_e32 vcc, 11, v1
	scratch_load_dwordx4 v[48:51], off, off offset:288
	scratch_load_dwordx4 v[56:59], off, off offset:304
	;; [unrolled: 1-line block ×3, first 2 shown]
	s_waitcnt vmcnt(5) lgkmcnt(3)
	v_mul_f64 v[24:25], v[4:5], v[22:23]
	v_fmac_f64_e32 v[24:25], v[6:7], v[20:21]
	v_add_f64 v[28:29], v[24:25], 0
	scratch_load_dwordx4 v[24:27], off, off offset:224
	v_mul_f64 v[6:7], v[6:7], v[22:23]
	v_fma_f64 v[4:5], v[4:5], v[20:21], -v[6:7]
	v_add_f64 v[4:5], v[4:5], 0
	s_waitcnt vmcnt(0) lgkmcnt(2)
	v_mul_f64 v[30:31], v[8:9], v[26:27]
	v_fmac_f64_e32 v[30:31], v[10:11], v[24:25]
	v_add_f64 v[32:33], v[28:29], v[30:31]
	scratch_load_dwordx4 v[28:31], off, off offset:240
	v_mul_f64 v[6:7], v[10:11], v[26:27]
	v_fma_f64 v[6:7], v[8:9], v[24:25], -v[6:7]
	v_add_f64 v[4:5], v[4:5], v[6:7]
	;; [unrolled: 8-line block ×3, first 2 shown]
	s_waitcnt vmcnt(0) lgkmcnt(0)
	v_mul_f64 v[38:39], v[16:17], v[34:35]
	v_fmac_f64_e32 v[38:39], v[18:19], v[32:33]
	v_add_f64 v[44:45], v[36:37], v[38:39]
	ds_read_b128 v[36:39], v2 offset:624
	v_mul_f64 v[6:7], v[18:19], v[34:35]
	v_fma_f64 v[6:7], v[16:17], v[32:33], -v[6:7]
	v_add_f64 v[4:5], v[4:5], v[6:7]
	s_waitcnt lgkmcnt(0)
	v_mul_f64 v[46:47], v[36:37], v[42:43]
	v_fmac_f64_e32 v[46:47], v[38:39], v[40:41]
	v_add_f64 v[52:53], v[44:45], v[46:47]
	ds_read_b128 v[44:47], v2 offset:640
	v_mul_f64 v[6:7], v[38:39], v[42:43]
	v_fma_f64 v[6:7], v[36:37], v[40:41], -v[6:7]
	v_add_f64 v[4:5], v[4:5], v[6:7]
	s_waitcnt lgkmcnt(0)
	;; [unrolled: 8-line block ×5, first 2 shown]
	v_mul_f64 v[6:7], v[116:117], v[120:121]
	v_fma_f64 v[6:7], v[114:115], v[118:119], -v[6:7]
	v_add_f64 v[8:9], v[4:5], v[6:7]
	scratch_load_dwordx4 v[4:7], off, off offset:192
	v_mul_f64 v[124:125], v[114:115], v[120:121]
	v_fmac_f64_e32 v[124:125], v[116:117], v[118:119]
	v_add_f64 v[122:123], v[122:123], v[124:125]
	s_waitcnt vmcnt(0)
	v_add_f64 v[4:5], v[4:5], -v[8:9]
	v_add_f64 v[6:7], v[6:7], -v[122:123]
	scratch_store_dwordx4 off, v[4:7], off offset:192
	s_and_saveexec_b64 s[2:3], vcc
	s_cbranch_execz .LBB21_123
; %bb.122:
	scratch_load_dwordx4 v[6:9], off, s34
	v_mov_b32_e32 v3, v2
	v_mov_b32_e32 v4, v2
	;; [unrolled: 1-line block ×3, first 2 shown]
	scratch_store_dwordx4 off, v[2:5], off offset:176
	s_waitcnt vmcnt(1)
	ds_write_b128 v64, v[6:9]
.LBB21_123:
	s_or_b64 exec, exec, s[2:3]
	s_waitcnt lgkmcnt(0)
	; wave barrier
	scratch_load_dwordx4 v[4:7], off, off offset:192
	scratch_load_dwordx4 v[8:11], off, off offset:208
	;; [unrolled: 1-line block ×11, first 2 shown]
	ds_read_b128 v[48:51], v2 offset:544
	ds_read_b128 v[52:55], v2 offset:560
	;; [unrolled: 1-line block ×10, first 2 shown]
	v_cmp_lt_u32_e32 vcc, 10, v1
	s_waitcnt vmcnt(10) lgkmcnt(9)
	v_mul_f64 v[2:3], v[48:49], v[6:7]
	v_mul_f64 v[6:7], v[50:51], v[6:7]
	s_waitcnt vmcnt(9) lgkmcnt(8)
	v_mul_f64 v[134:135], v[52:53], v[10:11]
	v_mul_f64 v[10:11], v[54:55], v[10:11]
	v_fmac_f64_e32 v[2:3], v[50:51], v[4:5]
	v_fma_f64 v[4:5], v[48:49], v[4:5], -v[6:7]
	s_waitcnt vmcnt(8) lgkmcnt(7)
	v_mul_f64 v[136:137], v[56:57], v[14:15]
	v_mul_f64 v[14:15], v[58:59], v[14:15]
	v_fmac_f64_e32 v[134:135], v[54:55], v[8:9]
	v_fma_f64 v[6:7], v[52:53], v[8:9], -v[10:11]
	v_add_f64 v[2:3], v[2:3], 0
	v_add_f64 v[4:5], v[4:5], 0
	s_waitcnt vmcnt(7) lgkmcnt(6)
	v_mul_f64 v[138:139], v[60:61], v[18:19]
	v_mul_f64 v[18:19], v[62:63], v[18:19]
	v_fmac_f64_e32 v[136:137], v[58:59], v[12:13]
	v_fma_f64 v[8:9], v[56:57], v[12:13], -v[14:15]
	v_add_f64 v[2:3], v[2:3], v[134:135]
	v_add_f64 v[4:5], v[4:5], v[6:7]
	;; [unrolled: 7-line block ×8, first 2 shown]
	v_fmac_f64_e32 v[150:151], v[132:133], v[40:41]
	v_fma_f64 v[22:23], v[130:131], v[40:41], -v[42:43]
	v_add_f64 v[2:3], v[2:3], v[148:149]
	v_add_f64 v[4:5], v[4:5], v[20:21]
	;; [unrolled: 1-line block ×4, first 2 shown]
	s_waitcnt vmcnt(0)
	v_add_f64 v[2:3], v[44:45], -v[2:3]
	v_add_f64 v[4:5], v[46:47], -v[6:7]
	scratch_store_dwordx4 off, v[2:5], off offset:176
	s_and_saveexec_b64 s[2:3], vcc
	s_cbranch_execz .LBB21_125
; %bb.124:
	scratch_load_dwordx4 v[2:5], off, s29
	v_mov_b32_e32 v6, 0
	v_mov_b32_e32 v7, v6
	;; [unrolled: 1-line block ×4, first 2 shown]
	scratch_store_dwordx4 off, v[6:9], off offset:160
	s_waitcnt vmcnt(1)
	ds_write_b128 v64, v[2:5]
.LBB21_125:
	s_or_b64 exec, exec, s[2:3]
	s_waitcnt lgkmcnt(0)
	; wave barrier
	scratch_load_dwordx4 v[4:7], off, off offset:176
	scratch_load_dwordx4 v[8:11], off, off offset:192
	;; [unrolled: 1-line block ×12, first 2 shown]
	v_mov_b32_e32 v2, 0
	ds_read_b128 v[52:55], v2 offset:528
	ds_read_b128 v[56:59], v2 offset:544
	;; [unrolled: 1-line block ×11, first 2 shown]
	v_cmp_lt_u32_e32 vcc, 9, v1
	s_waitcnt vmcnt(11) lgkmcnt(10)
	v_mul_f64 v[142:143], v[52:53], v[6:7]
	v_mul_f64 v[6:7], v[54:55], v[6:7]
	s_waitcnt vmcnt(10) lgkmcnt(9)
	v_mul_f64 v[144:145], v[56:57], v[10:11]
	s_waitcnt vmcnt(9) lgkmcnt(8)
	v_mul_f64 v[146:147], v[60:61], v[14:15]
	v_mul_f64 v[10:11], v[58:59], v[10:11]
	s_waitcnt vmcnt(6) lgkmcnt(5)
	v_mul_f64 v[152:153], v[118:119], v[26:27]
	v_mul_f64 v[14:15], v[62:63], v[14:15]
	;; [unrolled: 1-line block ×3, first 2 shown]
	v_fmac_f64_e32 v[142:143], v[54:55], v[4:5]
	v_fma_f64 v[4:5], v[52:53], v[4:5], -v[6:7]
	v_fmac_f64_e32 v[144:145], v[58:59], v[8:9]
	v_fma_f64 v[6:7], v[56:57], v[8:9], -v[10:11]
	v_fma_f64 v[8:9], v[60:61], v[12:13], -v[14:15]
	;; [unrolled: 1-line block ×3, first 2 shown]
	v_add_f64 v[26:27], v[142:143], 0
	v_add_f64 v[4:5], v[4:5], 0
	v_mul_f64 v[148:149], v[66:67], v[18:19]
	v_mul_f64 v[18:19], v[68:69], v[18:19]
	v_fmac_f64_e32 v[146:147], v[62:63], v[12:13]
	v_add_f64 v[26:27], v[26:27], v[144:145]
	v_add_f64 v[4:5], v[4:5], v[6:7]
	v_mul_f64 v[150:151], v[114:115], v[22:23]
	v_mul_f64 v[22:23], v[116:117], v[22:23]
	v_fmac_f64_e32 v[148:149], v[68:69], v[16:17]
	v_fma_f64 v[10:11], v[66:67], v[16:17], -v[18:19]
	v_add_f64 v[6:7], v[26:27], v[146:147]
	v_add_f64 v[4:5], v[4:5], v[8:9]
	v_fmac_f64_e32 v[150:151], v[116:117], v[20:21]
	v_fma_f64 v[12:13], v[114:115], v[20:21], -v[22:23]
	v_add_f64 v[6:7], v[6:7], v[148:149]
	v_add_f64 v[4:5], v[4:5], v[10:11]
	s_waitcnt vmcnt(5) lgkmcnt(4)
	v_mul_f64 v[154:155], v[122:123], v[30:31]
	v_mul_f64 v[30:31], v[124:125], v[30:31]
	v_fmac_f64_e32 v[152:153], v[120:121], v[24:25]
	v_add_f64 v[6:7], v[6:7], v[150:151]
	v_add_f64 v[4:5], v[4:5], v[12:13]
	s_waitcnt vmcnt(4) lgkmcnt(3)
	v_mul_f64 v[156:157], v[126:127], v[34:35]
	v_mul_f64 v[34:35], v[128:129], v[34:35]
	v_fmac_f64_e32 v[154:155], v[124:125], v[28:29]
	v_fma_f64 v[16:17], v[122:123], v[28:29], -v[30:31]
	v_add_f64 v[6:7], v[6:7], v[152:153]
	v_add_f64 v[4:5], v[4:5], v[14:15]
	s_waitcnt vmcnt(3) lgkmcnt(2)
	v_mul_f64 v[158:159], v[130:131], v[38:39]
	v_mul_f64 v[38:39], v[132:133], v[38:39]
	v_fmac_f64_e32 v[156:157], v[128:129], v[32:33]
	v_fma_f64 v[18:19], v[126:127], v[32:33], -v[34:35]
	;; [unrolled: 7-line block ×4, first 2 shown]
	v_add_f64 v[6:7], v[6:7], v[158:159]
	v_add_f64 v[4:5], v[4:5], v[20:21]
	v_fmac_f64_e32 v[162:163], v[140:141], v[44:45]
	v_fma_f64 v[24:25], v[138:139], v[44:45], -v[46:47]
	v_add_f64 v[6:7], v[6:7], v[160:161]
	v_add_f64 v[4:5], v[4:5], v[22:23]
	;; [unrolled: 1-line block ×4, first 2 shown]
	s_waitcnt vmcnt(0)
	v_add_f64 v[4:5], v[48:49], -v[4:5]
	v_add_f64 v[6:7], v[50:51], -v[6:7]
	scratch_store_dwordx4 off, v[4:7], off offset:160
	s_and_saveexec_b64 s[2:3], vcc
	s_cbranch_execz .LBB21_127
; %bb.126:
	scratch_load_dwordx4 v[6:9], off, s26
	v_mov_b32_e32 v3, v2
	v_mov_b32_e32 v4, v2
	;; [unrolled: 1-line block ×3, first 2 shown]
	scratch_store_dwordx4 off, v[2:5], off offset:144
	s_waitcnt vmcnt(1)
	ds_write_b128 v64, v[6:9]
.LBB21_127:
	s_or_b64 exec, exec, s[2:3]
	s_waitcnt lgkmcnt(0)
	; wave barrier
	ds_read_b128 v[4:7], v2 offset:512
	ds_read_b128 v[8:11], v2 offset:528
	;; [unrolled: 1-line block ×4, first 2 shown]
	scratch_load_dwordx4 v[20:23], off, off offset:160
	scratch_load_dwordx4 v[40:43], off, off offset:224
	;; [unrolled: 1-line block ×6, first 2 shown]
	v_cmp_lt_u32_e32 vcc, 8, v1
	scratch_load_dwordx4 v[48:51], off, off offset:240
	scratch_load_dwordx4 v[56:59], off, off offset:256
	;; [unrolled: 1-line block ×3, first 2 shown]
	s_waitcnt vmcnt(8) lgkmcnt(3)
	v_mul_f64 v[24:25], v[4:5], v[22:23]
	v_fmac_f64_e32 v[24:25], v[6:7], v[20:21]
	v_add_f64 v[28:29], v[24:25], 0
	scratch_load_dwordx4 v[24:27], off, off offset:176
	s_waitcnt vmcnt(0) lgkmcnt(2)
	v_mul_f64 v[30:31], v[8:9], v[26:27]
	v_fmac_f64_e32 v[30:31], v[10:11], v[24:25]
	v_add_f64 v[32:33], v[28:29], v[30:31]
	scratch_load_dwordx4 v[28:31], off, off offset:192
	;; [unrolled: 5-line block ×3, first 2 shown]
	s_waitcnt vmcnt(0) lgkmcnt(0)
	v_mul_f64 v[38:39], v[16:17], v[34:35]
	v_fmac_f64_e32 v[38:39], v[18:19], v[32:33]
	v_add_f64 v[44:45], v[36:37], v[38:39]
	ds_read_b128 v[36:39], v2 offset:576
	s_waitcnt lgkmcnt(0)
	v_mul_f64 v[46:47], v[36:37], v[42:43]
	v_fmac_f64_e32 v[46:47], v[38:39], v[40:41]
	v_add_f64 v[52:53], v[44:45], v[46:47]
	ds_read_b128 v[44:47], v2 offset:592
	s_waitcnt lgkmcnt(0)
	;; [unrolled: 5-line block ×8, first 2 shown]
	v_mul_f64 v[2:3], v[138:139], v[144:145]
	v_fmac_f64_e32 v[2:3], v[140:141], v[142:143]
	v_add_f64 v[146:147], v[146:147], v[2:3]
	v_mul_f64 v[2:3], v[6:7], v[22:23]
	v_fma_f64 v[2:3], v[4:5], v[20:21], -v[2:3]
	v_mul_f64 v[4:5], v[10:11], v[26:27]
	v_add_f64 v[2:3], v[2:3], 0
	v_fma_f64 v[4:5], v[8:9], v[24:25], -v[4:5]
	v_add_f64 v[2:3], v[2:3], v[4:5]
	v_mul_f64 v[4:5], v[14:15], v[30:31]
	v_fma_f64 v[4:5], v[12:13], v[28:29], -v[4:5]
	v_add_f64 v[2:3], v[2:3], v[4:5]
	v_mul_f64 v[4:5], v[18:19], v[34:35]
	;; [unrolled: 3-line block ×10, first 2 shown]
	v_fma_f64 v[4:5], v[138:139], v[142:143], -v[4:5]
	v_add_f64 v[6:7], v[2:3], v[4:5]
	scratch_load_dwordx4 v[2:5], off, off offset:144
	s_waitcnt vmcnt(0)
	v_add_f64 v[2:3], v[2:3], -v[6:7]
	v_add_f64 v[4:5], v[4:5], -v[146:147]
	scratch_store_dwordx4 off, v[2:5], off offset:144
	s_and_saveexec_b64 s[2:3], vcc
	s_cbranch_execz .LBB21_129
; %bb.128:
	scratch_load_dwordx4 v[2:5], off, s17
	v_mov_b32_e32 v6, 0
	v_mov_b32_e32 v7, v6
	;; [unrolled: 1-line block ×4, first 2 shown]
	scratch_store_dwordx4 off, v[6:9], off offset:128
	s_waitcnt vmcnt(1)
	ds_write_b128 v64, v[2:5]
.LBB21_129:
	s_or_b64 exec, exec, s[2:3]
	v_mov_b32_e32 v2, 0
	s_waitcnt lgkmcnt(0)
	; wave barrier
	ds_read_b128 v[4:7], v2 offset:496
	ds_read_b128 v[8:11], v2 offset:512
	;; [unrolled: 1-line block ×4, first 2 shown]
	scratch_load_dwordx4 v[20:23], off, off offset:144
	scratch_load_dwordx4 v[40:43], off, off offset:208
	;; [unrolled: 1-line block ×7, first 2 shown]
	v_cmp_lt_u32_e32 vcc, 7, v1
	scratch_load_dwordx4 v[48:51], off, off offset:224
	scratch_load_dwordx4 v[56:59], off, off offset:240
	;; [unrolled: 1-line block ×3, first 2 shown]
	s_waitcnt vmcnt(9) lgkmcnt(3)
	v_mul_f64 v[24:25], v[4:5], v[22:23]
	v_fmac_f64_e32 v[24:25], v[6:7], v[20:21]
	v_add_f64 v[28:29], v[24:25], 0
	scratch_load_dwordx4 v[24:27], off, off offset:160
	v_mul_f64 v[6:7], v[6:7], v[22:23]
	v_fma_f64 v[4:5], v[4:5], v[20:21], -v[6:7]
	v_add_f64 v[4:5], v[4:5], 0
	s_waitcnt vmcnt(0) lgkmcnt(2)
	v_mul_f64 v[30:31], v[8:9], v[26:27]
	v_fmac_f64_e32 v[30:31], v[10:11], v[24:25]
	v_add_f64 v[32:33], v[28:29], v[30:31]
	scratch_load_dwordx4 v[28:31], off, off offset:176
	v_mul_f64 v[6:7], v[10:11], v[26:27]
	v_fma_f64 v[6:7], v[8:9], v[24:25], -v[6:7]
	v_add_f64 v[4:5], v[4:5], v[6:7]
	;; [unrolled: 8-line block ×3, first 2 shown]
	s_waitcnt vmcnt(0) lgkmcnt(0)
	v_mul_f64 v[38:39], v[16:17], v[34:35]
	v_fmac_f64_e32 v[38:39], v[18:19], v[32:33]
	v_add_f64 v[44:45], v[36:37], v[38:39]
	ds_read_b128 v[36:39], v2 offset:560
	v_mul_f64 v[6:7], v[18:19], v[34:35]
	v_fma_f64 v[6:7], v[16:17], v[32:33], -v[6:7]
	v_add_f64 v[4:5], v[4:5], v[6:7]
	s_waitcnt lgkmcnt(0)
	v_mul_f64 v[46:47], v[36:37], v[42:43]
	v_fmac_f64_e32 v[46:47], v[38:39], v[40:41]
	v_add_f64 v[52:53], v[44:45], v[46:47]
	ds_read_b128 v[44:47], v2 offset:576
	v_mul_f64 v[6:7], v[38:39], v[42:43]
	v_fma_f64 v[6:7], v[36:37], v[40:41], -v[6:7]
	v_add_f64 v[4:5], v[4:5], v[6:7]
	s_waitcnt lgkmcnt(0)
	;; [unrolled: 8-line block ×9, first 2 shown]
	v_mul_f64 v[6:7], v[148:149], v[152:153]
	v_fma_f64 v[6:7], v[146:147], v[150:151], -v[6:7]
	v_add_f64 v[8:9], v[4:5], v[6:7]
	scratch_load_dwordx4 v[4:7], off, off offset:128
	v_mul_f64 v[156:157], v[146:147], v[152:153]
	v_fmac_f64_e32 v[156:157], v[148:149], v[150:151]
	v_add_f64 v[154:155], v[154:155], v[156:157]
	s_waitcnt vmcnt(0)
	v_add_f64 v[4:5], v[4:5], -v[8:9]
	v_add_f64 v[6:7], v[6:7], -v[154:155]
	scratch_store_dwordx4 off, v[4:7], off offset:128
	s_and_saveexec_b64 s[2:3], vcc
	s_cbranch_execz .LBB21_131
; %bb.130:
	scratch_load_dwordx4 v[6:9], off, s30
	v_mov_b32_e32 v3, v2
	v_mov_b32_e32 v4, v2
	;; [unrolled: 1-line block ×3, first 2 shown]
	scratch_store_dwordx4 off, v[2:5], off offset:112
	s_waitcnt vmcnt(1)
	ds_write_b128 v64, v[6:9]
.LBB21_131:
	s_or_b64 exec, exec, s[2:3]
	s_waitcnt lgkmcnt(0)
	; wave barrier
	ds_read_b128 v[4:7], v2 offset:480
	ds_read_b128 v[8:11], v2 offset:496
	;; [unrolled: 1-line block ×4, first 2 shown]
	scratch_load_dwordx4 v[20:23], off, off offset:128
	scratch_load_dwordx4 v[40:43], off, off offset:192
	;; [unrolled: 1-line block ×8, first 2 shown]
	v_cmp_lt_u32_e32 vcc, 6, v1
	scratch_load_dwordx4 v[48:51], off, off offset:208
	scratch_load_dwordx4 v[56:59], off, off offset:224
	;; [unrolled: 1-line block ×3, first 2 shown]
	s_waitcnt vmcnt(10) lgkmcnt(3)
	v_mul_f64 v[24:25], v[4:5], v[22:23]
	v_fmac_f64_e32 v[24:25], v[6:7], v[20:21]
	v_add_f64 v[28:29], v[24:25], 0
	scratch_load_dwordx4 v[24:27], off, off offset:144
	s_waitcnt vmcnt(0) lgkmcnt(2)
	v_mul_f64 v[30:31], v[8:9], v[26:27]
	v_fmac_f64_e32 v[30:31], v[10:11], v[24:25]
	v_add_f64 v[32:33], v[28:29], v[30:31]
	scratch_load_dwordx4 v[28:31], off, off offset:160
	;; [unrolled: 5-line block ×3, first 2 shown]
	s_waitcnt vmcnt(0) lgkmcnt(0)
	v_mul_f64 v[38:39], v[16:17], v[34:35]
	v_fmac_f64_e32 v[38:39], v[18:19], v[32:33]
	v_add_f64 v[44:45], v[36:37], v[38:39]
	ds_read_b128 v[36:39], v2 offset:544
	s_waitcnt lgkmcnt(0)
	v_mul_f64 v[46:47], v[36:37], v[42:43]
	v_fmac_f64_e32 v[46:47], v[38:39], v[40:41]
	v_add_f64 v[52:53], v[44:45], v[46:47]
	ds_read_b128 v[44:47], v2 offset:560
	s_waitcnt lgkmcnt(0)
	;; [unrolled: 5-line block ×10, first 2 shown]
	v_mul_f64 v[2:3], v[154:155], v[160:161]
	v_fmac_f64_e32 v[2:3], v[156:157], v[158:159]
	v_add_f64 v[162:163], v[162:163], v[2:3]
	v_mul_f64 v[2:3], v[6:7], v[22:23]
	v_fma_f64 v[2:3], v[4:5], v[20:21], -v[2:3]
	v_mul_f64 v[4:5], v[10:11], v[26:27]
	v_add_f64 v[2:3], v[2:3], 0
	v_fma_f64 v[4:5], v[8:9], v[24:25], -v[4:5]
	v_add_f64 v[2:3], v[2:3], v[4:5]
	v_mul_f64 v[4:5], v[14:15], v[30:31]
	v_fma_f64 v[4:5], v[12:13], v[28:29], -v[4:5]
	v_add_f64 v[2:3], v[2:3], v[4:5]
	v_mul_f64 v[4:5], v[18:19], v[34:35]
	;; [unrolled: 3-line block ×12, first 2 shown]
	v_fma_f64 v[4:5], v[154:155], v[158:159], -v[4:5]
	v_add_f64 v[6:7], v[2:3], v[4:5]
	scratch_load_dwordx4 v[2:5], off, off offset:112
	s_waitcnt vmcnt(0)
	v_add_f64 v[2:3], v[2:3], -v[6:7]
	v_add_f64 v[4:5], v[4:5], -v[162:163]
	scratch_store_dwordx4 off, v[2:5], off offset:112
	s_and_saveexec_b64 s[2:3], vcc
	s_cbranch_execz .LBB21_133
; %bb.132:
	scratch_load_dwordx4 v[2:5], off, s27
	v_mov_b32_e32 v6, 0
	v_mov_b32_e32 v7, v6
	;; [unrolled: 1-line block ×4, first 2 shown]
	scratch_store_dwordx4 off, v[6:9], off offset:96
	s_waitcnt vmcnt(1)
	ds_write_b128 v64, v[2:5]
.LBB21_133:
	s_or_b64 exec, exec, s[2:3]
	s_waitcnt lgkmcnt(0)
	; wave barrier
	scratch_load_dwordx4 v[4:7], off, off offset:112
	scratch_load_dwordx4 v[12:15], off, off offset:128
	;; [unrolled: 1-line block ×16, first 2 shown]
	v_mov_b32_e32 v2, 0
	ds_read_b128 v[114:117], v2 offset:464
	ds_read_b128 v[118:121], v2 offset:480
	;; [unrolled: 1-line block ×15, first 2 shown]
	v_cmp_lt_u32_e32 vcc, 5, v1
	s_waitcnt vmcnt(15) lgkmcnt(14)
	v_mul_f64 v[174:175], v[114:115], v[6:7]
	v_mul_f64 v[6:7], v[116:117], v[6:7]
	s_waitcnt vmcnt(14) lgkmcnt(13)
	v_mul_f64 v[176:177], v[118:119], v[14:15]
	v_mul_f64 v[14:15], v[120:121], v[14:15]
	v_fmac_f64_e32 v[174:175], v[116:117], v[4:5]
	v_fma_f64 v[4:5], v[114:115], v[4:5], -v[6:7]
	s_waitcnt vmcnt(13) lgkmcnt(12)
	v_mul_f64 v[178:179], v[122:123], v[10:11]
	v_mul_f64 v[10:11], v[124:125], v[10:11]
	v_fma_f64 v[6:7], v[118:119], v[12:13], -v[14:15]
	v_add_f64 v[4:5], v[4:5], 0
	s_waitcnt vmcnt(12) lgkmcnt(11)
	v_mul_f64 v[180:181], v[126:127], v[18:19]
	v_mul_f64 v[18:19], v[128:129], v[18:19]
	v_fmac_f64_e32 v[178:179], v[124:125], v[8:9]
	v_fma_f64 v[8:9], v[122:123], v[8:9], -v[10:11]
	v_add_f64 v[4:5], v[4:5], v[6:7]
	s_waitcnt vmcnt(11) lgkmcnt(10)
	v_mul_f64 v[182:183], v[130:131], v[22:23]
	v_mul_f64 v[22:23], v[132:133], v[22:23]
	v_fma_f64 v[10:11], v[126:127], v[16:17], -v[18:19]
	v_add_f64 v[4:5], v[4:5], v[8:9]
	s_waitcnt vmcnt(10) lgkmcnt(9)
	v_mul_f64 v[184:185], v[134:135], v[30:31]
	v_mul_f64 v[30:31], v[136:137], v[30:31]
	v_fmac_f64_e32 v[176:177], v[120:121], v[12:13]
	v_fma_f64 v[12:13], v[130:131], v[20:21], -v[22:23]
	v_add_f64 v[4:5], v[4:5], v[10:11]
	v_fma_f64 v[14:15], v[134:135], v[28:29], -v[30:31]
	v_add_f64 v[4:5], v[4:5], v[12:13]
	s_waitcnt vmcnt(9) lgkmcnt(8)
	v_mul_f64 v[8:9], v[140:141], v[26:27]
	v_add_f64 v[4:5], v[4:5], v[14:15]
	v_fma_f64 v[8:9], v[138:139], v[24:25], -v[8:9]
	v_add_f64 v[4:5], v[4:5], v[8:9]
	s_waitcnt vmcnt(8) lgkmcnt(7)
	v_mul_f64 v[8:9], v[144:145], v[34:35]
	v_fma_f64 v[8:9], v[142:143], v[32:33], -v[8:9]
	v_fmac_f64_e32 v[180:181], v[128:129], v[16:17]
	v_add_f64 v[16:17], v[174:175], 0
	v_add_f64 v[4:5], v[4:5], v[8:9]
	s_waitcnt vmcnt(7) lgkmcnt(6)
	v_mul_f64 v[8:9], v[148:149], v[38:39]
	v_add_f64 v[16:17], v[16:17], v[176:177]
	v_fma_f64 v[8:9], v[146:147], v[36:37], -v[8:9]
	v_add_f64 v[6:7], v[16:17], v[178:179]
	v_add_f64 v[4:5], v[4:5], v[8:9]
	s_waitcnt vmcnt(6) lgkmcnt(5)
	v_mul_f64 v[8:9], v[152:153], v[42:43]
	v_fmac_f64_e32 v[182:183], v[132:133], v[20:21]
	v_add_f64 v[6:7], v[6:7], v[180:181]
	v_fma_f64 v[8:9], v[150:151], v[40:41], -v[8:9]
	v_mul_f64 v[186:187], v[138:139], v[26:27]
	v_fmac_f64_e32 v[184:185], v[136:137], v[28:29]
	v_add_f64 v[6:7], v[6:7], v[182:183]
	v_add_f64 v[4:5], v[4:5], v[8:9]
	s_waitcnt vmcnt(5) lgkmcnt(4)
	v_mul_f64 v[8:9], v[156:157], v[46:47]
	v_mul_f64 v[188:189], v[142:143], v[34:35]
	v_fmac_f64_e32 v[186:187], v[140:141], v[24:25]
	v_add_f64 v[6:7], v[6:7], v[184:185]
	v_fma_f64 v[8:9], v[154:155], v[44:45], -v[8:9]
	v_mul_f64 v[190:191], v[146:147], v[38:39]
	v_fmac_f64_e32 v[188:189], v[144:145], v[32:33]
	v_add_f64 v[6:7], v[6:7], v[186:187]
	v_add_f64 v[4:5], v[4:5], v[8:9]
	s_waitcnt vmcnt(4) lgkmcnt(3)
	v_mul_f64 v[8:9], v[160:161], v[50:51]
	;; [unrolled: 10-line block ×4, first 2 shown]
	v_mul_f64 v[200:201], v[166:167], v[58:59]
	v_fmac_f64_e32 v[198:199], v[164:165], v[52:53]
	v_add_f64 v[6:7], v[6:7], v[196:197]
	v_fma_f64 v[8:9], v[166:167], v[56:57], -v[8:9]
	s_waitcnt vmcnt(1) lgkmcnt(0)
	v_mul_f64 v[202:203], v[170:171], v[62:63]
	v_fmac_f64_e32 v[200:201], v[168:169], v[56:57]
	v_add_f64 v[6:7], v[6:7], v[198:199]
	v_add_f64 v[4:5], v[4:5], v[8:9]
	v_mul_f64 v[8:9], v[172:173], v[62:63]
	v_fmac_f64_e32 v[202:203], v[172:173], v[60:61]
	v_add_f64 v[6:7], v[6:7], v[200:201]
	v_fma_f64 v[8:9], v[170:171], v[60:61], -v[8:9]
	v_add_f64 v[6:7], v[6:7], v[202:203]
	v_add_f64 v[4:5], v[4:5], v[8:9]
	s_waitcnt vmcnt(0)
	v_add_f64 v[4:5], v[66:67], -v[4:5]
	v_add_f64 v[6:7], v[68:69], -v[6:7]
	scratch_store_dwordx4 off, v[4:7], off offset:96
	s_and_saveexec_b64 s[2:3], vcc
	s_cbranch_execz .LBB21_135
; %bb.134:
	scratch_load_dwordx4 v[6:9], off, s24
	v_mov_b32_e32 v3, v2
	v_mov_b32_e32 v4, v2
	v_mov_b32_e32 v5, v2
	scratch_store_dwordx4 off, v[2:5], off offset:80
	s_waitcnt vmcnt(1)
	ds_write_b128 v64, v[6:9]
.LBB21_135:
	s_or_b64 exec, exec, s[2:3]
	s_waitcnt lgkmcnt(0)
	; wave barrier
	scratch_load_dwordx4 v[4:7], off, off offset:96
	scratch_load_dwordx4 v[8:11], off, off offset:112
	scratch_load_dwordx4 v[12:15], off, off offset:128
	scratch_load_dwordx4 v[16:19], off, off offset:144
	scratch_load_dwordx4 v[24:27], off, off offset:160
	scratch_load_dwordx4 v[20:23], off, off offset:176
	scratch_load_dwordx4 v[28:31], off, off offset:192
	scratch_load_dwordx4 v[32:35], off, off offset:208
	scratch_load_dwordx4 v[36:39], off, off offset:224
	scratch_load_dwordx4 v[40:43], off, off offset:240
	scratch_load_dwordx4 v[44:47], off, off offset:256
	scratch_load_dwordx4 v[48:51], off, off offset:272
	scratch_load_dwordx4 v[52:55], off, off offset:288
	scratch_load_dwordx4 v[56:59], off, off offset:304
	scratch_load_dwordx4 v[60:63], off, off offset:320
	scratch_load_dwordx4 v[66:69], off, off offset:336
	ds_read_b128 v[114:117], v2 offset:448
	ds_read_b128 v[118:121], v2 offset:464
	;; [unrolled: 1-line block ×16, first 2 shown]
	scratch_load_dwordx4 v[178:181], off, off offset:80
	v_cmp_lt_u32_e32 vcc, 4, v1
	s_waitcnt vmcnt(16) lgkmcnt(14)
	v_mul_f64 v[2:3], v[114:115], v[6:7]
	s_waitcnt vmcnt(15)
	v_mul_f64 v[182:183], v[118:119], v[10:11]
	v_fmac_f64_e32 v[2:3], v[116:117], v[4:5]
	s_waitcnt vmcnt(14) lgkmcnt(13)
	v_mul_f64 v[184:185], v[122:123], v[14:15]
	v_fmac_f64_e32 v[182:183], v[120:121], v[8:9]
	v_add_f64 v[2:3], v[2:3], 0
	s_waitcnt vmcnt(13) lgkmcnt(12)
	v_mul_f64 v[186:187], v[126:127], v[18:19]
	v_fmac_f64_e32 v[184:185], v[124:125], v[12:13]
	v_add_f64 v[2:3], v[2:3], v[182:183]
	;; [unrolled: 4-line block ×10, first 2 shown]
	s_waitcnt vmcnt(4) lgkmcnt(3)
	v_mul_f64 v[204:205], v[162:163], v[54:55]
	v_mul_f64 v[6:7], v[116:117], v[6:7]
	v_fmac_f64_e32 v[202:203], v[160:161], v[48:49]
	v_add_f64 v[2:3], v[2:3], v[200:201]
	s_waitcnt vmcnt(3) lgkmcnt(2)
	v_mul_f64 v[206:207], v[166:167], v[58:59]
	v_mul_f64 v[10:11], v[120:121], v[10:11]
	v_fmac_f64_e32 v[204:205], v[164:165], v[52:53]
	v_fma_f64 v[4:5], v[114:115], v[4:5], -v[6:7]
	v_add_f64 v[2:3], v[2:3], v[202:203]
	s_waitcnt vmcnt(2) lgkmcnt(1)
	v_mul_f64 v[208:209], v[170:171], v[62:63]
	v_mul_f64 v[14:15], v[124:125], v[14:15]
	v_fmac_f64_e32 v[206:207], v[168:169], v[56:57]
	v_fma_f64 v[6:7], v[118:119], v[8:9], -v[10:11]
	v_add_f64 v[4:5], v[4:5], 0
	v_add_f64 v[2:3], v[2:3], v[204:205]
	s_waitcnt vmcnt(1) lgkmcnt(0)
	v_mul_f64 v[210:211], v[174:175], v[68:69]
	v_mul_f64 v[18:19], v[128:129], v[18:19]
	v_fmac_f64_e32 v[208:209], v[172:173], v[60:61]
	v_fma_f64 v[8:9], v[122:123], v[12:13], -v[14:15]
	v_add_f64 v[4:5], v[4:5], v[6:7]
	v_add_f64 v[2:3], v[2:3], v[206:207]
	v_mul_f64 v[26:27], v[132:133], v[26:27]
	v_fmac_f64_e32 v[210:211], v[176:177], v[66:67]
	v_fma_f64 v[10:11], v[126:127], v[16:17], -v[18:19]
	v_add_f64 v[4:5], v[4:5], v[8:9]
	v_add_f64 v[2:3], v[2:3], v[208:209]
	v_fma_f64 v[12:13], v[130:131], v[24:25], -v[26:27]
	v_add_f64 v[4:5], v[4:5], v[10:11]
	v_add_f64 v[6:7], v[2:3], v[210:211]
	v_mul_f64 v[2:3], v[136:137], v[22:23]
	v_add_f64 v[4:5], v[4:5], v[12:13]
	v_fma_f64 v[2:3], v[134:135], v[20:21], -v[2:3]
	v_add_f64 v[2:3], v[4:5], v[2:3]
	v_mul_f64 v[4:5], v[140:141], v[30:31]
	v_fma_f64 v[4:5], v[138:139], v[28:29], -v[4:5]
	v_add_f64 v[2:3], v[2:3], v[4:5]
	v_mul_f64 v[4:5], v[144:145], v[34:35]
	;; [unrolled: 3-line block ×10, first 2 shown]
	v_fma_f64 v[4:5], v[174:175], v[66:67], -v[4:5]
	v_add_f64 v[2:3], v[2:3], v[4:5]
	s_waitcnt vmcnt(0)
	v_add_f64 v[2:3], v[178:179], -v[2:3]
	v_add_f64 v[4:5], v[180:181], -v[6:7]
	scratch_store_dwordx4 off, v[2:5], off offset:80
	s_and_saveexec_b64 s[2:3], vcc
	s_cbranch_execz .LBB21_137
; %bb.136:
	scratch_load_dwordx4 v[2:5], off, s16
	v_mov_b32_e32 v6, 0
	v_mov_b32_e32 v7, v6
	v_mov_b32_e32 v8, v6
	v_mov_b32_e32 v9, v6
	scratch_store_dwordx4 off, v[6:9], off offset:64
	s_waitcnt vmcnt(1)
	ds_write_b128 v64, v[2:5]
.LBB21_137:
	s_or_b64 exec, exec, s[2:3]
	s_waitcnt lgkmcnt(0)
	; wave barrier
	scratch_load_dwordx4 v[4:7], off, off offset:80
	scratch_load_dwordx4 v[8:11], off, off offset:96
	;; [unrolled: 1-line block ×18, first 2 shown]
	v_mov_b32_e32 v2, 0
	ds_read_b128 v[122:125], v2 offset:432
	ds_read_b128 v[126:129], v2 offset:448
	;; [unrolled: 1-line block ×17, first 2 shown]
	v_cmp_lt_u32_e32 vcc, 3, v1
	s_waitcnt vmcnt(17) lgkmcnt(14)
	v_mul_f64 v[190:191], v[122:123], v[6:7]
	v_mul_f64 v[6:7], v[124:125], v[6:7]
	s_waitcnt vmcnt(16)
	v_mul_f64 v[192:193], v[126:127], v[10:11]
	v_mul_f64 v[10:11], v[128:129], v[10:11]
	v_fmac_f64_e32 v[190:191], v[124:125], v[4:5]
	v_fma_f64 v[4:5], v[122:123], v[4:5], -v[6:7]
	s_waitcnt vmcnt(15)
	v_mul_f64 v[194:195], v[130:131], v[18:19]
	v_mul_f64 v[18:19], v[132:133], v[18:19]
	v_fma_f64 v[6:7], v[126:127], v[8:9], -v[10:11]
	v_add_f64 v[4:5], v[4:5], 0
	s_waitcnt vmcnt(14) lgkmcnt(13)
	v_mul_f64 v[196:197], v[134:135], v[14:15]
	v_mul_f64 v[14:15], v[136:137], v[14:15]
	v_fmac_f64_e32 v[192:193], v[128:129], v[8:9]
	v_fma_f64 v[8:9], v[130:131], v[16:17], -v[18:19]
	v_add_f64 v[4:5], v[4:5], v[6:7]
	v_add_f64 v[4:5], v[4:5], v[8:9]
	v_fma_f64 v[8:9], v[134:135], v[12:13], -v[14:15]
	v_add_f64 v[4:5], v[4:5], v[8:9]
	s_waitcnt vmcnt(13) lgkmcnt(12)
	v_mul_f64 v[8:9], v[140:141], v[22:23]
	v_fma_f64 v[8:9], v[138:139], v[20:21], -v[8:9]
	v_add_f64 v[4:5], v[4:5], v[8:9]
	s_waitcnt vmcnt(12) lgkmcnt(11)
	v_mul_f64 v[8:9], v[144:145], v[26:27]
	v_fma_f64 v[8:9], v[142:143], v[24:25], -v[8:9]
	v_add_f64 v[4:5], v[4:5], v[8:9]
	s_waitcnt vmcnt(11) lgkmcnt(10)
	v_mul_f64 v[8:9], v[148:149], v[30:31]
	v_fma_f64 v[8:9], v[146:147], v[28:29], -v[8:9]
	v_add_f64 v[4:5], v[4:5], v[8:9]
	s_waitcnt vmcnt(10) lgkmcnt(9)
	v_mul_f64 v[8:9], v[152:153], v[34:35]
	v_fma_f64 v[8:9], v[150:151], v[32:33], -v[8:9]
	v_add_f64 v[4:5], v[4:5], v[8:9]
	s_waitcnt vmcnt(9) lgkmcnt(8)
	v_mul_f64 v[8:9], v[156:157], v[38:39]
	v_fma_f64 v[8:9], v[154:155], v[36:37], -v[8:9]
	v_add_f64 v[10:11], v[190:191], 0
	v_add_f64 v[4:5], v[4:5], v[8:9]
	s_waitcnt vmcnt(8) lgkmcnt(7)
	v_mul_f64 v[8:9], v[160:161], v[42:43]
	v_fmac_f64_e32 v[194:195], v[132:133], v[16:17]
	v_add_f64 v[10:11], v[10:11], v[192:193]
	v_fma_f64 v[8:9], v[158:159], v[40:41], -v[8:9]
	v_mul_f64 v[198:199], v[138:139], v[22:23]
	v_fmac_f64_e32 v[196:197], v[136:137], v[12:13]
	v_add_f64 v[6:7], v[10:11], v[194:195]
	v_add_f64 v[4:5], v[4:5], v[8:9]
	s_waitcnt vmcnt(7) lgkmcnt(6)
	v_mul_f64 v[8:9], v[164:165], v[46:47]
	v_mul_f64 v[200:201], v[142:143], v[26:27]
	v_fmac_f64_e32 v[198:199], v[140:141], v[20:21]
	v_add_f64 v[6:7], v[6:7], v[196:197]
	v_fma_f64 v[8:9], v[162:163], v[44:45], -v[8:9]
	v_mul_f64 v[202:203], v[146:147], v[30:31]
	v_fmac_f64_e32 v[200:201], v[144:145], v[24:25]
	v_add_f64 v[6:7], v[6:7], v[198:199]
	v_add_f64 v[4:5], v[4:5], v[8:9]
	s_waitcnt vmcnt(6) lgkmcnt(5)
	v_mul_f64 v[8:9], v[168:169], v[50:51]
	;; [unrolled: 10-line block ×6, first 2 shown]
	v_mul_f64 v[220:221], v[182:183], v[68:69]
	v_fmac_f64_e32 v[218:219], v[180:181], v[60:61]
	v_add_f64 v[6:7], v[6:7], v[216:217]
	v_fma_f64 v[8:9], v[182:183], v[66:67], -v[8:9]
	s_waitcnt vmcnt(1) lgkmcnt(0)
	v_mul_f64 v[222:223], v[186:187], v[116:117]
	v_fmac_f64_e32 v[220:221], v[184:185], v[66:67]
	v_add_f64 v[6:7], v[6:7], v[218:219]
	v_add_f64 v[4:5], v[4:5], v[8:9]
	v_mul_f64 v[8:9], v[188:189], v[116:117]
	v_fmac_f64_e32 v[222:223], v[188:189], v[114:115]
	v_add_f64 v[6:7], v[6:7], v[220:221]
	v_fma_f64 v[8:9], v[186:187], v[114:115], -v[8:9]
	v_add_f64 v[6:7], v[6:7], v[222:223]
	v_add_f64 v[4:5], v[4:5], v[8:9]
	s_waitcnt vmcnt(0)
	v_add_f64 v[4:5], v[118:119], -v[4:5]
	v_add_f64 v[6:7], v[120:121], -v[6:7]
	scratch_store_dwordx4 off, v[4:7], off offset:64
	s_and_saveexec_b64 s[2:3], vcc
	s_cbranch_execz .LBB21_139
; %bb.138:
	scratch_load_dwordx4 v[6:9], off, s15
	v_mov_b32_e32 v3, v2
	v_mov_b32_e32 v4, v2
	;; [unrolled: 1-line block ×3, first 2 shown]
	scratch_store_dwordx4 off, v[2:5], off offset:48
	s_waitcnt vmcnt(1)
	ds_write_b128 v64, v[6:9]
.LBB21_139:
	s_or_b64 exec, exec, s[2:3]
	s_waitcnt lgkmcnt(0)
	; wave barrier
	scratch_load_dwordx4 v[4:7], off, off offset:64
	scratch_load_dwordx4 v[12:15], off, off offset:80
	;; [unrolled: 1-line block ×18, first 2 shown]
	ds_read_b128 v[122:125], v2 offset:416
	ds_read_b128 v[126:129], v2 offset:432
	;; [unrolled: 1-line block ×18, first 2 shown]
	scratch_load_dwordx4 v[194:197], off, off offset:48
	v_cmp_lt_u32_e32 vcc, 2, v1
	s_waitcnt vmcnt(18) lgkmcnt(14)
	v_mul_f64 v[2:3], v[122:123], v[6:7]
	s_waitcnt vmcnt(17)
	v_mul_f64 v[198:199], v[126:127], v[14:15]
	v_fmac_f64_e32 v[2:3], v[124:125], v[4:5]
	s_waitcnt vmcnt(16)
	v_mul_f64 v[200:201], v[130:131], v[10:11]
	v_fmac_f64_e32 v[198:199], v[128:129], v[12:13]
	v_add_f64 v[2:3], v[2:3], 0
	s_waitcnt vmcnt(15)
	v_mul_f64 v[202:203], v[134:135], v[18:19]
	v_fmac_f64_e32 v[200:201], v[132:133], v[8:9]
	v_add_f64 v[2:3], v[2:3], v[198:199]
	s_waitcnt vmcnt(14) lgkmcnt(13)
	v_mul_f64 v[204:205], v[138:139], v[22:23]
	v_fmac_f64_e32 v[202:203], v[136:137], v[16:17]
	v_add_f64 v[2:3], v[2:3], v[200:201]
	s_waitcnt vmcnt(13) lgkmcnt(12)
	;; [unrolled: 4-line block ×13, first 2 shown]
	v_mul_f64 v[228:229], v[186:187], v[116:117]
	v_mul_f64 v[6:7], v[124:125], v[6:7]
	v_fmac_f64_e32 v[226:227], v[184:185], v[66:67]
	v_add_f64 v[2:3], v[2:3], v[224:225]
	s_waitcnt vmcnt(1) lgkmcnt(0)
	v_mul_f64 v[230:231], v[190:191], v[120:121]
	v_mul_f64 v[14:15], v[128:129], v[14:15]
	v_fmac_f64_e32 v[228:229], v[188:189], v[114:115]
	v_fma_f64 v[4:5], v[122:123], v[4:5], -v[6:7]
	v_add_f64 v[2:3], v[2:3], v[226:227]
	v_mul_f64 v[10:11], v[132:133], v[10:11]
	v_fmac_f64_e32 v[230:231], v[192:193], v[118:119]
	v_fma_f64 v[6:7], v[126:127], v[12:13], -v[14:15]
	v_add_f64 v[4:5], v[4:5], 0
	v_add_f64 v[2:3], v[2:3], v[228:229]
	;; [unrolled: 1-line block ×4, first 2 shown]
	v_fma_f64 v[2:3], v[130:131], v[8:9], -v[10:11]
	v_add_f64 v[2:3], v[4:5], v[2:3]
	v_mul_f64 v[4:5], v[136:137], v[18:19]
	v_fma_f64 v[4:5], v[134:135], v[16:17], -v[4:5]
	v_add_f64 v[2:3], v[2:3], v[4:5]
	v_mul_f64 v[4:5], v[140:141], v[22:23]
	;; [unrolled: 3-line block ×15, first 2 shown]
	v_fma_f64 v[4:5], v[190:191], v[118:119], -v[4:5]
	v_add_f64 v[2:3], v[2:3], v[4:5]
	s_waitcnt vmcnt(0)
	v_add_f64 v[2:3], v[194:195], -v[2:3]
	v_add_f64 v[4:5], v[196:197], -v[6:7]
	scratch_store_dwordx4 off, v[2:5], off offset:48
	s_and_saveexec_b64 s[2:3], vcc
	s_cbranch_execz .LBB21_141
; %bb.140:
	scratch_load_dwordx4 v[2:5], off, s14
	v_mov_b32_e32 v6, 0
	v_mov_b32_e32 v7, v6
	;; [unrolled: 1-line block ×4, first 2 shown]
	scratch_store_dwordx4 off, v[6:9], off offset:32
	s_waitcnt vmcnt(1)
	ds_write_b128 v64, v[2:5]
.LBB21_141:
	s_or_b64 exec, exec, s[2:3]
	s_waitcnt lgkmcnt(0)
	; wave barrier
	scratch_load_dwordx4 v[8:11], off, off offset:48
	scratch_load_dwordx4 v[4:7], off, off offset:64
	;; [unrolled: 1-line block ×20, first 2 shown]
	v_mov_b32_e32 v2, 0
	ds_read_b128 v[130:133], v2 offset:400
	ds_read_b128 v[134:137], v2 offset:416
	;; [unrolled: 1-line block ×19, first 2 shown]
	v_cmp_lt_u32_e32 vcc, 1, v1
	s_waitcnt vmcnt(19) lgkmcnt(14)
	v_mul_f64 v[206:207], v[130:131], v[10:11]
	v_mul_f64 v[10:11], v[132:133], v[10:11]
	s_waitcnt vmcnt(18)
	v_mul_f64 v[208:209], v[134:135], v[6:7]
	v_fmac_f64_e32 v[206:207], v[132:133], v[8:9]
	v_fma_f64 v[8:9], v[130:131], v[8:9], -v[10:11]
	v_mul_f64 v[6:7], v[136:137], v[6:7]
	v_fmac_f64_e32 v[208:209], v[136:137], v[4:5]
	v_add_f64 v[8:9], v[8:9], 0
	v_fma_f64 v[4:5], v[134:135], v[4:5], -v[6:7]
	s_waitcnt vmcnt(17)
	v_mul_f64 v[6:7], v[140:141], v[14:15]
	v_add_f64 v[4:5], v[8:9], v[4:5]
	v_fma_f64 v[6:7], v[138:139], v[12:13], -v[6:7]
	v_add_f64 v[4:5], v[4:5], v[6:7]
	s_waitcnt vmcnt(16)
	v_mul_f64 v[6:7], v[144:145], v[18:19]
	v_fma_f64 v[6:7], v[142:143], v[16:17], -v[6:7]
	v_add_f64 v[4:5], v[4:5], v[6:7]
	s_waitcnt vmcnt(15)
	v_mul_f64 v[6:7], v[148:149], v[22:23]
	v_fma_f64 v[6:7], v[146:147], v[20:21], -v[6:7]
	v_add_f64 v[4:5], v[4:5], v[6:7]
	s_waitcnt vmcnt(14) lgkmcnt(13)
	v_mul_f64 v[6:7], v[152:153], v[26:27]
	v_fma_f64 v[6:7], v[150:151], v[24:25], -v[6:7]
	v_add_f64 v[4:5], v[4:5], v[6:7]
	s_waitcnt vmcnt(13) lgkmcnt(12)
	v_mul_f64 v[6:7], v[156:157], v[30:31]
	v_fma_f64 v[6:7], v[154:155], v[28:29], -v[6:7]
	v_add_f64 v[4:5], v[4:5], v[6:7]
	s_waitcnt vmcnt(12) lgkmcnt(11)
	v_mul_f64 v[6:7], v[160:161], v[34:35]
	v_fma_f64 v[6:7], v[158:159], v[32:33], -v[6:7]
	v_add_f64 v[4:5], v[4:5], v[6:7]
	s_waitcnt vmcnt(11) lgkmcnt(10)
	v_mul_f64 v[6:7], v[164:165], v[38:39]
	v_fma_f64 v[6:7], v[162:163], v[36:37], -v[6:7]
	v_add_f64 v[4:5], v[4:5], v[6:7]
	s_waitcnt vmcnt(10) lgkmcnt(9)
	v_mul_f64 v[6:7], v[168:169], v[42:43]
	v_fma_f64 v[6:7], v[166:167], v[40:41], -v[6:7]
	v_mul_f64 v[210:211], v[138:139], v[14:15]
	v_add_f64 v[10:11], v[206:207], 0
	v_add_f64 v[4:5], v[4:5], v[6:7]
	s_waitcnt vmcnt(9) lgkmcnt(8)
	v_mul_f64 v[6:7], v[172:173], v[46:47]
	v_mul_f64 v[212:213], v[142:143], v[18:19]
	v_fmac_f64_e32 v[210:211], v[140:141], v[12:13]
	v_add_f64 v[10:11], v[10:11], v[208:209]
	v_fma_f64 v[6:7], v[170:171], v[44:45], -v[6:7]
	v_mul_f64 v[214:215], v[146:147], v[22:23]
	v_fmac_f64_e32 v[212:213], v[144:145], v[16:17]
	v_add_f64 v[10:11], v[10:11], v[210:211]
	v_add_f64 v[4:5], v[4:5], v[6:7]
	s_waitcnt vmcnt(8) lgkmcnt(7)
	v_mul_f64 v[6:7], v[176:177], v[50:51]
	v_mul_f64 v[216:217], v[150:151], v[26:27]
	v_fmac_f64_e32 v[214:215], v[148:149], v[20:21]
	v_add_f64 v[10:11], v[10:11], v[212:213]
	v_fma_f64 v[6:7], v[174:175], v[48:49], -v[6:7]
	v_mul_f64 v[218:219], v[154:155], v[30:31]
	v_fmac_f64_e32 v[216:217], v[152:153], v[24:25]
	;; [unrolled: 10-line block ×7, first 2 shown]
	v_add_f64 v[10:11], v[10:11], v[234:235]
	v_add_f64 v[4:5], v[4:5], v[6:7]
	s_waitcnt vmcnt(2) lgkmcnt(1)
	v_mul_f64 v[6:7], v[200:201], v[120:121]
	v_mul_f64 v[240:241], v[198:199], v[120:121]
	v_fmac_f64_e32 v[238:239], v[196:197], v[114:115]
	v_add_f64 v[10:11], v[10:11], v[236:237]
	v_fma_f64 v[6:7], v[198:199], v[118:119], -v[6:7]
	s_waitcnt vmcnt(1) lgkmcnt(0)
	v_mul_f64 v[242:243], v[202:203], v[124:125]
	v_fmac_f64_e32 v[240:241], v[200:201], v[118:119]
	v_add_f64 v[10:11], v[10:11], v[238:239]
	v_add_f64 v[4:5], v[4:5], v[6:7]
	v_mul_f64 v[6:7], v[204:205], v[124:125]
	v_fmac_f64_e32 v[242:243], v[204:205], v[122:123]
	v_add_f64 v[10:11], v[10:11], v[240:241]
	v_fma_f64 v[6:7], v[202:203], v[122:123], -v[6:7]
	v_add_f64 v[10:11], v[10:11], v[242:243]
	v_add_f64 v[4:5], v[4:5], v[6:7]
	s_waitcnt vmcnt(0)
	v_add_f64 v[4:5], v[126:127], -v[4:5]
	v_add_f64 v[6:7], v[128:129], -v[10:11]
	scratch_store_dwordx4 off, v[4:7], off offset:32
	s_and_saveexec_b64 s[2:3], vcc
	s_cbranch_execz .LBB21_143
; %bb.142:
	scratch_load_dwordx4 v[6:9], off, s19
	v_mov_b32_e32 v3, v2
	v_mov_b32_e32 v4, v2
	;; [unrolled: 1-line block ×3, first 2 shown]
	scratch_store_dwordx4 off, v[2:5], off offset:16
	s_waitcnt vmcnt(1)
	ds_write_b128 v64, v[6:9]
.LBB21_143:
	s_or_b64 exec, exec, s[2:3]
	s_waitcnt lgkmcnt(0)
	; wave barrier
	scratch_load_dwordx4 v[4:7], off, off offset:32
	scratch_load_dwordx4 v[8:11], off, off offset:48
	scratch_load_dwordx4 v[12:15], off, off offset:64
	scratch_load_dwordx4 v[16:19], off, off offset:80
	scratch_load_dwordx4 v[20:23], off, off offset:96
	scratch_load_dwordx4 v[24:27], off, off offset:112
	scratch_load_dwordx4 v[28:31], off, off offset:128
	scratch_load_dwordx4 v[32:35], off, off offset:144
	scratch_load_dwordx4 v[36:39], off, off offset:160
	scratch_load_dwordx4 v[40:43], off, off offset:176
	scratch_load_dwordx4 v[44:47], off, off offset:192
	scratch_load_dwordx4 v[48:51], off, off offset:208
	scratch_load_dwordx4 v[52:55], off, off offset:224
	scratch_load_dwordx4 v[56:59], off, off offset:240
	scratch_load_dwordx4 v[60:63], off, off offset:256
	scratch_load_dwordx4 v[66:69], off, off offset:272
	scratch_load_dwordx4 v[114:117], off, off offset:288
	scratch_load_dwordx4 v[118:121], off, off offset:304
	scratch_load_dwordx4 v[122:125], off, off offset:320
	scratch_load_dwordx4 v[126:129], off, off offset:336
	ds_read_b128 v[130:133], v2 offset:384
	ds_read_b128 v[134:137], v2 offset:400
	ds_read_b128 v[138:141], v2 offset:416
	ds_read_b128 v[142:145], v2 offset:432
	ds_read_b128 v[146:149], v2 offset:448
	ds_read_b128 v[150:153], v2 offset:464
	ds_read_b128 v[154:157], v2 offset:480
	ds_read_b128 v[158:161], v2 offset:496
	ds_read_b128 v[162:165], v2 offset:512
	ds_read_b128 v[166:169], v2 offset:528
	ds_read_b128 v[170:173], v2 offset:544
	ds_read_b128 v[174:177], v2 offset:560
	ds_read_b128 v[178:181], v2 offset:576
	ds_read_b128 v[182:185], v2 offset:592
	ds_read_b128 v[186:189], v2 offset:608
	ds_read_b128 v[190:193], v2 offset:624
	ds_read_b128 v[194:197], v2 offset:640
	ds_read_b128 v[198:201], v2 offset:656
	ds_read_b128 v[202:205], v2 offset:672
	ds_read_b128 v[206:209], v2 offset:688
	scratch_load_dwordx4 v[210:213], off, off offset:16
	v_cmp_ne_u32_e32 vcc, 0, v1
	s_waitcnt vmcnt(20) lgkmcnt(14)
	v_mul_f64 v[2:3], v[130:131], v[6:7]
	s_waitcnt vmcnt(19)
	v_mul_f64 v[214:215], v[134:135], v[10:11]
	v_fmac_f64_e32 v[2:3], v[132:133], v[4:5]
	s_waitcnt vmcnt(18)
	v_mul_f64 v[216:217], v[138:139], v[14:15]
	v_fmac_f64_e32 v[214:215], v[136:137], v[8:9]
	v_add_f64 v[2:3], v[2:3], 0
	s_waitcnt vmcnt(17)
	v_mul_f64 v[218:219], v[142:143], v[18:19]
	v_fmac_f64_e32 v[216:217], v[140:141], v[12:13]
	v_add_f64 v[2:3], v[2:3], v[214:215]
	;; [unrolled: 4-line block ×4, first 2 shown]
	s_waitcnt vmcnt(14) lgkmcnt(13)
	v_mul_f64 v[224:225], v[154:155], v[30:31]
	v_fmac_f64_e32 v[222:223], v[152:153], v[24:25]
	v_add_f64 v[2:3], v[2:3], v[220:221]
	s_waitcnt vmcnt(13) lgkmcnt(12)
	v_mul_f64 v[226:227], v[158:159], v[34:35]
	v_fmac_f64_e32 v[224:225], v[156:157], v[28:29]
	v_add_f64 v[2:3], v[2:3], v[222:223]
	;; [unrolled: 4-line block ×14, first 2 shown]
	v_add_f64 v[2:3], v[2:3], v[248:249]
	v_fmac_f64_e32 v[250:251], v[208:209], v[126:127]
	v_add_f64 v[214:215], v[2:3], v[250:251]
	v_mul_f64 v[2:3], v[132:133], v[6:7]
	v_fma_f64 v[2:3], v[130:131], v[4:5], -v[2:3]
	v_mul_f64 v[4:5], v[136:137], v[10:11]
	v_add_f64 v[2:3], v[2:3], 0
	v_fma_f64 v[4:5], v[134:135], v[8:9], -v[4:5]
	v_add_f64 v[2:3], v[2:3], v[4:5]
	v_mul_f64 v[4:5], v[140:141], v[14:15]
	v_fma_f64 v[4:5], v[138:139], v[12:13], -v[4:5]
	v_add_f64 v[2:3], v[2:3], v[4:5]
	v_mul_f64 v[4:5], v[144:145], v[18:19]
	;; [unrolled: 3-line block ×18, first 2 shown]
	v_fma_f64 v[4:5], v[206:207], v[126:127], -v[4:5]
	v_add_f64 v[2:3], v[2:3], v[4:5]
	s_waitcnt vmcnt(0)
	v_add_f64 v[2:3], v[210:211], -v[2:3]
	v_add_f64 v[4:5], v[212:213], -v[214:215]
	scratch_store_dwordx4 off, v[2:5], off offset:16
	s_and_saveexec_b64 s[2:3], vcc
	s_cbranch_execz .LBB21_145
; %bb.144:
	scratch_load_dwordx4 v[2:5], off, off
	v_mov_b32_e32 v6, 0
	v_mov_b32_e32 v7, v6
	;; [unrolled: 1-line block ×4, first 2 shown]
	scratch_store_dwordx4 off, v[6:9], off
	s_waitcnt vmcnt(1)
	ds_write_b128 v64, v[2:5]
.LBB21_145:
	s_or_b64 exec, exec, s[2:3]
	s_waitcnt lgkmcnt(0)
	; wave barrier
	scratch_load_dwordx4 v[2:5], off, off offset:16
	scratch_load_dwordx4 v[6:9], off, off offset:32
	;; [unrolled: 1-line block ×21, first 2 shown]
	scratch_load_dwordx4 v[132:135], off, off
	v_mov_b32_e32 v114, 0
	ds_read_b128 v[136:139], v114 offset:368
	ds_read_b128 v[140:143], v114 offset:384
	ds_read_b128 v[144:147], v114 offset:400
	ds_read_b128 v[148:151], v114 offset:416
	ds_read_b128 v[152:155], v114 offset:432
	ds_read_b128 v[156:159], v114 offset:448
	ds_read_b128 v[160:163], v114 offset:464
	ds_read_b128 v[164:167], v114 offset:480
	ds_read_b128 v[168:171], v114 offset:496
	ds_read_b128 v[172:175], v114 offset:512
	ds_read_b128 v[176:179], v114 offset:528
	ds_read_b128 v[180:183], v114 offset:544
	ds_read_b128 v[184:187], v114 offset:560
	ds_read_b128 v[188:191], v114 offset:576
	ds_read_b128 v[192:195], v114 offset:592
	ds_read_b128 v[196:199], v114 offset:608
	ds_read_b128 v[200:203], v114 offset:624
	ds_read_b128 v[204:207], v114 offset:640
	ds_read_b128 v[208:211], v114 offset:656
	ds_read_b128 v[212:215], v114 offset:672
	s_and_b64 vcc, exec, s[22:23]
	s_waitcnt vmcnt(21) lgkmcnt(14)
	v_mul_f64 v[216:217], v[136:137], v[4:5]
	v_mul_f64 v[4:5], v[138:139], v[4:5]
	v_fmac_f64_e32 v[216:217], v[138:139], v[2:3]
	v_fma_f64 v[2:3], v[136:137], v[2:3], -v[4:5]
	s_waitcnt vmcnt(20)
	v_mul_f64 v[4:5], v[142:143], v[8:9]
	v_add_f64 v[2:3], v[2:3], 0
	v_fma_f64 v[4:5], v[140:141], v[6:7], -v[4:5]
	v_add_f64 v[2:3], v[2:3], v[4:5]
	s_waitcnt vmcnt(19)
	v_mul_f64 v[4:5], v[146:147], v[12:13]
	v_fma_f64 v[4:5], v[144:145], v[10:11], -v[4:5]
	v_add_f64 v[2:3], v[2:3], v[4:5]
	s_waitcnt vmcnt(18)
	v_mul_f64 v[4:5], v[150:151], v[16:17]
	v_fma_f64 v[4:5], v[148:149], v[14:15], -v[4:5]
	v_add_f64 v[2:3], v[2:3], v[4:5]
	s_waitcnt vmcnt(17)
	v_mul_f64 v[4:5], v[154:155], v[20:21]
	v_fma_f64 v[4:5], v[152:153], v[18:19], -v[4:5]
	v_add_f64 v[2:3], v[2:3], v[4:5]
	s_waitcnt vmcnt(16)
	v_mul_f64 v[4:5], v[158:159], v[24:25]
	v_fma_f64 v[4:5], v[156:157], v[22:23], -v[4:5]
	v_add_f64 v[2:3], v[2:3], v[4:5]
	s_waitcnt vmcnt(15) lgkmcnt(13)
	v_mul_f64 v[4:5], v[162:163], v[28:29]
	v_fma_f64 v[4:5], v[160:161], v[26:27], -v[4:5]
	v_add_f64 v[2:3], v[2:3], v[4:5]
	s_waitcnt vmcnt(14) lgkmcnt(12)
	v_mul_f64 v[4:5], v[166:167], v[32:33]
	;; [unrolled: 4-line block ×3, first 2 shown]
	v_mul_f64 v[218:219], v[140:141], v[8:9]
	v_fma_f64 v[4:5], v[168:169], v[34:35], -v[4:5]
	v_mul_f64 v[220:221], v[144:145], v[12:13]
	v_fmac_f64_e32 v[218:219], v[142:143], v[6:7]
	v_add_f64 v[216:217], v[216:217], 0
	v_add_f64 v[2:3], v[2:3], v[4:5]
	s_waitcnt vmcnt(12) lgkmcnt(10)
	v_mul_f64 v[4:5], v[174:175], v[40:41]
	v_mul_f64 v[222:223], v[148:149], v[16:17]
	v_fmac_f64_e32 v[220:221], v[146:147], v[10:11]
	v_add_f64 v[216:217], v[216:217], v[218:219]
	v_fma_f64 v[4:5], v[172:173], v[38:39], -v[4:5]
	v_mul_f64 v[224:225], v[152:153], v[20:21]
	v_fmac_f64_e32 v[222:223], v[150:151], v[14:15]
	v_add_f64 v[216:217], v[216:217], v[220:221]
	v_add_f64 v[2:3], v[2:3], v[4:5]
	s_waitcnt vmcnt(11) lgkmcnt(9)
	v_mul_f64 v[4:5], v[178:179], v[44:45]
	v_mul_f64 v[226:227], v[156:157], v[24:25]
	v_fmac_f64_e32 v[224:225], v[154:155], v[18:19]
	v_add_f64 v[216:217], v[216:217], v[222:223]
	;; [unrolled: 10-line block ×7, first 2 shown]
	v_fma_f64 v[4:5], v[196:197], v[62:63], -v[4:5]
	s_waitcnt vmcnt(5) lgkmcnt(3)
	v_mul_f64 v[248:249], v[200:201], v[68:69]
	v_fmac_f64_e32 v[246:247], v[198:199], v[62:63]
	v_add_f64 v[216:217], v[216:217], v[244:245]
	v_add_f64 v[2:3], v[2:3], v[4:5]
	v_mul_f64 v[4:5], v[202:203], v[68:69]
	s_waitcnt vmcnt(4) lgkmcnt(2)
	v_mul_f64 v[250:251], v[204:205], v[118:119]
	v_fmac_f64_e32 v[248:249], v[202:203], v[66:67]
	v_add_f64 v[216:217], v[216:217], v[246:247]
	v_fma_f64 v[4:5], v[200:201], v[66:67], -v[4:5]
	v_fmac_f64_e32 v[250:251], v[206:207], v[116:117]
	v_add_f64 v[216:217], v[216:217], v[248:249]
	v_add_f64 v[2:3], v[2:3], v[4:5]
	v_mul_f64 v[4:5], v[206:207], v[118:119]
	v_add_f64 v[220:221], v[216:217], v[250:251]
	ds_read_b128 v[216:219], v114 offset:688
	v_fma_f64 v[4:5], v[204:205], v[116:117], -v[4:5]
	v_add_f64 v[2:3], v[2:3], v[4:5]
	s_waitcnt vmcnt(3) lgkmcnt(2)
	v_mul_f64 v[4:5], v[210:211], v[122:123]
	v_mul_f64 v[252:253], v[208:209], v[122:123]
	v_fma_f64 v[4:5], v[208:209], v[120:121], -v[4:5]
	v_fmac_f64_e32 v[252:253], v[210:211], v[120:121]
	s_waitcnt vmcnt(2) lgkmcnt(1)
	v_mul_f64 v[222:223], v[212:213], v[126:127]
	v_add_f64 v[2:3], v[2:3], v[4:5]
	v_mul_f64 v[4:5], v[214:215], v[126:127]
	v_add_f64 v[220:221], v[220:221], v[252:253]
	v_fmac_f64_e32 v[222:223], v[214:215], v[124:125]
	v_fma_f64 v[4:5], v[212:213], v[124:125], -v[4:5]
	v_add_f64 v[220:221], v[220:221], v[222:223]
	s_waitcnt vmcnt(1) lgkmcnt(0)
	v_mul_f64 v[222:223], v[216:217], v[130:131]
	v_add_f64 v[2:3], v[2:3], v[4:5]
	v_mul_f64 v[4:5], v[218:219], v[130:131]
	v_fmac_f64_e32 v[222:223], v[218:219], v[128:129]
	v_fma_f64 v[4:5], v[216:217], v[128:129], -v[4:5]
	v_add_f64 v[220:221], v[220:221], v[222:223]
	v_add_f64 v[2:3], v[2:3], v[4:5]
	s_waitcnt vmcnt(0)
	v_add_f64 v[2:3], v[132:133], -v[2:3]
	v_add_f64 v[4:5], v[134:135], -v[220:221]
	scratch_store_dwordx4 off, v[2:5], off
	s_cbranch_vccz .LBB21_188
; %bb.146:
	global_load_dword v2, v114, s[20:21] offset:80
	s_load_dwordx2 s[2:3], s[0:1], 0x4
	v_bfe_u32 v3, v0, 10, 10
	v_bfe_u32 v0, v0, 20, 10
	s_waitcnt lgkmcnt(0)
	s_lshr_b32 s0, s2, 16
	s_mul_i32 s0, s0, s3
	v_mul_u32_u24_e32 v1, s0, v1
	v_mul_u32_u24_e32 v3, s3, v3
	v_add3_u32 v0, v1, v3, v0
	v_mov_b32_e32 v1, 0x2c8
	v_lshl_add_u32 v0, v0, 4, v1
	s_waitcnt vmcnt(0)
	v_readfirstlane_b32 s0, v2
	s_add_i32 s0, s0, -1
	s_cmp_lg_u32 s0, 20
	s_cbranch_scc0 .LBB21_148
; %bb.147:
	s_lshl_b32 s0, s0, 4
	scratch_load_dwordx4 v[2:5], off, s35
	scratch_load_dwordx4 v[6:9], off, s0
	s_waitcnt vmcnt(1)
	ds_write2_b64 v0, v[2:3], v[4:5] offset1:1
	s_waitcnt vmcnt(0)
	scratch_store_dwordx4 off, v[6:9], s35
	scratch_store_dwordx4 off, v[2:5], s0
.LBB21_148:
	v_mov_b32_e32 v1, 0
	global_load_dword v2, v1, s[20:21] offset:76
	s_waitcnt vmcnt(0)
	v_readfirstlane_b32 s0, v2
	s_add_i32 s0, s0, -1
	s_cmp_eq_u32 s0, 19
	s_cbranch_scc1 .LBB21_150
; %bb.149:
	s_lshl_b32 s0, s0, 4
	scratch_load_dwordx4 v[2:5], off, s31
	scratch_load_dwordx4 v[6:9], off, s0
	s_waitcnt vmcnt(1)
	ds_write2_b64 v0, v[2:3], v[4:5] offset1:1
	s_waitcnt vmcnt(0)
	scratch_store_dwordx4 off, v[6:9], s31
	scratch_store_dwordx4 off, v[2:5], s0
.LBB21_150:
	global_load_dword v1, v1, s[20:21] offset:72
	s_waitcnt vmcnt(0)
	v_readfirstlane_b32 s0, v1
	s_add_i32 s0, s0, -1
	s_cmp_eq_u32 s0, 18
	s_cbranch_scc1 .LBB21_152
; %bb.151:
	s_lshl_b32 s0, s0, 4
	scratch_load_dwordx4 v[2:5], off, s28
	scratch_load_dwordx4 v[6:9], off, s0
	s_waitcnt vmcnt(1)
	ds_write2_b64 v0, v[2:3], v[4:5] offset1:1
	s_waitcnt vmcnt(0)
	scratch_store_dwordx4 off, v[6:9], s28
	scratch_store_dwordx4 off, v[2:5], s0
.LBB21_152:
	v_mov_b32_e32 v1, 0
	global_load_dword v2, v1, s[20:21] offset:68
	s_waitcnt vmcnt(0)
	v_readfirstlane_b32 s0, v2
	s_add_i32 s0, s0, -1
	s_cmp_eq_u32 s0, 17
	s_cbranch_scc1 .LBB21_154
; %bb.153:
	s_lshl_b32 s0, s0, 4
	scratch_load_dwordx4 v[2:5], off, s25
	scratch_load_dwordx4 v[6:9], off, s0
	s_waitcnt vmcnt(1)
	ds_write2_b64 v0, v[2:3], v[4:5] offset1:1
	s_waitcnt vmcnt(0)
	scratch_store_dwordx4 off, v[6:9], s25
	scratch_store_dwordx4 off, v[2:5], s0
.LBB21_154:
	global_load_dword v1, v1, s[20:21] offset:64
	s_waitcnt vmcnt(0)
	v_readfirstlane_b32 s0, v1
	s_add_i32 s0, s0, -1
	s_cmp_eq_u32 s0, 16
	s_cbranch_scc1 .LBB21_156
; %bb.155:
	s_lshl_b32 s0, s0, 4
	scratch_load_dwordx4 v[2:5], off, s18
	scratch_load_dwordx4 v[6:9], off, s0
	s_waitcnt vmcnt(1)
	ds_write2_b64 v0, v[2:3], v[4:5] offset1:1
	s_waitcnt vmcnt(0)
	scratch_store_dwordx4 off, v[6:9], s18
	scratch_store_dwordx4 off, v[2:5], s0
.LBB21_156:
	;; [unrolled: 33-line block ×9, first 2 shown]
	v_mov_b32_e32 v1, 0
	global_load_dword v2, v1, s[20:21] offset:4
	s_waitcnt vmcnt(0)
	v_readfirstlane_b32 s0, v2
	s_add_i32 s0, s0, -1
	s_cmp_eq_u32 s0, 1
	s_cbranch_scc1 .LBB21_186
; %bb.185:
	s_lshl_b32 s0, s0, 4
	scratch_load_dwordx4 v[2:5], off, s19
	scratch_load_dwordx4 v[6:9], off, s0
	s_waitcnt vmcnt(1)
	ds_write2_b64 v0, v[2:3], v[4:5] offset1:1
	s_waitcnt vmcnt(0)
	scratch_store_dwordx4 off, v[6:9], s19
	scratch_store_dwordx4 off, v[2:5], s0
.LBB21_186:
	global_load_dword v1, v1, s[20:21]
	s_waitcnt vmcnt(0)
	v_readfirstlane_b32 s0, v1
	s_add_i32 s0, s0, -1
	s_cmp_eq_u32 s0, 0
	s_cbranch_scc1 .LBB21_188
; %bb.187:
	s_lshl_b32 s0, s0, 4
	scratch_load_dwordx4 v[2:5], off, off
	scratch_load_dwordx4 v[6:9], off, s0
	s_waitcnt vmcnt(1)
	ds_write2_b64 v0, v[2:3], v[4:5] offset1:1
	s_waitcnt vmcnt(0)
	scratch_store_dwordx4 off, v[6:9], off
	scratch_store_dwordx4 off, v[2:5], s0
.LBB21_188:
	scratch_load_dwordx4 v[0:3], off, off
	s_nop 0
	scratch_load_dwordx4 v[4:7], off, s19
	scratch_load_dwordx4 v[8:11], off, s14
	;; [unrolled: 1-line block ×15, first 2 shown]
                                        ; kill: killed $sgpr39
                                        ; kill: killed $sgpr19
                                        ; kill: killed $sgpr30
                                        ; kill: killed $sgpr38
                                        ; kill: killed $sgpr27
                                        ; kill: killed $sgpr37
                                        ; kill: killed $sgpr24
                                        ; kill: killed $sgpr34
                                        ; kill: killed $sgpr16
                                        ; kill: killed $sgpr29
                                        ; kill: killed $sgpr15
                                        ; kill: killed $sgpr26
                                        ; kill: killed $sgpr36
                                        ; kill: killed $sgpr14
                                        ; kill: killed $sgpr17
	scratch_load_dwordx4 v[64:67], off, s18
	scratch_load_dwordx4 v[114:117], off, s25
	;; [unrolled: 1-line block ×5, first 2 shown]
                                        ; kill: killed $sgpr35
                                        ; kill: killed $sgpr31
                                        ; kill: killed $sgpr28
                                        ; kill: killed $sgpr25
                                        ; kill: killed $sgpr18
	scratch_load_dwordx4 v[130:133], off, s33
	s_waitcnt vmcnt(21)
	global_store_dwordx4 v[70:71], v[0:3], off
	s_waitcnt vmcnt(21)
	global_store_dwordx4 v[72:73], v[4:7], off
	;; [unrolled: 2-line block ×22, first 2 shown]
	s_endpgm
	.section	.rodata,"a",@progbits
	.p2align	6, 0x0
	.amdhsa_kernel _ZN9rocsolver6v33100L18getri_kernel_smallILi22E19rocblas_complex_numIdEPS3_EEvT1_iilPiilS6_bb
		.amdhsa_group_segment_fixed_size 1736
		.amdhsa_private_segment_fixed_size 368
		.amdhsa_kernarg_size 60
		.amdhsa_user_sgpr_count 4
		.amdhsa_user_sgpr_dispatch_ptr 1
		.amdhsa_user_sgpr_queue_ptr 0
		.amdhsa_user_sgpr_kernarg_segment_ptr 1
		.amdhsa_user_sgpr_dispatch_id 0
		.amdhsa_user_sgpr_kernarg_preload_length 0
		.amdhsa_user_sgpr_kernarg_preload_offset 0
		.amdhsa_user_sgpr_private_segment_size 0
		.amdhsa_uses_dynamic_stack 0
		.amdhsa_enable_private_segment 1
		.amdhsa_system_sgpr_workgroup_id_x 1
		.amdhsa_system_sgpr_workgroup_id_y 0
		.amdhsa_system_sgpr_workgroup_id_z 0
		.amdhsa_system_sgpr_workgroup_info 0
		.amdhsa_system_vgpr_workitem_id 2
		.amdhsa_next_free_vgpr 254
		.amdhsa_next_free_sgpr 40
		.amdhsa_accum_offset 256
		.amdhsa_reserve_vcc 1
		.amdhsa_float_round_mode_32 0
		.amdhsa_float_round_mode_16_64 0
		.amdhsa_float_denorm_mode_32 3
		.amdhsa_float_denorm_mode_16_64 3
		.amdhsa_dx10_clamp 1
		.amdhsa_ieee_mode 1
		.amdhsa_fp16_overflow 0
		.amdhsa_tg_split 0
		.amdhsa_exception_fp_ieee_invalid_op 0
		.amdhsa_exception_fp_denorm_src 0
		.amdhsa_exception_fp_ieee_div_zero 0
		.amdhsa_exception_fp_ieee_overflow 0
		.amdhsa_exception_fp_ieee_underflow 0
		.amdhsa_exception_fp_ieee_inexact 0
		.amdhsa_exception_int_div_zero 0
	.end_amdhsa_kernel
	.section	.text._ZN9rocsolver6v33100L18getri_kernel_smallILi22E19rocblas_complex_numIdEPS3_EEvT1_iilPiilS6_bb,"axG",@progbits,_ZN9rocsolver6v33100L18getri_kernel_smallILi22E19rocblas_complex_numIdEPS3_EEvT1_iilPiilS6_bb,comdat
.Lfunc_end21:
	.size	_ZN9rocsolver6v33100L18getri_kernel_smallILi22E19rocblas_complex_numIdEPS3_EEvT1_iilPiilS6_bb, .Lfunc_end21-_ZN9rocsolver6v33100L18getri_kernel_smallILi22E19rocblas_complex_numIdEPS3_EEvT1_iilPiilS6_bb
                                        ; -- End function
	.set _ZN9rocsolver6v33100L18getri_kernel_smallILi22E19rocblas_complex_numIdEPS3_EEvT1_iilPiilS6_bb.num_vgpr, 254
	.set _ZN9rocsolver6v33100L18getri_kernel_smallILi22E19rocblas_complex_numIdEPS3_EEvT1_iilPiilS6_bb.num_agpr, 0
	.set _ZN9rocsolver6v33100L18getri_kernel_smallILi22E19rocblas_complex_numIdEPS3_EEvT1_iilPiilS6_bb.numbered_sgpr, 40
	.set _ZN9rocsolver6v33100L18getri_kernel_smallILi22E19rocblas_complex_numIdEPS3_EEvT1_iilPiilS6_bb.num_named_barrier, 0
	.set _ZN9rocsolver6v33100L18getri_kernel_smallILi22E19rocblas_complex_numIdEPS3_EEvT1_iilPiilS6_bb.private_seg_size, 368
	.set _ZN9rocsolver6v33100L18getri_kernel_smallILi22E19rocblas_complex_numIdEPS3_EEvT1_iilPiilS6_bb.uses_vcc, 1
	.set _ZN9rocsolver6v33100L18getri_kernel_smallILi22E19rocblas_complex_numIdEPS3_EEvT1_iilPiilS6_bb.uses_flat_scratch, 0
	.set _ZN9rocsolver6v33100L18getri_kernel_smallILi22E19rocblas_complex_numIdEPS3_EEvT1_iilPiilS6_bb.has_dyn_sized_stack, 0
	.set _ZN9rocsolver6v33100L18getri_kernel_smallILi22E19rocblas_complex_numIdEPS3_EEvT1_iilPiilS6_bb.has_recursion, 0
	.set _ZN9rocsolver6v33100L18getri_kernel_smallILi22E19rocblas_complex_numIdEPS3_EEvT1_iilPiilS6_bb.has_indirect_call, 0
	.section	.AMDGPU.csdata,"",@progbits
; Kernel info:
; codeLenInByte = 25484
; TotalNumSgprs: 46
; NumVgprs: 254
; NumAgprs: 0
; TotalNumVgprs: 254
; ScratchSize: 368
; MemoryBound: 0
; FloatMode: 240
; IeeeMode: 1
; LDSByteSize: 1736 bytes/workgroup (compile time only)
; SGPRBlocks: 5
; VGPRBlocks: 31
; NumSGPRsForWavesPerEU: 46
; NumVGPRsForWavesPerEU: 254
; AccumOffset: 256
; Occupancy: 2
; WaveLimiterHint : 1
; COMPUTE_PGM_RSRC2:SCRATCH_EN: 1
; COMPUTE_PGM_RSRC2:USER_SGPR: 4
; COMPUTE_PGM_RSRC2:TRAP_HANDLER: 0
; COMPUTE_PGM_RSRC2:TGID_X_EN: 1
; COMPUTE_PGM_RSRC2:TGID_Y_EN: 0
; COMPUTE_PGM_RSRC2:TGID_Z_EN: 0
; COMPUTE_PGM_RSRC2:TIDIG_COMP_CNT: 2
; COMPUTE_PGM_RSRC3_GFX90A:ACCUM_OFFSET: 63
; COMPUTE_PGM_RSRC3_GFX90A:TG_SPLIT: 0
	.section	.text._ZN9rocsolver6v33100L18getri_kernel_smallILi23E19rocblas_complex_numIdEPS3_EEvT1_iilPiilS6_bb,"axG",@progbits,_ZN9rocsolver6v33100L18getri_kernel_smallILi23E19rocblas_complex_numIdEPS3_EEvT1_iilPiilS6_bb,comdat
	.globl	_ZN9rocsolver6v33100L18getri_kernel_smallILi23E19rocblas_complex_numIdEPS3_EEvT1_iilPiilS6_bb ; -- Begin function _ZN9rocsolver6v33100L18getri_kernel_smallILi23E19rocblas_complex_numIdEPS3_EEvT1_iilPiilS6_bb
	.p2align	8
	.type	_ZN9rocsolver6v33100L18getri_kernel_smallILi23E19rocblas_complex_numIdEPS3_EEvT1_iilPiilS6_bb,@function
_ZN9rocsolver6v33100L18getri_kernel_smallILi23E19rocblas_complex_numIdEPS3_EEvT1_iilPiilS6_bb: ; @_ZN9rocsolver6v33100L18getri_kernel_smallILi23E19rocblas_complex_numIdEPS3_EEvT1_iilPiilS6_bb
; %bb.0:
	v_and_b32_e32 v1, 0x3ff, v0
	v_cmp_gt_u32_e32 vcc, 23, v1
	s_and_saveexec_b64 s[6:7], vcc
	s_cbranch_execz .LBB22_106
; %bb.1:
	s_load_dword s6, s[2:3], 0x38
	s_load_dwordx4 s[16:19], s[2:3], 0x10
	s_load_dwordx4 s[8:11], s[2:3], 0x28
                                        ; implicit-def: $sgpr20_sgpr21
	s_waitcnt lgkmcnt(0)
	s_bitcmp1_b32 s6, 8
	s_cselect_b64 s[22:23], -1, 0
	s_ashr_i32 s5, s4, 31
	s_bfe_u32 s6, s6, 0x10008
	s_cmp_eq_u32 s6, 0
	s_cbranch_scc1 .LBB22_3
; %bb.2:
	s_load_dword s6, s[2:3], 0x20
	s_mul_i32 s7, s8, s5
	s_mul_hi_u32 s12, s8, s4
	s_mul_i32 s9, s9, s4
	s_add_i32 s12, s12, s7
	s_add_i32 s9, s12, s9
	s_mul_i32 s8, s8, s4
	s_waitcnt lgkmcnt(0)
	s_ashr_i32 s7, s6, 31
	s_lshl_b64 s[8:9], s[8:9], 2
	s_add_u32 s8, s18, s8
	s_addc_u32 s9, s19, s9
	s_lshl_b64 s[6:7], s[6:7], 2
	s_add_u32 s20, s8, s6
	s_addc_u32 s21, s9, s7
.LBB22_3:
	s_load_dwordx4 s[12:15], s[2:3], 0x0
	s_load_dword s6, s[2:3], 0x38
	s_mul_i32 s7, s16, s5
	s_mul_hi_u32 s8, s16, s4
	s_add_i32 s7, s8, s7
	s_mul_i32 s8, s17, s4
	s_add_i32 s9, s7, s8
	s_mul_i32 s8, s16, s4
	s_waitcnt lgkmcnt(0)
	s_ashr_i32 s3, s14, 31
	s_lshl_b64 s[8:9], s[8:9], 4
	s_mov_b32 s2, s14
	s_add_u32 s7, s12, s8
	s_addc_u32 s8, s13, s9
	s_lshl_b64 s[2:3], s[2:3], 4
	s_add_u32 s2, s7, s2
	s_addc_u32 s3, s8, s3
	s_add_i32 s7, s15, s15
	v_add_u32_e32 v16, s7, v1
	v_ashrrev_i32_e32 v17, 31, v16
	v_lshl_add_u64 v[124:125], v[16:17], 4, s[2:3]
	v_add_u32_e32 v16, s15, v16
	v_add_u32_e32 v24, s15, v16
	v_ashrrev_i32_e32 v25, 31, v24
	v_lshl_add_u64 v[128:129], v[24:25], 4, s[2:3]
	v_add_u32_e32 v24, s15, v24
	;; [unrolled: 4-line block ×3, first 2 shown]
	v_ashrrev_i32_e32 v33, 31, v32
	v_lshl_add_u64 v[134:135], v[32:33], 4, s[2:3]
	v_add_u32_e32 v32, s15, v32
	v_add_u32_e32 v40, s15, v32
	;; [unrolled: 1-line block ×6, first 2 shown]
	v_ashrrev_i32_e32 v57, 31, v56
	v_lshl_add_u64 v[146:147], v[56:57], 4, s[2:3]
	v_add_u32_e32 v56, s15, v56
	v_add_u32_e32 v64, s15, v56
	;; [unrolled: 1-line block ×5, first 2 shown]
	v_ashrrev_i32_e32 v81, 31, v80
	v_lshl_add_u64 v[156:157], v[80:81], 4, s[2:3]
	v_add_u32_e32 v80, s15, v80
	v_add_u32_e32 v88, s15, v80
	;; [unrolled: 1-line block ×3, first 2 shown]
	v_ashrrev_i32_e32 v93, 31, v92
	v_lshlrev_b32_e32 v14, 4, v1
	v_mov_b32_e32 v15, 0
	v_lshl_add_u64 v[162:163], v[92:93], 4, s[2:3]
	v_add_u32_e32 v92, s15, v92
	v_lshl_add_u64 v[120:121], s[2:3], 0, v[14:15]
	s_ashr_i32 s9, s15, 31
	s_mov_b32 s8, s15
	v_ashrrev_i32_e32 v17, 31, v16
	v_ashrrev_i32_e32 v25, 31, v24
	;; [unrolled: 1-line block ×8, first 2 shown]
	v_lshl_add_u64 v[122:123], s[8:9], 4, v[120:121]
	v_lshl_add_u64 v[126:127], v[16:17], 4, s[2:3]
	;; [unrolled: 1-line block ×3, first 2 shown]
	v_ashrrev_i32_e32 v33, 31, v32
	v_lshl_add_u64 v[138:139], v[40:41], 4, s[2:3]
	v_ashrrev_i32_e32 v43, 31, v42
	v_lshl_add_u64 v[142:143], v[48:49], 4, s[2:3]
	v_ashrrev_i32_e32 v51, 31, v50
	v_ashrrev_i32_e32 v57, 31, v56
	v_lshl_add_u64 v[150:151], v[64:65], 4, s[2:3]
	v_ashrrev_i32_e32 v67, 31, v66
	v_lshl_add_u64 v[154:155], v[72:73], 4, s[2:3]
	v_lshl_add_u64 v[158:159], v[80:81], 4, s[2:3]
	v_ashrrev_i32_e32 v89, 31, v88
	v_lshl_add_u64 v[164:165], v[92:93], 4, s[2:3]
	global_load_dwordx4 v[2:5], v14, s[2:3]
	global_load_dwordx4 v[6:9], v[122:123], off
	global_load_dwordx4 v[10:13], v[124:125], off
	global_load_dwordx4 v[16:19], v[126:127], off
	global_load_dwordx4 v[20:23], v[128:129], off
	global_load_dwordx4 v[24:27], v[130:131], off
	global_load_dwordx4 v[28:31], v[132:133], off
	v_lshl_add_u64 v[136:137], v[32:33], 4, s[2:3]
	global_load_dwordx4 v[32:35], v[134:135], off
	global_load_dwordx4 v[36:39], v[136:137], off
	v_lshl_add_u64 v[140:141], v[42:43], 4, s[2:3]
	global_load_dwordx4 v[40:43], v[138:139], off
	global_load_dwordx4 v[44:47], v[140:141], off
	;; [unrolled: 3-line block ×5, first 2 shown]
	global_load_dwordx4 v[72:75], v[154:155], off
	global_load_dwordx4 v[76:79], v[156:157], off
	v_lshl_add_u64 v[160:161], v[88:89], 4, s[2:3]
	global_load_dwordx4 v[80:83], v[158:159], off
	global_load_dwordx4 v[84:87], v[160:161], off
	global_load_dwordx4 v[88:91], v[162:163], off
	global_load_dwordx4 v[92:95], v[164:165], off
	s_mov_b32 s18, 16
	s_mov_b32 s14, 32
	;; [unrolled: 1-line block ×4, first 2 shown]
	s_movk_i32 s19, 0x50
	s_movk_i32 s26, 0x60
	;; [unrolled: 1-line block ×18, first 2 shown]
	s_bitcmp0_b32 s6, 0
	s_mov_b64 s[6:7], -1
	s_waitcnt vmcnt(22)
	scratch_store_dwordx4 off, v[2:5], off
	s_waitcnt vmcnt(22)
	scratch_store_dwordx4 off, v[6:9], off offset:16
	s_waitcnt vmcnt(22)
	scratch_store_dwordx4 off, v[10:13], off offset:32
	s_waitcnt vmcnt(22)
	scratch_store_dwordx4 off, v[16:19], off offset:48
	s_waitcnt vmcnt(22)
	scratch_store_dwordx4 off, v[20:23], off offset:64
	s_waitcnt vmcnt(22)
	scratch_store_dwordx4 off, v[24:27], off offset:80
	s_waitcnt vmcnt(22)
	scratch_store_dwordx4 off, v[28:31], off offset:96
	s_waitcnt vmcnt(22)
	scratch_store_dwordx4 off, v[32:35], off offset:112
	s_waitcnt vmcnt(22)
	scratch_store_dwordx4 off, v[36:39], off offset:128
	s_waitcnt vmcnt(22)
	scratch_store_dwordx4 off, v[40:43], off offset:144
	s_waitcnt vmcnt(22)
	scratch_store_dwordx4 off, v[44:47], off offset:160
	s_waitcnt vmcnt(22)
	scratch_store_dwordx4 off, v[48:51], off offset:176
	s_waitcnt vmcnt(22)
	scratch_store_dwordx4 off, v[52:55], off offset:192
	s_waitcnt vmcnt(22)
	scratch_store_dwordx4 off, v[56:59], off offset:208
	s_waitcnt vmcnt(22)
	scratch_store_dwordx4 off, v[60:63], off offset:224
	s_waitcnt vmcnt(22)
	scratch_store_dwordx4 off, v[64:67], off offset:240
	s_waitcnt vmcnt(22)
	scratch_store_dwordx4 off, v[68:71], off offset:256
	s_waitcnt vmcnt(22)
	scratch_store_dwordx4 off, v[72:75], off offset:272
	s_waitcnt vmcnt(22)
	scratch_store_dwordx4 off, v[76:79], off offset:288
	s_waitcnt vmcnt(22)
	scratch_store_dwordx4 off, v[80:83], off offset:304
	s_waitcnt vmcnt(22)
	scratch_store_dwordx4 off, v[84:87], off offset:320
	s_waitcnt vmcnt(22)
	scratch_store_dwordx4 off, v[88:91], off offset:336
	s_waitcnt vmcnt(22)
	scratch_store_dwordx4 off, v[92:95], off offset:352
	s_cbranch_scc1 .LBB22_104
; %bb.4:
	v_cmp_eq_u32_e64 s[2:3], 0, v1
	s_and_saveexec_b64 s[6:7], s[2:3]
; %bb.5:
	v_mov_b32_e32 v2, 0
	ds_write_b32 v2, v2 offset:736
; %bb.6:
	s_or_b64 exec, exec, s[6:7]
	s_waitcnt lgkmcnt(0)
	; wave barrier
	scratch_load_dwordx4 v[2:5], v14, off
	s_waitcnt vmcnt(0)
	v_cmp_eq_f64_e32 vcc, 0, v[2:3]
	v_cmp_eq_f64_e64 s[6:7], 0, v[4:5]
	s_and_b64 s[6:7], vcc, s[6:7]
	s_and_saveexec_b64 s[8:9], s[6:7]
	s_cbranch_execz .LBB22_10
; %bb.7:
	v_mov_b32_e32 v2, 0
	ds_read_b32 v4, v2 offset:736
	v_add_u32_e32 v3, 1, v1
	s_waitcnt lgkmcnt(0)
	v_readfirstlane_b32 s6, v4
	s_cmp_eq_u32 s6, 0
	s_cselect_b64 s[12:13], -1, 0
	v_cmp_gt_i32_e32 vcc, s6, v3
	s_or_b64 s[12:13], s[12:13], vcc
	s_and_b64 exec, exec, s[12:13]
	s_cbranch_execz .LBB22_10
; %bb.8:
	s_mov_b64 s[12:13], 0
	v_mov_b32_e32 v4, s6
.LBB22_9:                               ; =>This Inner Loop Header: Depth=1
	ds_cmpst_rtn_b32 v4, v2, v4, v3 offset:736
	s_waitcnt lgkmcnt(0)
	v_cmp_ne_u32_e32 vcc, 0, v4
	v_cmp_le_i32_e64 s[6:7], v4, v3
	s_and_b64 s[6:7], vcc, s[6:7]
	s_and_b64 s[6:7], exec, s[6:7]
	s_or_b64 s[12:13], s[6:7], s[12:13]
	s_andn2_b64 exec, exec, s[12:13]
	s_cbranch_execnz .LBB22_9
.LBB22_10:
	s_or_b64 exec, exec, s[8:9]
	v_mov_b32_e32 v3, 0
	; wave barrier
	ds_read_b32 v2, v3 offset:736
	s_and_saveexec_b64 s[6:7], s[2:3]
	s_cbranch_execz .LBB22_12
; %bb.11:
	s_lshl_b64 s[8:9], s[4:5], 2
	s_add_u32 s8, s10, s8
	s_addc_u32 s9, s11, s9
	s_waitcnt lgkmcnt(0)
	global_store_dword v3, v2, s[8:9]
.LBB22_12:
	s_or_b64 exec, exec, s[6:7]
	s_waitcnt lgkmcnt(0)
	v_cmp_ne_u32_e32 vcc, 0, v2
	s_mov_b64 s[6:7], 0
	s_cbranch_vccnz .LBB22_104
; %bb.13:
	v_mov_b32_e32 v15, v14
	scratch_load_dwordx4 v[2:5], v15, off
                                        ; implicit-def: $vgpr6_vgpr7
                                        ; implicit-def: $vgpr10_vgpr11
	s_waitcnt vmcnt(0)
	v_cmp_ngt_f64_e64 s[6:7], |v[2:3]|, |v[4:5]|
	s_and_saveexec_b64 s[8:9], s[6:7]
	s_xor_b64 s[6:7], exec, s[8:9]
	s_cbranch_execz .LBB22_15
; %bb.14:
	v_div_scale_f64 v[6:7], s[8:9], v[4:5], v[4:5], v[2:3]
	v_rcp_f64_e32 v[8:9], v[6:7]
	v_div_scale_f64 v[10:11], vcc, v[2:3], v[4:5], v[2:3]
	v_fma_f64 v[12:13], -v[6:7], v[8:9], 1.0
	v_fmac_f64_e32 v[8:9], v[8:9], v[12:13]
	v_fma_f64 v[12:13], -v[6:7], v[8:9], 1.0
	v_fmac_f64_e32 v[8:9], v[8:9], v[12:13]
	v_mul_f64 v[12:13], v[10:11], v[8:9]
	v_fma_f64 v[6:7], -v[6:7], v[12:13], v[10:11]
	v_div_fmas_f64 v[6:7], v[6:7], v[8:9], v[12:13]
	v_div_fixup_f64 v[6:7], v[6:7], v[4:5], v[2:3]
	v_fmac_f64_e32 v[4:5], v[2:3], v[6:7]
	v_div_scale_f64 v[2:3], s[8:9], v[4:5], v[4:5], 1.0
	v_rcp_f64_e32 v[8:9], v[2:3]
	s_nop 0
	v_fma_f64 v[10:11], -v[2:3], v[8:9], 1.0
	v_fmac_f64_e32 v[8:9], v[8:9], v[10:11]
	v_fma_f64 v[10:11], -v[2:3], v[8:9], 1.0
	v_fmac_f64_e32 v[8:9], v[8:9], v[10:11]
	v_div_scale_f64 v[10:11], vcc, 1.0, v[4:5], 1.0
	v_mul_f64 v[12:13], v[10:11], v[8:9]
	v_fma_f64 v[2:3], -v[2:3], v[12:13], v[10:11]
	s_nop 1
	v_div_fmas_f64 v[2:3], v[2:3], v[8:9], v[12:13]
	v_div_fixup_f64 v[8:9], v[2:3], v[4:5], 1.0
	v_mul_f64 v[6:7], v[6:7], v[8:9]
	v_xor_b32_e32 v9, 0x80000000, v9
	v_xor_b32_e32 v11, 0x80000000, v7
	v_mov_b32_e32 v10, v6
                                        ; implicit-def: $vgpr2_vgpr3
.LBB22_15:
	s_andn2_saveexec_b64 s[6:7], s[6:7]
	s_cbranch_execz .LBB22_17
; %bb.16:
	v_div_scale_f64 v[6:7], s[8:9], v[2:3], v[2:3], v[4:5]
	v_rcp_f64_e32 v[8:9], v[6:7]
	v_div_scale_f64 v[10:11], vcc, v[4:5], v[2:3], v[4:5]
	v_fma_f64 v[12:13], -v[6:7], v[8:9], 1.0
	v_fmac_f64_e32 v[8:9], v[8:9], v[12:13]
	v_fma_f64 v[12:13], -v[6:7], v[8:9], 1.0
	v_fmac_f64_e32 v[8:9], v[8:9], v[12:13]
	v_mul_f64 v[12:13], v[10:11], v[8:9]
	v_fma_f64 v[6:7], -v[6:7], v[12:13], v[10:11]
	v_div_fmas_f64 v[6:7], v[6:7], v[8:9], v[12:13]
	v_div_fixup_f64 v[8:9], v[6:7], v[2:3], v[4:5]
	v_fmac_f64_e32 v[2:3], v[4:5], v[8:9]
	v_div_scale_f64 v[4:5], s[8:9], v[2:3], v[2:3], 1.0
	v_rcp_f64_e32 v[6:7], v[4:5]
	s_nop 0
	v_fma_f64 v[10:11], -v[4:5], v[6:7], 1.0
	v_fmac_f64_e32 v[6:7], v[6:7], v[10:11]
	v_fma_f64 v[10:11], -v[4:5], v[6:7], 1.0
	v_fmac_f64_e32 v[6:7], v[6:7], v[10:11]
	v_div_scale_f64 v[10:11], vcc, 1.0, v[2:3], 1.0
	v_mul_f64 v[12:13], v[10:11], v[6:7]
	v_fma_f64 v[4:5], -v[4:5], v[12:13], v[10:11]
	s_nop 1
	v_div_fmas_f64 v[4:5], v[4:5], v[6:7], v[12:13]
	v_div_fixup_f64 v[6:7], v[4:5], v[2:3], 1.0
	v_xor_b32_e32 v11, 0x80000000, v7
	v_mov_b32_e32 v10, v6
	v_mul_f64 v[8:9], v[8:9], -v[6:7]
.LBB22_17:
	s_or_b64 exec, exec, s[6:7]
	scratch_store_dwordx4 v15, v[6:9], off
	scratch_load_dwordx4 v[2:5], off, s18
	v_xor_b32_e32 v13, 0x80000000, v9
	v_mov_b32_e32 v12, v8
	v_add_u32_e32 v6, 0x170, v14
	ds_write_b128 v14, v[10:13]
	s_waitcnt vmcnt(0)
	ds_write_b128 v14, v[2:5] offset:368
	s_waitcnt lgkmcnt(0)
	; wave barrier
	s_and_saveexec_b64 s[6:7], s[2:3]
	s_cbranch_execz .LBB22_19
; %bb.18:
	scratch_load_dwordx4 v[2:5], v15, off
	ds_read_b128 v[8:11], v6
	v_mov_b32_e32 v7, 0
	ds_read_b128 v[16:19], v7 offset:16
	s_waitcnt vmcnt(0) lgkmcnt(1)
	v_mul_f64 v[12:13], v[10:11], v[4:5]
	v_mul_f64 v[4:5], v[8:9], v[4:5]
	v_fma_f64 v[8:9], v[8:9], v[2:3], -v[12:13]
	v_fmac_f64_e32 v[4:5], v[10:11], v[2:3]
	v_add_f64 v[2:3], v[8:9], 0
	v_add_f64 v[8:9], v[4:5], 0
	s_waitcnt lgkmcnt(0)
	v_mul_f64 v[10:11], v[8:9], v[18:19]
	v_mul_f64 v[4:5], v[2:3], v[18:19]
	v_fma_f64 v[2:3], v[2:3], v[16:17], -v[10:11]
	v_fmac_f64_e32 v[4:5], v[8:9], v[16:17]
	scratch_store_dwordx4 off, v[2:5], off offset:16
.LBB22_19:
	s_or_b64 exec, exec, s[6:7]
	; wave barrier
	scratch_load_dwordx4 v[2:5], off, s14
	v_cmp_gt_u32_e32 vcc, 2, v1
	s_waitcnt vmcnt(0)
	ds_write_b128 v6, v[2:5]
	s_waitcnt lgkmcnt(0)
	; wave barrier
	s_and_saveexec_b64 s[6:7], vcc
	s_cbranch_execz .LBB22_23
; %bb.20:
	scratch_load_dwordx4 v[2:5], v15, off
	ds_read_b128 v[8:11], v6
	s_waitcnt vmcnt(0) lgkmcnt(0)
	v_mul_f64 v[12:13], v[10:11], v[4:5]
	v_mul_f64 v[16:17], v[8:9], v[4:5]
	v_fma_f64 v[4:5], v[8:9], v[2:3], -v[12:13]
	v_fmac_f64_e32 v[16:17], v[10:11], v[2:3]
	v_add_f64 v[4:5], v[4:5], 0
	v_add_f64 v[2:3], v[16:17], 0
	s_and_saveexec_b64 s[8:9], s[2:3]
	s_cbranch_execz .LBB22_22
; %bb.21:
	scratch_load_dwordx4 v[8:11], off, off offset:16
	v_mov_b32_e32 v7, 0
	ds_read_b128 v[16:19], v7 offset:384
	s_waitcnt vmcnt(0) lgkmcnt(0)
	v_mul_f64 v[12:13], v[16:17], v[10:11]
	v_mul_f64 v[10:11], v[18:19], v[10:11]
	v_fmac_f64_e32 v[12:13], v[18:19], v[8:9]
	v_fma_f64 v[8:9], v[16:17], v[8:9], -v[10:11]
	v_add_f64 v[2:3], v[2:3], v[12:13]
	v_add_f64 v[4:5], v[4:5], v[8:9]
.LBB22_22:
	s_or_b64 exec, exec, s[8:9]
	v_mov_b32_e32 v7, 0
	ds_read_b128 v[8:11], v7 offset:32
	s_waitcnt lgkmcnt(0)
	v_mul_f64 v[16:17], v[2:3], v[10:11]
	v_mul_f64 v[12:13], v[4:5], v[10:11]
	v_fma_f64 v[10:11], v[4:5], v[8:9], -v[16:17]
	v_fmac_f64_e32 v[12:13], v[2:3], v[8:9]
	scratch_store_dwordx4 off, v[10:13], off offset:32
.LBB22_23:
	s_or_b64 exec, exec, s[6:7]
	; wave barrier
	scratch_load_dwordx4 v[2:5], off, s15
	v_cmp_gt_u32_e32 vcc, 3, v1
	v_add_u32_e32 v7, -1, v1
	s_waitcnt vmcnt(0)
	ds_write_b128 v6, v[2:5]
	s_waitcnt lgkmcnt(0)
	; wave barrier
	s_and_saveexec_b64 s[2:3], vcc
	s_cbranch_execz .LBB22_27
; %bb.24:
	v_add_u32_e32 v8, -1, v1
	v_add_u32_e32 v9, 0x170, v14
	v_mov_b32_e32 v10, v14
	v_mov_b64_e32 v[2:3], 0
	s_mov_b64 s[6:7], 0
	v_mov_b64_e32 v[4:5], 0
.LBB22_25:                              ; =>This Inner Loop Header: Depth=1
	scratch_load_dwordx4 v[16:19], v10, off
	ds_read_b128 v[20:23], v9
	v_add_u32_e32 v8, 1, v8
	v_cmp_lt_u32_e32 vcc, 1, v8
	v_add_u32_e32 v9, 16, v9
	v_add_u32_e32 v10, 16, v10
	s_or_b64 s[6:7], vcc, s[6:7]
	s_waitcnt vmcnt(0) lgkmcnt(0)
	v_mul_f64 v[12:13], v[22:23], v[18:19]
	v_mul_f64 v[18:19], v[20:21], v[18:19]
	v_fma_f64 v[12:13], v[20:21], v[16:17], -v[12:13]
	v_fmac_f64_e32 v[18:19], v[22:23], v[16:17]
	v_add_f64 v[4:5], v[4:5], v[12:13]
	v_add_f64 v[2:3], v[2:3], v[18:19]
	s_andn2_b64 exec, exec, s[6:7]
	s_cbranch_execnz .LBB22_25
; %bb.26:
	s_or_b64 exec, exec, s[6:7]
	v_mov_b32_e32 v8, 0
	ds_read_b128 v[8:11], v8 offset:48
	s_waitcnt lgkmcnt(0)
	v_mul_f64 v[16:17], v[2:3], v[10:11]
	v_mul_f64 v[12:13], v[4:5], v[10:11]
	v_fma_f64 v[10:11], v[4:5], v[8:9], -v[16:17]
	v_fmac_f64_e32 v[12:13], v[2:3], v[8:9]
	scratch_store_dwordx4 off, v[10:13], off offset:48
.LBB22_27:
	s_or_b64 exec, exec, s[2:3]
	; wave barrier
	scratch_load_dwordx4 v[2:5], off, s16
	v_cmp_gt_u32_e32 vcc, 4, v1
	s_waitcnt vmcnt(0)
	ds_write_b128 v6, v[2:5]
	s_waitcnt lgkmcnt(0)
	; wave barrier
	s_and_saveexec_b64 s[2:3], vcc
	s_cbranch_execz .LBB22_31
; %bb.28:
	v_add_u32_e32 v8, -1, v1
	v_add_u32_e32 v9, 0x170, v14
	v_mov_b32_e32 v10, v14
	v_mov_b64_e32 v[2:3], 0
	s_mov_b64 s[6:7], 0
	v_mov_b64_e32 v[4:5], 0
.LBB22_29:                              ; =>This Inner Loop Header: Depth=1
	scratch_load_dwordx4 v[16:19], v10, off
	ds_read_b128 v[20:23], v9
	v_add_u32_e32 v8, 1, v8
	v_cmp_lt_u32_e32 vcc, 2, v8
	v_add_u32_e32 v9, 16, v9
	v_add_u32_e32 v10, 16, v10
	s_or_b64 s[6:7], vcc, s[6:7]
	s_waitcnt vmcnt(0) lgkmcnt(0)
	v_mul_f64 v[12:13], v[22:23], v[18:19]
	v_mul_f64 v[18:19], v[20:21], v[18:19]
	v_fma_f64 v[12:13], v[20:21], v[16:17], -v[12:13]
	v_fmac_f64_e32 v[18:19], v[22:23], v[16:17]
	v_add_f64 v[4:5], v[4:5], v[12:13]
	v_add_f64 v[2:3], v[2:3], v[18:19]
	s_andn2_b64 exec, exec, s[6:7]
	s_cbranch_execnz .LBB22_29
; %bb.30:
	s_or_b64 exec, exec, s[6:7]
	v_mov_b32_e32 v8, 0
	ds_read_b128 v[8:11], v8 offset:64
	s_waitcnt lgkmcnt(0)
	v_mul_f64 v[16:17], v[2:3], v[10:11]
	v_mul_f64 v[12:13], v[4:5], v[10:11]
	v_fma_f64 v[10:11], v[4:5], v[8:9], -v[16:17]
	v_fmac_f64_e32 v[12:13], v[2:3], v[8:9]
	scratch_store_dwordx4 off, v[10:13], off offset:64
.LBB22_31:
	s_or_b64 exec, exec, s[2:3]
	; wave barrier
	scratch_load_dwordx4 v[2:5], off, s19
	v_cmp_gt_u32_e32 vcc, 5, v1
	;; [unrolled: 45-line block ×18, first 2 shown]
	s_waitcnt vmcnt(0)
	ds_write_b128 v6, v[2:5]
	s_waitcnt lgkmcnt(0)
	; wave barrier
	s_and_saveexec_b64 s[2:3], vcc
	s_cbranch_execz .LBB22_99
; %bb.96:
	v_add_u32_e32 v8, -1, v1
	v_add_u32_e32 v9, 0x170, v14
	v_mov_b32_e32 v10, v14
	v_mov_b64_e32 v[2:3], 0
	s_mov_b64 s[6:7], 0
	v_mov_b64_e32 v[4:5], 0
.LBB22_97:                              ; =>This Inner Loop Header: Depth=1
	scratch_load_dwordx4 v[16:19], v10, off
	ds_read_b128 v[20:23], v9
	v_add_u32_e32 v8, 1, v8
	v_cmp_lt_u32_e32 vcc, 19, v8
	v_add_u32_e32 v9, 16, v9
	v_add_u32_e32 v10, 16, v10
	s_or_b64 s[6:7], vcc, s[6:7]
	s_waitcnt vmcnt(0) lgkmcnt(0)
	v_mul_f64 v[12:13], v[22:23], v[18:19]
	v_mul_f64 v[18:19], v[20:21], v[18:19]
	v_fma_f64 v[12:13], v[20:21], v[16:17], -v[12:13]
	v_fmac_f64_e32 v[18:19], v[22:23], v[16:17]
	v_add_f64 v[4:5], v[4:5], v[12:13]
	v_add_f64 v[2:3], v[2:3], v[18:19]
	s_andn2_b64 exec, exec, s[6:7]
	s_cbranch_execnz .LBB22_97
; %bb.98:
	s_or_b64 exec, exec, s[6:7]
	v_mov_b32_e32 v8, 0
	ds_read_b128 v[8:11], v8 offset:336
	s_waitcnt lgkmcnt(0)
	v_mul_f64 v[16:17], v[2:3], v[10:11]
	v_mul_f64 v[12:13], v[4:5], v[10:11]
	v_fma_f64 v[10:11], v[4:5], v[8:9], -v[16:17]
	v_fmac_f64_e32 v[12:13], v[2:3], v[8:9]
	scratch_store_dwordx4 off, v[10:13], off offset:336
.LBB22_99:
	s_or_b64 exec, exec, s[2:3]
	; wave barrier
	scratch_load_dwordx4 v[2:5], off, s34
	v_cmp_ne_u32_e32 vcc, 22, v1
	s_waitcnt vmcnt(0)
	ds_write_b128 v6, v[2:5]
	s_waitcnt lgkmcnt(0)
	; wave barrier
	s_and_saveexec_b64 s[2:3], vcc
	s_cbranch_execz .LBB22_103
; %bb.100:
	v_add_u32_e32 v6, 0x170, v14
	v_mov_b32_e32 v8, v14
	v_mov_b64_e32 v[2:3], 0
	s_mov_b64 s[6:7], 0
	v_mov_b64_e32 v[4:5], 0
.LBB22_101:                             ; =>This Inner Loop Header: Depth=1
	scratch_load_dwordx4 v[10:13], v8, off
	ds_read_b128 v[14:17], v6
	v_add_u32_e32 v7, 1, v7
	v_cmp_lt_u32_e32 vcc, 20, v7
	v_add_u32_e32 v6, 16, v6
	v_add_u32_e32 v8, 16, v8
	s_or_b64 s[6:7], vcc, s[6:7]
	s_waitcnt vmcnt(0) lgkmcnt(0)
	v_mul_f64 v[18:19], v[16:17], v[12:13]
	v_mul_f64 v[12:13], v[14:15], v[12:13]
	v_fma_f64 v[14:15], v[14:15], v[10:11], -v[18:19]
	v_fmac_f64_e32 v[12:13], v[16:17], v[10:11]
	v_add_f64 v[4:5], v[4:5], v[14:15]
	v_add_f64 v[2:3], v[2:3], v[12:13]
	s_andn2_b64 exec, exec, s[6:7]
	s_cbranch_execnz .LBB22_101
; %bb.102:
	s_or_b64 exec, exec, s[6:7]
	v_mov_b32_e32 v6, 0
	ds_read_b128 v[6:9], v6 offset:352
	s_waitcnt lgkmcnt(0)
	v_mul_f64 v[12:13], v[2:3], v[8:9]
	v_mul_f64 v[10:11], v[4:5], v[8:9]
	v_fma_f64 v[8:9], v[4:5], v[6:7], -v[12:13]
	v_fmac_f64_e32 v[10:11], v[2:3], v[6:7]
	scratch_store_dwordx4 off, v[8:11], off offset:352
.LBB22_103:
	s_or_b64 exec, exec, s[2:3]
	s_mov_b64 s[6:7], -1
	; wave barrier
.LBB22_104:
	s_and_b64 vcc, exec, s[6:7]
	s_cbranch_vccz .LBB22_106
; %bb.105:
	s_lshl_b64 s[2:3], s[4:5], 2
	s_add_u32 s2, s10, s2
	s_addc_u32 s3, s11, s3
	v_mov_b32_e32 v2, 0
	global_load_dword v2, v2, s[2:3]
	s_waitcnt vmcnt(0)
	v_cmp_ne_u32_e32 vcc, 0, v2
	s_cbranch_vccz .LBB22_107
.LBB22_106:
	s_endpgm
.LBB22_107:
	v_mov_b32_e32 v2, 0x170
	v_lshl_add_u32 v106, v1, 4, v2
	v_cmp_eq_u32_e32 vcc, 22, v1
	s_and_saveexec_b64 s[2:3], vcc
	s_cbranch_execz .LBB22_109
; %bb.108:
	scratch_load_dwordx4 v[2:5], off, s33
	v_mov_b32_e32 v6, 0
	v_mov_b32_e32 v7, v6
	;; [unrolled: 1-line block ×4, first 2 shown]
	scratch_store_dwordx4 off, v[6:9], off offset:336
	s_waitcnt vmcnt(1)
	ds_write_b128 v106, v[2:5]
.LBB22_109:
	s_or_b64 exec, exec, s[2:3]
	s_waitcnt lgkmcnt(0)
	; wave barrier
	scratch_load_dwordx4 v[4:7], off, off offset:352
	scratch_load_dwordx4 v[8:11], off, off offset:336
	v_mov_b32_e32 v2, 0
	ds_read_b128 v[12:15], v2 offset:720
	v_cmp_lt_u32_e32 vcc, 20, v1
	s_waitcnt vmcnt(1) lgkmcnt(0)
	v_mul_f64 v[16:17], v[12:13], v[6:7]
	v_mul_f64 v[6:7], v[14:15], v[6:7]
	v_fmac_f64_e32 v[16:17], v[14:15], v[4:5]
	v_fma_f64 v[4:5], v[12:13], v[4:5], -v[6:7]
	v_add_f64 v[6:7], v[16:17], 0
	v_add_f64 v[4:5], v[4:5], 0
	s_waitcnt vmcnt(0)
	v_add_f64 v[4:5], v[8:9], -v[4:5]
	v_add_f64 v[6:7], v[10:11], -v[6:7]
	scratch_store_dwordx4 off, v[4:7], off offset:336
	s_and_saveexec_b64 s[2:3], vcc
	s_cbranch_execz .LBB22_111
; %bb.110:
	scratch_load_dwordx4 v[6:9], off, s31
	v_mov_b32_e32 v3, v2
	v_mov_b32_e32 v4, v2
	;; [unrolled: 1-line block ×3, first 2 shown]
	scratch_store_dwordx4 off, v[2:5], off offset:320
	s_waitcnt vmcnt(1)
	ds_write_b128 v106, v[6:9]
.LBB22_111:
	s_or_b64 exec, exec, s[2:3]
	s_waitcnt lgkmcnt(0)
	; wave barrier
	scratch_load_dwordx4 v[4:7], off, off offset:336
	scratch_load_dwordx4 v[8:11], off, off offset:352
	;; [unrolled: 1-line block ×3, first 2 shown]
	ds_read_b128 v[16:19], v2 offset:704
	ds_read_b128 v[20:23], v2 offset:720
	v_cmp_lt_u32_e32 vcc, 19, v1
	s_waitcnt vmcnt(2) lgkmcnt(1)
	v_mul_f64 v[2:3], v[16:17], v[6:7]
	v_mul_f64 v[6:7], v[18:19], v[6:7]
	s_waitcnt vmcnt(1) lgkmcnt(0)
	v_mul_f64 v[24:25], v[20:21], v[10:11]
	v_mul_f64 v[10:11], v[22:23], v[10:11]
	v_fmac_f64_e32 v[2:3], v[18:19], v[4:5]
	v_fma_f64 v[4:5], v[16:17], v[4:5], -v[6:7]
	v_fmac_f64_e32 v[24:25], v[22:23], v[8:9]
	v_fma_f64 v[6:7], v[20:21], v[8:9], -v[10:11]
	v_add_f64 v[2:3], v[2:3], 0
	v_add_f64 v[4:5], v[4:5], 0
	;; [unrolled: 1-line block ×4, first 2 shown]
	s_waitcnt vmcnt(0)
	v_add_f64 v[2:3], v[12:13], -v[2:3]
	v_add_f64 v[4:5], v[14:15], -v[8:9]
	scratch_store_dwordx4 off, v[2:5], off offset:320
	s_and_saveexec_b64 s[2:3], vcc
	s_cbranch_execz .LBB22_113
; %bb.112:
	scratch_load_dwordx4 v[2:5], off, s36
	v_mov_b32_e32 v6, 0
	v_mov_b32_e32 v7, v6
	;; [unrolled: 1-line block ×4, first 2 shown]
	scratch_store_dwordx4 off, v[6:9], off offset:304
	s_waitcnt vmcnt(1)
	ds_write_b128 v106, v[2:5]
.LBB22_113:
	s_or_b64 exec, exec, s[2:3]
	s_waitcnt lgkmcnt(0)
	; wave barrier
	scratch_load_dwordx4 v[4:7], off, off offset:320
	scratch_load_dwordx4 v[8:11], off, off offset:336
	;; [unrolled: 1-line block ×4, first 2 shown]
	v_mov_b32_e32 v2, 0
	ds_read_b128 v[20:23], v2 offset:688
	ds_read_b128 v[24:27], v2 offset:704
	;; [unrolled: 1-line block ×3, first 2 shown]
	v_cmp_lt_u32_e32 vcc, 18, v1
	s_waitcnt vmcnt(3) lgkmcnt(2)
	v_mul_f64 v[32:33], v[20:21], v[6:7]
	v_mul_f64 v[6:7], v[22:23], v[6:7]
	s_waitcnt vmcnt(2) lgkmcnt(1)
	v_mul_f64 v[34:35], v[24:25], v[10:11]
	v_mul_f64 v[10:11], v[26:27], v[10:11]
	v_fmac_f64_e32 v[32:33], v[22:23], v[4:5]
	v_fma_f64 v[4:5], v[20:21], v[4:5], -v[6:7]
	s_waitcnt vmcnt(1) lgkmcnt(0)
	v_mul_f64 v[36:37], v[28:29], v[14:15]
	v_mul_f64 v[14:15], v[30:31], v[14:15]
	v_fmac_f64_e32 v[34:35], v[26:27], v[8:9]
	v_fma_f64 v[6:7], v[24:25], v[8:9], -v[10:11]
	v_add_f64 v[10:11], v[32:33], 0
	v_add_f64 v[4:5], v[4:5], 0
	v_fmac_f64_e32 v[36:37], v[30:31], v[12:13]
	v_fma_f64 v[8:9], v[28:29], v[12:13], -v[14:15]
	v_add_f64 v[10:11], v[10:11], v[34:35]
	v_add_f64 v[4:5], v[4:5], v[6:7]
	;; [unrolled: 1-line block ×4, first 2 shown]
	s_waitcnt vmcnt(0)
	v_add_f64 v[4:5], v[16:17], -v[4:5]
	v_add_f64 v[6:7], v[18:19], -v[6:7]
	scratch_store_dwordx4 off, v[4:7], off offset:304
	s_and_saveexec_b64 s[2:3], vcc
	s_cbranch_execz .LBB22_115
; %bb.114:
	scratch_load_dwordx4 v[6:9], off, s30
	v_mov_b32_e32 v3, v2
	v_mov_b32_e32 v4, v2
	v_mov_b32_e32 v5, v2
	scratch_store_dwordx4 off, v[2:5], off offset:288
	s_waitcnt vmcnt(1)
	ds_write_b128 v106, v[6:9]
.LBB22_115:
	s_or_b64 exec, exec, s[2:3]
	s_waitcnt lgkmcnt(0)
	; wave barrier
	scratch_load_dwordx4 v[4:7], off, off offset:304
	scratch_load_dwordx4 v[8:11], off, off offset:320
	;; [unrolled: 1-line block ×5, first 2 shown]
	ds_read_b128 v[24:27], v2 offset:672
	ds_read_b128 v[28:31], v2 offset:688
	ds_read_b128 v[32:35], v2 offset:704
	ds_read_b128 v[36:39], v2 offset:720
	v_cmp_lt_u32_e32 vcc, 17, v1
	s_waitcnt vmcnt(4) lgkmcnt(3)
	v_mul_f64 v[2:3], v[24:25], v[6:7]
	v_mul_f64 v[6:7], v[26:27], v[6:7]
	s_waitcnt vmcnt(3) lgkmcnt(2)
	v_mul_f64 v[40:41], v[28:29], v[10:11]
	v_mul_f64 v[10:11], v[30:31], v[10:11]
	v_fmac_f64_e32 v[2:3], v[26:27], v[4:5]
	v_fma_f64 v[4:5], v[24:25], v[4:5], -v[6:7]
	s_waitcnt vmcnt(2) lgkmcnt(1)
	v_mul_f64 v[42:43], v[32:33], v[14:15]
	v_mul_f64 v[14:15], v[34:35], v[14:15]
	v_fmac_f64_e32 v[40:41], v[30:31], v[8:9]
	v_fma_f64 v[6:7], v[28:29], v[8:9], -v[10:11]
	v_add_f64 v[2:3], v[2:3], 0
	v_add_f64 v[4:5], v[4:5], 0
	s_waitcnt vmcnt(1) lgkmcnt(0)
	v_mul_f64 v[44:45], v[36:37], v[18:19]
	v_mul_f64 v[18:19], v[38:39], v[18:19]
	v_fmac_f64_e32 v[42:43], v[34:35], v[12:13]
	v_fma_f64 v[8:9], v[32:33], v[12:13], -v[14:15]
	v_add_f64 v[2:3], v[2:3], v[40:41]
	v_add_f64 v[4:5], v[4:5], v[6:7]
	v_fmac_f64_e32 v[44:45], v[38:39], v[16:17]
	v_fma_f64 v[10:11], v[36:37], v[16:17], -v[18:19]
	v_add_f64 v[2:3], v[2:3], v[42:43]
	v_add_f64 v[4:5], v[4:5], v[8:9]
	;; [unrolled: 1-line block ×4, first 2 shown]
	s_waitcnt vmcnt(0)
	v_add_f64 v[2:3], v[20:21], -v[2:3]
	v_add_f64 v[4:5], v[22:23], -v[6:7]
	scratch_store_dwordx4 off, v[2:5], off offset:288
	s_and_saveexec_b64 s[2:3], vcc
	s_cbranch_execz .LBB22_117
; %bb.116:
	scratch_load_dwordx4 v[2:5], off, s27
	v_mov_b32_e32 v6, 0
	v_mov_b32_e32 v7, v6
	;; [unrolled: 1-line block ×4, first 2 shown]
	scratch_store_dwordx4 off, v[6:9], off offset:272
	s_waitcnt vmcnt(1)
	ds_write_b128 v106, v[2:5]
.LBB22_117:
	s_or_b64 exec, exec, s[2:3]
	s_waitcnt lgkmcnt(0)
	; wave barrier
	scratch_load_dwordx4 v[4:7], off, off offset:288
	scratch_load_dwordx4 v[8:11], off, off offset:304
	;; [unrolled: 1-line block ×6, first 2 shown]
	v_mov_b32_e32 v2, 0
	ds_read_b128 v[28:31], v2 offset:656
	ds_read_b128 v[32:35], v2 offset:672
	;; [unrolled: 1-line block ×5, first 2 shown]
	v_cmp_lt_u32_e32 vcc, 16, v1
	s_waitcnt vmcnt(5) lgkmcnt(4)
	v_mul_f64 v[48:49], v[28:29], v[6:7]
	v_mul_f64 v[6:7], v[30:31], v[6:7]
	s_waitcnt vmcnt(4) lgkmcnt(3)
	v_mul_f64 v[50:51], v[32:33], v[10:11]
	s_waitcnt vmcnt(3) lgkmcnt(2)
	v_mul_f64 v[52:53], v[36:37], v[14:15]
	v_mul_f64 v[10:11], v[34:35], v[10:11]
	;; [unrolled: 1-line block ×3, first 2 shown]
	v_fmac_f64_e32 v[48:49], v[30:31], v[4:5]
	v_fma_f64 v[4:5], v[28:29], v[4:5], -v[6:7]
	v_fmac_f64_e32 v[50:51], v[34:35], v[8:9]
	v_fma_f64 v[6:7], v[32:33], v[8:9], -v[10:11]
	v_fma_f64 v[8:9], v[36:37], v[12:13], -v[14:15]
	v_add_f64 v[14:15], v[48:49], 0
	v_add_f64 v[4:5], v[4:5], 0
	s_waitcnt vmcnt(2) lgkmcnt(1)
	v_mul_f64 v[54:55], v[40:41], v[18:19]
	v_mul_f64 v[18:19], v[42:43], v[18:19]
	v_fmac_f64_e32 v[52:53], v[38:39], v[12:13]
	v_add_f64 v[14:15], v[14:15], v[50:51]
	v_add_f64 v[4:5], v[4:5], v[6:7]
	s_waitcnt vmcnt(1) lgkmcnt(0)
	v_mul_f64 v[56:57], v[44:45], v[22:23]
	v_mul_f64 v[22:23], v[46:47], v[22:23]
	v_fmac_f64_e32 v[54:55], v[42:43], v[16:17]
	v_fma_f64 v[10:11], v[40:41], v[16:17], -v[18:19]
	v_add_f64 v[6:7], v[14:15], v[52:53]
	v_add_f64 v[4:5], v[4:5], v[8:9]
	v_fmac_f64_e32 v[56:57], v[46:47], v[20:21]
	v_fma_f64 v[12:13], v[44:45], v[20:21], -v[22:23]
	v_add_f64 v[6:7], v[6:7], v[54:55]
	v_add_f64 v[4:5], v[4:5], v[10:11]
	;; [unrolled: 1-line block ×4, first 2 shown]
	s_waitcnt vmcnt(0)
	v_add_f64 v[4:5], v[24:25], -v[4:5]
	v_add_f64 v[6:7], v[26:27], -v[6:7]
	scratch_store_dwordx4 off, v[4:7], off offset:272
	s_and_saveexec_b64 s[2:3], vcc
	s_cbranch_execz .LBB22_119
; %bb.118:
	scratch_load_dwordx4 v[6:9], off, s24
	v_mov_b32_e32 v3, v2
	v_mov_b32_e32 v4, v2
	;; [unrolled: 1-line block ×3, first 2 shown]
	scratch_store_dwordx4 off, v[2:5], off offset:256
	s_waitcnt vmcnt(1)
	ds_write_b128 v106, v[6:9]
.LBB22_119:
	s_or_b64 exec, exec, s[2:3]
	s_waitcnt lgkmcnt(0)
	; wave barrier
	scratch_load_dwordx4 v[4:7], off, off offset:272
	scratch_load_dwordx4 v[8:11], off, off offset:288
	;; [unrolled: 1-line block ×7, first 2 shown]
	ds_read_b128 v[32:35], v2 offset:640
	ds_read_b128 v[36:39], v2 offset:656
	;; [unrolled: 1-line block ×6, first 2 shown]
	v_cmp_lt_u32_e32 vcc, 15, v1
	s_waitcnt vmcnt(6) lgkmcnt(5)
	v_mul_f64 v[2:3], v[32:33], v[6:7]
	v_mul_f64 v[6:7], v[34:35], v[6:7]
	s_waitcnt vmcnt(5) lgkmcnt(4)
	v_mul_f64 v[56:57], v[36:37], v[10:11]
	v_mul_f64 v[10:11], v[38:39], v[10:11]
	v_fmac_f64_e32 v[2:3], v[34:35], v[4:5]
	v_fma_f64 v[4:5], v[32:33], v[4:5], -v[6:7]
	s_waitcnt vmcnt(4) lgkmcnt(3)
	v_mul_f64 v[58:59], v[40:41], v[14:15]
	v_mul_f64 v[14:15], v[42:43], v[14:15]
	v_fmac_f64_e32 v[56:57], v[38:39], v[8:9]
	v_fma_f64 v[6:7], v[36:37], v[8:9], -v[10:11]
	v_add_f64 v[2:3], v[2:3], 0
	v_add_f64 v[4:5], v[4:5], 0
	s_waitcnt vmcnt(3) lgkmcnt(2)
	v_mul_f64 v[60:61], v[44:45], v[18:19]
	v_mul_f64 v[18:19], v[46:47], v[18:19]
	v_fmac_f64_e32 v[58:59], v[42:43], v[12:13]
	v_fma_f64 v[8:9], v[40:41], v[12:13], -v[14:15]
	v_add_f64 v[2:3], v[2:3], v[56:57]
	v_add_f64 v[4:5], v[4:5], v[6:7]
	s_waitcnt vmcnt(2) lgkmcnt(1)
	v_mul_f64 v[62:63], v[48:49], v[22:23]
	v_mul_f64 v[22:23], v[50:51], v[22:23]
	v_fmac_f64_e32 v[60:61], v[46:47], v[16:17]
	v_fma_f64 v[10:11], v[44:45], v[16:17], -v[18:19]
	v_add_f64 v[2:3], v[2:3], v[58:59]
	v_add_f64 v[4:5], v[4:5], v[8:9]
	s_waitcnt vmcnt(1) lgkmcnt(0)
	v_mul_f64 v[64:65], v[52:53], v[26:27]
	v_mul_f64 v[26:27], v[54:55], v[26:27]
	v_fmac_f64_e32 v[62:63], v[50:51], v[20:21]
	v_fma_f64 v[12:13], v[48:49], v[20:21], -v[22:23]
	v_add_f64 v[2:3], v[2:3], v[60:61]
	v_add_f64 v[4:5], v[4:5], v[10:11]
	v_fmac_f64_e32 v[64:65], v[54:55], v[24:25]
	v_fma_f64 v[14:15], v[52:53], v[24:25], -v[26:27]
	v_add_f64 v[2:3], v[2:3], v[62:63]
	v_add_f64 v[4:5], v[4:5], v[12:13]
	;; [unrolled: 1-line block ×4, first 2 shown]
	s_waitcnt vmcnt(0)
	v_add_f64 v[2:3], v[28:29], -v[2:3]
	v_add_f64 v[4:5], v[30:31], -v[6:7]
	scratch_store_dwordx4 off, v[2:5], off offset:256
	s_and_saveexec_b64 s[2:3], vcc
	s_cbranch_execz .LBB22_121
; %bb.120:
	scratch_load_dwordx4 v[2:5], off, s37
	v_mov_b32_e32 v6, 0
	v_mov_b32_e32 v7, v6
	;; [unrolled: 1-line block ×4, first 2 shown]
	scratch_store_dwordx4 off, v[6:9], off offset:240
	s_waitcnt vmcnt(1)
	ds_write_b128 v106, v[2:5]
.LBB22_121:
	s_or_b64 exec, exec, s[2:3]
	s_waitcnt lgkmcnt(0)
	; wave barrier
	scratch_load_dwordx4 v[4:7], off, off offset:256
	scratch_load_dwordx4 v[8:11], off, off offset:272
	;; [unrolled: 1-line block ×8, first 2 shown]
	v_mov_b32_e32 v2, 0
	ds_read_b128 v[36:39], v2 offset:624
	ds_read_b128 v[40:43], v2 offset:640
	ds_read_b128 v[44:47], v2 offset:656
	ds_read_b128 v[48:51], v2 offset:672
	ds_read_b128 v[52:55], v2 offset:688
	ds_read_b128 v[56:59], v2 offset:704
	ds_read_b128 v[60:63], v2 offset:720
	v_cmp_lt_u32_e32 vcc, 14, v1
	s_waitcnt vmcnt(7) lgkmcnt(6)
	v_mul_f64 v[64:65], v[36:37], v[6:7]
	v_mul_f64 v[6:7], v[38:39], v[6:7]
	s_waitcnt vmcnt(6) lgkmcnt(5)
	v_mul_f64 v[66:67], v[40:41], v[10:11]
	s_waitcnt vmcnt(4) lgkmcnt(3)
	v_mul_f64 v[70:71], v[48:49], v[18:19]
	v_mul_f64 v[10:11], v[42:43], v[10:11]
	;; [unrolled: 1-line block ×3, first 2 shown]
	v_fmac_f64_e32 v[64:65], v[38:39], v[4:5]
	v_fma_f64 v[4:5], v[36:37], v[4:5], -v[6:7]
	v_mul_f64 v[68:69], v[44:45], v[14:15]
	v_mul_f64 v[14:15], v[46:47], v[14:15]
	v_fmac_f64_e32 v[66:67], v[42:43], v[8:9]
	v_fma_f64 v[6:7], v[40:41], v[8:9], -v[10:11]
	v_fma_f64 v[10:11], v[48:49], v[16:17], -v[18:19]
	v_add_f64 v[18:19], v[64:65], 0
	v_add_f64 v[4:5], v[4:5], 0
	v_fmac_f64_e32 v[68:69], v[46:47], v[12:13]
	v_fma_f64 v[8:9], v[44:45], v[12:13], -v[14:15]
	v_add_f64 v[18:19], v[18:19], v[66:67]
	v_add_f64 v[4:5], v[4:5], v[6:7]
	s_waitcnt vmcnt(3) lgkmcnt(2)
	v_mul_f64 v[72:73], v[52:53], v[22:23]
	v_mul_f64 v[22:23], v[54:55], v[22:23]
	v_fmac_f64_e32 v[70:71], v[50:51], v[16:17]
	v_add_f64 v[6:7], v[18:19], v[68:69]
	v_add_f64 v[4:5], v[4:5], v[8:9]
	s_waitcnt vmcnt(2) lgkmcnt(1)
	v_mul_f64 v[74:75], v[56:57], v[26:27]
	v_mul_f64 v[26:27], v[58:59], v[26:27]
	v_fmac_f64_e32 v[72:73], v[54:55], v[20:21]
	v_fma_f64 v[12:13], v[52:53], v[20:21], -v[22:23]
	v_add_f64 v[6:7], v[6:7], v[70:71]
	v_add_f64 v[4:5], v[4:5], v[10:11]
	s_waitcnt vmcnt(1) lgkmcnt(0)
	v_mul_f64 v[76:77], v[60:61], v[30:31]
	v_mul_f64 v[30:31], v[62:63], v[30:31]
	v_fmac_f64_e32 v[74:75], v[58:59], v[24:25]
	v_fma_f64 v[14:15], v[56:57], v[24:25], -v[26:27]
	v_add_f64 v[6:7], v[6:7], v[72:73]
	v_add_f64 v[4:5], v[4:5], v[12:13]
	v_fmac_f64_e32 v[76:77], v[62:63], v[28:29]
	v_fma_f64 v[16:17], v[60:61], v[28:29], -v[30:31]
	v_add_f64 v[6:7], v[6:7], v[74:75]
	v_add_f64 v[4:5], v[4:5], v[14:15]
	;; [unrolled: 1-line block ×4, first 2 shown]
	s_waitcnt vmcnt(0)
	v_add_f64 v[4:5], v[32:33], -v[4:5]
	v_add_f64 v[6:7], v[34:35], -v[6:7]
	scratch_store_dwordx4 off, v[4:7], off offset:240
	s_and_saveexec_b64 s[2:3], vcc
	s_cbranch_execz .LBB22_123
; %bb.122:
	scratch_load_dwordx4 v[6:9], off, s40
	v_mov_b32_e32 v3, v2
	v_mov_b32_e32 v4, v2
	;; [unrolled: 1-line block ×3, first 2 shown]
	scratch_store_dwordx4 off, v[2:5], off offset:224
	s_waitcnt vmcnt(1)
	ds_write_b128 v106, v[6:9]
.LBB22_123:
	s_or_b64 exec, exec, s[2:3]
	s_waitcnt lgkmcnt(0)
	; wave barrier
	ds_read_b128 v[4:7], v2 offset:608
	ds_read_b128 v[8:11], v2 offset:624
	;; [unrolled: 1-line block ×4, first 2 shown]
	scratch_load_dwordx4 v[20:23], off, off offset:240
	scratch_load_dwordx4 v[40:43], off, off offset:304
	v_cmp_lt_u32_e32 vcc, 13, v1
	scratch_load_dwordx4 v[48:51], off, off offset:320
	scratch_load_dwordx4 v[56:59], off, off offset:336
	;; [unrolled: 1-line block ×3, first 2 shown]
	s_waitcnt vmcnt(4) lgkmcnt(3)
	v_mul_f64 v[24:25], v[4:5], v[22:23]
	v_fmac_f64_e32 v[24:25], v[6:7], v[20:21]
	v_add_f64 v[28:29], v[24:25], 0
	scratch_load_dwordx4 v[24:27], off, off offset:256
	s_waitcnt vmcnt(0) lgkmcnt(2)
	v_mul_f64 v[30:31], v[8:9], v[26:27]
	v_fmac_f64_e32 v[30:31], v[10:11], v[24:25]
	v_add_f64 v[32:33], v[28:29], v[30:31]
	scratch_load_dwordx4 v[28:31], off, off offset:272
	;; [unrolled: 5-line block ×3, first 2 shown]
	s_waitcnt vmcnt(0) lgkmcnt(0)
	v_mul_f64 v[38:39], v[16:17], v[34:35]
	v_fmac_f64_e32 v[38:39], v[18:19], v[32:33]
	v_add_f64 v[44:45], v[36:37], v[38:39]
	ds_read_b128 v[36:39], v2 offset:672
	s_waitcnt lgkmcnt(0)
	v_mul_f64 v[46:47], v[36:37], v[42:43]
	v_fmac_f64_e32 v[46:47], v[38:39], v[40:41]
	v_add_f64 v[52:53], v[44:45], v[46:47]
	ds_read_b128 v[44:47], v2 offset:688
	s_waitcnt lgkmcnt(0)
	v_mul_f64 v[54:55], v[44:45], v[50:51]
	v_fmac_f64_e32 v[54:55], v[46:47], v[48:49]
	v_add_f64 v[60:61], v[52:53], v[54:55]
	ds_read_b128 v[52:55], v2 offset:704
	s_waitcnt lgkmcnt(0)
	v_mul_f64 v[62:63], v[52:53], v[58:59]
	v_fmac_f64_e32 v[62:63], v[54:55], v[56:57]
	v_add_f64 v[68:69], v[60:61], v[62:63]
	ds_read_b128 v[60:63], v2 offset:720
	s_waitcnt lgkmcnt(0)
	v_mul_f64 v[2:3], v[60:61], v[66:67]
	v_fmac_f64_e32 v[2:3], v[62:63], v[64:65]
	v_add_f64 v[68:69], v[68:69], v[2:3]
	v_mul_f64 v[2:3], v[6:7], v[22:23]
	v_fma_f64 v[2:3], v[4:5], v[20:21], -v[2:3]
	v_mul_f64 v[4:5], v[10:11], v[26:27]
	v_add_f64 v[2:3], v[2:3], 0
	v_fma_f64 v[4:5], v[8:9], v[24:25], -v[4:5]
	v_add_f64 v[2:3], v[2:3], v[4:5]
	v_mul_f64 v[4:5], v[14:15], v[30:31]
	v_fma_f64 v[4:5], v[12:13], v[28:29], -v[4:5]
	v_add_f64 v[2:3], v[2:3], v[4:5]
	v_mul_f64 v[4:5], v[18:19], v[34:35]
	;; [unrolled: 3-line block ×6, first 2 shown]
	v_fma_f64 v[4:5], v[60:61], v[64:65], -v[4:5]
	v_add_f64 v[6:7], v[2:3], v[4:5]
	scratch_load_dwordx4 v[2:5], off, off offset:224
	s_waitcnt vmcnt(0)
	v_add_f64 v[2:3], v[2:3], -v[6:7]
	v_add_f64 v[4:5], v[4:5], -v[68:69]
	scratch_store_dwordx4 off, v[2:5], off offset:224
	s_and_saveexec_b64 s[2:3], vcc
	s_cbranch_execz .LBB22_125
; %bb.124:
	scratch_load_dwordx4 v[2:5], off, s39
	v_mov_b32_e32 v6, 0
	v_mov_b32_e32 v7, v6
	;; [unrolled: 1-line block ×4, first 2 shown]
	scratch_store_dwordx4 off, v[6:9], off offset:208
	s_waitcnt vmcnt(1)
	ds_write_b128 v106, v[2:5]
.LBB22_125:
	s_or_b64 exec, exec, s[2:3]
	v_mov_b32_e32 v2, 0
	s_waitcnt lgkmcnt(0)
	; wave barrier
	ds_read_b128 v[4:7], v2 offset:592
	ds_read_b128 v[8:11], v2 offset:608
	;; [unrolled: 1-line block ×4, first 2 shown]
	scratch_load_dwordx4 v[20:23], off, off offset:224
	scratch_load_dwordx4 v[40:43], off, off offset:288
	;; [unrolled: 1-line block ×3, first 2 shown]
	v_cmp_lt_u32_e32 vcc, 12, v1
	scratch_load_dwordx4 v[48:51], off, off offset:304
	scratch_load_dwordx4 v[56:59], off, off offset:320
	;; [unrolled: 1-line block ×3, first 2 shown]
	s_waitcnt vmcnt(5) lgkmcnt(3)
	v_mul_f64 v[24:25], v[4:5], v[22:23]
	v_fmac_f64_e32 v[24:25], v[6:7], v[20:21]
	v_add_f64 v[28:29], v[24:25], 0
	scratch_load_dwordx4 v[24:27], off, off offset:240
	v_mul_f64 v[6:7], v[6:7], v[22:23]
	v_fma_f64 v[4:5], v[4:5], v[20:21], -v[6:7]
	v_add_f64 v[4:5], v[4:5], 0
	s_waitcnt vmcnt(0) lgkmcnt(2)
	v_mul_f64 v[30:31], v[8:9], v[26:27]
	v_fmac_f64_e32 v[30:31], v[10:11], v[24:25]
	v_add_f64 v[32:33], v[28:29], v[30:31]
	scratch_load_dwordx4 v[28:31], off, off offset:256
	v_mul_f64 v[6:7], v[10:11], v[26:27]
	v_fma_f64 v[6:7], v[8:9], v[24:25], -v[6:7]
	v_add_f64 v[4:5], v[4:5], v[6:7]
	;; [unrolled: 8-line block ×3, first 2 shown]
	s_waitcnt vmcnt(0) lgkmcnt(0)
	v_mul_f64 v[38:39], v[16:17], v[34:35]
	v_fmac_f64_e32 v[38:39], v[18:19], v[32:33]
	v_add_f64 v[44:45], v[36:37], v[38:39]
	ds_read_b128 v[36:39], v2 offset:656
	v_mul_f64 v[6:7], v[18:19], v[34:35]
	v_fma_f64 v[6:7], v[16:17], v[32:33], -v[6:7]
	v_add_f64 v[4:5], v[4:5], v[6:7]
	s_waitcnt lgkmcnt(0)
	v_mul_f64 v[46:47], v[36:37], v[42:43]
	v_fmac_f64_e32 v[46:47], v[38:39], v[40:41]
	v_add_f64 v[52:53], v[44:45], v[46:47]
	ds_read_b128 v[44:47], v2 offset:672
	v_mul_f64 v[6:7], v[38:39], v[42:43]
	v_fma_f64 v[6:7], v[36:37], v[40:41], -v[6:7]
	v_add_f64 v[4:5], v[4:5], v[6:7]
	s_waitcnt lgkmcnt(0)
	;; [unrolled: 8-line block ×5, first 2 shown]
	v_mul_f64 v[6:7], v[70:71], v[74:75]
	v_fma_f64 v[6:7], v[68:69], v[72:73], -v[6:7]
	v_add_f64 v[8:9], v[4:5], v[6:7]
	scratch_load_dwordx4 v[4:7], off, off offset:208
	v_mul_f64 v[78:79], v[68:69], v[74:75]
	v_fmac_f64_e32 v[78:79], v[70:71], v[72:73]
	v_add_f64 v[76:77], v[76:77], v[78:79]
	s_waitcnt vmcnt(0)
	v_add_f64 v[4:5], v[4:5], -v[8:9]
	v_add_f64 v[6:7], v[6:7], -v[76:77]
	scratch_store_dwordx4 off, v[4:7], off offset:208
	s_and_saveexec_b64 s[2:3], vcc
	s_cbranch_execz .LBB22_127
; %bb.126:
	scratch_load_dwordx4 v[6:9], off, s38
	v_mov_b32_e32 v3, v2
	v_mov_b32_e32 v4, v2
	;; [unrolled: 1-line block ×3, first 2 shown]
	scratch_store_dwordx4 off, v[2:5], off offset:192
	s_waitcnt vmcnt(1)
	ds_write_b128 v106, v[6:9]
.LBB22_127:
	s_or_b64 exec, exec, s[2:3]
	s_waitcnt lgkmcnt(0)
	; wave barrier
	scratch_load_dwordx4 v[4:7], off, off offset:208
	scratch_load_dwordx4 v[8:11], off, off offset:224
	;; [unrolled: 1-line block ×11, first 2 shown]
	ds_read_b128 v[48:51], v2 offset:576
	ds_read_b128 v[52:55], v2 offset:592
	;; [unrolled: 1-line block ×10, first 2 shown]
	v_cmp_lt_u32_e32 vcc, 11, v1
	s_waitcnt vmcnt(10) lgkmcnt(9)
	v_mul_f64 v[2:3], v[48:49], v[6:7]
	v_mul_f64 v[6:7], v[50:51], v[6:7]
	s_waitcnt vmcnt(9) lgkmcnt(8)
	v_mul_f64 v[88:89], v[52:53], v[10:11]
	v_mul_f64 v[10:11], v[54:55], v[10:11]
	v_fmac_f64_e32 v[2:3], v[50:51], v[4:5]
	v_fma_f64 v[4:5], v[48:49], v[4:5], -v[6:7]
	s_waitcnt vmcnt(8) lgkmcnt(7)
	v_mul_f64 v[90:91], v[56:57], v[14:15]
	v_mul_f64 v[14:15], v[58:59], v[14:15]
	v_fmac_f64_e32 v[88:89], v[54:55], v[8:9]
	v_fma_f64 v[6:7], v[52:53], v[8:9], -v[10:11]
	v_add_f64 v[2:3], v[2:3], 0
	v_add_f64 v[4:5], v[4:5], 0
	s_waitcnt vmcnt(7) lgkmcnt(6)
	v_mul_f64 v[92:93], v[60:61], v[18:19]
	v_mul_f64 v[18:19], v[62:63], v[18:19]
	v_fmac_f64_e32 v[90:91], v[58:59], v[12:13]
	v_fma_f64 v[8:9], v[56:57], v[12:13], -v[14:15]
	v_add_f64 v[2:3], v[2:3], v[88:89]
	v_add_f64 v[4:5], v[4:5], v[6:7]
	;; [unrolled: 7-line block ×8, first 2 shown]
	v_fmac_f64_e32 v[104:105], v[86:87], v[40:41]
	v_fma_f64 v[22:23], v[84:85], v[40:41], -v[42:43]
	v_add_f64 v[2:3], v[2:3], v[102:103]
	v_add_f64 v[4:5], v[4:5], v[20:21]
	;; [unrolled: 1-line block ×4, first 2 shown]
	s_waitcnt vmcnt(0)
	v_add_f64 v[2:3], v[44:45], -v[2:3]
	v_add_f64 v[4:5], v[46:47], -v[6:7]
	scratch_store_dwordx4 off, v[2:5], off offset:192
	s_and_saveexec_b64 s[2:3], vcc
	s_cbranch_execz .LBB22_129
; %bb.128:
	scratch_load_dwordx4 v[2:5], off, s35
	v_mov_b32_e32 v6, 0
	v_mov_b32_e32 v7, v6
	;; [unrolled: 1-line block ×4, first 2 shown]
	scratch_store_dwordx4 off, v[6:9], off offset:176
	s_waitcnt vmcnt(1)
	ds_write_b128 v106, v[2:5]
.LBB22_129:
	s_or_b64 exec, exec, s[2:3]
	s_waitcnt lgkmcnt(0)
	; wave barrier
	scratch_load_dwordx4 v[4:7], off, off offset:192
	scratch_load_dwordx4 v[8:11], off, off offset:208
	;; [unrolled: 1-line block ×12, first 2 shown]
	v_mov_b32_e32 v2, 0
	ds_read_b128 v[52:55], v2 offset:560
	ds_read_b128 v[56:59], v2 offset:576
	;; [unrolled: 1-line block ×11, first 2 shown]
	v_cmp_lt_u32_e32 vcc, 10, v1
	s_waitcnt vmcnt(11) lgkmcnt(10)
	v_mul_f64 v[96:97], v[52:53], v[6:7]
	v_mul_f64 v[6:7], v[54:55], v[6:7]
	s_waitcnt vmcnt(10) lgkmcnt(9)
	v_mul_f64 v[98:99], v[56:57], v[10:11]
	s_waitcnt vmcnt(9) lgkmcnt(8)
	v_mul_f64 v[100:101], v[60:61], v[14:15]
	v_mul_f64 v[10:11], v[58:59], v[10:11]
	s_waitcnt vmcnt(6) lgkmcnt(5)
	v_mul_f64 v[108:109], v[72:73], v[26:27]
	v_mul_f64 v[14:15], v[62:63], v[14:15]
	v_mul_f64 v[26:27], v[74:75], v[26:27]
	v_fmac_f64_e32 v[96:97], v[54:55], v[4:5]
	v_fma_f64 v[4:5], v[52:53], v[4:5], -v[6:7]
	v_fmac_f64_e32 v[98:99], v[58:59], v[8:9]
	v_fma_f64 v[6:7], v[56:57], v[8:9], -v[10:11]
	v_fma_f64 v[8:9], v[60:61], v[12:13], -v[14:15]
	;; [unrolled: 1-line block ×3, first 2 shown]
	v_add_f64 v[26:27], v[96:97], 0
	v_add_f64 v[4:5], v[4:5], 0
	v_mul_f64 v[102:103], v[64:65], v[18:19]
	v_mul_f64 v[18:19], v[66:67], v[18:19]
	v_fmac_f64_e32 v[100:101], v[62:63], v[12:13]
	v_add_f64 v[26:27], v[26:27], v[98:99]
	v_add_f64 v[4:5], v[4:5], v[6:7]
	v_mul_f64 v[104:105], v[68:69], v[22:23]
	v_mul_f64 v[22:23], v[70:71], v[22:23]
	v_fmac_f64_e32 v[102:103], v[66:67], v[16:17]
	v_fma_f64 v[10:11], v[64:65], v[16:17], -v[18:19]
	v_add_f64 v[6:7], v[26:27], v[100:101]
	v_add_f64 v[4:5], v[4:5], v[8:9]
	v_fmac_f64_e32 v[104:105], v[70:71], v[20:21]
	v_fma_f64 v[12:13], v[68:69], v[20:21], -v[22:23]
	v_add_f64 v[6:7], v[6:7], v[102:103]
	v_add_f64 v[4:5], v[4:5], v[10:11]
	s_waitcnt vmcnt(5) lgkmcnt(4)
	v_mul_f64 v[110:111], v[76:77], v[30:31]
	v_mul_f64 v[30:31], v[78:79], v[30:31]
	v_fmac_f64_e32 v[108:109], v[74:75], v[24:25]
	v_add_f64 v[6:7], v[6:7], v[104:105]
	v_add_f64 v[4:5], v[4:5], v[12:13]
	s_waitcnt vmcnt(4) lgkmcnt(3)
	v_mul_f64 v[112:113], v[80:81], v[34:35]
	v_mul_f64 v[34:35], v[82:83], v[34:35]
	v_fmac_f64_e32 v[110:111], v[78:79], v[28:29]
	v_fma_f64 v[16:17], v[76:77], v[28:29], -v[30:31]
	v_add_f64 v[6:7], v[6:7], v[108:109]
	v_add_f64 v[4:5], v[4:5], v[14:15]
	s_waitcnt vmcnt(3) lgkmcnt(2)
	v_mul_f64 v[114:115], v[84:85], v[38:39]
	v_mul_f64 v[38:39], v[86:87], v[38:39]
	v_fmac_f64_e32 v[112:113], v[82:83], v[32:33]
	v_fma_f64 v[18:19], v[80:81], v[32:33], -v[34:35]
	;; [unrolled: 7-line block ×4, first 2 shown]
	v_add_f64 v[6:7], v[6:7], v[114:115]
	v_add_f64 v[4:5], v[4:5], v[20:21]
	v_fmac_f64_e32 v[118:119], v[94:95], v[44:45]
	v_fma_f64 v[24:25], v[92:93], v[44:45], -v[46:47]
	v_add_f64 v[6:7], v[6:7], v[116:117]
	v_add_f64 v[4:5], v[4:5], v[22:23]
	v_add_f64 v[6:7], v[6:7], v[118:119]
	v_add_f64 v[4:5], v[4:5], v[24:25]
	s_waitcnt vmcnt(0)
	v_add_f64 v[4:5], v[48:49], -v[4:5]
	v_add_f64 v[6:7], v[50:51], -v[6:7]
	scratch_store_dwordx4 off, v[4:7], off offset:176
	s_and_saveexec_b64 s[2:3], vcc
	s_cbranch_execz .LBB22_131
; %bb.130:
	scratch_load_dwordx4 v[6:9], off, s28
	v_mov_b32_e32 v3, v2
	v_mov_b32_e32 v4, v2
	;; [unrolled: 1-line block ×3, first 2 shown]
	scratch_store_dwordx4 off, v[2:5], off offset:160
	s_waitcnt vmcnt(1)
	ds_write_b128 v106, v[6:9]
.LBB22_131:
	s_or_b64 exec, exec, s[2:3]
	s_waitcnt lgkmcnt(0)
	; wave barrier
	ds_read_b128 v[4:7], v2 offset:544
	ds_read_b128 v[8:11], v2 offset:560
	ds_read_b128 v[12:15], v2 offset:576
	ds_read_b128 v[16:19], v2 offset:592
	scratch_load_dwordx4 v[20:23], off, off offset:176
	scratch_load_dwordx4 v[40:43], off, off offset:240
	;; [unrolled: 1-line block ×6, first 2 shown]
	v_cmp_lt_u32_e32 vcc, 9, v1
	scratch_load_dwordx4 v[48:51], off, off offset:256
	scratch_load_dwordx4 v[56:59], off, off offset:272
	;; [unrolled: 1-line block ×3, first 2 shown]
	s_waitcnt vmcnt(8) lgkmcnt(3)
	v_mul_f64 v[24:25], v[4:5], v[22:23]
	v_fmac_f64_e32 v[24:25], v[6:7], v[20:21]
	v_add_f64 v[28:29], v[24:25], 0
	scratch_load_dwordx4 v[24:27], off, off offset:192
	s_waitcnt vmcnt(0) lgkmcnt(2)
	v_mul_f64 v[30:31], v[8:9], v[26:27]
	v_fmac_f64_e32 v[30:31], v[10:11], v[24:25]
	v_add_f64 v[32:33], v[28:29], v[30:31]
	scratch_load_dwordx4 v[28:31], off, off offset:208
	;; [unrolled: 5-line block ×3, first 2 shown]
	s_waitcnt vmcnt(0) lgkmcnt(0)
	v_mul_f64 v[38:39], v[16:17], v[34:35]
	v_fmac_f64_e32 v[38:39], v[18:19], v[32:33]
	v_add_f64 v[44:45], v[36:37], v[38:39]
	ds_read_b128 v[36:39], v2 offset:608
	s_waitcnt lgkmcnt(0)
	v_mul_f64 v[46:47], v[36:37], v[42:43]
	v_fmac_f64_e32 v[46:47], v[38:39], v[40:41]
	v_add_f64 v[52:53], v[44:45], v[46:47]
	ds_read_b128 v[44:47], v2 offset:624
	s_waitcnt lgkmcnt(0)
	;; [unrolled: 5-line block ×8, first 2 shown]
	v_mul_f64 v[2:3], v[92:93], v[98:99]
	v_fmac_f64_e32 v[2:3], v[94:95], v[96:97]
	v_add_f64 v[100:101], v[100:101], v[2:3]
	v_mul_f64 v[2:3], v[6:7], v[22:23]
	v_fma_f64 v[2:3], v[4:5], v[20:21], -v[2:3]
	v_mul_f64 v[4:5], v[10:11], v[26:27]
	v_add_f64 v[2:3], v[2:3], 0
	v_fma_f64 v[4:5], v[8:9], v[24:25], -v[4:5]
	v_add_f64 v[2:3], v[2:3], v[4:5]
	v_mul_f64 v[4:5], v[14:15], v[30:31]
	v_fma_f64 v[4:5], v[12:13], v[28:29], -v[4:5]
	v_add_f64 v[2:3], v[2:3], v[4:5]
	v_mul_f64 v[4:5], v[18:19], v[34:35]
	;; [unrolled: 3-line block ×10, first 2 shown]
	v_fma_f64 v[4:5], v[92:93], v[96:97], -v[4:5]
	v_add_f64 v[6:7], v[2:3], v[4:5]
	scratch_load_dwordx4 v[2:5], off, off offset:160
	s_waitcnt vmcnt(0)
	v_add_f64 v[2:3], v[2:3], -v[6:7]
	v_add_f64 v[4:5], v[4:5], -v[100:101]
	scratch_store_dwordx4 off, v[2:5], off offset:160
	s_and_saveexec_b64 s[2:3], vcc
	s_cbranch_execz .LBB22_133
; %bb.132:
	scratch_load_dwordx4 v[2:5], off, s25
	v_mov_b32_e32 v6, 0
	v_mov_b32_e32 v7, v6
	;; [unrolled: 1-line block ×4, first 2 shown]
	scratch_store_dwordx4 off, v[6:9], off offset:144
	s_waitcnt vmcnt(1)
	ds_write_b128 v106, v[2:5]
.LBB22_133:
	s_or_b64 exec, exec, s[2:3]
	v_mov_b32_e32 v2, 0
	s_waitcnt lgkmcnt(0)
	; wave barrier
	ds_read_b128 v[4:7], v2 offset:528
	ds_read_b128 v[8:11], v2 offset:544
	;; [unrolled: 1-line block ×4, first 2 shown]
	scratch_load_dwordx4 v[20:23], off, off offset:160
	scratch_load_dwordx4 v[40:43], off, off offset:224
	;; [unrolled: 1-line block ×7, first 2 shown]
	v_cmp_lt_u32_e32 vcc, 8, v1
	scratch_load_dwordx4 v[48:51], off, off offset:240
	scratch_load_dwordx4 v[56:59], off, off offset:256
	;; [unrolled: 1-line block ×3, first 2 shown]
	s_waitcnt vmcnt(9) lgkmcnt(3)
	v_mul_f64 v[24:25], v[4:5], v[22:23]
	v_fmac_f64_e32 v[24:25], v[6:7], v[20:21]
	v_add_f64 v[28:29], v[24:25], 0
	scratch_load_dwordx4 v[24:27], off, off offset:176
	v_mul_f64 v[6:7], v[6:7], v[22:23]
	v_fma_f64 v[4:5], v[4:5], v[20:21], -v[6:7]
	v_add_f64 v[4:5], v[4:5], 0
	s_waitcnt vmcnt(0) lgkmcnt(2)
	v_mul_f64 v[30:31], v[8:9], v[26:27]
	v_fmac_f64_e32 v[30:31], v[10:11], v[24:25]
	v_add_f64 v[32:33], v[28:29], v[30:31]
	scratch_load_dwordx4 v[28:31], off, off offset:192
	v_mul_f64 v[6:7], v[10:11], v[26:27]
	v_fma_f64 v[6:7], v[8:9], v[24:25], -v[6:7]
	v_add_f64 v[4:5], v[4:5], v[6:7]
	;; [unrolled: 8-line block ×3, first 2 shown]
	s_waitcnt vmcnt(0) lgkmcnt(0)
	v_mul_f64 v[38:39], v[16:17], v[34:35]
	v_fmac_f64_e32 v[38:39], v[18:19], v[32:33]
	v_add_f64 v[44:45], v[36:37], v[38:39]
	ds_read_b128 v[36:39], v2 offset:592
	v_mul_f64 v[6:7], v[18:19], v[34:35]
	v_fma_f64 v[6:7], v[16:17], v[32:33], -v[6:7]
	v_add_f64 v[4:5], v[4:5], v[6:7]
	s_waitcnt lgkmcnt(0)
	v_mul_f64 v[46:47], v[36:37], v[42:43]
	v_fmac_f64_e32 v[46:47], v[38:39], v[40:41]
	v_add_f64 v[52:53], v[44:45], v[46:47]
	ds_read_b128 v[44:47], v2 offset:608
	v_mul_f64 v[6:7], v[38:39], v[42:43]
	v_fma_f64 v[6:7], v[36:37], v[40:41], -v[6:7]
	v_add_f64 v[4:5], v[4:5], v[6:7]
	s_waitcnt lgkmcnt(0)
	;; [unrolled: 8-line block ×9, first 2 shown]
	v_mul_f64 v[6:7], v[102:103], v[110:111]
	v_fma_f64 v[6:7], v[100:101], v[108:109], -v[6:7]
	v_add_f64 v[8:9], v[4:5], v[6:7]
	scratch_load_dwordx4 v[4:7], off, off offset:144
	v_mul_f64 v[112:113], v[100:101], v[110:111]
	v_fmac_f64_e32 v[112:113], v[102:103], v[108:109]
	v_add_f64 v[104:105], v[104:105], v[112:113]
	s_waitcnt vmcnt(0)
	v_add_f64 v[4:5], v[4:5], -v[8:9]
	v_add_f64 v[6:7], v[6:7], -v[104:105]
	scratch_store_dwordx4 off, v[4:7], off offset:144
	s_and_saveexec_b64 s[2:3], vcc
	s_cbranch_execz .LBB22_135
; %bb.134:
	scratch_load_dwordx4 v[6:9], off, s17
	v_mov_b32_e32 v3, v2
	v_mov_b32_e32 v4, v2
	;; [unrolled: 1-line block ×3, first 2 shown]
	scratch_store_dwordx4 off, v[2:5], off offset:128
	s_waitcnt vmcnt(1)
	ds_write_b128 v106, v[6:9]
.LBB22_135:
	s_or_b64 exec, exec, s[2:3]
	s_waitcnt lgkmcnt(0)
	; wave barrier
	ds_read_b128 v[4:7], v2 offset:512
	ds_read_b128 v[8:11], v2 offset:528
	;; [unrolled: 1-line block ×4, first 2 shown]
	scratch_load_dwordx4 v[20:23], off, off offset:144
	scratch_load_dwordx4 v[40:43], off, off offset:208
	;; [unrolled: 1-line block ×8, first 2 shown]
	v_cmp_lt_u32_e32 vcc, 7, v1
	scratch_load_dwordx4 v[48:51], off, off offset:224
	scratch_load_dwordx4 v[56:59], off, off offset:240
	;; [unrolled: 1-line block ×3, first 2 shown]
	s_waitcnt vmcnt(10) lgkmcnt(3)
	v_mul_f64 v[24:25], v[4:5], v[22:23]
	v_fmac_f64_e32 v[24:25], v[6:7], v[20:21]
	v_add_f64 v[28:29], v[24:25], 0
	scratch_load_dwordx4 v[24:27], off, off offset:160
	s_waitcnt vmcnt(0) lgkmcnt(2)
	v_mul_f64 v[30:31], v[8:9], v[26:27]
	v_fmac_f64_e32 v[30:31], v[10:11], v[24:25]
	v_add_f64 v[32:33], v[28:29], v[30:31]
	scratch_load_dwordx4 v[28:31], off, off offset:176
	;; [unrolled: 5-line block ×3, first 2 shown]
	s_waitcnt vmcnt(0) lgkmcnt(0)
	v_mul_f64 v[38:39], v[16:17], v[34:35]
	v_fmac_f64_e32 v[38:39], v[18:19], v[32:33]
	v_add_f64 v[44:45], v[36:37], v[38:39]
	ds_read_b128 v[36:39], v2 offset:576
	s_waitcnt lgkmcnt(0)
	v_mul_f64 v[46:47], v[36:37], v[42:43]
	v_fmac_f64_e32 v[46:47], v[38:39], v[40:41]
	v_add_f64 v[52:53], v[44:45], v[46:47]
	ds_read_b128 v[44:47], v2 offset:592
	s_waitcnt lgkmcnt(0)
	;; [unrolled: 5-line block ×10, first 2 shown]
	v_mul_f64 v[2:3], v[112:113], v[118:119]
	v_fmac_f64_e32 v[2:3], v[114:115], v[116:117]
	v_add_f64 v[104:105], v[104:105], v[2:3]
	v_mul_f64 v[2:3], v[6:7], v[22:23]
	v_fma_f64 v[2:3], v[4:5], v[20:21], -v[2:3]
	v_mul_f64 v[4:5], v[10:11], v[26:27]
	v_add_f64 v[2:3], v[2:3], 0
	v_fma_f64 v[4:5], v[8:9], v[24:25], -v[4:5]
	v_add_f64 v[2:3], v[2:3], v[4:5]
	v_mul_f64 v[4:5], v[14:15], v[30:31]
	v_fma_f64 v[4:5], v[12:13], v[28:29], -v[4:5]
	v_add_f64 v[2:3], v[2:3], v[4:5]
	v_mul_f64 v[4:5], v[18:19], v[34:35]
	v_fma_f64 v[4:5], v[16:17], v[32:33], -v[4:5]
	v_add_f64 v[2:3], v[2:3], v[4:5]
	v_mul_f64 v[4:5], v[38:39], v[42:43]
	v_fma_f64 v[4:5], v[36:37], v[40:41], -v[4:5]
	v_add_f64 v[2:3], v[2:3], v[4:5]
	v_mul_f64 v[4:5], v[46:47], v[50:51]
	v_fma_f64 v[4:5], v[44:45], v[48:49], -v[4:5]
	v_add_f64 v[2:3], v[2:3], v[4:5]
	v_mul_f64 v[4:5], v[54:55], v[58:59]
	v_fma_f64 v[4:5], v[52:53], v[56:57], -v[4:5]
	v_add_f64 v[2:3], v[2:3], v[4:5]
	v_mul_f64 v[4:5], v[62:63], v[66:67]
	v_fma_f64 v[4:5], v[60:61], v[64:65], -v[4:5]
	v_add_f64 v[2:3], v[2:3], v[4:5]
	v_mul_f64 v[4:5], v[70:71], v[74:75]
	v_fma_f64 v[4:5], v[68:69], v[72:73], -v[4:5]
	v_add_f64 v[2:3], v[2:3], v[4:5]
	v_mul_f64 v[4:5], v[78:79], v[82:83]
	v_fma_f64 v[4:5], v[76:77], v[80:81], -v[4:5]
	v_add_f64 v[2:3], v[2:3], v[4:5]
	v_mul_f64 v[4:5], v[86:87], v[90:91]
	v_fma_f64 v[4:5], v[84:85], v[88:89], -v[4:5]
	v_add_f64 v[2:3], v[2:3], v[4:5]
	v_mul_f64 v[4:5], v[94:95], v[98:99]
	v_fma_f64 v[4:5], v[92:93], v[96:97], -v[4:5]
	v_add_f64 v[2:3], v[2:3], v[4:5]
	v_mul_f64 v[4:5], v[102:103], v[110:111]
	v_fma_f64 v[4:5], v[100:101], v[108:109], -v[4:5]
	v_add_f64 v[2:3], v[2:3], v[4:5]
	v_mul_f64 v[4:5], v[114:115], v[118:119]
	v_fma_f64 v[4:5], v[112:113], v[116:117], -v[4:5]
	v_add_f64 v[6:7], v[2:3], v[4:5]
	scratch_load_dwordx4 v[2:5], off, off offset:128
	s_waitcnt vmcnt(0)
	v_add_f64 v[2:3], v[2:3], -v[6:7]
	v_add_f64 v[4:5], v[4:5], -v[104:105]
	scratch_store_dwordx4 off, v[2:5], off offset:128
	s_and_saveexec_b64 s[2:3], vcc
	s_cbranch_execz .LBB22_137
; %bb.136:
	scratch_load_dwordx4 v[2:5], off, s29
	v_mov_b32_e32 v6, 0
	v_mov_b32_e32 v7, v6
	;; [unrolled: 1-line block ×4, first 2 shown]
	scratch_store_dwordx4 off, v[6:9], off offset:112
	s_waitcnt vmcnt(1)
	ds_write_b128 v106, v[2:5]
.LBB22_137:
	s_or_b64 exec, exec, s[2:3]
	s_waitcnt lgkmcnt(0)
	; wave barrier
	scratch_load_dwordx4 v[4:7], off, off offset:128
	scratch_load_dwordx4 v[12:15], off, off offset:144
	;; [unrolled: 1-line block ×16, first 2 shown]
	v_mov_b32_e32 v2, 0
	ds_read_b128 v[68:71], v2 offset:496
	ds_read_b128 v[72:75], v2 offset:512
	;; [unrolled: 1-line block ×15, first 2 shown]
	v_cmp_lt_u32_e32 vcc, 6, v1
	s_waitcnt vmcnt(15) lgkmcnt(14)
	v_mul_f64 v[104:105], v[68:69], v[6:7]
	v_mul_f64 v[6:7], v[70:71], v[6:7]
	s_waitcnt vmcnt(14) lgkmcnt(13)
	v_mul_f64 v[178:179], v[72:73], v[14:15]
	v_mul_f64 v[14:15], v[74:75], v[14:15]
	v_fmac_f64_e32 v[104:105], v[70:71], v[4:5]
	v_fma_f64 v[4:5], v[68:69], v[4:5], -v[6:7]
	s_waitcnt vmcnt(13) lgkmcnt(12)
	v_mul_f64 v[180:181], v[76:77], v[10:11]
	v_mul_f64 v[10:11], v[78:79], v[10:11]
	v_fma_f64 v[6:7], v[72:73], v[12:13], -v[14:15]
	v_add_f64 v[4:5], v[4:5], 0
	s_waitcnt vmcnt(12) lgkmcnt(11)
	v_mul_f64 v[182:183], v[80:81], v[18:19]
	v_mul_f64 v[18:19], v[82:83], v[18:19]
	v_fmac_f64_e32 v[180:181], v[78:79], v[8:9]
	v_fma_f64 v[8:9], v[76:77], v[8:9], -v[10:11]
	v_add_f64 v[4:5], v[4:5], v[6:7]
	s_waitcnt vmcnt(11) lgkmcnt(10)
	v_mul_f64 v[184:185], v[84:85], v[22:23]
	v_mul_f64 v[22:23], v[86:87], v[22:23]
	v_fma_f64 v[10:11], v[80:81], v[16:17], -v[18:19]
	v_add_f64 v[4:5], v[4:5], v[8:9]
	s_waitcnt vmcnt(10) lgkmcnt(9)
	v_mul_f64 v[186:187], v[88:89], v[30:31]
	v_mul_f64 v[30:31], v[90:91], v[30:31]
	v_fmac_f64_e32 v[178:179], v[74:75], v[12:13]
	v_fma_f64 v[12:13], v[84:85], v[20:21], -v[22:23]
	v_add_f64 v[4:5], v[4:5], v[10:11]
	v_fma_f64 v[14:15], v[88:89], v[28:29], -v[30:31]
	v_add_f64 v[4:5], v[4:5], v[12:13]
	s_waitcnt vmcnt(9) lgkmcnt(8)
	v_mul_f64 v[8:9], v[94:95], v[26:27]
	v_add_f64 v[4:5], v[4:5], v[14:15]
	v_fma_f64 v[8:9], v[92:93], v[24:25], -v[8:9]
	v_add_f64 v[4:5], v[4:5], v[8:9]
	s_waitcnt vmcnt(8) lgkmcnt(7)
	v_mul_f64 v[8:9], v[98:99], v[34:35]
	v_fma_f64 v[8:9], v[96:97], v[32:33], -v[8:9]
	v_fmac_f64_e32 v[182:183], v[82:83], v[16:17]
	v_add_f64 v[16:17], v[104:105], 0
	v_add_f64 v[4:5], v[4:5], v[8:9]
	s_waitcnt vmcnt(7) lgkmcnt(6)
	v_mul_f64 v[8:9], v[102:103], v[38:39]
	v_add_f64 v[16:17], v[16:17], v[178:179]
	v_fma_f64 v[8:9], v[100:101], v[36:37], -v[8:9]
	v_add_f64 v[6:7], v[16:17], v[180:181]
	v_add_f64 v[4:5], v[4:5], v[8:9]
	s_waitcnt vmcnt(6) lgkmcnt(5)
	v_mul_f64 v[8:9], v[110:111], v[42:43]
	v_fmac_f64_e32 v[184:185], v[86:87], v[20:21]
	v_add_f64 v[6:7], v[6:7], v[182:183]
	v_fma_f64 v[8:9], v[108:109], v[40:41], -v[8:9]
	v_mul_f64 v[188:189], v[92:93], v[26:27]
	v_fmac_f64_e32 v[186:187], v[90:91], v[28:29]
	v_add_f64 v[6:7], v[6:7], v[184:185]
	v_add_f64 v[4:5], v[4:5], v[8:9]
	s_waitcnt vmcnt(5) lgkmcnt(4)
	v_mul_f64 v[8:9], v[114:115], v[46:47]
	v_mul_f64 v[190:191], v[96:97], v[34:35]
	v_fmac_f64_e32 v[188:189], v[94:95], v[24:25]
	v_add_f64 v[6:7], v[6:7], v[186:187]
	v_fma_f64 v[8:9], v[112:113], v[44:45], -v[8:9]
	v_mul_f64 v[192:193], v[100:101], v[38:39]
	v_fmac_f64_e32 v[190:191], v[98:99], v[32:33]
	v_add_f64 v[6:7], v[6:7], v[188:189]
	v_add_f64 v[4:5], v[4:5], v[8:9]
	s_waitcnt vmcnt(4) lgkmcnt(3)
	v_mul_f64 v[8:9], v[118:119], v[50:51]
	;; [unrolled: 10-line block ×4, first 2 shown]
	v_mul_f64 v[202:203], v[170:171], v[58:59]
	v_fmac_f64_e32 v[200:201], v[168:169], v[52:53]
	v_add_f64 v[6:7], v[6:7], v[198:199]
	v_fma_f64 v[8:9], v[170:171], v[56:57], -v[8:9]
	s_waitcnt vmcnt(1) lgkmcnt(0)
	v_mul_f64 v[204:205], v[174:175], v[62:63]
	v_fmac_f64_e32 v[202:203], v[172:173], v[56:57]
	v_add_f64 v[6:7], v[6:7], v[200:201]
	v_add_f64 v[4:5], v[4:5], v[8:9]
	v_mul_f64 v[8:9], v[176:177], v[62:63]
	v_fmac_f64_e32 v[204:205], v[176:177], v[60:61]
	v_add_f64 v[6:7], v[6:7], v[202:203]
	v_fma_f64 v[8:9], v[174:175], v[60:61], -v[8:9]
	v_add_f64 v[6:7], v[6:7], v[204:205]
	v_add_f64 v[4:5], v[4:5], v[8:9]
	s_waitcnt vmcnt(0)
	v_add_f64 v[4:5], v[64:65], -v[4:5]
	v_add_f64 v[6:7], v[66:67], -v[6:7]
	scratch_store_dwordx4 off, v[4:7], off offset:112
	s_and_saveexec_b64 s[2:3], vcc
	s_cbranch_execz .LBB22_139
; %bb.138:
	scratch_load_dwordx4 v[6:9], off, s26
	v_mov_b32_e32 v3, v2
	v_mov_b32_e32 v4, v2
	;; [unrolled: 1-line block ×3, first 2 shown]
	scratch_store_dwordx4 off, v[2:5], off offset:96
	s_waitcnt vmcnt(1)
	ds_write_b128 v106, v[6:9]
.LBB22_139:
	s_or_b64 exec, exec, s[2:3]
	s_waitcnt lgkmcnt(0)
	; wave barrier
	scratch_load_dwordx4 v[4:7], off, off offset:112
	scratch_load_dwordx4 v[8:11], off, off offset:128
	;; [unrolled: 1-line block ×16, first 2 shown]
	ds_read_b128 v[68:71], v2 offset:480
	ds_read_b128 v[72:75], v2 offset:496
	ds_read_b128 v[76:79], v2 offset:512
	ds_read_b128 v[80:83], v2 offset:528
	ds_read_b128 v[84:87], v2 offset:544
	ds_read_b128 v[88:91], v2 offset:560
	ds_read_b128 v[92:95], v2 offset:576
	ds_read_b128 v[96:99], v2 offset:592
	ds_read_b128 v[100:103], v2 offset:608
	ds_read_b128 v[108:111], v2 offset:624
	ds_read_b128 v[112:115], v2 offset:640
	ds_read_b128 v[116:119], v2 offset:656
	ds_read_b128 v[166:169], v2 offset:672
	ds_read_b128 v[170:173], v2 offset:688
	ds_read_b128 v[174:177], v2 offset:704
	ds_read_b128 v[178:181], v2 offset:720
	scratch_load_dwordx4 v[182:185], off, off offset:96
	v_cmp_lt_u32_e32 vcc, 5, v1
	s_waitcnt vmcnt(16) lgkmcnt(14)
	v_mul_f64 v[2:3], v[68:69], v[6:7]
	s_waitcnt vmcnt(15)
	v_mul_f64 v[104:105], v[72:73], v[10:11]
	v_fmac_f64_e32 v[2:3], v[70:71], v[4:5]
	s_waitcnt vmcnt(14) lgkmcnt(13)
	v_mul_f64 v[186:187], v[76:77], v[14:15]
	v_fmac_f64_e32 v[104:105], v[74:75], v[8:9]
	v_add_f64 v[2:3], v[2:3], 0
	s_waitcnt vmcnt(13) lgkmcnt(12)
	v_mul_f64 v[188:189], v[80:81], v[18:19]
	v_fmac_f64_e32 v[186:187], v[78:79], v[12:13]
	v_add_f64 v[2:3], v[2:3], v[104:105]
	;; [unrolled: 4-line block ×10, first 2 shown]
	s_waitcnt vmcnt(4) lgkmcnt(3)
	v_mul_f64 v[206:207], v[166:167], v[54:55]
	v_mul_f64 v[6:7], v[70:71], v[6:7]
	v_fmac_f64_e32 v[204:205], v[118:119], v[48:49]
	v_add_f64 v[2:3], v[2:3], v[202:203]
	s_waitcnt vmcnt(3) lgkmcnt(2)
	v_mul_f64 v[208:209], v[170:171], v[58:59]
	v_mul_f64 v[10:11], v[74:75], v[10:11]
	v_fmac_f64_e32 v[206:207], v[168:169], v[52:53]
	v_fma_f64 v[4:5], v[68:69], v[4:5], -v[6:7]
	v_add_f64 v[2:3], v[2:3], v[204:205]
	s_waitcnt vmcnt(2) lgkmcnt(1)
	v_mul_f64 v[210:211], v[174:175], v[62:63]
	v_mul_f64 v[14:15], v[78:79], v[14:15]
	v_fmac_f64_e32 v[208:209], v[172:173], v[56:57]
	v_fma_f64 v[6:7], v[72:73], v[8:9], -v[10:11]
	v_add_f64 v[4:5], v[4:5], 0
	v_add_f64 v[2:3], v[2:3], v[206:207]
	s_waitcnt vmcnt(1) lgkmcnt(0)
	v_mul_f64 v[212:213], v[178:179], v[66:67]
	v_mul_f64 v[18:19], v[82:83], v[18:19]
	v_fmac_f64_e32 v[210:211], v[176:177], v[60:61]
	v_fma_f64 v[8:9], v[76:77], v[12:13], -v[14:15]
	v_add_f64 v[4:5], v[4:5], v[6:7]
	v_add_f64 v[2:3], v[2:3], v[208:209]
	v_mul_f64 v[26:27], v[86:87], v[26:27]
	v_fmac_f64_e32 v[212:213], v[180:181], v[64:65]
	v_fma_f64 v[10:11], v[80:81], v[16:17], -v[18:19]
	v_add_f64 v[4:5], v[4:5], v[8:9]
	v_add_f64 v[2:3], v[2:3], v[210:211]
	v_fma_f64 v[12:13], v[84:85], v[24:25], -v[26:27]
	v_add_f64 v[4:5], v[4:5], v[10:11]
	v_add_f64 v[6:7], v[2:3], v[212:213]
	v_mul_f64 v[2:3], v[90:91], v[22:23]
	v_add_f64 v[4:5], v[4:5], v[12:13]
	v_fma_f64 v[2:3], v[88:89], v[20:21], -v[2:3]
	v_add_f64 v[2:3], v[4:5], v[2:3]
	v_mul_f64 v[4:5], v[94:95], v[30:31]
	v_fma_f64 v[4:5], v[92:93], v[28:29], -v[4:5]
	v_add_f64 v[2:3], v[2:3], v[4:5]
	v_mul_f64 v[4:5], v[98:99], v[34:35]
	;; [unrolled: 3-line block ×10, first 2 shown]
	v_fma_f64 v[4:5], v[178:179], v[64:65], -v[4:5]
	v_add_f64 v[2:3], v[2:3], v[4:5]
	s_waitcnt vmcnt(0)
	v_add_f64 v[2:3], v[182:183], -v[2:3]
	v_add_f64 v[4:5], v[184:185], -v[6:7]
	scratch_store_dwordx4 off, v[2:5], off offset:96
	s_and_saveexec_b64 s[2:3], vcc
	s_cbranch_execz .LBB22_141
; %bb.140:
	scratch_load_dwordx4 v[2:5], off, s19
	v_mov_b32_e32 v6, 0
	v_mov_b32_e32 v7, v6
	;; [unrolled: 1-line block ×4, first 2 shown]
	scratch_store_dwordx4 off, v[6:9], off offset:80
	s_waitcnt vmcnt(1)
	ds_write_b128 v106, v[2:5]
.LBB22_141:
	s_or_b64 exec, exec, s[2:3]
	s_waitcnt lgkmcnt(0)
	; wave barrier
	scratch_load_dwordx4 v[4:7], off, off offset:96
	scratch_load_dwordx4 v[8:11], off, off offset:112
	;; [unrolled: 1-line block ×18, first 2 shown]
	v_mov_b32_e32 v2, 0
	ds_read_b128 v[76:79], v2 offset:464
	ds_read_b128 v[80:83], v2 offset:480
	;; [unrolled: 1-line block ×17, first 2 shown]
	v_cmp_lt_u32_e32 vcc, 4, v1
	s_waitcnt vmcnt(17) lgkmcnt(14)
	v_mul_f64 v[104:105], v[76:77], v[6:7]
	v_mul_f64 v[6:7], v[78:79], v[6:7]
	s_waitcnt vmcnt(16)
	v_mul_f64 v[194:195], v[80:81], v[10:11]
	v_mul_f64 v[10:11], v[82:83], v[10:11]
	v_fmac_f64_e32 v[104:105], v[78:79], v[4:5]
	v_fma_f64 v[4:5], v[76:77], v[4:5], -v[6:7]
	s_waitcnt vmcnt(15)
	v_mul_f64 v[196:197], v[84:85], v[18:19]
	v_mul_f64 v[18:19], v[86:87], v[18:19]
	v_fma_f64 v[6:7], v[80:81], v[8:9], -v[10:11]
	v_add_f64 v[4:5], v[4:5], 0
	s_waitcnt vmcnt(14) lgkmcnt(13)
	v_mul_f64 v[198:199], v[88:89], v[14:15]
	v_mul_f64 v[14:15], v[90:91], v[14:15]
	v_fmac_f64_e32 v[194:195], v[82:83], v[8:9]
	v_fma_f64 v[8:9], v[84:85], v[16:17], -v[18:19]
	v_add_f64 v[4:5], v[4:5], v[6:7]
	v_add_f64 v[4:5], v[4:5], v[8:9]
	v_fma_f64 v[8:9], v[88:89], v[12:13], -v[14:15]
	v_add_f64 v[4:5], v[4:5], v[8:9]
	s_waitcnt vmcnt(13) lgkmcnt(12)
	v_mul_f64 v[8:9], v[94:95], v[22:23]
	v_fma_f64 v[8:9], v[92:93], v[20:21], -v[8:9]
	v_add_f64 v[4:5], v[4:5], v[8:9]
	s_waitcnt vmcnt(12) lgkmcnt(11)
	v_mul_f64 v[8:9], v[98:99], v[26:27]
	;; [unrolled: 4-line block ×5, first 2 shown]
	v_fma_f64 v[8:9], v[112:113], v[36:37], -v[8:9]
	v_add_f64 v[10:11], v[104:105], 0
	v_add_f64 v[4:5], v[4:5], v[8:9]
	s_waitcnt vmcnt(8) lgkmcnt(7)
	v_mul_f64 v[8:9], v[118:119], v[42:43]
	v_fmac_f64_e32 v[196:197], v[86:87], v[16:17]
	v_add_f64 v[10:11], v[10:11], v[194:195]
	v_fma_f64 v[8:9], v[116:117], v[40:41], -v[8:9]
	v_mul_f64 v[200:201], v[92:93], v[22:23]
	v_fmac_f64_e32 v[198:199], v[90:91], v[12:13]
	v_add_f64 v[6:7], v[10:11], v[196:197]
	v_add_f64 v[4:5], v[4:5], v[8:9]
	s_waitcnt vmcnt(7) lgkmcnt(6)
	v_mul_f64 v[8:9], v[168:169], v[46:47]
	v_mul_f64 v[202:203], v[96:97], v[26:27]
	v_fmac_f64_e32 v[200:201], v[94:95], v[20:21]
	v_add_f64 v[6:7], v[6:7], v[198:199]
	v_fma_f64 v[8:9], v[166:167], v[44:45], -v[8:9]
	v_mul_f64 v[204:205], v[100:101], v[30:31]
	v_fmac_f64_e32 v[202:203], v[98:99], v[24:25]
	v_add_f64 v[6:7], v[6:7], v[200:201]
	v_add_f64 v[4:5], v[4:5], v[8:9]
	s_waitcnt vmcnt(6) lgkmcnt(5)
	v_mul_f64 v[8:9], v[172:173], v[50:51]
	;; [unrolled: 10-line block ×6, first 2 shown]
	v_mul_f64 v[222:223], v[186:187], v[66:67]
	v_fmac_f64_e32 v[220:221], v[184:185], v[60:61]
	v_add_f64 v[6:7], v[6:7], v[218:219]
	v_fma_f64 v[8:9], v[186:187], v[64:65], -v[8:9]
	s_waitcnt vmcnt(1) lgkmcnt(0)
	v_mul_f64 v[224:225], v[190:191], v[70:71]
	v_fmac_f64_e32 v[222:223], v[188:189], v[64:65]
	v_add_f64 v[6:7], v[6:7], v[220:221]
	v_add_f64 v[4:5], v[4:5], v[8:9]
	v_mul_f64 v[8:9], v[192:193], v[70:71]
	v_fmac_f64_e32 v[224:225], v[192:193], v[68:69]
	v_add_f64 v[6:7], v[6:7], v[222:223]
	v_fma_f64 v[8:9], v[190:191], v[68:69], -v[8:9]
	v_add_f64 v[6:7], v[6:7], v[224:225]
	v_add_f64 v[4:5], v[4:5], v[8:9]
	s_waitcnt vmcnt(0)
	v_add_f64 v[4:5], v[72:73], -v[4:5]
	v_add_f64 v[6:7], v[74:75], -v[6:7]
	scratch_store_dwordx4 off, v[4:7], off offset:80
	s_and_saveexec_b64 s[2:3], vcc
	s_cbranch_execz .LBB22_143
; %bb.142:
	scratch_load_dwordx4 v[6:9], off, s16
	v_mov_b32_e32 v3, v2
	v_mov_b32_e32 v4, v2
	;; [unrolled: 1-line block ×3, first 2 shown]
	scratch_store_dwordx4 off, v[2:5], off offset:64
	s_waitcnt vmcnt(1)
	ds_write_b128 v106, v[6:9]
.LBB22_143:
	s_or_b64 exec, exec, s[2:3]
	s_waitcnt lgkmcnt(0)
	; wave barrier
	scratch_load_dwordx4 v[4:7], off, off offset:80
	scratch_load_dwordx4 v[12:15], off, off offset:96
	scratch_load_dwordx4 v[8:11], off, off offset:112
	scratch_load_dwordx4 v[16:19], off, off offset:128
	scratch_load_dwordx4 v[20:23], off, off offset:144
	scratch_load_dwordx4 v[24:27], off, off offset:160
	scratch_load_dwordx4 v[28:31], off, off offset:176
	scratch_load_dwordx4 v[32:35], off, off offset:192
	scratch_load_dwordx4 v[36:39], off, off offset:208
	scratch_load_dwordx4 v[40:43], off, off offset:224
	scratch_load_dwordx4 v[44:47], off, off offset:240
	scratch_load_dwordx4 v[48:51], off, off offset:256
	scratch_load_dwordx4 v[52:55], off, off offset:272
	scratch_load_dwordx4 v[56:59], off, off offset:288
	scratch_load_dwordx4 v[60:63], off, off offset:304
	scratch_load_dwordx4 v[64:67], off, off offset:320
	scratch_load_dwordx4 v[68:71], off, off offset:336
	scratch_load_dwordx4 v[72:75], off, off offset:352
	ds_read_b128 v[76:79], v2 offset:448
	ds_read_b128 v[80:83], v2 offset:464
	;; [unrolled: 1-line block ×18, first 2 shown]
	scratch_load_dwordx4 v[198:201], off, off offset:64
	v_cmp_lt_u32_e32 vcc, 3, v1
	s_waitcnt vmcnt(18) lgkmcnt(14)
	v_mul_f64 v[2:3], v[76:77], v[6:7]
	s_waitcnt vmcnt(17)
	v_mul_f64 v[104:105], v[80:81], v[14:15]
	v_fmac_f64_e32 v[2:3], v[78:79], v[4:5]
	s_waitcnt vmcnt(16)
	v_mul_f64 v[202:203], v[84:85], v[10:11]
	v_fmac_f64_e32 v[104:105], v[82:83], v[12:13]
	v_add_f64 v[2:3], v[2:3], 0
	s_waitcnt vmcnt(15)
	v_mul_f64 v[204:205], v[88:89], v[18:19]
	v_fmac_f64_e32 v[202:203], v[86:87], v[8:9]
	v_add_f64 v[2:3], v[2:3], v[104:105]
	s_waitcnt vmcnt(14) lgkmcnt(13)
	v_mul_f64 v[206:207], v[92:93], v[22:23]
	v_fmac_f64_e32 v[204:205], v[90:91], v[16:17]
	v_add_f64 v[2:3], v[2:3], v[202:203]
	s_waitcnt vmcnt(13) lgkmcnt(12)
	;; [unrolled: 4-line block ×13, first 2 shown]
	v_mul_f64 v[230:231], v[190:191], v[70:71]
	v_mul_f64 v[6:7], v[78:79], v[6:7]
	v_fmac_f64_e32 v[228:229], v[188:189], v[64:65]
	v_add_f64 v[2:3], v[2:3], v[226:227]
	s_waitcnt vmcnt(1) lgkmcnt(0)
	v_mul_f64 v[232:233], v[194:195], v[74:75]
	v_mul_f64 v[14:15], v[82:83], v[14:15]
	v_fmac_f64_e32 v[230:231], v[192:193], v[68:69]
	v_fma_f64 v[4:5], v[76:77], v[4:5], -v[6:7]
	v_add_f64 v[2:3], v[2:3], v[228:229]
	v_mul_f64 v[10:11], v[86:87], v[10:11]
	v_fmac_f64_e32 v[232:233], v[196:197], v[72:73]
	v_fma_f64 v[6:7], v[80:81], v[12:13], -v[14:15]
	v_add_f64 v[4:5], v[4:5], 0
	v_add_f64 v[2:3], v[2:3], v[230:231]
	;; [unrolled: 1-line block ×4, first 2 shown]
	v_fma_f64 v[2:3], v[84:85], v[8:9], -v[10:11]
	v_add_f64 v[2:3], v[4:5], v[2:3]
	v_mul_f64 v[4:5], v[90:91], v[18:19]
	v_fma_f64 v[4:5], v[88:89], v[16:17], -v[4:5]
	v_add_f64 v[2:3], v[2:3], v[4:5]
	v_mul_f64 v[4:5], v[94:95], v[22:23]
	;; [unrolled: 3-line block ×15, first 2 shown]
	v_fma_f64 v[4:5], v[194:195], v[72:73], -v[4:5]
	v_add_f64 v[2:3], v[2:3], v[4:5]
	s_waitcnt vmcnt(0)
	v_add_f64 v[2:3], v[198:199], -v[2:3]
	v_add_f64 v[4:5], v[200:201], -v[6:7]
	scratch_store_dwordx4 off, v[2:5], off offset:64
	s_and_saveexec_b64 s[2:3], vcc
	s_cbranch_execz .LBB22_145
; %bb.144:
	scratch_load_dwordx4 v[2:5], off, s15
	v_mov_b32_e32 v6, 0
	v_mov_b32_e32 v7, v6
	;; [unrolled: 1-line block ×4, first 2 shown]
	scratch_store_dwordx4 off, v[6:9], off offset:48
	s_waitcnt vmcnt(1)
	ds_write_b128 v106, v[2:5]
.LBB22_145:
	s_or_b64 exec, exec, s[2:3]
	s_waitcnt lgkmcnt(0)
	; wave barrier
	scratch_load_dwordx4 v[8:11], off, off offset:64
	scratch_load_dwordx4 v[4:7], off, off offset:80
	;; [unrolled: 1-line block ×20, first 2 shown]
	v_mov_b32_e32 v2, 0
	ds_read_b128 v[84:87], v2 offset:432
	ds_read_b128 v[88:91], v2 offset:448
	ds_read_b128 v[92:95], v2 offset:464
	ds_read_b128 v[96:99], v2 offset:480
	ds_read_b128 v[100:103], v2 offset:496
	ds_read_b128 v[108:111], v2 offset:512
	ds_read_b128 v[112:115], v2 offset:528
	ds_read_b128 v[116:119], v2 offset:544
	ds_read_b128 v[166:169], v2 offset:560
	ds_read_b128 v[170:173], v2 offset:576
	ds_read_b128 v[174:177], v2 offset:592
	ds_read_b128 v[178:181], v2 offset:608
	ds_read_b128 v[182:185], v2 offset:624
	ds_read_b128 v[186:189], v2 offset:640
	ds_read_b128 v[190:193], v2 offset:656
	ds_read_b128 v[194:197], v2 offset:672
	ds_read_b128 v[198:201], v2 offset:688
	ds_read_b128 v[202:205], v2 offset:704
	ds_read_b128 v[206:209], v2 offset:720
	v_cmp_lt_u32_e32 vcc, 2, v1
	s_waitcnt vmcnt(19) lgkmcnt(14)
	v_mul_f64 v[104:105], v[84:85], v[10:11]
	v_mul_f64 v[10:11], v[86:87], v[10:11]
	s_waitcnt vmcnt(18)
	v_mul_f64 v[210:211], v[88:89], v[6:7]
	v_fmac_f64_e32 v[104:105], v[86:87], v[8:9]
	v_fma_f64 v[8:9], v[84:85], v[8:9], -v[10:11]
	v_mul_f64 v[6:7], v[90:91], v[6:7]
	v_fmac_f64_e32 v[210:211], v[90:91], v[4:5]
	v_add_f64 v[8:9], v[8:9], 0
	v_fma_f64 v[4:5], v[88:89], v[4:5], -v[6:7]
	s_waitcnt vmcnt(17)
	v_mul_f64 v[6:7], v[94:95], v[14:15]
	v_add_f64 v[4:5], v[8:9], v[4:5]
	v_fma_f64 v[6:7], v[92:93], v[12:13], -v[6:7]
	v_add_f64 v[4:5], v[4:5], v[6:7]
	s_waitcnt vmcnt(16)
	v_mul_f64 v[6:7], v[98:99], v[18:19]
	v_fma_f64 v[6:7], v[96:97], v[16:17], -v[6:7]
	v_add_f64 v[4:5], v[4:5], v[6:7]
	s_waitcnt vmcnt(15)
	v_mul_f64 v[6:7], v[102:103], v[22:23]
	v_fma_f64 v[6:7], v[100:101], v[20:21], -v[6:7]
	v_add_f64 v[4:5], v[4:5], v[6:7]
	s_waitcnt vmcnt(14) lgkmcnt(13)
	v_mul_f64 v[6:7], v[110:111], v[26:27]
	v_fma_f64 v[6:7], v[108:109], v[24:25], -v[6:7]
	v_add_f64 v[4:5], v[4:5], v[6:7]
	s_waitcnt vmcnt(13) lgkmcnt(12)
	;; [unrolled: 4-line block ×5, first 2 shown]
	v_mul_f64 v[6:7], v[172:173], v[42:43]
	v_fma_f64 v[6:7], v[170:171], v[40:41], -v[6:7]
	v_mul_f64 v[212:213], v[92:93], v[14:15]
	v_add_f64 v[10:11], v[104:105], 0
	v_add_f64 v[4:5], v[4:5], v[6:7]
	s_waitcnt vmcnt(9) lgkmcnt(8)
	v_mul_f64 v[6:7], v[176:177], v[46:47]
	v_mul_f64 v[214:215], v[96:97], v[18:19]
	v_fmac_f64_e32 v[212:213], v[94:95], v[12:13]
	v_add_f64 v[10:11], v[10:11], v[210:211]
	v_fma_f64 v[6:7], v[174:175], v[44:45], -v[6:7]
	v_mul_f64 v[216:217], v[100:101], v[22:23]
	v_fmac_f64_e32 v[214:215], v[98:99], v[16:17]
	v_add_f64 v[10:11], v[10:11], v[212:213]
	v_add_f64 v[4:5], v[4:5], v[6:7]
	s_waitcnt vmcnt(8) lgkmcnt(7)
	v_mul_f64 v[6:7], v[180:181], v[50:51]
	v_mul_f64 v[218:219], v[108:109], v[26:27]
	v_fmac_f64_e32 v[216:217], v[102:103], v[20:21]
	v_add_f64 v[10:11], v[10:11], v[214:215]
	v_fma_f64 v[6:7], v[178:179], v[48:49], -v[6:7]
	v_mul_f64 v[220:221], v[112:113], v[30:31]
	v_fmac_f64_e32 v[218:219], v[110:111], v[24:25]
	;; [unrolled: 10-line block ×7, first 2 shown]
	v_add_f64 v[10:11], v[10:11], v[236:237]
	v_add_f64 v[4:5], v[4:5], v[6:7]
	s_waitcnt vmcnt(2) lgkmcnt(1)
	v_mul_f64 v[6:7], v[204:205], v[74:75]
	v_mul_f64 v[242:243], v[202:203], v[74:75]
	v_fmac_f64_e32 v[240:241], v[200:201], v[68:69]
	v_add_f64 v[10:11], v[10:11], v[238:239]
	v_fma_f64 v[6:7], v[202:203], v[72:73], -v[6:7]
	s_waitcnt vmcnt(1) lgkmcnt(0)
	v_mul_f64 v[244:245], v[206:207], v[78:79]
	v_fmac_f64_e32 v[242:243], v[204:205], v[72:73]
	v_add_f64 v[10:11], v[10:11], v[240:241]
	v_add_f64 v[4:5], v[4:5], v[6:7]
	v_mul_f64 v[6:7], v[208:209], v[78:79]
	v_fmac_f64_e32 v[244:245], v[208:209], v[76:77]
	v_add_f64 v[10:11], v[10:11], v[242:243]
	v_fma_f64 v[6:7], v[206:207], v[76:77], -v[6:7]
	v_add_f64 v[10:11], v[10:11], v[244:245]
	v_add_f64 v[4:5], v[4:5], v[6:7]
	s_waitcnt vmcnt(0)
	v_add_f64 v[4:5], v[80:81], -v[4:5]
	v_add_f64 v[6:7], v[82:83], -v[10:11]
	scratch_store_dwordx4 off, v[4:7], off offset:48
	s_and_saveexec_b64 s[2:3], vcc
	s_cbranch_execz .LBB22_147
; %bb.146:
	scratch_load_dwordx4 v[6:9], off, s14
	v_mov_b32_e32 v3, v2
	v_mov_b32_e32 v4, v2
	v_mov_b32_e32 v5, v2
	scratch_store_dwordx4 off, v[2:5], off offset:32
	s_waitcnt vmcnt(1)
	ds_write_b128 v106, v[6:9]
.LBB22_147:
	s_or_b64 exec, exec, s[2:3]
	s_waitcnt lgkmcnt(0)
	; wave barrier
	scratch_load_dwordx4 v[4:7], off, off offset:48
	scratch_load_dwordx4 v[8:11], off, off offset:64
	;; [unrolled: 1-line block ×20, first 2 shown]
	ds_read_b128 v[84:87], v2 offset:416
	ds_read_b128 v[88:91], v2 offset:432
	ds_read_b128 v[92:95], v2 offset:448
	ds_read_b128 v[96:99], v2 offset:464
	ds_read_b128 v[100:103], v2 offset:480
	ds_read_b128 v[108:111], v2 offset:496
	ds_read_b128 v[112:115], v2 offset:512
	ds_read_b128 v[116:119], v2 offset:528
	ds_read_b128 v[166:169], v2 offset:544
	ds_read_b128 v[170:173], v2 offset:560
	ds_read_b128 v[174:177], v2 offset:576
	ds_read_b128 v[178:181], v2 offset:592
	ds_read_b128 v[182:185], v2 offset:608
	ds_read_b128 v[186:189], v2 offset:624
	ds_read_b128 v[190:193], v2 offset:640
	ds_read_b128 v[194:197], v2 offset:656
	ds_read_b128 v[198:201], v2 offset:672
	ds_read_b128 v[202:205], v2 offset:688
	ds_read_b128 v[206:209], v2 offset:704
	ds_read_b128 v[210:213], v2 offset:720
	scratch_load_dwordx4 v[214:217], off, off offset:32
	v_cmp_lt_u32_e32 vcc, 1, v1
	s_waitcnt vmcnt(20) lgkmcnt(14)
	v_mul_f64 v[2:3], v[84:85], v[6:7]
	s_waitcnt vmcnt(19)
	v_mul_f64 v[104:105], v[88:89], v[10:11]
	v_fmac_f64_e32 v[2:3], v[86:87], v[4:5]
	s_waitcnt vmcnt(18)
	v_mul_f64 v[218:219], v[92:93], v[14:15]
	v_fmac_f64_e32 v[104:105], v[90:91], v[8:9]
	v_add_f64 v[2:3], v[2:3], 0
	s_waitcnt vmcnt(17)
	v_mul_f64 v[220:221], v[96:97], v[18:19]
	v_fmac_f64_e32 v[218:219], v[94:95], v[12:13]
	v_add_f64 v[2:3], v[2:3], v[104:105]
	;; [unrolled: 4-line block ×4, first 2 shown]
	s_waitcnt vmcnt(14) lgkmcnt(13)
	v_mul_f64 v[226:227], v[112:113], v[30:31]
	v_fmac_f64_e32 v[224:225], v[110:111], v[24:25]
	v_add_f64 v[2:3], v[2:3], v[222:223]
	s_waitcnt vmcnt(13) lgkmcnt(12)
	v_mul_f64 v[228:229], v[116:117], v[34:35]
	v_fmac_f64_e32 v[226:227], v[114:115], v[28:29]
	v_add_f64 v[2:3], v[2:3], v[224:225]
	;; [unrolled: 4-line block ×14, first 2 shown]
	v_add_f64 v[2:3], v[2:3], v[250:251]
	v_fmac_f64_e32 v[252:253], v[212:213], v[80:81]
	v_add_f64 v[104:105], v[2:3], v[252:253]
	v_mul_f64 v[2:3], v[86:87], v[6:7]
	v_fma_f64 v[2:3], v[84:85], v[4:5], -v[2:3]
	v_mul_f64 v[4:5], v[90:91], v[10:11]
	v_add_f64 v[2:3], v[2:3], 0
	v_fma_f64 v[4:5], v[88:89], v[8:9], -v[4:5]
	v_add_f64 v[2:3], v[2:3], v[4:5]
	v_mul_f64 v[4:5], v[94:95], v[14:15]
	v_fma_f64 v[4:5], v[92:93], v[12:13], -v[4:5]
	v_add_f64 v[2:3], v[2:3], v[4:5]
	v_mul_f64 v[4:5], v[98:99], v[18:19]
	;; [unrolled: 3-line block ×18, first 2 shown]
	v_fma_f64 v[4:5], v[210:211], v[80:81], -v[4:5]
	v_add_f64 v[2:3], v[2:3], v[4:5]
	s_waitcnt vmcnt(0)
	v_add_f64 v[2:3], v[214:215], -v[2:3]
	v_add_f64 v[4:5], v[216:217], -v[104:105]
	scratch_store_dwordx4 off, v[2:5], off offset:32
	s_and_saveexec_b64 s[2:3], vcc
	s_cbranch_execz .LBB22_149
; %bb.148:
	scratch_load_dwordx4 v[2:5], off, s18
	v_mov_b32_e32 v6, 0
	v_mov_b32_e32 v7, v6
	;; [unrolled: 1-line block ×4, first 2 shown]
	scratch_store_dwordx4 off, v[6:9], off offset:16
	s_waitcnt vmcnt(1)
	ds_write_b128 v106, v[2:5]
.LBB22_149:
	s_or_b64 exec, exec, s[2:3]
	v_mov_b32_e32 v2, 0
	s_waitcnt lgkmcnt(0)
	; wave barrier
	ds_read_b128 v[16:19], v2 offset:400
	ds_read_b128 v[12:15], v2 offset:416
	;; [unrolled: 1-line block ×4, first 2 shown]
	scratch_load_dwordx4 v[20:23], off, off offset:32
	scratch_load_dwordx4 v[40:43], off, off offset:96
	;; [unrolled: 1-line block ×15, first 2 shown]
	v_cmp_ne_u32_e32 vcc, 0, v1
	scratch_load_dwordx4 v[48:51], off, off offset:112
	scratch_load_dwordx4 v[56:59], off, off offset:128
	;; [unrolled: 1-line block ×3, first 2 shown]
	s_waitcnt vmcnt(17) lgkmcnt(3)
	v_mul_f64 v[24:25], v[16:17], v[22:23]
	v_fmac_f64_e32 v[24:25], v[18:19], v[20:21]
	v_add_f64 v[28:29], v[24:25], 0
	scratch_load_dwordx4 v[24:27], off, off offset:48
	v_mul_f64 v[18:19], v[18:19], v[22:23]
	v_fma_f64 v[16:17], v[16:17], v[20:21], -v[18:19]
	v_add_f64 v[16:17], v[16:17], 0
	s_waitcnt vmcnt(0) lgkmcnt(2)
	v_mul_f64 v[30:31], v[12:13], v[26:27]
	v_fmac_f64_e32 v[30:31], v[14:15], v[24:25]
	v_add_f64 v[32:33], v[28:29], v[30:31]
	scratch_load_dwordx4 v[28:31], off, off offset:64
	v_mul_f64 v[14:15], v[14:15], v[26:27]
	v_fma_f64 v[12:13], v[12:13], v[24:25], -v[14:15]
	v_add_f64 v[12:13], v[16:17], v[12:13]
	;; [unrolled: 8-line block ×3, first 2 shown]
	s_waitcnt vmcnt(0) lgkmcnt(0)
	v_mul_f64 v[38:39], v[4:5], v[34:35]
	v_fmac_f64_e32 v[38:39], v[6:7], v[32:33]
	v_add_f64 v[44:45], v[36:37], v[38:39]
	ds_read_b128 v[36:39], v2 offset:464
	v_mul_f64 v[6:7], v[6:7], v[34:35]
	v_fma_f64 v[4:5], v[4:5], v[32:33], -v[6:7]
	v_add_f64 v[4:5], v[8:9], v[4:5]
	s_waitcnt lgkmcnt(0)
	v_mul_f64 v[46:47], v[36:37], v[42:43]
	v_fmac_f64_e32 v[46:47], v[38:39], v[40:41]
	v_add_f64 v[52:53], v[44:45], v[46:47]
	ds_read_b128 v[44:47], v2 offset:480
	v_mul_f64 v[6:7], v[38:39], v[42:43]
	v_fma_f64 v[6:7], v[36:37], v[40:41], -v[6:7]
	v_add_f64 v[4:5], v[4:5], v[6:7]
	s_waitcnt lgkmcnt(0)
	;; [unrolled: 8-line block ×17, first 2 shown]
	v_mul_f64 v[6:7], v[216:217], v[220:221]
	v_fma_f64 v[6:7], v[214:215], v[218:219], -v[6:7]
	v_add_f64 v[8:9], v[4:5], v[6:7]
	scratch_load_dwordx4 v[4:7], off, off offset:16
	v_mul_f64 v[222:223], v[214:215], v[220:221]
	v_fmac_f64_e32 v[222:223], v[216:217], v[218:219]
	v_add_f64 v[104:105], v[104:105], v[222:223]
	s_waitcnt vmcnt(0)
	v_add_f64 v[4:5], v[4:5], -v[8:9]
	v_add_f64 v[6:7], v[6:7], -v[104:105]
	scratch_store_dwordx4 off, v[4:7], off offset:16
	s_and_saveexec_b64 s[2:3], vcc
	s_cbranch_execz .LBB22_151
; %bb.150:
	scratch_load_dwordx4 v[6:9], off, off
	v_mov_b32_e32 v3, v2
	v_mov_b32_e32 v4, v2
	v_mov_b32_e32 v5, v2
	scratch_store_dwordx4 off, v[2:5], off
	s_waitcnt vmcnt(1)
	ds_write_b128 v106, v[6:9]
.LBB22_151:
	s_or_b64 exec, exec, s[2:3]
	s_waitcnt lgkmcnt(0)
	; wave barrier
	ds_read_b128 v[16:19], v2 offset:384
	ds_read_b128 v[12:15], v2 offset:400
	;; [unrolled: 1-line block ×4, first 2 shown]
	scratch_load_dwordx4 v[20:23], off, off offset:16
	scratch_load_dwordx4 v[40:43], off, off offset:80
	;; [unrolled: 1-line block ×16, first 2 shown]
	s_and_b64 vcc, exec, s[22:23]
	scratch_load_dwordx4 v[48:51], off, off offset:96
	scratch_load_dwordx4 v[56:59], off, off offset:112
	;; [unrolled: 1-line block ×3, first 2 shown]
	s_waitcnt vmcnt(18) lgkmcnt(3)
	v_mul_f64 v[24:25], v[16:17], v[22:23]
	v_fmac_f64_e32 v[24:25], v[18:19], v[20:21]
	v_add_f64 v[28:29], v[24:25], 0
	scratch_load_dwordx4 v[24:27], off, off offset:32
	s_waitcnt vmcnt(0) lgkmcnt(2)
	v_mul_f64 v[30:31], v[12:13], v[26:27]
	v_fmac_f64_e32 v[30:31], v[14:15], v[24:25]
	v_add_f64 v[32:33], v[28:29], v[30:31]
	scratch_load_dwordx4 v[28:31], off, off offset:48
	v_mul_f64 v[14:15], v[14:15], v[26:27]
	v_fma_f64 v[12:13], v[12:13], v[24:25], -v[14:15]
	s_waitcnt vmcnt(0) lgkmcnt(1)
	v_mul_f64 v[34:35], v[8:9], v[30:31]
	v_fmac_f64_e32 v[34:35], v[10:11], v[28:29]
	v_add_f64 v[36:37], v[32:33], v[34:35]
	scratch_load_dwordx4 v[32:35], off, off offset:64
	v_mul_f64 v[10:11], v[10:11], v[30:31]
	v_fma_f64 v[8:9], v[8:9], v[28:29], -v[10:11]
	s_waitcnt vmcnt(0) lgkmcnt(0)
	v_mul_f64 v[38:39], v[4:5], v[34:35]
	v_fmac_f64_e32 v[38:39], v[6:7], v[32:33]
	v_add_f64 v[44:45], v[36:37], v[38:39]
	ds_read_b128 v[36:39], v2 offset:448
	v_mul_f64 v[6:7], v[6:7], v[34:35]
	v_fma_f64 v[4:5], v[4:5], v[32:33], -v[6:7]
	s_waitcnt lgkmcnt(0)
	v_mul_f64 v[46:47], v[36:37], v[42:43]
	v_fmac_f64_e32 v[46:47], v[38:39], v[40:41]
	v_add_f64 v[52:53], v[44:45], v[46:47]
	ds_read_b128 v[44:47], v2 offset:464
	s_waitcnt lgkmcnt(0)
	v_mul_f64 v[54:55], v[44:45], v[50:51]
	v_fmac_f64_e32 v[54:55], v[46:47], v[48:49]
	v_add_f64 v[60:61], v[52:53], v[54:55]
	ds_read_b128 v[52:55], v2 offset:480
	;; [unrolled: 5-line block ×17, first 2 shown]
	s_waitcnt lgkmcnt(0)
	v_mul_f64 v[2:3], v[220:221], v[226:227]
	v_fmac_f64_e32 v[2:3], v[222:223], v[224:225]
	v_add_f64 v[166:167], v[166:167], v[2:3]
	v_mul_f64 v[2:3], v[18:19], v[22:23]
	v_fma_f64 v[2:3], v[16:17], v[20:21], -v[2:3]
	v_add_f64 v[2:3], v[2:3], 0
	v_add_f64 v[2:3], v[2:3], v[12:13]
	;; [unrolled: 1-line block ×4, first 2 shown]
	v_mul_f64 v[4:5], v[38:39], v[42:43]
	v_fma_f64 v[4:5], v[36:37], v[40:41], -v[4:5]
	v_add_f64 v[2:3], v[2:3], v[4:5]
	v_mul_f64 v[4:5], v[46:47], v[50:51]
	v_fma_f64 v[4:5], v[44:45], v[48:49], -v[4:5]
	v_add_f64 v[2:3], v[2:3], v[4:5]
	;; [unrolled: 3-line block ×18, first 2 shown]
	scratch_load_dwordx4 v[2:5], off, off
	s_waitcnt vmcnt(0)
	v_add_f64 v[2:3], v[2:3], -v[6:7]
	v_add_f64 v[4:5], v[4:5], -v[166:167]
	scratch_store_dwordx4 off, v[2:5], off
	s_cbranch_vccz .LBB22_196
; %bb.152:
	s_nop 0
	v_mov_b32_e32 v2, 0
	global_load_dword v3, v2, s[20:21] offset:84
	s_load_dwordx2 s[2:3], s[0:1], 0x4
	v_bfe_u32 v4, v0, 10, 10
	v_bfe_u32 v0, v0, 20, 10
	s_waitcnt lgkmcnt(0)
	s_lshr_b32 s0, s2, 16
	s_mul_i32 s0, s0, s3
	v_mul_u32_u24_e32 v1, s0, v1
	v_mul_u32_u24_e32 v4, s3, v4
	v_add3_u32 v0, v1, v4, v0
	v_mov_b32_e32 v1, 0x2e8
	v_lshl_add_u32 v0, v0, 4, v1
	s_waitcnt vmcnt(0)
	v_readfirstlane_b32 s0, v3
	s_add_i32 s0, s0, -1
	s_cmp_lg_u32 s0, 21
	s_cbranch_scc0 .LBB22_154
; %bb.153:
	s_lshl_b32 s0, s0, 4
	scratch_load_dwordx4 v[4:7], off, s33
	scratch_load_dwordx4 v[8:11], off, s0
	s_waitcnt vmcnt(1)
	ds_write2_b64 v0, v[4:5], v[6:7] offset1:1
	s_waitcnt vmcnt(0)
	scratch_store_dwordx4 off, v[8:11], s33
	scratch_store_dwordx4 off, v[4:7], s0
.LBB22_154:
	global_load_dword v1, v2, s[20:21] offset:80
	s_waitcnt vmcnt(0)
	v_readfirstlane_b32 s0, v1
	s_add_i32 s0, s0, -1
	s_cmp_eq_u32 s0, 20
	s_cbranch_scc1 .LBB22_156
; %bb.155:
	s_lshl_b32 s0, s0, 4
	scratch_load_dwordx4 v[2:5], off, s31
	scratch_load_dwordx4 v[6:9], off, s0
	s_waitcnt vmcnt(1)
	ds_write2_b64 v0, v[2:3], v[4:5] offset1:1
	s_waitcnt vmcnt(0)
	scratch_store_dwordx4 off, v[6:9], s31
	scratch_store_dwordx4 off, v[2:5], s0
.LBB22_156:
	v_mov_b32_e32 v1, 0
	global_load_dword v2, v1, s[20:21] offset:76
	s_waitcnt vmcnt(0)
	v_readfirstlane_b32 s0, v2
	s_add_i32 s0, s0, -1
	s_cmp_eq_u32 s0, 19
	s_cbranch_scc1 .LBB22_158
; %bb.157:
	s_lshl_b32 s0, s0, 4
	scratch_load_dwordx4 v[2:5], off, s36
	scratch_load_dwordx4 v[6:9], off, s0
	s_waitcnt vmcnt(1)
	ds_write2_b64 v0, v[2:3], v[4:5] offset1:1
	s_waitcnt vmcnt(0)
	scratch_store_dwordx4 off, v[6:9], s36
	scratch_store_dwordx4 off, v[2:5], s0
.LBB22_158:
	global_load_dword v1, v1, s[20:21] offset:72
	s_waitcnt vmcnt(0)
	v_readfirstlane_b32 s0, v1
	s_add_i32 s0, s0, -1
	s_cmp_eq_u32 s0, 18
	s_cbranch_scc1 .LBB22_160
; %bb.159:
	s_lshl_b32 s0, s0, 4
	scratch_load_dwordx4 v[2:5], off, s30
	scratch_load_dwordx4 v[6:9], off, s0
	s_waitcnt vmcnt(1)
	ds_write2_b64 v0, v[2:3], v[4:5] offset1:1
	s_waitcnt vmcnt(0)
	scratch_store_dwordx4 off, v[6:9], s30
	scratch_store_dwordx4 off, v[2:5], s0
.LBB22_160:
	v_mov_b32_e32 v1, 0
	global_load_dword v2, v1, s[20:21] offset:68
	s_waitcnt vmcnt(0)
	v_readfirstlane_b32 s0, v2
	s_add_i32 s0, s0, -1
	s_cmp_eq_u32 s0, 17
	s_cbranch_scc1 .LBB22_162
; %bb.161:
	s_lshl_b32 s0, s0, 4
	scratch_load_dwordx4 v[2:5], off, s27
	scratch_load_dwordx4 v[6:9], off, s0
	s_waitcnt vmcnt(1)
	ds_write2_b64 v0, v[2:3], v[4:5] offset1:1
	s_waitcnt vmcnt(0)
	scratch_store_dwordx4 off, v[6:9], s27
	scratch_store_dwordx4 off, v[2:5], s0
.LBB22_162:
	;; [unrolled: 33-line block ×10, first 2 shown]
	global_load_dword v1, v1, s[20:21]
	s_waitcnt vmcnt(0)
	v_readfirstlane_b32 s0, v1
	s_add_i32 s0, s0, -1
	s_cmp_eq_u32 s0, 0
	s_cbranch_scc1 .LBB22_196
; %bb.195:
	s_lshl_b32 s0, s0, 4
	scratch_load_dwordx4 v[2:5], off, off
	scratch_load_dwordx4 v[6:9], off, s0
	s_waitcnt vmcnt(1)
	ds_write2_b64 v0, v[2:3], v[4:5] offset1:1
	s_waitcnt vmcnt(0)
	scratch_store_dwordx4 off, v[6:9], off
	scratch_store_dwordx4 off, v[2:5], s0
.LBB22_196:
	scratch_load_dwordx4 v[0:3], off, off
	s_nop 0
	scratch_load_dwordx4 v[4:7], off, s18
	scratch_load_dwordx4 v[8:11], off, s14
	;; [unrolled: 1-line block ×15, first 2 shown]
                                        ; kill: killed $sgpr40
                                        ; kill: killed $sgpr18
                                        ; kill: killed $sgpr29
                                        ; kill: killed $sgpr39
                                        ; kill: killed $sgpr26
                                        ; kill: killed $sgpr38
                                        ; kill: killed $sgpr19
                                        ; kill: killed $sgpr35
                                        ; kill: killed $sgpr16
                                        ; kill: killed $sgpr28
                                        ; kill: killed $sgpr15
                                        ; kill: killed $sgpr25
                                        ; kill: killed $sgpr37
                                        ; kill: killed $sgpr14
                                        ; kill: killed $sgpr17
	scratch_load_dwordx4 v[64:67], off, s24
	scratch_load_dwordx4 v[68:71], off, s27
	;; [unrolled: 1-line block ×4, first 2 shown]
                                        ; kill: killed $sgpr36
                                        ; kill: killed $sgpr30
                                        ; kill: killed $sgpr27
                                        ; kill: killed $sgpr24
	scratch_load_dwordx4 v[80:83], off, s31
	scratch_load_dwordx4 v[84:87], off, s33
	;; [unrolled: 1-line block ×3, first 2 shown]
	s_waitcnt vmcnt(22)
	global_store_dwordx4 v[120:121], v[0:3], off
	s_waitcnt vmcnt(22)
	global_store_dwordx4 v[122:123], v[4:7], off
	;; [unrolled: 2-line block ×23, first 2 shown]
	s_endpgm
	.section	.rodata,"a",@progbits
	.p2align	6, 0x0
	.amdhsa_kernel _ZN9rocsolver6v33100L18getri_kernel_smallILi23E19rocblas_complex_numIdEPS3_EEvT1_iilPiilS6_bb
		.amdhsa_group_segment_fixed_size 1768
		.amdhsa_private_segment_fixed_size 384
		.amdhsa_kernarg_size 60
		.amdhsa_user_sgpr_count 4
		.amdhsa_user_sgpr_dispatch_ptr 1
		.amdhsa_user_sgpr_queue_ptr 0
		.amdhsa_user_sgpr_kernarg_segment_ptr 1
		.amdhsa_user_sgpr_dispatch_id 0
		.amdhsa_user_sgpr_kernarg_preload_length 0
		.amdhsa_user_sgpr_kernarg_preload_offset 0
		.amdhsa_user_sgpr_private_segment_size 0
		.amdhsa_uses_dynamic_stack 0
		.amdhsa_enable_private_segment 1
		.amdhsa_system_sgpr_workgroup_id_x 1
		.amdhsa_system_sgpr_workgroup_id_y 0
		.amdhsa_system_sgpr_workgroup_id_z 0
		.amdhsa_system_sgpr_workgroup_info 0
		.amdhsa_system_vgpr_workitem_id 2
		.amdhsa_next_free_vgpr 254
		.amdhsa_next_free_sgpr 41
		.amdhsa_accum_offset 256
		.amdhsa_reserve_vcc 1
		.amdhsa_float_round_mode_32 0
		.amdhsa_float_round_mode_16_64 0
		.amdhsa_float_denorm_mode_32 3
		.amdhsa_float_denorm_mode_16_64 3
		.amdhsa_dx10_clamp 1
		.amdhsa_ieee_mode 1
		.amdhsa_fp16_overflow 0
		.amdhsa_tg_split 0
		.amdhsa_exception_fp_ieee_invalid_op 0
		.amdhsa_exception_fp_denorm_src 0
		.amdhsa_exception_fp_ieee_div_zero 0
		.amdhsa_exception_fp_ieee_overflow 0
		.amdhsa_exception_fp_ieee_underflow 0
		.amdhsa_exception_fp_ieee_inexact 0
		.amdhsa_exception_int_div_zero 0
	.end_amdhsa_kernel
	.section	.text._ZN9rocsolver6v33100L18getri_kernel_smallILi23E19rocblas_complex_numIdEPS3_EEvT1_iilPiilS6_bb,"axG",@progbits,_ZN9rocsolver6v33100L18getri_kernel_smallILi23E19rocblas_complex_numIdEPS3_EEvT1_iilPiilS6_bb,comdat
.Lfunc_end22:
	.size	_ZN9rocsolver6v33100L18getri_kernel_smallILi23E19rocblas_complex_numIdEPS3_EEvT1_iilPiilS6_bb, .Lfunc_end22-_ZN9rocsolver6v33100L18getri_kernel_smallILi23E19rocblas_complex_numIdEPS3_EEvT1_iilPiilS6_bb
                                        ; -- End function
	.set _ZN9rocsolver6v33100L18getri_kernel_smallILi23E19rocblas_complex_numIdEPS3_EEvT1_iilPiilS6_bb.num_vgpr, 254
	.set _ZN9rocsolver6v33100L18getri_kernel_smallILi23E19rocblas_complex_numIdEPS3_EEvT1_iilPiilS6_bb.num_agpr, 0
	.set _ZN9rocsolver6v33100L18getri_kernel_smallILi23E19rocblas_complex_numIdEPS3_EEvT1_iilPiilS6_bb.numbered_sgpr, 41
	.set _ZN9rocsolver6v33100L18getri_kernel_smallILi23E19rocblas_complex_numIdEPS3_EEvT1_iilPiilS6_bb.num_named_barrier, 0
	.set _ZN9rocsolver6v33100L18getri_kernel_smallILi23E19rocblas_complex_numIdEPS3_EEvT1_iilPiilS6_bb.private_seg_size, 384
	.set _ZN9rocsolver6v33100L18getri_kernel_smallILi23E19rocblas_complex_numIdEPS3_EEvT1_iilPiilS6_bb.uses_vcc, 1
	.set _ZN9rocsolver6v33100L18getri_kernel_smallILi23E19rocblas_complex_numIdEPS3_EEvT1_iilPiilS6_bb.uses_flat_scratch, 0
	.set _ZN9rocsolver6v33100L18getri_kernel_smallILi23E19rocblas_complex_numIdEPS3_EEvT1_iilPiilS6_bb.has_dyn_sized_stack, 0
	.set _ZN9rocsolver6v33100L18getri_kernel_smallILi23E19rocblas_complex_numIdEPS3_EEvT1_iilPiilS6_bb.has_recursion, 0
	.set _ZN9rocsolver6v33100L18getri_kernel_smallILi23E19rocblas_complex_numIdEPS3_EEvT1_iilPiilS6_bb.has_indirect_call, 0
	.section	.AMDGPU.csdata,"",@progbits
; Kernel info:
; codeLenInByte = 27352
; TotalNumSgprs: 47
; NumVgprs: 254
; NumAgprs: 0
; TotalNumVgprs: 254
; ScratchSize: 384
; MemoryBound: 0
; FloatMode: 240
; IeeeMode: 1
; LDSByteSize: 1768 bytes/workgroup (compile time only)
; SGPRBlocks: 5
; VGPRBlocks: 31
; NumSGPRsForWavesPerEU: 47
; NumVGPRsForWavesPerEU: 254
; AccumOffset: 256
; Occupancy: 2
; WaveLimiterHint : 1
; COMPUTE_PGM_RSRC2:SCRATCH_EN: 1
; COMPUTE_PGM_RSRC2:USER_SGPR: 4
; COMPUTE_PGM_RSRC2:TRAP_HANDLER: 0
; COMPUTE_PGM_RSRC2:TGID_X_EN: 1
; COMPUTE_PGM_RSRC2:TGID_Y_EN: 0
; COMPUTE_PGM_RSRC2:TGID_Z_EN: 0
; COMPUTE_PGM_RSRC2:TIDIG_COMP_CNT: 2
; COMPUTE_PGM_RSRC3_GFX90A:ACCUM_OFFSET: 63
; COMPUTE_PGM_RSRC3_GFX90A:TG_SPLIT: 0
	.section	.text._ZN9rocsolver6v33100L18getri_kernel_smallILi24E19rocblas_complex_numIdEPS3_EEvT1_iilPiilS6_bb,"axG",@progbits,_ZN9rocsolver6v33100L18getri_kernel_smallILi24E19rocblas_complex_numIdEPS3_EEvT1_iilPiilS6_bb,comdat
	.globl	_ZN9rocsolver6v33100L18getri_kernel_smallILi24E19rocblas_complex_numIdEPS3_EEvT1_iilPiilS6_bb ; -- Begin function _ZN9rocsolver6v33100L18getri_kernel_smallILi24E19rocblas_complex_numIdEPS3_EEvT1_iilPiilS6_bb
	.p2align	8
	.type	_ZN9rocsolver6v33100L18getri_kernel_smallILi24E19rocblas_complex_numIdEPS3_EEvT1_iilPiilS6_bb,@function
_ZN9rocsolver6v33100L18getri_kernel_smallILi24E19rocblas_complex_numIdEPS3_EEvT1_iilPiilS6_bb: ; @_ZN9rocsolver6v33100L18getri_kernel_smallILi24E19rocblas_complex_numIdEPS3_EEvT1_iilPiilS6_bb
; %bb.0:
	v_and_b32_e32 v1, 0x3ff, v0
	v_cmp_gt_u32_e32 vcc, 24, v1
	s_and_saveexec_b64 s[6:7], vcc
	s_cbranch_execz .LBB23_110
; %bb.1:
	s_load_dword s6, s[2:3], 0x38
	s_load_dwordx4 s[16:19], s[2:3], 0x10
	s_load_dwordx4 s[8:11], s[2:3], 0x28
                                        ; implicit-def: $sgpr20_sgpr21
	s_waitcnt lgkmcnt(0)
	s_bitcmp1_b32 s6, 8
	s_cselect_b64 s[22:23], -1, 0
	s_ashr_i32 s5, s4, 31
	s_bfe_u32 s6, s6, 0x10008
	s_cmp_eq_u32 s6, 0
	s_cbranch_scc1 .LBB23_3
; %bb.2:
	s_load_dword s6, s[2:3], 0x20
	s_mul_i32 s7, s8, s5
	s_mul_hi_u32 s12, s8, s4
	s_mul_i32 s9, s9, s4
	s_add_i32 s12, s12, s7
	s_add_i32 s9, s12, s9
	s_mul_i32 s8, s8, s4
	s_waitcnt lgkmcnt(0)
	s_ashr_i32 s7, s6, 31
	s_lshl_b64 s[8:9], s[8:9], 2
	s_add_u32 s8, s18, s8
	s_addc_u32 s9, s19, s9
	s_lshl_b64 s[6:7], s[6:7], 2
	s_add_u32 s20, s8, s6
	s_addc_u32 s21, s9, s7
.LBB23_3:
	s_load_dwordx4 s[12:15], s[2:3], 0x0
	s_load_dword s6, s[2:3], 0x38
	s_mul_i32 s7, s16, s5
	s_mul_hi_u32 s8, s16, s4
	s_add_i32 s7, s8, s7
	s_mul_i32 s8, s17, s4
	s_add_i32 s9, s7, s8
	s_mul_i32 s8, s16, s4
	s_waitcnt lgkmcnt(0)
	s_ashr_i32 s3, s14, 31
	s_lshl_b64 s[8:9], s[8:9], 4
	s_mov_b32 s2, s14
	s_add_u32 s7, s12, s8
	s_addc_u32 s8, s13, s9
	s_lshl_b64 s[2:3], s[2:3], 4
	s_add_u32 s2, s7, s2
	s_addc_u32 s3, s8, s3
	s_add_i32 s7, s15, s15
	v_add_u32_e32 v16, s7, v1
	v_ashrrev_i32_e32 v17, 31, v16
	v_lshl_add_u64 v[130:131], v[16:17], 4, s[2:3]
	v_add_u32_e32 v16, s15, v16
	v_add_u32_e32 v24, s15, v16
	v_ashrrev_i32_e32 v25, 31, v24
	v_lshl_add_u64 v[134:135], v[24:25], 4, s[2:3]
	v_add_u32_e32 v24, s15, v24
	v_add_u32_e32 v26, s15, v24
	;; [unrolled: 1-line block ×7, first 2 shown]
	v_ashrrev_i32_e32 v49, 31, v48
	v_lshl_add_u64 v[148:149], v[48:49], 4, s[2:3]
	v_add_u32_e32 v48, s15, v48
	v_add_u32_e32 v56, s15, v48
	;; [unrolled: 1-line block ×5, first 2 shown]
	v_ashrrev_i32_e32 v73, 31, v72
	v_lshl_add_u64 v[158:159], v[72:73], 4, s[2:3]
	v_add_u32_e32 v72, s15, v72
	v_add_u32_e32 v80, s15, v72
	v_ashrrev_i32_e32 v81, 31, v80
	v_lshl_add_u64 v[162:163], v[80:81], 4, s[2:3]
	v_add_u32_e32 v80, s15, v80
	v_add_u32_e32 v88, s15, v80
	;; [unrolled: 1-line block ×4, first 2 shown]
	v_ashrrev_i32_e32 v97, 31, v96
	v_lshlrev_b32_e32 v14, 4, v1
	v_mov_b32_e32 v15, 0
	v_lshl_add_u64 v[170:171], v[96:97], 4, s[2:3]
	v_add_u32_e32 v96, s15, v96
	v_lshl_add_u64 v[126:127], s[2:3], 0, v[14:15]
	s_ashr_i32 s9, s15, 31
	s_mov_b32 s8, s15
	v_ashrrev_i32_e32 v17, 31, v16
	v_ashrrev_i32_e32 v25, 31, v24
	;; [unrolled: 1-line block ×10, first 2 shown]
	v_lshl_add_u64 v[128:129], s[8:9], 4, v[126:127]
	v_lshl_add_u64 v[132:133], v[16:17], 4, s[2:3]
	;; [unrolled: 1-line block ×3, first 2 shown]
	v_ashrrev_i32_e32 v27, 31, v26
	v_lshl_add_u64 v[140:141], v[32:33], 4, s[2:3]
	v_ashrrev_i32_e32 v35, 31, v34
	v_lshl_add_u64 v[144:145], v[40:41], 4, s[2:3]
	v_ashrrev_i32_e32 v43, 31, v42
	v_ashrrev_i32_e32 v49, 31, v48
	v_lshl_add_u64 v[152:153], v[56:57], 4, s[2:3]
	v_ashrrev_i32_e32 v59, 31, v58
	v_lshl_add_u64 v[156:157], v[64:65], 4, s[2:3]
	v_lshl_add_u64 v[160:161], v[72:73], 4, s[2:3]
	v_lshl_add_u64 v[164:165], v[80:81], 4, s[2:3]
	v_ashrrev_i32_e32 v89, 31, v88
	v_lshl_add_u64 v[168:169], v[92:93], 4, s[2:3]
	v_lshl_add_u64 v[172:173], v[96:97], 4, s[2:3]
	global_load_dwordx4 v[2:5], v14, s[2:3]
	global_load_dwordx4 v[6:9], v[128:129], off
	global_load_dwordx4 v[10:13], v[130:131], off
	;; [unrolled: 1-line block ×4, first 2 shown]
	v_lshl_add_u64 v[138:139], v[26:27], 4, s[2:3]
	global_load_dwordx4 v[24:27], v[136:137], off
	global_load_dwordx4 v[28:31], v[138:139], off
	v_lshl_add_u64 v[142:143], v[34:35], 4, s[2:3]
	global_load_dwordx4 v[32:35], v[140:141], off
	global_load_dwordx4 v[36:39], v[142:143], off
	;; [unrolled: 3-line block ×5, first 2 shown]
	global_load_dwordx4 v[64:67], v[156:157], off
	global_load_dwordx4 v[68:71], v[158:159], off
	global_load_dwordx4 v[72:75], v[160:161], off
	global_load_dwordx4 v[76:79], v[162:163], off
	v_lshl_add_u64 v[166:167], v[88:89], 4, s[2:3]
	global_load_dwordx4 v[80:83], v[164:165], off
	global_load_dwordx4 v[84:87], v[166:167], off
	;; [unrolled: 1-line block ×5, first 2 shown]
	s_mov_b32 s18, 16
	s_mov_b32 s14, 32
	s_mov_b32 s15, 48
	s_mov_b32 s16, 64
	s_movk_i32 s19, 0x50
	s_movk_i32 s26, 0x60
	;; [unrolled: 1-line block ×19, first 2 shown]
	s_bitcmp0_b32 s6, 0
	s_mov_b64 s[6:7], -1
	s_waitcnt vmcnt(23)
	scratch_store_dwordx4 off, v[2:5], off
	s_waitcnt vmcnt(23)
	scratch_store_dwordx4 off, v[6:9], off offset:16
	s_waitcnt vmcnt(23)
	scratch_store_dwordx4 off, v[10:13], off offset:32
	;; [unrolled: 2-line block ×23, first 2 shown]
	s_cbranch_scc1 .LBB23_108
; %bb.4:
	v_cmp_eq_u32_e64 s[2:3], 0, v1
	s_and_saveexec_b64 s[6:7], s[2:3]
; %bb.5:
	v_mov_b32_e32 v2, 0
	ds_write_b32 v2, v2 offset:768
; %bb.6:
	s_or_b64 exec, exec, s[6:7]
	s_waitcnt lgkmcnt(0)
	; wave barrier
	scratch_load_dwordx4 v[2:5], v14, off
	s_waitcnt vmcnt(0)
	v_cmp_eq_f64_e32 vcc, 0, v[2:3]
	v_cmp_eq_f64_e64 s[6:7], 0, v[4:5]
	s_and_b64 s[6:7], vcc, s[6:7]
	s_and_saveexec_b64 s[8:9], s[6:7]
	s_cbranch_execz .LBB23_10
; %bb.7:
	v_mov_b32_e32 v2, 0
	ds_read_b32 v4, v2 offset:768
	v_add_u32_e32 v3, 1, v1
	s_waitcnt lgkmcnt(0)
	v_readfirstlane_b32 s6, v4
	s_cmp_eq_u32 s6, 0
	s_cselect_b64 s[12:13], -1, 0
	v_cmp_gt_i32_e32 vcc, s6, v3
	s_or_b64 s[12:13], s[12:13], vcc
	s_and_b64 exec, exec, s[12:13]
	s_cbranch_execz .LBB23_10
; %bb.8:
	s_mov_b64 s[12:13], 0
	v_mov_b32_e32 v4, s6
.LBB23_9:                               ; =>This Inner Loop Header: Depth=1
	ds_cmpst_rtn_b32 v4, v2, v4, v3 offset:768
	s_waitcnt lgkmcnt(0)
	v_cmp_ne_u32_e32 vcc, 0, v4
	v_cmp_le_i32_e64 s[6:7], v4, v3
	s_and_b64 s[6:7], vcc, s[6:7]
	s_and_b64 s[6:7], exec, s[6:7]
	s_or_b64 s[12:13], s[6:7], s[12:13]
	s_andn2_b64 exec, exec, s[12:13]
	s_cbranch_execnz .LBB23_9
.LBB23_10:
	s_or_b64 exec, exec, s[8:9]
	v_mov_b32_e32 v3, 0
	; wave barrier
	ds_read_b32 v2, v3 offset:768
	s_and_saveexec_b64 s[6:7], s[2:3]
	s_cbranch_execz .LBB23_12
; %bb.11:
	s_lshl_b64 s[8:9], s[4:5], 2
	s_add_u32 s8, s10, s8
	s_addc_u32 s9, s11, s9
	s_waitcnt lgkmcnt(0)
	global_store_dword v3, v2, s[8:9]
.LBB23_12:
	s_or_b64 exec, exec, s[6:7]
	s_waitcnt lgkmcnt(0)
	v_cmp_ne_u32_e32 vcc, 0, v2
	s_mov_b64 s[6:7], 0
	s_cbranch_vccnz .LBB23_108
; %bb.13:
	v_mov_b32_e32 v15, v14
	scratch_load_dwordx4 v[2:5], v15, off
                                        ; implicit-def: $vgpr6_vgpr7
                                        ; implicit-def: $vgpr10_vgpr11
	s_waitcnt vmcnt(0)
	v_cmp_ngt_f64_e64 s[6:7], |v[2:3]|, |v[4:5]|
	s_and_saveexec_b64 s[8:9], s[6:7]
	s_xor_b64 s[6:7], exec, s[8:9]
	s_cbranch_execz .LBB23_15
; %bb.14:
	v_div_scale_f64 v[6:7], s[8:9], v[4:5], v[4:5], v[2:3]
	v_rcp_f64_e32 v[8:9], v[6:7]
	v_div_scale_f64 v[10:11], vcc, v[2:3], v[4:5], v[2:3]
	v_fma_f64 v[12:13], -v[6:7], v[8:9], 1.0
	v_fmac_f64_e32 v[8:9], v[8:9], v[12:13]
	v_fma_f64 v[12:13], -v[6:7], v[8:9], 1.0
	v_fmac_f64_e32 v[8:9], v[8:9], v[12:13]
	v_mul_f64 v[12:13], v[10:11], v[8:9]
	v_fma_f64 v[6:7], -v[6:7], v[12:13], v[10:11]
	v_div_fmas_f64 v[6:7], v[6:7], v[8:9], v[12:13]
	v_div_fixup_f64 v[6:7], v[6:7], v[4:5], v[2:3]
	v_fmac_f64_e32 v[4:5], v[2:3], v[6:7]
	v_div_scale_f64 v[2:3], s[8:9], v[4:5], v[4:5], 1.0
	v_rcp_f64_e32 v[8:9], v[2:3]
	s_nop 0
	v_fma_f64 v[10:11], -v[2:3], v[8:9], 1.0
	v_fmac_f64_e32 v[8:9], v[8:9], v[10:11]
	v_fma_f64 v[10:11], -v[2:3], v[8:9], 1.0
	v_fmac_f64_e32 v[8:9], v[8:9], v[10:11]
	v_div_scale_f64 v[10:11], vcc, 1.0, v[4:5], 1.0
	v_mul_f64 v[12:13], v[10:11], v[8:9]
	v_fma_f64 v[2:3], -v[2:3], v[12:13], v[10:11]
	s_nop 1
	v_div_fmas_f64 v[2:3], v[2:3], v[8:9], v[12:13]
	v_div_fixup_f64 v[8:9], v[2:3], v[4:5], 1.0
	v_mul_f64 v[6:7], v[6:7], v[8:9]
	v_xor_b32_e32 v9, 0x80000000, v9
	v_xor_b32_e32 v11, 0x80000000, v7
	v_mov_b32_e32 v10, v6
                                        ; implicit-def: $vgpr2_vgpr3
.LBB23_15:
	s_andn2_saveexec_b64 s[6:7], s[6:7]
	s_cbranch_execz .LBB23_17
; %bb.16:
	v_div_scale_f64 v[6:7], s[8:9], v[2:3], v[2:3], v[4:5]
	v_rcp_f64_e32 v[8:9], v[6:7]
	v_div_scale_f64 v[10:11], vcc, v[4:5], v[2:3], v[4:5]
	v_fma_f64 v[12:13], -v[6:7], v[8:9], 1.0
	v_fmac_f64_e32 v[8:9], v[8:9], v[12:13]
	v_fma_f64 v[12:13], -v[6:7], v[8:9], 1.0
	v_fmac_f64_e32 v[8:9], v[8:9], v[12:13]
	v_mul_f64 v[12:13], v[10:11], v[8:9]
	v_fma_f64 v[6:7], -v[6:7], v[12:13], v[10:11]
	v_div_fmas_f64 v[6:7], v[6:7], v[8:9], v[12:13]
	v_div_fixup_f64 v[8:9], v[6:7], v[2:3], v[4:5]
	v_fmac_f64_e32 v[2:3], v[4:5], v[8:9]
	v_div_scale_f64 v[4:5], s[8:9], v[2:3], v[2:3], 1.0
	v_rcp_f64_e32 v[6:7], v[4:5]
	s_nop 0
	v_fma_f64 v[10:11], -v[4:5], v[6:7], 1.0
	v_fmac_f64_e32 v[6:7], v[6:7], v[10:11]
	v_fma_f64 v[10:11], -v[4:5], v[6:7], 1.0
	v_fmac_f64_e32 v[6:7], v[6:7], v[10:11]
	v_div_scale_f64 v[10:11], vcc, 1.0, v[2:3], 1.0
	v_mul_f64 v[12:13], v[10:11], v[6:7]
	v_fma_f64 v[4:5], -v[4:5], v[12:13], v[10:11]
	s_nop 1
	v_div_fmas_f64 v[4:5], v[4:5], v[6:7], v[12:13]
	v_div_fixup_f64 v[6:7], v[4:5], v[2:3], 1.0
	v_xor_b32_e32 v11, 0x80000000, v7
	v_mov_b32_e32 v10, v6
	v_mul_f64 v[8:9], v[8:9], -v[6:7]
.LBB23_17:
	s_or_b64 exec, exec, s[6:7]
	scratch_store_dwordx4 v15, v[6:9], off
	scratch_load_dwordx4 v[2:5], off, s18
	v_xor_b32_e32 v13, 0x80000000, v9
	v_mov_b32_e32 v12, v8
	v_add_u32_e32 v6, 0x180, v14
	ds_write_b128 v14, v[10:13]
	s_waitcnt vmcnt(0)
	ds_write_b128 v14, v[2:5] offset:384
	s_waitcnt lgkmcnt(0)
	; wave barrier
	s_and_saveexec_b64 s[6:7], s[2:3]
	s_cbranch_execz .LBB23_19
; %bb.18:
	scratch_load_dwordx4 v[2:5], v15, off
	ds_read_b128 v[8:11], v6
	v_mov_b32_e32 v7, 0
	ds_read_b128 v[16:19], v7 offset:16
	s_waitcnt vmcnt(0) lgkmcnt(1)
	v_mul_f64 v[12:13], v[10:11], v[4:5]
	v_mul_f64 v[4:5], v[8:9], v[4:5]
	v_fma_f64 v[8:9], v[8:9], v[2:3], -v[12:13]
	v_fmac_f64_e32 v[4:5], v[10:11], v[2:3]
	v_add_f64 v[2:3], v[8:9], 0
	v_add_f64 v[8:9], v[4:5], 0
	s_waitcnt lgkmcnt(0)
	v_mul_f64 v[10:11], v[8:9], v[18:19]
	v_mul_f64 v[4:5], v[2:3], v[18:19]
	v_fma_f64 v[2:3], v[2:3], v[16:17], -v[10:11]
	v_fmac_f64_e32 v[4:5], v[8:9], v[16:17]
	scratch_store_dwordx4 off, v[2:5], off offset:16
.LBB23_19:
	s_or_b64 exec, exec, s[6:7]
	; wave barrier
	scratch_load_dwordx4 v[2:5], off, s14
	v_cmp_gt_u32_e32 vcc, 2, v1
	s_waitcnt vmcnt(0)
	ds_write_b128 v6, v[2:5]
	s_waitcnt lgkmcnt(0)
	; wave barrier
	s_and_saveexec_b64 s[6:7], vcc
	s_cbranch_execz .LBB23_23
; %bb.20:
	scratch_load_dwordx4 v[2:5], v15, off
	ds_read_b128 v[8:11], v6
	s_waitcnt vmcnt(0) lgkmcnt(0)
	v_mul_f64 v[12:13], v[10:11], v[4:5]
	v_mul_f64 v[16:17], v[8:9], v[4:5]
	v_fma_f64 v[4:5], v[8:9], v[2:3], -v[12:13]
	v_fmac_f64_e32 v[16:17], v[10:11], v[2:3]
	v_add_f64 v[4:5], v[4:5], 0
	v_add_f64 v[2:3], v[16:17], 0
	s_and_saveexec_b64 s[8:9], s[2:3]
	s_cbranch_execz .LBB23_22
; %bb.21:
	scratch_load_dwordx4 v[8:11], off, off offset:16
	v_mov_b32_e32 v7, 0
	ds_read_b128 v[16:19], v7 offset:400
	s_waitcnt vmcnt(0) lgkmcnt(0)
	v_mul_f64 v[12:13], v[16:17], v[10:11]
	v_mul_f64 v[10:11], v[18:19], v[10:11]
	v_fmac_f64_e32 v[12:13], v[18:19], v[8:9]
	v_fma_f64 v[8:9], v[16:17], v[8:9], -v[10:11]
	v_add_f64 v[2:3], v[2:3], v[12:13]
	v_add_f64 v[4:5], v[4:5], v[8:9]
.LBB23_22:
	s_or_b64 exec, exec, s[8:9]
	v_mov_b32_e32 v7, 0
	ds_read_b128 v[8:11], v7 offset:32
	s_waitcnt lgkmcnt(0)
	v_mul_f64 v[16:17], v[2:3], v[10:11]
	v_mul_f64 v[12:13], v[4:5], v[10:11]
	v_fma_f64 v[10:11], v[4:5], v[8:9], -v[16:17]
	v_fmac_f64_e32 v[12:13], v[2:3], v[8:9]
	scratch_store_dwordx4 off, v[10:13], off offset:32
.LBB23_23:
	s_or_b64 exec, exec, s[6:7]
	; wave barrier
	scratch_load_dwordx4 v[2:5], off, s15
	v_cmp_gt_u32_e32 vcc, 3, v1
	v_add_u32_e32 v7, -1, v1
	s_waitcnt vmcnt(0)
	ds_write_b128 v6, v[2:5]
	s_waitcnt lgkmcnt(0)
	; wave barrier
	s_and_saveexec_b64 s[2:3], vcc
	s_cbranch_execz .LBB23_27
; %bb.24:
	v_add_u32_e32 v8, -1, v1
	v_add_u32_e32 v9, 0x180, v14
	v_mov_b32_e32 v10, v14
	v_mov_b64_e32 v[2:3], 0
	s_mov_b64 s[6:7], 0
	v_mov_b64_e32 v[4:5], 0
.LBB23_25:                              ; =>This Inner Loop Header: Depth=1
	scratch_load_dwordx4 v[16:19], v10, off
	ds_read_b128 v[20:23], v9
	v_add_u32_e32 v8, 1, v8
	v_cmp_lt_u32_e32 vcc, 1, v8
	v_add_u32_e32 v9, 16, v9
	v_add_u32_e32 v10, 16, v10
	s_or_b64 s[6:7], vcc, s[6:7]
	s_waitcnt vmcnt(0) lgkmcnt(0)
	v_mul_f64 v[12:13], v[22:23], v[18:19]
	v_mul_f64 v[18:19], v[20:21], v[18:19]
	v_fma_f64 v[12:13], v[20:21], v[16:17], -v[12:13]
	v_fmac_f64_e32 v[18:19], v[22:23], v[16:17]
	v_add_f64 v[4:5], v[4:5], v[12:13]
	v_add_f64 v[2:3], v[2:3], v[18:19]
	s_andn2_b64 exec, exec, s[6:7]
	s_cbranch_execnz .LBB23_25
; %bb.26:
	s_or_b64 exec, exec, s[6:7]
	v_mov_b32_e32 v8, 0
	ds_read_b128 v[8:11], v8 offset:48
	s_waitcnt lgkmcnt(0)
	v_mul_f64 v[16:17], v[2:3], v[10:11]
	v_mul_f64 v[12:13], v[4:5], v[10:11]
	v_fma_f64 v[10:11], v[4:5], v[8:9], -v[16:17]
	v_fmac_f64_e32 v[12:13], v[2:3], v[8:9]
	scratch_store_dwordx4 off, v[10:13], off offset:48
.LBB23_27:
	s_or_b64 exec, exec, s[2:3]
	; wave barrier
	scratch_load_dwordx4 v[2:5], off, s16
	v_cmp_gt_u32_e32 vcc, 4, v1
	s_waitcnt vmcnt(0)
	ds_write_b128 v6, v[2:5]
	s_waitcnt lgkmcnt(0)
	; wave barrier
	s_and_saveexec_b64 s[2:3], vcc
	s_cbranch_execz .LBB23_31
; %bb.28:
	v_add_u32_e32 v8, -1, v1
	v_add_u32_e32 v9, 0x180, v14
	v_mov_b32_e32 v10, v14
	v_mov_b64_e32 v[2:3], 0
	s_mov_b64 s[6:7], 0
	v_mov_b64_e32 v[4:5], 0
.LBB23_29:                              ; =>This Inner Loop Header: Depth=1
	scratch_load_dwordx4 v[16:19], v10, off
	ds_read_b128 v[20:23], v9
	v_add_u32_e32 v8, 1, v8
	v_cmp_lt_u32_e32 vcc, 2, v8
	v_add_u32_e32 v9, 16, v9
	v_add_u32_e32 v10, 16, v10
	s_or_b64 s[6:7], vcc, s[6:7]
	s_waitcnt vmcnt(0) lgkmcnt(0)
	v_mul_f64 v[12:13], v[22:23], v[18:19]
	v_mul_f64 v[18:19], v[20:21], v[18:19]
	v_fma_f64 v[12:13], v[20:21], v[16:17], -v[12:13]
	v_fmac_f64_e32 v[18:19], v[22:23], v[16:17]
	v_add_f64 v[4:5], v[4:5], v[12:13]
	v_add_f64 v[2:3], v[2:3], v[18:19]
	s_andn2_b64 exec, exec, s[6:7]
	s_cbranch_execnz .LBB23_29
; %bb.30:
	s_or_b64 exec, exec, s[6:7]
	v_mov_b32_e32 v8, 0
	ds_read_b128 v[8:11], v8 offset:64
	s_waitcnt lgkmcnt(0)
	v_mul_f64 v[16:17], v[2:3], v[10:11]
	v_mul_f64 v[12:13], v[4:5], v[10:11]
	v_fma_f64 v[10:11], v[4:5], v[8:9], -v[16:17]
	v_fmac_f64_e32 v[12:13], v[2:3], v[8:9]
	scratch_store_dwordx4 off, v[10:13], off offset:64
.LBB23_31:
	s_or_b64 exec, exec, s[2:3]
	; wave barrier
	scratch_load_dwordx4 v[2:5], off, s19
	v_cmp_gt_u32_e32 vcc, 5, v1
	;; [unrolled: 45-line block ×19, first 2 shown]
	s_waitcnt vmcnt(0)
	ds_write_b128 v6, v[2:5]
	s_waitcnt lgkmcnt(0)
	; wave barrier
	s_and_saveexec_b64 s[2:3], vcc
	s_cbranch_execz .LBB23_103
; %bb.100:
	v_add_u32_e32 v8, -1, v1
	v_add_u32_e32 v9, 0x180, v14
	v_mov_b32_e32 v10, v14
	v_mov_b64_e32 v[2:3], 0
	s_mov_b64 s[6:7], 0
	v_mov_b64_e32 v[4:5], 0
.LBB23_101:                             ; =>This Inner Loop Header: Depth=1
	scratch_load_dwordx4 v[16:19], v10, off
	ds_read_b128 v[20:23], v9
	v_add_u32_e32 v8, 1, v8
	v_cmp_lt_u32_e32 vcc, 20, v8
	v_add_u32_e32 v9, 16, v9
	v_add_u32_e32 v10, 16, v10
	s_or_b64 s[6:7], vcc, s[6:7]
	s_waitcnt vmcnt(0) lgkmcnt(0)
	v_mul_f64 v[12:13], v[22:23], v[18:19]
	v_mul_f64 v[18:19], v[20:21], v[18:19]
	v_fma_f64 v[12:13], v[20:21], v[16:17], -v[12:13]
	v_fmac_f64_e32 v[18:19], v[22:23], v[16:17]
	v_add_f64 v[4:5], v[4:5], v[12:13]
	v_add_f64 v[2:3], v[2:3], v[18:19]
	s_andn2_b64 exec, exec, s[6:7]
	s_cbranch_execnz .LBB23_101
; %bb.102:
	s_or_b64 exec, exec, s[6:7]
	v_mov_b32_e32 v8, 0
	ds_read_b128 v[8:11], v8 offset:352
	s_waitcnt lgkmcnt(0)
	v_mul_f64 v[16:17], v[2:3], v[10:11]
	v_mul_f64 v[12:13], v[4:5], v[10:11]
	v_fma_f64 v[10:11], v[4:5], v[8:9], -v[16:17]
	v_fmac_f64_e32 v[12:13], v[2:3], v[8:9]
	scratch_store_dwordx4 off, v[10:13], off offset:352
.LBB23_103:
	s_or_b64 exec, exec, s[2:3]
	; wave barrier
	scratch_load_dwordx4 v[2:5], off, s35
	v_cmp_ne_u32_e32 vcc, 23, v1
	s_waitcnt vmcnt(0)
	ds_write_b128 v6, v[2:5]
	s_waitcnt lgkmcnt(0)
	; wave barrier
	s_and_saveexec_b64 s[2:3], vcc
	s_cbranch_execz .LBB23_107
; %bb.104:
	v_add_u32_e32 v6, 0x180, v14
	v_mov_b32_e32 v8, v14
	v_mov_b64_e32 v[2:3], 0
	s_mov_b64 s[6:7], 0
	v_mov_b64_e32 v[4:5], 0
.LBB23_105:                             ; =>This Inner Loop Header: Depth=1
	scratch_load_dwordx4 v[10:13], v8, off
	ds_read_b128 v[14:17], v6
	v_add_u32_e32 v7, 1, v7
	v_cmp_lt_u32_e32 vcc, 21, v7
	v_add_u32_e32 v6, 16, v6
	v_add_u32_e32 v8, 16, v8
	s_or_b64 s[6:7], vcc, s[6:7]
	s_waitcnt vmcnt(0) lgkmcnt(0)
	v_mul_f64 v[18:19], v[16:17], v[12:13]
	v_mul_f64 v[12:13], v[14:15], v[12:13]
	v_fma_f64 v[14:15], v[14:15], v[10:11], -v[18:19]
	v_fmac_f64_e32 v[12:13], v[16:17], v[10:11]
	v_add_f64 v[4:5], v[4:5], v[14:15]
	v_add_f64 v[2:3], v[2:3], v[12:13]
	s_andn2_b64 exec, exec, s[6:7]
	s_cbranch_execnz .LBB23_105
; %bb.106:
	s_or_b64 exec, exec, s[6:7]
	v_mov_b32_e32 v6, 0
	ds_read_b128 v[6:9], v6 offset:368
	s_waitcnt lgkmcnt(0)
	v_mul_f64 v[12:13], v[2:3], v[8:9]
	v_mul_f64 v[10:11], v[4:5], v[8:9]
	v_fma_f64 v[8:9], v[4:5], v[6:7], -v[12:13]
	v_fmac_f64_e32 v[10:11], v[2:3], v[6:7]
	scratch_store_dwordx4 off, v[8:11], off offset:368
.LBB23_107:
	s_or_b64 exec, exec, s[2:3]
	s_mov_b64 s[6:7], -1
	; wave barrier
.LBB23_108:
	s_and_b64 vcc, exec, s[6:7]
	s_cbranch_vccz .LBB23_110
; %bb.109:
	s_lshl_b64 s[2:3], s[4:5], 2
	s_add_u32 s2, s10, s2
	s_addc_u32 s3, s11, s3
	v_mov_b32_e32 v2, 0
	global_load_dword v2, v2, s[2:3]
	s_waitcnt vmcnt(0)
	v_cmp_ne_u32_e32 vcc, 0, v2
	s_cbranch_vccz .LBB23_111
.LBB23_110:
	s_endpgm
.LBB23_111:
	v_mov_b32_e32 v2, 0x180
	v_lshl_add_u32 v122, v1, 4, v2
	v_cmp_eq_u32_e32 vcc, 23, v1
	s_and_saveexec_b64 s[2:3], vcc
	s_cbranch_execz .LBB23_113
; %bb.112:
	scratch_load_dwordx4 v[2:5], off, s34
	v_mov_b32_e32 v6, 0
	v_mov_b32_e32 v7, v6
	;; [unrolled: 1-line block ×4, first 2 shown]
	scratch_store_dwordx4 off, v[6:9], off offset:352
	s_waitcnt vmcnt(1)
	ds_write_b128 v122, v[2:5]
.LBB23_113:
	s_or_b64 exec, exec, s[2:3]
	s_waitcnt lgkmcnt(0)
	; wave barrier
	scratch_load_dwordx4 v[4:7], off, off offset:368
	scratch_load_dwordx4 v[8:11], off, off offset:352
	v_mov_b32_e32 v2, 0
	ds_read_b128 v[12:15], v2 offset:752
	v_cmp_lt_u32_e32 vcc, 21, v1
	s_waitcnt vmcnt(1) lgkmcnt(0)
	v_mul_f64 v[16:17], v[12:13], v[6:7]
	v_mul_f64 v[6:7], v[14:15], v[6:7]
	v_fmac_f64_e32 v[16:17], v[14:15], v[4:5]
	v_fma_f64 v[4:5], v[12:13], v[4:5], -v[6:7]
	v_add_f64 v[6:7], v[16:17], 0
	v_add_f64 v[4:5], v[4:5], 0
	s_waitcnt vmcnt(0)
	v_add_f64 v[4:5], v[8:9], -v[4:5]
	v_add_f64 v[6:7], v[10:11], -v[6:7]
	scratch_store_dwordx4 off, v[4:7], off offset:352
	s_and_saveexec_b64 s[2:3], vcc
	s_cbranch_execz .LBB23_115
; %bb.114:
	scratch_load_dwordx4 v[6:9], off, s33
	v_mov_b32_e32 v3, v2
	v_mov_b32_e32 v4, v2
	;; [unrolled: 1-line block ×3, first 2 shown]
	scratch_store_dwordx4 off, v[2:5], off offset:336
	s_waitcnt vmcnt(1)
	ds_write_b128 v122, v[6:9]
.LBB23_115:
	s_or_b64 exec, exec, s[2:3]
	s_waitcnt lgkmcnt(0)
	; wave barrier
	scratch_load_dwordx4 v[4:7], off, off offset:352
	scratch_load_dwordx4 v[8:11], off, off offset:368
	;; [unrolled: 1-line block ×3, first 2 shown]
	ds_read_b128 v[16:19], v2 offset:736
	ds_read_b128 v[20:23], v2 offset:752
	v_cmp_lt_u32_e32 vcc, 20, v1
	s_waitcnt vmcnt(2) lgkmcnt(1)
	v_mul_f64 v[2:3], v[16:17], v[6:7]
	v_mul_f64 v[6:7], v[18:19], v[6:7]
	s_waitcnt vmcnt(1) lgkmcnt(0)
	v_mul_f64 v[24:25], v[20:21], v[10:11]
	v_mul_f64 v[10:11], v[22:23], v[10:11]
	v_fmac_f64_e32 v[2:3], v[18:19], v[4:5]
	v_fma_f64 v[4:5], v[16:17], v[4:5], -v[6:7]
	v_fmac_f64_e32 v[24:25], v[22:23], v[8:9]
	v_fma_f64 v[6:7], v[20:21], v[8:9], -v[10:11]
	v_add_f64 v[2:3], v[2:3], 0
	v_add_f64 v[4:5], v[4:5], 0
	;; [unrolled: 1-line block ×4, first 2 shown]
	s_waitcnt vmcnt(0)
	v_add_f64 v[2:3], v[12:13], -v[2:3]
	v_add_f64 v[4:5], v[14:15], -v[8:9]
	scratch_store_dwordx4 off, v[2:5], off offset:336
	s_and_saveexec_b64 s[2:3], vcc
	s_cbranch_execz .LBB23_117
; %bb.116:
	scratch_load_dwordx4 v[2:5], off, s31
	v_mov_b32_e32 v6, 0
	v_mov_b32_e32 v7, v6
	;; [unrolled: 1-line block ×4, first 2 shown]
	scratch_store_dwordx4 off, v[6:9], off offset:320
	s_waitcnt vmcnt(1)
	ds_write_b128 v122, v[2:5]
.LBB23_117:
	s_or_b64 exec, exec, s[2:3]
	s_waitcnt lgkmcnt(0)
	; wave barrier
	scratch_load_dwordx4 v[4:7], off, off offset:336
	scratch_load_dwordx4 v[8:11], off, off offset:352
	;; [unrolled: 1-line block ×4, first 2 shown]
	v_mov_b32_e32 v2, 0
	ds_read_b128 v[20:23], v2 offset:720
	ds_read_b128 v[24:27], v2 offset:736
	;; [unrolled: 1-line block ×3, first 2 shown]
	v_cmp_lt_u32_e32 vcc, 19, v1
	s_waitcnt vmcnt(3) lgkmcnt(2)
	v_mul_f64 v[32:33], v[20:21], v[6:7]
	v_mul_f64 v[6:7], v[22:23], v[6:7]
	s_waitcnt vmcnt(2) lgkmcnt(1)
	v_mul_f64 v[34:35], v[24:25], v[10:11]
	v_mul_f64 v[10:11], v[26:27], v[10:11]
	v_fmac_f64_e32 v[32:33], v[22:23], v[4:5]
	v_fma_f64 v[4:5], v[20:21], v[4:5], -v[6:7]
	s_waitcnt vmcnt(1) lgkmcnt(0)
	v_mul_f64 v[36:37], v[28:29], v[14:15]
	v_mul_f64 v[14:15], v[30:31], v[14:15]
	v_fmac_f64_e32 v[34:35], v[26:27], v[8:9]
	v_fma_f64 v[6:7], v[24:25], v[8:9], -v[10:11]
	v_add_f64 v[10:11], v[32:33], 0
	v_add_f64 v[4:5], v[4:5], 0
	v_fmac_f64_e32 v[36:37], v[30:31], v[12:13]
	v_fma_f64 v[8:9], v[28:29], v[12:13], -v[14:15]
	v_add_f64 v[10:11], v[10:11], v[34:35]
	v_add_f64 v[4:5], v[4:5], v[6:7]
	;; [unrolled: 1-line block ×4, first 2 shown]
	s_waitcnt vmcnt(0)
	v_add_f64 v[4:5], v[16:17], -v[4:5]
	v_add_f64 v[6:7], v[18:19], -v[6:7]
	scratch_store_dwordx4 off, v[4:7], off offset:320
	s_and_saveexec_b64 s[2:3], vcc
	s_cbranch_execz .LBB23_119
; %bb.118:
	scratch_load_dwordx4 v[6:9], off, s37
	v_mov_b32_e32 v3, v2
	v_mov_b32_e32 v4, v2
	;; [unrolled: 1-line block ×3, first 2 shown]
	scratch_store_dwordx4 off, v[2:5], off offset:304
	s_waitcnt vmcnt(1)
	ds_write_b128 v122, v[6:9]
.LBB23_119:
	s_or_b64 exec, exec, s[2:3]
	s_waitcnt lgkmcnt(0)
	; wave barrier
	scratch_load_dwordx4 v[4:7], off, off offset:320
	scratch_load_dwordx4 v[8:11], off, off offset:336
	;; [unrolled: 1-line block ×5, first 2 shown]
	ds_read_b128 v[24:27], v2 offset:704
	ds_read_b128 v[28:31], v2 offset:720
	;; [unrolled: 1-line block ×4, first 2 shown]
	v_cmp_lt_u32_e32 vcc, 18, v1
	s_waitcnt vmcnt(4) lgkmcnt(3)
	v_mul_f64 v[2:3], v[24:25], v[6:7]
	v_mul_f64 v[6:7], v[26:27], v[6:7]
	s_waitcnt vmcnt(3) lgkmcnt(2)
	v_mul_f64 v[40:41], v[28:29], v[10:11]
	v_mul_f64 v[10:11], v[30:31], v[10:11]
	v_fmac_f64_e32 v[2:3], v[26:27], v[4:5]
	v_fma_f64 v[4:5], v[24:25], v[4:5], -v[6:7]
	s_waitcnt vmcnt(2) lgkmcnt(1)
	v_mul_f64 v[42:43], v[32:33], v[14:15]
	v_mul_f64 v[14:15], v[34:35], v[14:15]
	v_fmac_f64_e32 v[40:41], v[30:31], v[8:9]
	v_fma_f64 v[6:7], v[28:29], v[8:9], -v[10:11]
	v_add_f64 v[2:3], v[2:3], 0
	v_add_f64 v[4:5], v[4:5], 0
	s_waitcnt vmcnt(1) lgkmcnt(0)
	v_mul_f64 v[44:45], v[36:37], v[18:19]
	v_mul_f64 v[18:19], v[38:39], v[18:19]
	v_fmac_f64_e32 v[42:43], v[34:35], v[12:13]
	v_fma_f64 v[8:9], v[32:33], v[12:13], -v[14:15]
	v_add_f64 v[2:3], v[2:3], v[40:41]
	v_add_f64 v[4:5], v[4:5], v[6:7]
	v_fmac_f64_e32 v[44:45], v[38:39], v[16:17]
	v_fma_f64 v[10:11], v[36:37], v[16:17], -v[18:19]
	v_add_f64 v[2:3], v[2:3], v[42:43]
	v_add_f64 v[4:5], v[4:5], v[8:9]
	v_add_f64 v[6:7], v[2:3], v[44:45]
	v_add_f64 v[2:3], v[4:5], v[10:11]
	s_waitcnt vmcnt(0)
	v_add_f64 v[2:3], v[20:21], -v[2:3]
	v_add_f64 v[4:5], v[22:23], -v[6:7]
	scratch_store_dwordx4 off, v[2:5], off offset:304
	s_and_saveexec_b64 s[2:3], vcc
	s_cbranch_execz .LBB23_121
; %bb.120:
	scratch_load_dwordx4 v[2:5], off, s30
	v_mov_b32_e32 v6, 0
	v_mov_b32_e32 v7, v6
	;; [unrolled: 1-line block ×4, first 2 shown]
	scratch_store_dwordx4 off, v[6:9], off offset:288
	s_waitcnt vmcnt(1)
	ds_write_b128 v122, v[2:5]
.LBB23_121:
	s_or_b64 exec, exec, s[2:3]
	s_waitcnt lgkmcnt(0)
	; wave barrier
	scratch_load_dwordx4 v[4:7], off, off offset:304
	scratch_load_dwordx4 v[8:11], off, off offset:320
	;; [unrolled: 1-line block ×6, first 2 shown]
	v_mov_b32_e32 v2, 0
	ds_read_b128 v[28:31], v2 offset:688
	ds_read_b128 v[32:35], v2 offset:704
	;; [unrolled: 1-line block ×5, first 2 shown]
	v_cmp_lt_u32_e32 vcc, 17, v1
	s_waitcnt vmcnt(5) lgkmcnt(4)
	v_mul_f64 v[48:49], v[28:29], v[6:7]
	v_mul_f64 v[6:7], v[30:31], v[6:7]
	s_waitcnt vmcnt(4) lgkmcnt(3)
	v_mul_f64 v[50:51], v[32:33], v[10:11]
	s_waitcnt vmcnt(3) lgkmcnt(2)
	v_mul_f64 v[52:53], v[36:37], v[14:15]
	v_mul_f64 v[10:11], v[34:35], v[10:11]
	;; [unrolled: 1-line block ×3, first 2 shown]
	v_fmac_f64_e32 v[48:49], v[30:31], v[4:5]
	v_fma_f64 v[4:5], v[28:29], v[4:5], -v[6:7]
	v_fmac_f64_e32 v[50:51], v[34:35], v[8:9]
	v_fma_f64 v[6:7], v[32:33], v[8:9], -v[10:11]
	v_fma_f64 v[8:9], v[36:37], v[12:13], -v[14:15]
	v_add_f64 v[14:15], v[48:49], 0
	v_add_f64 v[4:5], v[4:5], 0
	s_waitcnt vmcnt(2) lgkmcnt(1)
	v_mul_f64 v[54:55], v[40:41], v[18:19]
	v_mul_f64 v[18:19], v[42:43], v[18:19]
	v_fmac_f64_e32 v[52:53], v[38:39], v[12:13]
	v_add_f64 v[14:15], v[14:15], v[50:51]
	v_add_f64 v[4:5], v[4:5], v[6:7]
	s_waitcnt vmcnt(1) lgkmcnt(0)
	v_mul_f64 v[56:57], v[44:45], v[22:23]
	v_mul_f64 v[22:23], v[46:47], v[22:23]
	v_fmac_f64_e32 v[54:55], v[42:43], v[16:17]
	v_fma_f64 v[10:11], v[40:41], v[16:17], -v[18:19]
	v_add_f64 v[6:7], v[14:15], v[52:53]
	v_add_f64 v[4:5], v[4:5], v[8:9]
	v_fmac_f64_e32 v[56:57], v[46:47], v[20:21]
	v_fma_f64 v[12:13], v[44:45], v[20:21], -v[22:23]
	v_add_f64 v[6:7], v[6:7], v[54:55]
	v_add_f64 v[4:5], v[4:5], v[10:11]
	;; [unrolled: 1-line block ×4, first 2 shown]
	s_waitcnt vmcnt(0)
	v_add_f64 v[4:5], v[24:25], -v[4:5]
	v_add_f64 v[6:7], v[26:27], -v[6:7]
	scratch_store_dwordx4 off, v[4:7], off offset:288
	s_and_saveexec_b64 s[2:3], vcc
	s_cbranch_execz .LBB23_123
; %bb.122:
	scratch_load_dwordx4 v[6:9], off, s27
	v_mov_b32_e32 v3, v2
	v_mov_b32_e32 v4, v2
	;; [unrolled: 1-line block ×3, first 2 shown]
	scratch_store_dwordx4 off, v[2:5], off offset:272
	s_waitcnt vmcnt(1)
	ds_write_b128 v122, v[6:9]
.LBB23_123:
	s_or_b64 exec, exec, s[2:3]
	s_waitcnt lgkmcnt(0)
	; wave barrier
	scratch_load_dwordx4 v[4:7], off, off offset:288
	scratch_load_dwordx4 v[8:11], off, off offset:304
	;; [unrolled: 1-line block ×7, first 2 shown]
	ds_read_b128 v[32:35], v2 offset:672
	ds_read_b128 v[36:39], v2 offset:688
	;; [unrolled: 1-line block ×6, first 2 shown]
	v_cmp_lt_u32_e32 vcc, 16, v1
	s_waitcnt vmcnt(6) lgkmcnt(5)
	v_mul_f64 v[2:3], v[32:33], v[6:7]
	v_mul_f64 v[6:7], v[34:35], v[6:7]
	s_waitcnt vmcnt(5) lgkmcnt(4)
	v_mul_f64 v[56:57], v[36:37], v[10:11]
	v_mul_f64 v[10:11], v[38:39], v[10:11]
	v_fmac_f64_e32 v[2:3], v[34:35], v[4:5]
	v_fma_f64 v[4:5], v[32:33], v[4:5], -v[6:7]
	s_waitcnt vmcnt(4) lgkmcnt(3)
	v_mul_f64 v[58:59], v[40:41], v[14:15]
	v_mul_f64 v[14:15], v[42:43], v[14:15]
	v_fmac_f64_e32 v[56:57], v[38:39], v[8:9]
	v_fma_f64 v[6:7], v[36:37], v[8:9], -v[10:11]
	v_add_f64 v[2:3], v[2:3], 0
	v_add_f64 v[4:5], v[4:5], 0
	s_waitcnt vmcnt(3) lgkmcnt(2)
	v_mul_f64 v[60:61], v[44:45], v[18:19]
	v_mul_f64 v[18:19], v[46:47], v[18:19]
	v_fmac_f64_e32 v[58:59], v[42:43], v[12:13]
	v_fma_f64 v[8:9], v[40:41], v[12:13], -v[14:15]
	v_add_f64 v[2:3], v[2:3], v[56:57]
	v_add_f64 v[4:5], v[4:5], v[6:7]
	;; [unrolled: 7-line block ×4, first 2 shown]
	v_fmac_f64_e32 v[64:65], v[54:55], v[24:25]
	v_fma_f64 v[14:15], v[52:53], v[24:25], -v[26:27]
	v_add_f64 v[2:3], v[2:3], v[62:63]
	v_add_f64 v[4:5], v[4:5], v[12:13]
	;; [unrolled: 1-line block ×4, first 2 shown]
	s_waitcnt vmcnt(0)
	v_add_f64 v[2:3], v[28:29], -v[2:3]
	v_add_f64 v[4:5], v[30:31], -v[6:7]
	scratch_store_dwordx4 off, v[2:5], off offset:272
	s_and_saveexec_b64 s[2:3], vcc
	s_cbranch_execz .LBB23_125
; %bb.124:
	scratch_load_dwordx4 v[2:5], off, s24
	v_mov_b32_e32 v6, 0
	v_mov_b32_e32 v7, v6
	v_mov_b32_e32 v8, v6
	v_mov_b32_e32 v9, v6
	scratch_store_dwordx4 off, v[6:9], off offset:256
	s_waitcnt vmcnt(1)
	ds_write_b128 v122, v[2:5]
.LBB23_125:
	s_or_b64 exec, exec, s[2:3]
	s_waitcnt lgkmcnt(0)
	; wave barrier
	scratch_load_dwordx4 v[4:7], off, off offset:272
	scratch_load_dwordx4 v[8:11], off, off offset:288
	scratch_load_dwordx4 v[12:15], off, off offset:304
	scratch_load_dwordx4 v[16:19], off, off offset:320
	scratch_load_dwordx4 v[20:23], off, off offset:336
	scratch_load_dwordx4 v[24:27], off, off offset:352
	scratch_load_dwordx4 v[28:31], off, off offset:368
	scratch_load_dwordx4 v[32:35], off, off offset:256
	v_mov_b32_e32 v2, 0
	ds_read_b128 v[36:39], v2 offset:656
	ds_read_b128 v[40:43], v2 offset:672
	;; [unrolled: 1-line block ×7, first 2 shown]
	v_cmp_lt_u32_e32 vcc, 15, v1
	s_waitcnt vmcnt(7) lgkmcnt(6)
	v_mul_f64 v[64:65], v[36:37], v[6:7]
	v_mul_f64 v[6:7], v[38:39], v[6:7]
	s_waitcnt vmcnt(6) lgkmcnt(5)
	v_mul_f64 v[66:67], v[40:41], v[10:11]
	s_waitcnt vmcnt(4) lgkmcnt(3)
	v_mul_f64 v[70:71], v[48:49], v[18:19]
	v_mul_f64 v[10:11], v[42:43], v[10:11]
	v_mul_f64 v[18:19], v[50:51], v[18:19]
	v_fmac_f64_e32 v[64:65], v[38:39], v[4:5]
	v_fma_f64 v[4:5], v[36:37], v[4:5], -v[6:7]
	v_mul_f64 v[68:69], v[44:45], v[14:15]
	v_mul_f64 v[14:15], v[46:47], v[14:15]
	v_fmac_f64_e32 v[66:67], v[42:43], v[8:9]
	v_fma_f64 v[6:7], v[40:41], v[8:9], -v[10:11]
	v_fma_f64 v[10:11], v[48:49], v[16:17], -v[18:19]
	v_add_f64 v[18:19], v[64:65], 0
	v_add_f64 v[4:5], v[4:5], 0
	v_fmac_f64_e32 v[68:69], v[46:47], v[12:13]
	v_fma_f64 v[8:9], v[44:45], v[12:13], -v[14:15]
	v_add_f64 v[18:19], v[18:19], v[66:67]
	v_add_f64 v[4:5], v[4:5], v[6:7]
	s_waitcnt vmcnt(3) lgkmcnt(2)
	v_mul_f64 v[72:73], v[52:53], v[22:23]
	v_mul_f64 v[22:23], v[54:55], v[22:23]
	v_fmac_f64_e32 v[70:71], v[50:51], v[16:17]
	v_add_f64 v[6:7], v[18:19], v[68:69]
	v_add_f64 v[4:5], v[4:5], v[8:9]
	s_waitcnt vmcnt(2) lgkmcnt(1)
	v_mul_f64 v[74:75], v[56:57], v[26:27]
	v_mul_f64 v[26:27], v[58:59], v[26:27]
	v_fmac_f64_e32 v[72:73], v[54:55], v[20:21]
	v_fma_f64 v[12:13], v[52:53], v[20:21], -v[22:23]
	v_add_f64 v[6:7], v[6:7], v[70:71]
	v_add_f64 v[4:5], v[4:5], v[10:11]
	s_waitcnt vmcnt(1) lgkmcnt(0)
	v_mul_f64 v[76:77], v[60:61], v[30:31]
	v_mul_f64 v[30:31], v[62:63], v[30:31]
	v_fmac_f64_e32 v[74:75], v[58:59], v[24:25]
	v_fma_f64 v[14:15], v[56:57], v[24:25], -v[26:27]
	v_add_f64 v[6:7], v[6:7], v[72:73]
	v_add_f64 v[4:5], v[4:5], v[12:13]
	v_fmac_f64_e32 v[76:77], v[62:63], v[28:29]
	v_fma_f64 v[16:17], v[60:61], v[28:29], -v[30:31]
	v_add_f64 v[6:7], v[6:7], v[74:75]
	v_add_f64 v[4:5], v[4:5], v[14:15]
	;; [unrolled: 1-line block ×4, first 2 shown]
	s_waitcnt vmcnt(0)
	v_add_f64 v[4:5], v[32:33], -v[4:5]
	v_add_f64 v[6:7], v[34:35], -v[6:7]
	scratch_store_dwordx4 off, v[4:7], off offset:256
	s_and_saveexec_b64 s[2:3], vcc
	s_cbranch_execz .LBB23_127
; %bb.126:
	scratch_load_dwordx4 v[6:9], off, s38
	v_mov_b32_e32 v3, v2
	v_mov_b32_e32 v4, v2
	;; [unrolled: 1-line block ×3, first 2 shown]
	scratch_store_dwordx4 off, v[2:5], off offset:240
	s_waitcnt vmcnt(1)
	ds_write_b128 v122, v[6:9]
.LBB23_127:
	s_or_b64 exec, exec, s[2:3]
	s_waitcnt lgkmcnt(0)
	; wave barrier
	ds_read_b128 v[4:7], v2 offset:640
	ds_read_b128 v[8:11], v2 offset:656
	;; [unrolled: 1-line block ×4, first 2 shown]
	scratch_load_dwordx4 v[20:23], off, off offset:256
	scratch_load_dwordx4 v[40:43], off, off offset:320
	v_cmp_lt_u32_e32 vcc, 14, v1
	scratch_load_dwordx4 v[48:51], off, off offset:336
	scratch_load_dwordx4 v[56:59], off, off offset:352
	;; [unrolled: 1-line block ×3, first 2 shown]
	s_waitcnt vmcnt(4) lgkmcnt(3)
	v_mul_f64 v[24:25], v[4:5], v[22:23]
	v_fmac_f64_e32 v[24:25], v[6:7], v[20:21]
	v_add_f64 v[28:29], v[24:25], 0
	scratch_load_dwordx4 v[24:27], off, off offset:272
	s_waitcnt vmcnt(0) lgkmcnt(2)
	v_mul_f64 v[30:31], v[8:9], v[26:27]
	v_fmac_f64_e32 v[30:31], v[10:11], v[24:25]
	v_add_f64 v[32:33], v[28:29], v[30:31]
	scratch_load_dwordx4 v[28:31], off, off offset:288
	;; [unrolled: 5-line block ×3, first 2 shown]
	s_waitcnt vmcnt(0) lgkmcnt(0)
	v_mul_f64 v[38:39], v[16:17], v[34:35]
	v_fmac_f64_e32 v[38:39], v[18:19], v[32:33]
	v_add_f64 v[44:45], v[36:37], v[38:39]
	ds_read_b128 v[36:39], v2 offset:704
	s_waitcnt lgkmcnt(0)
	v_mul_f64 v[46:47], v[36:37], v[42:43]
	v_fmac_f64_e32 v[46:47], v[38:39], v[40:41]
	v_add_f64 v[52:53], v[44:45], v[46:47]
	ds_read_b128 v[44:47], v2 offset:720
	s_waitcnt lgkmcnt(0)
	;; [unrolled: 5-line block ×4, first 2 shown]
	v_mul_f64 v[2:3], v[60:61], v[66:67]
	v_fmac_f64_e32 v[2:3], v[62:63], v[64:65]
	v_add_f64 v[68:69], v[68:69], v[2:3]
	v_mul_f64 v[2:3], v[6:7], v[22:23]
	v_fma_f64 v[2:3], v[4:5], v[20:21], -v[2:3]
	v_mul_f64 v[4:5], v[10:11], v[26:27]
	v_add_f64 v[2:3], v[2:3], 0
	v_fma_f64 v[4:5], v[8:9], v[24:25], -v[4:5]
	v_add_f64 v[2:3], v[2:3], v[4:5]
	v_mul_f64 v[4:5], v[14:15], v[30:31]
	v_fma_f64 v[4:5], v[12:13], v[28:29], -v[4:5]
	v_add_f64 v[2:3], v[2:3], v[4:5]
	v_mul_f64 v[4:5], v[18:19], v[34:35]
	;; [unrolled: 3-line block ×6, first 2 shown]
	v_fma_f64 v[4:5], v[60:61], v[64:65], -v[4:5]
	v_add_f64 v[6:7], v[2:3], v[4:5]
	scratch_load_dwordx4 v[2:5], off, off offset:240
	s_waitcnt vmcnt(0)
	v_add_f64 v[2:3], v[2:3], -v[6:7]
	v_add_f64 v[4:5], v[4:5], -v[68:69]
	scratch_store_dwordx4 off, v[2:5], off offset:240
	s_and_saveexec_b64 s[2:3], vcc
	s_cbranch_execz .LBB23_129
; %bb.128:
	scratch_load_dwordx4 v[2:5], off, s41
	v_mov_b32_e32 v6, 0
	v_mov_b32_e32 v7, v6
	;; [unrolled: 1-line block ×4, first 2 shown]
	scratch_store_dwordx4 off, v[6:9], off offset:224
	s_waitcnt vmcnt(1)
	ds_write_b128 v122, v[2:5]
.LBB23_129:
	s_or_b64 exec, exec, s[2:3]
	s_waitcnt lgkmcnt(0)
	; wave barrier
	scratch_load_dwordx4 v[4:7], off, off offset:240
	scratch_load_dwordx4 v[8:11], off, off offset:256
	;; [unrolled: 1-line block ×10, first 2 shown]
	v_mov_b32_e32 v2, 0
	ds_read_b128 v[44:47], v2 offset:624
	ds_read_b128 v[48:51], v2 offset:640
	;; [unrolled: 1-line block ×9, first 2 shown]
	v_cmp_lt_u32_e32 vcc, 13, v1
	s_waitcnt vmcnt(9) lgkmcnt(8)
	v_mul_f64 v[80:81], v[44:45], v[6:7]
	v_mul_f64 v[6:7], v[46:47], v[6:7]
	s_waitcnt vmcnt(8) lgkmcnt(7)
	v_mul_f64 v[82:83], v[48:49], v[10:11]
	s_waitcnt vmcnt(7) lgkmcnt(6)
	;; [unrolled: 2-line block ×3, first 2 shown]
	v_mul_f64 v[88:89], v[60:61], v[22:23]
	v_mul_f64 v[10:11], v[50:51], v[10:11]
	;; [unrolled: 1-line block ×4, first 2 shown]
	v_fmac_f64_e32 v[80:81], v[46:47], v[4:5]
	v_fma_f64 v[4:5], v[44:45], v[4:5], -v[6:7]
	v_fmac_f64_e32 v[82:83], v[50:51], v[8:9]
	v_fmac_f64_e32 v[84:85], v[54:55], v[12:13]
	v_fma_f64 v[6:7], v[48:49], v[8:9], -v[10:11]
	v_fma_f64 v[8:9], v[52:53], v[12:13], -v[14:15]
	;; [unrolled: 1-line block ×3, first 2 shown]
	v_add_f64 v[22:23], v[80:81], 0
	v_add_f64 v[4:5], v[4:5], 0
	v_mul_f64 v[86:87], v[56:57], v[18:19]
	v_mul_f64 v[18:19], v[58:59], v[18:19]
	v_add_f64 v[22:23], v[22:23], v[82:83]
	v_add_f64 v[4:5], v[4:5], v[6:7]
	v_fmac_f64_e32 v[86:87], v[58:59], v[16:17]
	v_fma_f64 v[10:11], v[56:57], v[16:17], -v[18:19]
	v_add_f64 v[6:7], v[22:23], v[84:85]
	v_add_f64 v[4:5], v[4:5], v[8:9]
	s_waitcnt vmcnt(4) lgkmcnt(3)
	v_mul_f64 v[90:91], v[64:65], v[26:27]
	v_mul_f64 v[26:27], v[66:67], v[26:27]
	v_fmac_f64_e32 v[88:89], v[62:63], v[20:21]
	v_add_f64 v[6:7], v[6:7], v[86:87]
	v_add_f64 v[4:5], v[4:5], v[10:11]
	s_waitcnt vmcnt(3) lgkmcnt(2)
	v_mul_f64 v[92:93], v[68:69], v[30:31]
	v_mul_f64 v[30:31], v[70:71], v[30:31]
	v_fmac_f64_e32 v[90:91], v[66:67], v[24:25]
	v_fma_f64 v[14:15], v[64:65], v[24:25], -v[26:27]
	v_add_f64 v[6:7], v[6:7], v[88:89]
	v_add_f64 v[4:5], v[4:5], v[12:13]
	s_waitcnt vmcnt(2) lgkmcnt(1)
	v_mul_f64 v[94:95], v[72:73], v[34:35]
	v_mul_f64 v[34:35], v[74:75], v[34:35]
	v_fmac_f64_e32 v[92:93], v[70:71], v[28:29]
	v_fma_f64 v[16:17], v[68:69], v[28:29], -v[30:31]
	v_add_f64 v[6:7], v[6:7], v[90:91]
	v_add_f64 v[4:5], v[4:5], v[14:15]
	s_waitcnt vmcnt(1) lgkmcnt(0)
	v_mul_f64 v[96:97], v[76:77], v[38:39]
	v_mul_f64 v[38:39], v[78:79], v[38:39]
	v_fmac_f64_e32 v[94:95], v[74:75], v[32:33]
	v_fma_f64 v[18:19], v[72:73], v[32:33], -v[34:35]
	v_add_f64 v[6:7], v[6:7], v[92:93]
	v_add_f64 v[4:5], v[4:5], v[16:17]
	v_fmac_f64_e32 v[96:97], v[78:79], v[36:37]
	v_fma_f64 v[20:21], v[76:77], v[36:37], -v[38:39]
	v_add_f64 v[6:7], v[6:7], v[94:95]
	v_add_f64 v[4:5], v[4:5], v[18:19]
	;; [unrolled: 1-line block ×4, first 2 shown]
	s_waitcnt vmcnt(0)
	v_add_f64 v[4:5], v[40:41], -v[4:5]
	v_add_f64 v[6:7], v[42:43], -v[6:7]
	scratch_store_dwordx4 off, v[4:7], off offset:224
	s_and_saveexec_b64 s[2:3], vcc
	s_cbranch_execz .LBB23_131
; %bb.130:
	scratch_load_dwordx4 v[6:9], off, s40
	v_mov_b32_e32 v3, v2
	v_mov_b32_e32 v4, v2
	;; [unrolled: 1-line block ×3, first 2 shown]
	scratch_store_dwordx4 off, v[2:5], off offset:208
	s_waitcnt vmcnt(1)
	ds_write_b128 v122, v[6:9]
.LBB23_131:
	s_or_b64 exec, exec, s[2:3]
	s_waitcnt lgkmcnt(0)
	; wave barrier
	scratch_load_dwordx4 v[4:7], off, off offset:224
	scratch_load_dwordx4 v[8:11], off, off offset:240
	;; [unrolled: 1-line block ×11, first 2 shown]
	ds_read_b128 v[48:51], v2 offset:608
	ds_read_b128 v[52:55], v2 offset:624
	;; [unrolled: 1-line block ×10, first 2 shown]
	v_cmp_lt_u32_e32 vcc, 12, v1
	s_waitcnt vmcnt(10) lgkmcnt(9)
	v_mul_f64 v[2:3], v[48:49], v[6:7]
	v_mul_f64 v[6:7], v[50:51], v[6:7]
	s_waitcnt vmcnt(9) lgkmcnt(8)
	v_mul_f64 v[88:89], v[52:53], v[10:11]
	v_mul_f64 v[10:11], v[54:55], v[10:11]
	v_fmac_f64_e32 v[2:3], v[50:51], v[4:5]
	v_fma_f64 v[4:5], v[48:49], v[4:5], -v[6:7]
	s_waitcnt vmcnt(8) lgkmcnt(7)
	v_mul_f64 v[90:91], v[56:57], v[14:15]
	v_mul_f64 v[14:15], v[58:59], v[14:15]
	v_fmac_f64_e32 v[88:89], v[54:55], v[8:9]
	v_fma_f64 v[6:7], v[52:53], v[8:9], -v[10:11]
	v_add_f64 v[2:3], v[2:3], 0
	v_add_f64 v[4:5], v[4:5], 0
	s_waitcnt vmcnt(7) lgkmcnt(6)
	v_mul_f64 v[92:93], v[60:61], v[18:19]
	v_mul_f64 v[18:19], v[62:63], v[18:19]
	v_fmac_f64_e32 v[90:91], v[58:59], v[12:13]
	v_fma_f64 v[8:9], v[56:57], v[12:13], -v[14:15]
	v_add_f64 v[2:3], v[2:3], v[88:89]
	v_add_f64 v[4:5], v[4:5], v[6:7]
	;; [unrolled: 7-line block ×8, first 2 shown]
	v_fmac_f64_e32 v[104:105], v[86:87], v[40:41]
	v_fma_f64 v[22:23], v[84:85], v[40:41], -v[42:43]
	v_add_f64 v[2:3], v[2:3], v[102:103]
	v_add_f64 v[4:5], v[4:5], v[20:21]
	;; [unrolled: 1-line block ×4, first 2 shown]
	s_waitcnt vmcnt(0)
	v_add_f64 v[2:3], v[44:45], -v[2:3]
	v_add_f64 v[4:5], v[46:47], -v[6:7]
	scratch_store_dwordx4 off, v[2:5], off offset:208
	s_and_saveexec_b64 s[2:3], vcc
	s_cbranch_execz .LBB23_133
; %bb.132:
	scratch_load_dwordx4 v[2:5], off, s39
	v_mov_b32_e32 v6, 0
	v_mov_b32_e32 v7, v6
	;; [unrolled: 1-line block ×4, first 2 shown]
	scratch_store_dwordx4 off, v[6:9], off offset:192
	s_waitcnt vmcnt(1)
	ds_write_b128 v122, v[2:5]
.LBB23_133:
	s_or_b64 exec, exec, s[2:3]
	s_waitcnt lgkmcnt(0)
	; wave barrier
	scratch_load_dwordx4 v[4:7], off, off offset:208
	scratch_load_dwordx4 v[8:11], off, off offset:224
	;; [unrolled: 1-line block ×12, first 2 shown]
	v_mov_b32_e32 v2, 0
	ds_read_b128 v[52:55], v2 offset:592
	ds_read_b128 v[56:59], v2 offset:608
	;; [unrolled: 1-line block ×11, first 2 shown]
	v_cmp_lt_u32_e32 vcc, 11, v1
	s_waitcnt vmcnt(11) lgkmcnt(10)
	v_mul_f64 v[96:97], v[52:53], v[6:7]
	v_mul_f64 v[6:7], v[54:55], v[6:7]
	s_waitcnt vmcnt(10) lgkmcnt(9)
	v_mul_f64 v[98:99], v[56:57], v[10:11]
	s_waitcnt vmcnt(9) lgkmcnt(8)
	v_mul_f64 v[100:101], v[60:61], v[14:15]
	v_mul_f64 v[10:11], v[58:59], v[10:11]
	s_waitcnt vmcnt(6) lgkmcnt(5)
	v_mul_f64 v[106:107], v[72:73], v[26:27]
	v_mul_f64 v[14:15], v[62:63], v[14:15]
	;; [unrolled: 1-line block ×3, first 2 shown]
	v_fmac_f64_e32 v[96:97], v[54:55], v[4:5]
	v_fma_f64 v[4:5], v[52:53], v[4:5], -v[6:7]
	v_fmac_f64_e32 v[98:99], v[58:59], v[8:9]
	v_fma_f64 v[6:7], v[56:57], v[8:9], -v[10:11]
	v_fma_f64 v[8:9], v[60:61], v[12:13], -v[14:15]
	;; [unrolled: 1-line block ×3, first 2 shown]
	v_add_f64 v[26:27], v[96:97], 0
	v_add_f64 v[4:5], v[4:5], 0
	v_mul_f64 v[102:103], v[64:65], v[18:19]
	v_mul_f64 v[18:19], v[66:67], v[18:19]
	v_fmac_f64_e32 v[100:101], v[62:63], v[12:13]
	v_add_f64 v[26:27], v[26:27], v[98:99]
	v_add_f64 v[4:5], v[4:5], v[6:7]
	v_mul_f64 v[104:105], v[68:69], v[22:23]
	v_mul_f64 v[22:23], v[70:71], v[22:23]
	v_fmac_f64_e32 v[102:103], v[66:67], v[16:17]
	v_fma_f64 v[10:11], v[64:65], v[16:17], -v[18:19]
	v_add_f64 v[6:7], v[26:27], v[100:101]
	v_add_f64 v[4:5], v[4:5], v[8:9]
	v_fmac_f64_e32 v[104:105], v[70:71], v[20:21]
	v_fma_f64 v[12:13], v[68:69], v[20:21], -v[22:23]
	v_add_f64 v[6:7], v[6:7], v[102:103]
	v_add_f64 v[4:5], v[4:5], v[10:11]
	s_waitcnt vmcnt(5) lgkmcnt(4)
	v_mul_f64 v[108:109], v[76:77], v[30:31]
	v_mul_f64 v[30:31], v[78:79], v[30:31]
	v_fmac_f64_e32 v[106:107], v[74:75], v[24:25]
	v_add_f64 v[6:7], v[6:7], v[104:105]
	v_add_f64 v[4:5], v[4:5], v[12:13]
	s_waitcnt vmcnt(4) lgkmcnt(3)
	v_mul_f64 v[110:111], v[80:81], v[34:35]
	v_mul_f64 v[34:35], v[82:83], v[34:35]
	v_fmac_f64_e32 v[108:109], v[78:79], v[28:29]
	v_fma_f64 v[16:17], v[76:77], v[28:29], -v[30:31]
	v_add_f64 v[6:7], v[6:7], v[106:107]
	v_add_f64 v[4:5], v[4:5], v[14:15]
	s_waitcnt vmcnt(3) lgkmcnt(2)
	v_mul_f64 v[112:113], v[84:85], v[38:39]
	v_mul_f64 v[38:39], v[86:87], v[38:39]
	v_fmac_f64_e32 v[110:111], v[82:83], v[32:33]
	v_fma_f64 v[18:19], v[80:81], v[32:33], -v[34:35]
	;; [unrolled: 7-line block ×4, first 2 shown]
	v_add_f64 v[6:7], v[6:7], v[112:113]
	v_add_f64 v[4:5], v[4:5], v[20:21]
	v_fmac_f64_e32 v[116:117], v[94:95], v[44:45]
	v_fma_f64 v[24:25], v[92:93], v[44:45], -v[46:47]
	v_add_f64 v[6:7], v[6:7], v[114:115]
	v_add_f64 v[4:5], v[4:5], v[22:23]
	;; [unrolled: 1-line block ×4, first 2 shown]
	s_waitcnt vmcnt(0)
	v_add_f64 v[4:5], v[48:49], -v[4:5]
	v_add_f64 v[6:7], v[50:51], -v[6:7]
	scratch_store_dwordx4 off, v[4:7], off offset:192
	s_and_saveexec_b64 s[2:3], vcc
	s_cbranch_execz .LBB23_135
; %bb.134:
	scratch_load_dwordx4 v[6:9], off, s36
	v_mov_b32_e32 v3, v2
	v_mov_b32_e32 v4, v2
	;; [unrolled: 1-line block ×3, first 2 shown]
	scratch_store_dwordx4 off, v[2:5], off offset:176
	s_waitcnt vmcnt(1)
	ds_write_b128 v122, v[6:9]
.LBB23_135:
	s_or_b64 exec, exec, s[2:3]
	s_waitcnt lgkmcnt(0)
	; wave barrier
	ds_read_b128 v[4:7], v2 offset:576
	ds_read_b128 v[8:11], v2 offset:592
	;; [unrolled: 1-line block ×4, first 2 shown]
	scratch_load_dwordx4 v[20:23], off, off offset:192
	scratch_load_dwordx4 v[40:43], off, off offset:256
	;; [unrolled: 1-line block ×6, first 2 shown]
	v_cmp_lt_u32_e32 vcc, 10, v1
	scratch_load_dwordx4 v[48:51], off, off offset:272
	scratch_load_dwordx4 v[56:59], off, off offset:288
	;; [unrolled: 1-line block ×3, first 2 shown]
	s_waitcnt vmcnt(8) lgkmcnt(3)
	v_mul_f64 v[24:25], v[4:5], v[22:23]
	v_fmac_f64_e32 v[24:25], v[6:7], v[20:21]
	v_add_f64 v[28:29], v[24:25], 0
	scratch_load_dwordx4 v[24:27], off, off offset:208
	s_waitcnt vmcnt(0) lgkmcnt(2)
	v_mul_f64 v[30:31], v[8:9], v[26:27]
	v_fmac_f64_e32 v[30:31], v[10:11], v[24:25]
	v_add_f64 v[32:33], v[28:29], v[30:31]
	scratch_load_dwordx4 v[28:31], off, off offset:224
	;; [unrolled: 5-line block ×3, first 2 shown]
	s_waitcnt vmcnt(0) lgkmcnt(0)
	v_mul_f64 v[38:39], v[16:17], v[34:35]
	v_fmac_f64_e32 v[38:39], v[18:19], v[32:33]
	v_add_f64 v[44:45], v[36:37], v[38:39]
	ds_read_b128 v[36:39], v2 offset:640
	s_waitcnt lgkmcnt(0)
	v_mul_f64 v[46:47], v[36:37], v[42:43]
	v_fmac_f64_e32 v[46:47], v[38:39], v[40:41]
	v_add_f64 v[52:53], v[44:45], v[46:47]
	ds_read_b128 v[44:47], v2 offset:656
	s_waitcnt lgkmcnt(0)
	;; [unrolled: 5-line block ×8, first 2 shown]
	v_mul_f64 v[2:3], v[92:93], v[98:99]
	v_fmac_f64_e32 v[2:3], v[94:95], v[96:97]
	v_add_f64 v[100:101], v[100:101], v[2:3]
	v_mul_f64 v[2:3], v[6:7], v[22:23]
	v_fma_f64 v[2:3], v[4:5], v[20:21], -v[2:3]
	v_mul_f64 v[4:5], v[10:11], v[26:27]
	v_add_f64 v[2:3], v[2:3], 0
	v_fma_f64 v[4:5], v[8:9], v[24:25], -v[4:5]
	v_add_f64 v[2:3], v[2:3], v[4:5]
	v_mul_f64 v[4:5], v[14:15], v[30:31]
	v_fma_f64 v[4:5], v[12:13], v[28:29], -v[4:5]
	v_add_f64 v[2:3], v[2:3], v[4:5]
	v_mul_f64 v[4:5], v[18:19], v[34:35]
	;; [unrolled: 3-line block ×10, first 2 shown]
	v_fma_f64 v[4:5], v[92:93], v[96:97], -v[4:5]
	v_add_f64 v[6:7], v[2:3], v[4:5]
	scratch_load_dwordx4 v[2:5], off, off offset:176
	s_waitcnt vmcnt(0)
	v_add_f64 v[2:3], v[2:3], -v[6:7]
	v_add_f64 v[4:5], v[4:5], -v[100:101]
	scratch_store_dwordx4 off, v[2:5], off offset:176
	s_and_saveexec_b64 s[2:3], vcc
	s_cbranch_execz .LBB23_137
; %bb.136:
	scratch_load_dwordx4 v[2:5], off, s28
	v_mov_b32_e32 v6, 0
	v_mov_b32_e32 v7, v6
	;; [unrolled: 1-line block ×4, first 2 shown]
	scratch_store_dwordx4 off, v[6:9], off offset:160
	s_waitcnt vmcnt(1)
	ds_write_b128 v122, v[2:5]
.LBB23_137:
	s_or_b64 exec, exec, s[2:3]
	v_mov_b32_e32 v2, 0
	s_waitcnt lgkmcnt(0)
	; wave barrier
	ds_read_b128 v[4:7], v2 offset:560
	ds_read_b128 v[8:11], v2 offset:576
	;; [unrolled: 1-line block ×4, first 2 shown]
	scratch_load_dwordx4 v[20:23], off, off offset:176
	scratch_load_dwordx4 v[40:43], off, off offset:240
	;; [unrolled: 1-line block ×7, first 2 shown]
	v_cmp_lt_u32_e32 vcc, 9, v1
	scratch_load_dwordx4 v[48:51], off, off offset:256
	scratch_load_dwordx4 v[56:59], off, off offset:272
	;; [unrolled: 1-line block ×3, first 2 shown]
	s_waitcnt vmcnt(9) lgkmcnt(3)
	v_mul_f64 v[24:25], v[4:5], v[22:23]
	v_fmac_f64_e32 v[24:25], v[6:7], v[20:21]
	v_add_f64 v[28:29], v[24:25], 0
	scratch_load_dwordx4 v[24:27], off, off offset:192
	v_mul_f64 v[6:7], v[6:7], v[22:23]
	v_fma_f64 v[4:5], v[4:5], v[20:21], -v[6:7]
	v_add_f64 v[4:5], v[4:5], 0
	s_waitcnt vmcnt(0) lgkmcnt(2)
	v_mul_f64 v[30:31], v[8:9], v[26:27]
	v_fmac_f64_e32 v[30:31], v[10:11], v[24:25]
	v_add_f64 v[32:33], v[28:29], v[30:31]
	scratch_load_dwordx4 v[28:31], off, off offset:208
	v_mul_f64 v[6:7], v[10:11], v[26:27]
	v_fma_f64 v[6:7], v[8:9], v[24:25], -v[6:7]
	v_add_f64 v[4:5], v[4:5], v[6:7]
	;; [unrolled: 8-line block ×3, first 2 shown]
	s_waitcnt vmcnt(0) lgkmcnt(0)
	v_mul_f64 v[38:39], v[16:17], v[34:35]
	v_fmac_f64_e32 v[38:39], v[18:19], v[32:33]
	v_add_f64 v[44:45], v[36:37], v[38:39]
	ds_read_b128 v[36:39], v2 offset:624
	v_mul_f64 v[6:7], v[18:19], v[34:35]
	v_fma_f64 v[6:7], v[16:17], v[32:33], -v[6:7]
	v_add_f64 v[4:5], v[4:5], v[6:7]
	s_waitcnt lgkmcnt(0)
	v_mul_f64 v[46:47], v[36:37], v[42:43]
	v_fmac_f64_e32 v[46:47], v[38:39], v[40:41]
	v_add_f64 v[52:53], v[44:45], v[46:47]
	ds_read_b128 v[44:47], v2 offset:640
	v_mul_f64 v[6:7], v[38:39], v[42:43]
	v_fma_f64 v[6:7], v[36:37], v[40:41], -v[6:7]
	v_add_f64 v[4:5], v[4:5], v[6:7]
	s_waitcnt lgkmcnt(0)
	;; [unrolled: 8-line block ×9, first 2 shown]
	v_mul_f64 v[6:7], v[102:103], v[106:107]
	v_fma_f64 v[6:7], v[100:101], v[104:105], -v[6:7]
	v_add_f64 v[8:9], v[4:5], v[6:7]
	scratch_load_dwordx4 v[4:7], off, off offset:160
	v_mul_f64 v[110:111], v[100:101], v[106:107]
	v_fmac_f64_e32 v[110:111], v[102:103], v[104:105]
	v_add_f64 v[108:109], v[108:109], v[110:111]
	s_waitcnt vmcnt(0)
	v_add_f64 v[4:5], v[4:5], -v[8:9]
	v_add_f64 v[6:7], v[6:7], -v[108:109]
	scratch_store_dwordx4 off, v[4:7], off offset:160
	s_and_saveexec_b64 s[2:3], vcc
	s_cbranch_execz .LBB23_139
; %bb.138:
	scratch_load_dwordx4 v[6:9], off, s25
	v_mov_b32_e32 v3, v2
	v_mov_b32_e32 v4, v2
	;; [unrolled: 1-line block ×3, first 2 shown]
	scratch_store_dwordx4 off, v[2:5], off offset:144
	s_waitcnt vmcnt(1)
	ds_write_b128 v122, v[6:9]
.LBB23_139:
	s_or_b64 exec, exec, s[2:3]
	s_waitcnt lgkmcnt(0)
	; wave barrier
	scratch_load_dwordx4 v[8:11], off, off offset:160
	scratch_load_dwordx4 v[4:7], off, off offset:176
	;; [unrolled: 1-line block ×14, first 2 shown]
	ds_read_b128 v[60:63], v2 offset:544
	ds_read_b128 v[64:67], v2 offset:560
	;; [unrolled: 1-line block ×14, first 2 shown]
	scratch_load_dwordx4 v[116:119], off, off offset:144
	v_cmp_lt_u32_e32 vcc, 8, v1
	s_waitcnt vmcnt(14) lgkmcnt(13)
	v_mul_f64 v[2:3], v[60:61], v[10:11]
	s_waitcnt vmcnt(13) lgkmcnt(12)
	v_mul_f64 v[120:121], v[64:65], v[6:7]
	v_fmac_f64_e32 v[2:3], v[62:63], v[8:9]
	s_waitcnt vmcnt(12) lgkmcnt(11)
	v_mul_f64 v[124:125], v[68:69], v[14:15]
	v_fmac_f64_e32 v[120:121], v[66:67], v[4:5]
	v_add_f64 v[2:3], v[2:3], 0
	s_waitcnt vmcnt(11) lgkmcnt(10)
	v_mul_f64 v[174:175], v[72:73], v[18:19]
	v_fmac_f64_e32 v[124:125], v[70:71], v[12:13]
	v_add_f64 v[2:3], v[2:3], v[120:121]
	;; [unrolled: 4-line block ×4, first 2 shown]
	s_waitcnt vmcnt(8) lgkmcnt(7)
	v_mul_f64 v[180:181], v[84:85], v[30:31]
	v_mul_f64 v[10:11], v[62:63], v[10:11]
	v_fmac_f64_e32 v[178:179], v[82:83], v[24:25]
	v_add_f64 v[2:3], v[2:3], v[176:177]
	s_waitcnt vmcnt(7) lgkmcnt(6)
	v_mul_f64 v[182:183], v[88:89], v[34:35]
	v_mul_f64 v[6:7], v[66:67], v[6:7]
	v_fma_f64 v[8:9], v[60:61], v[8:9], -v[10:11]
	v_fmac_f64_e32 v[180:181], v[86:87], v[28:29]
	v_add_f64 v[2:3], v[2:3], v[178:179]
	s_waitcnt vmcnt(6) lgkmcnt(5)
	v_mul_f64 v[184:185], v[92:93], v[38:39]
	v_mul_f64 v[14:15], v[70:71], v[14:15]
	v_fmac_f64_e32 v[182:183], v[90:91], v[32:33]
	v_fma_f64 v[4:5], v[64:65], v[4:5], -v[6:7]
	v_add_f64 v[8:9], v[8:9], 0
	v_add_f64 v[2:3], v[2:3], v[180:181]
	s_waitcnt vmcnt(5) lgkmcnt(4)
	v_mul_f64 v[186:187], v[96:97], v[42:43]
	v_mul_f64 v[18:19], v[74:75], v[18:19]
	v_fmac_f64_e32 v[184:185], v[94:95], v[36:37]
	v_fma_f64 v[6:7], v[68:69], v[12:13], -v[14:15]
	v_add_f64 v[4:5], v[8:9], v[4:5]
	;; [unrolled: 7-line block ×6, first 2 shown]
	v_add_f64 v[2:3], v[2:3], v[190:191]
	v_fmac_f64_e32 v[194:195], v[114:115], v[56:57]
	v_fma_f64 v[18:19], v[88:89], v[32:33], -v[34:35]
	v_add_f64 v[4:5], v[4:5], v[16:17]
	v_add_f64 v[2:3], v[2:3], v[192:193]
	;; [unrolled: 1-line block ×4, first 2 shown]
	v_mul_f64 v[4:5], v[94:95], v[38:39]
	v_fma_f64 v[4:5], v[92:93], v[36:37], -v[4:5]
	v_add_f64 v[2:3], v[2:3], v[4:5]
	v_mul_f64 v[4:5], v[98:99], v[42:43]
	v_fma_f64 v[4:5], v[96:97], v[40:41], -v[4:5]
	v_add_f64 v[2:3], v[2:3], v[4:5]
	;; [unrolled: 3-line block ×6, first 2 shown]
	s_waitcnt vmcnt(0)
	v_add_f64 v[2:3], v[116:117], -v[2:3]
	v_add_f64 v[4:5], v[118:119], -v[6:7]
	scratch_store_dwordx4 off, v[2:5], off offset:144
	s_and_saveexec_b64 s[2:3], vcc
	s_cbranch_execz .LBB23_141
; %bb.140:
	scratch_load_dwordx4 v[2:5], off, s17
	v_mov_b32_e32 v6, 0
	v_mov_b32_e32 v7, v6
	;; [unrolled: 1-line block ×4, first 2 shown]
	scratch_store_dwordx4 off, v[6:9], off offset:128
	s_waitcnt vmcnt(1)
	ds_write_b128 v122, v[2:5]
.LBB23_141:
	s_or_b64 exec, exec, s[2:3]
	s_waitcnt lgkmcnt(0)
	; wave barrier
	scratch_load_dwordx4 v[4:7], off, off offset:144
	scratch_load_dwordx4 v[8:11], off, off offset:160
	;; [unrolled: 1-line block ×16, first 2 shown]
	v_mov_b32_e32 v2, 0
	ds_read_b128 v[68:71], v2 offset:528
	ds_read_b128 v[72:75], v2 offset:544
	;; [unrolled: 1-line block ×15, first 2 shown]
	v_cmp_lt_u32_e32 vcc, 7, v1
	s_waitcnt vmcnt(15) lgkmcnt(14)
	v_mul_f64 v[120:121], v[68:69], v[6:7]
	v_mul_f64 v[6:7], v[70:71], v[6:7]
	s_waitcnt vmcnt(14) lgkmcnt(13)
	v_mul_f64 v[124:125], v[72:73], v[10:11]
	v_mul_f64 v[10:11], v[74:75], v[10:11]
	v_fmac_f64_e32 v[120:121], v[70:71], v[4:5]
	v_fma_f64 v[4:5], v[68:69], v[4:5], -v[6:7]
	s_waitcnt vmcnt(13) lgkmcnt(12)
	v_mul_f64 v[182:183], v[76:77], v[14:15]
	v_mul_f64 v[14:15], v[78:79], v[14:15]
	v_fma_f64 v[6:7], v[72:73], v[8:9], -v[10:11]
	v_add_f64 v[4:5], v[4:5], 0
	s_waitcnt vmcnt(12) lgkmcnt(11)
	v_mul_f64 v[184:185], v[80:81], v[18:19]
	v_mul_f64 v[18:19], v[82:83], v[18:19]
	v_fmac_f64_e32 v[124:125], v[74:75], v[8:9]
	v_fma_f64 v[8:9], v[76:77], v[12:13], -v[14:15]
	v_add_f64 v[4:5], v[4:5], v[6:7]
	s_waitcnt vmcnt(11) lgkmcnt(10)
	v_mul_f64 v[186:187], v[84:85], v[22:23]
	v_mul_f64 v[22:23], v[86:87], v[22:23]
	v_fma_f64 v[10:11], v[80:81], v[16:17], -v[18:19]
	v_add_f64 v[4:5], v[4:5], v[8:9]
	s_waitcnt vmcnt(10) lgkmcnt(9)
	v_mul_f64 v[188:189], v[88:89], v[26:27]
	v_mul_f64 v[26:27], v[90:91], v[26:27]
	v_fmac_f64_e32 v[182:183], v[78:79], v[12:13]
	v_fma_f64 v[12:13], v[84:85], v[20:21], -v[22:23]
	v_add_f64 v[4:5], v[4:5], v[10:11]
	v_fma_f64 v[14:15], v[88:89], v[24:25], -v[26:27]
	v_add_f64 v[4:5], v[4:5], v[12:13]
	s_waitcnt vmcnt(9) lgkmcnt(8)
	v_mul_f64 v[8:9], v[94:95], v[30:31]
	v_add_f64 v[4:5], v[4:5], v[14:15]
	v_fma_f64 v[8:9], v[92:93], v[28:29], -v[8:9]
	v_add_f64 v[4:5], v[4:5], v[8:9]
	s_waitcnt vmcnt(8) lgkmcnt(7)
	v_mul_f64 v[8:9], v[98:99], v[34:35]
	v_fma_f64 v[8:9], v[96:97], v[32:33], -v[8:9]
	v_fmac_f64_e32 v[184:185], v[82:83], v[16:17]
	v_add_f64 v[16:17], v[120:121], 0
	v_add_f64 v[4:5], v[4:5], v[8:9]
	s_waitcnt vmcnt(7) lgkmcnt(6)
	v_mul_f64 v[8:9], v[102:103], v[38:39]
	v_add_f64 v[16:17], v[16:17], v[124:125]
	v_fma_f64 v[8:9], v[100:101], v[36:37], -v[8:9]
	v_add_f64 v[6:7], v[16:17], v[182:183]
	v_add_f64 v[4:5], v[4:5], v[8:9]
	s_waitcnt vmcnt(6) lgkmcnt(5)
	v_mul_f64 v[8:9], v[106:107], v[42:43]
	v_fmac_f64_e32 v[186:187], v[86:87], v[20:21]
	v_add_f64 v[6:7], v[6:7], v[184:185]
	v_fma_f64 v[8:9], v[104:105], v[40:41], -v[8:9]
	v_mul_f64 v[190:191], v[92:93], v[30:31]
	v_fmac_f64_e32 v[188:189], v[90:91], v[24:25]
	v_add_f64 v[6:7], v[6:7], v[186:187]
	v_add_f64 v[4:5], v[4:5], v[8:9]
	s_waitcnt vmcnt(5) lgkmcnt(4)
	v_mul_f64 v[8:9], v[110:111], v[46:47]
	v_mul_f64 v[192:193], v[96:97], v[34:35]
	v_fmac_f64_e32 v[190:191], v[94:95], v[28:29]
	v_add_f64 v[6:7], v[6:7], v[188:189]
	v_fma_f64 v[8:9], v[108:109], v[44:45], -v[8:9]
	v_mul_f64 v[194:195], v[100:101], v[38:39]
	v_fmac_f64_e32 v[192:193], v[98:99], v[32:33]
	v_add_f64 v[6:7], v[6:7], v[190:191]
	v_add_f64 v[4:5], v[4:5], v[8:9]
	s_waitcnt vmcnt(4) lgkmcnt(3)
	v_mul_f64 v[8:9], v[114:115], v[50:51]
	;; [unrolled: 10-line block ×4, first 2 shown]
	v_mul_f64 v[204:205], v[174:175], v[58:59]
	v_fmac_f64_e32 v[202:203], v[118:119], v[52:53]
	v_add_f64 v[6:7], v[6:7], v[200:201]
	v_fma_f64 v[8:9], v[174:175], v[56:57], -v[8:9]
	s_waitcnt vmcnt(1) lgkmcnt(0)
	v_mul_f64 v[206:207], v[178:179], v[62:63]
	v_fmac_f64_e32 v[204:205], v[176:177], v[56:57]
	v_add_f64 v[6:7], v[6:7], v[202:203]
	v_add_f64 v[4:5], v[4:5], v[8:9]
	v_mul_f64 v[8:9], v[180:181], v[62:63]
	v_fmac_f64_e32 v[206:207], v[180:181], v[60:61]
	v_add_f64 v[6:7], v[6:7], v[204:205]
	v_fma_f64 v[8:9], v[178:179], v[60:61], -v[8:9]
	v_add_f64 v[6:7], v[6:7], v[206:207]
	v_add_f64 v[4:5], v[4:5], v[8:9]
	s_waitcnt vmcnt(0)
	v_add_f64 v[4:5], v[64:65], -v[4:5]
	v_add_f64 v[6:7], v[66:67], -v[6:7]
	scratch_store_dwordx4 off, v[4:7], off offset:128
	s_and_saveexec_b64 s[2:3], vcc
	s_cbranch_execz .LBB23_143
; %bb.142:
	scratch_load_dwordx4 v[6:9], off, s29
	v_mov_b32_e32 v3, v2
	v_mov_b32_e32 v4, v2
	;; [unrolled: 1-line block ×3, first 2 shown]
	scratch_store_dwordx4 off, v[2:5], off offset:112
	s_waitcnt vmcnt(1)
	ds_write_b128 v122, v[6:9]
.LBB23_143:
	s_or_b64 exec, exec, s[2:3]
	s_waitcnt lgkmcnt(0)
	; wave barrier
	scratch_load_dwordx4 v[4:7], off, off offset:128
	scratch_load_dwordx4 v[8:11], off, off offset:144
	scratch_load_dwordx4 v[12:15], off, off offset:160
	scratch_load_dwordx4 v[16:19], off, off offset:176
	scratch_load_dwordx4 v[24:27], off, off offset:192
	scratch_load_dwordx4 v[20:23], off, off offset:208
	scratch_load_dwordx4 v[28:31], off, off offset:224
	scratch_load_dwordx4 v[32:35], off, off offset:240
	scratch_load_dwordx4 v[36:39], off, off offset:256
	scratch_load_dwordx4 v[40:43], off, off offset:272
	scratch_load_dwordx4 v[44:47], off, off offset:288
	scratch_load_dwordx4 v[48:51], off, off offset:304
	scratch_load_dwordx4 v[52:55], off, off offset:320
	scratch_load_dwordx4 v[56:59], off, off offset:336
	scratch_load_dwordx4 v[60:63], off, off offset:352
	scratch_load_dwordx4 v[64:67], off, off offset:368
	ds_read_b128 v[68:71], v2 offset:512
	ds_read_b128 v[72:75], v2 offset:528
	;; [unrolled: 1-line block ×16, first 2 shown]
	scratch_load_dwordx4 v[186:189], off, off offset:112
	v_cmp_lt_u32_e32 vcc, 6, v1
	s_waitcnt vmcnt(16) lgkmcnt(14)
	v_mul_f64 v[2:3], v[68:69], v[6:7]
	s_waitcnt vmcnt(15)
	v_mul_f64 v[120:121], v[72:73], v[10:11]
	v_fmac_f64_e32 v[2:3], v[70:71], v[4:5]
	s_waitcnt vmcnt(14) lgkmcnt(13)
	v_mul_f64 v[124:125], v[76:77], v[14:15]
	v_fmac_f64_e32 v[120:121], v[74:75], v[8:9]
	v_add_f64 v[2:3], v[2:3], 0
	s_waitcnt vmcnt(13) lgkmcnt(12)
	v_mul_f64 v[190:191], v[80:81], v[18:19]
	v_fmac_f64_e32 v[124:125], v[78:79], v[12:13]
	v_add_f64 v[2:3], v[2:3], v[120:121]
	;; [unrolled: 4-line block ×10, first 2 shown]
	s_waitcnt vmcnt(4) lgkmcnt(3)
	v_mul_f64 v[208:209], v[116:117], v[54:55]
	v_mul_f64 v[6:7], v[70:71], v[6:7]
	v_fmac_f64_e32 v[206:207], v[114:115], v[48:49]
	v_add_f64 v[2:3], v[2:3], v[204:205]
	s_waitcnt vmcnt(3) lgkmcnt(2)
	v_mul_f64 v[210:211], v[174:175], v[58:59]
	v_mul_f64 v[10:11], v[74:75], v[10:11]
	v_fmac_f64_e32 v[208:209], v[118:119], v[52:53]
	v_fma_f64 v[4:5], v[68:69], v[4:5], -v[6:7]
	v_add_f64 v[2:3], v[2:3], v[206:207]
	s_waitcnt vmcnt(2) lgkmcnt(1)
	v_mul_f64 v[212:213], v[178:179], v[62:63]
	v_mul_f64 v[14:15], v[78:79], v[14:15]
	v_fmac_f64_e32 v[210:211], v[176:177], v[56:57]
	v_fma_f64 v[6:7], v[72:73], v[8:9], -v[10:11]
	v_add_f64 v[4:5], v[4:5], 0
	v_add_f64 v[2:3], v[2:3], v[208:209]
	s_waitcnt vmcnt(1) lgkmcnt(0)
	v_mul_f64 v[214:215], v[182:183], v[66:67]
	v_mul_f64 v[18:19], v[82:83], v[18:19]
	v_fmac_f64_e32 v[212:213], v[180:181], v[60:61]
	v_fma_f64 v[8:9], v[76:77], v[12:13], -v[14:15]
	v_add_f64 v[4:5], v[4:5], v[6:7]
	v_add_f64 v[2:3], v[2:3], v[210:211]
	v_mul_f64 v[26:27], v[86:87], v[26:27]
	v_fmac_f64_e32 v[214:215], v[184:185], v[64:65]
	v_fma_f64 v[10:11], v[80:81], v[16:17], -v[18:19]
	v_add_f64 v[4:5], v[4:5], v[8:9]
	v_add_f64 v[2:3], v[2:3], v[212:213]
	v_fma_f64 v[12:13], v[84:85], v[24:25], -v[26:27]
	v_add_f64 v[4:5], v[4:5], v[10:11]
	v_add_f64 v[6:7], v[2:3], v[214:215]
	v_mul_f64 v[2:3], v[90:91], v[22:23]
	v_add_f64 v[4:5], v[4:5], v[12:13]
	v_fma_f64 v[2:3], v[88:89], v[20:21], -v[2:3]
	v_add_f64 v[2:3], v[4:5], v[2:3]
	v_mul_f64 v[4:5], v[94:95], v[30:31]
	v_fma_f64 v[4:5], v[92:93], v[28:29], -v[4:5]
	v_add_f64 v[2:3], v[2:3], v[4:5]
	v_mul_f64 v[4:5], v[98:99], v[34:35]
	;; [unrolled: 3-line block ×10, first 2 shown]
	v_fma_f64 v[4:5], v[182:183], v[64:65], -v[4:5]
	v_add_f64 v[2:3], v[2:3], v[4:5]
	s_waitcnt vmcnt(0)
	v_add_f64 v[2:3], v[186:187], -v[2:3]
	v_add_f64 v[4:5], v[188:189], -v[6:7]
	scratch_store_dwordx4 off, v[2:5], off offset:112
	s_and_saveexec_b64 s[2:3], vcc
	s_cbranch_execz .LBB23_145
; %bb.144:
	scratch_load_dwordx4 v[2:5], off, s26
	v_mov_b32_e32 v6, 0
	v_mov_b32_e32 v7, v6
	;; [unrolled: 1-line block ×4, first 2 shown]
	scratch_store_dwordx4 off, v[6:9], off offset:96
	s_waitcnt vmcnt(1)
	ds_write_b128 v122, v[2:5]
.LBB23_145:
	s_or_b64 exec, exec, s[2:3]
	s_waitcnt lgkmcnt(0)
	; wave barrier
	scratch_load_dwordx4 v[4:7], off, off offset:112
	scratch_load_dwordx4 v[8:11], off, off offset:128
	;; [unrolled: 1-line block ×18, first 2 shown]
	v_mov_b32_e32 v2, 0
	ds_read_b128 v[76:79], v2 offset:496
	ds_read_b128 v[80:83], v2 offset:512
	;; [unrolled: 1-line block ×17, first 2 shown]
	v_cmp_lt_u32_e32 vcc, 5, v1
	s_waitcnt vmcnt(17) lgkmcnt(14)
	v_mul_f64 v[120:121], v[76:77], v[6:7]
	v_mul_f64 v[6:7], v[78:79], v[6:7]
	s_waitcnt vmcnt(16)
	v_mul_f64 v[124:125], v[80:81], v[10:11]
	v_mul_f64 v[10:11], v[82:83], v[10:11]
	v_fmac_f64_e32 v[120:121], v[78:79], v[4:5]
	v_fma_f64 v[4:5], v[76:77], v[4:5], -v[6:7]
	s_waitcnt vmcnt(15)
	v_mul_f64 v[198:199], v[84:85], v[18:19]
	v_mul_f64 v[18:19], v[86:87], v[18:19]
	v_fma_f64 v[6:7], v[80:81], v[8:9], -v[10:11]
	v_add_f64 v[4:5], v[4:5], 0
	s_waitcnt vmcnt(14) lgkmcnt(13)
	v_mul_f64 v[200:201], v[88:89], v[14:15]
	v_mul_f64 v[14:15], v[90:91], v[14:15]
	v_fmac_f64_e32 v[124:125], v[82:83], v[8:9]
	v_fma_f64 v[8:9], v[84:85], v[16:17], -v[18:19]
	v_add_f64 v[4:5], v[4:5], v[6:7]
	v_add_f64 v[4:5], v[4:5], v[8:9]
	v_fma_f64 v[8:9], v[88:89], v[12:13], -v[14:15]
	v_add_f64 v[4:5], v[4:5], v[8:9]
	s_waitcnt vmcnt(13) lgkmcnt(12)
	v_mul_f64 v[8:9], v[94:95], v[22:23]
	v_fma_f64 v[8:9], v[92:93], v[20:21], -v[8:9]
	v_add_f64 v[4:5], v[4:5], v[8:9]
	s_waitcnt vmcnt(12) lgkmcnt(11)
	v_mul_f64 v[8:9], v[98:99], v[26:27]
	;; [unrolled: 4-line block ×5, first 2 shown]
	v_fma_f64 v[8:9], v[108:109], v[36:37], -v[8:9]
	v_add_f64 v[10:11], v[120:121], 0
	v_add_f64 v[4:5], v[4:5], v[8:9]
	s_waitcnt vmcnt(8) lgkmcnt(7)
	v_mul_f64 v[8:9], v[114:115], v[42:43]
	v_fmac_f64_e32 v[198:199], v[86:87], v[16:17]
	v_add_f64 v[10:11], v[10:11], v[124:125]
	v_fma_f64 v[8:9], v[112:113], v[40:41], -v[8:9]
	v_mul_f64 v[202:203], v[92:93], v[22:23]
	v_fmac_f64_e32 v[200:201], v[90:91], v[12:13]
	v_add_f64 v[6:7], v[10:11], v[198:199]
	v_add_f64 v[4:5], v[4:5], v[8:9]
	s_waitcnt vmcnt(7) lgkmcnt(6)
	v_mul_f64 v[8:9], v[118:119], v[46:47]
	v_mul_f64 v[204:205], v[96:97], v[26:27]
	v_fmac_f64_e32 v[202:203], v[94:95], v[20:21]
	v_add_f64 v[6:7], v[6:7], v[200:201]
	v_fma_f64 v[8:9], v[116:117], v[44:45], -v[8:9]
	v_mul_f64 v[206:207], v[100:101], v[30:31]
	v_fmac_f64_e32 v[204:205], v[98:99], v[24:25]
	v_add_f64 v[6:7], v[6:7], v[202:203]
	v_add_f64 v[4:5], v[4:5], v[8:9]
	s_waitcnt vmcnt(6) lgkmcnt(5)
	v_mul_f64 v[8:9], v[176:177], v[50:51]
	;; [unrolled: 10-line block ×6, first 2 shown]
	v_mul_f64 v[224:225], v[190:191], v[66:67]
	v_fmac_f64_e32 v[222:223], v[188:189], v[60:61]
	v_add_f64 v[6:7], v[6:7], v[220:221]
	v_fma_f64 v[8:9], v[190:191], v[64:65], -v[8:9]
	s_waitcnt vmcnt(1) lgkmcnt(0)
	v_mul_f64 v[226:227], v[194:195], v[70:71]
	v_fmac_f64_e32 v[224:225], v[192:193], v[64:65]
	v_add_f64 v[6:7], v[6:7], v[222:223]
	v_add_f64 v[4:5], v[4:5], v[8:9]
	v_mul_f64 v[8:9], v[196:197], v[70:71]
	v_fmac_f64_e32 v[226:227], v[196:197], v[68:69]
	v_add_f64 v[6:7], v[6:7], v[224:225]
	v_fma_f64 v[8:9], v[194:195], v[68:69], -v[8:9]
	v_add_f64 v[6:7], v[6:7], v[226:227]
	v_add_f64 v[4:5], v[4:5], v[8:9]
	s_waitcnt vmcnt(0)
	v_add_f64 v[4:5], v[72:73], -v[4:5]
	v_add_f64 v[6:7], v[74:75], -v[6:7]
	scratch_store_dwordx4 off, v[4:7], off offset:96
	s_and_saveexec_b64 s[2:3], vcc
	s_cbranch_execz .LBB23_147
; %bb.146:
	scratch_load_dwordx4 v[6:9], off, s19
	v_mov_b32_e32 v3, v2
	v_mov_b32_e32 v4, v2
	;; [unrolled: 1-line block ×3, first 2 shown]
	scratch_store_dwordx4 off, v[2:5], off offset:80
	s_waitcnt vmcnt(1)
	ds_write_b128 v122, v[6:9]
.LBB23_147:
	s_or_b64 exec, exec, s[2:3]
	s_waitcnt lgkmcnt(0)
	; wave barrier
	scratch_load_dwordx4 v[4:7], off, off offset:96
	scratch_load_dwordx4 v[12:15], off, off offset:112
	scratch_load_dwordx4 v[8:11], off, off offset:128
	scratch_load_dwordx4 v[16:19], off, off offset:144
	scratch_load_dwordx4 v[20:23], off, off offset:160
	scratch_load_dwordx4 v[24:27], off, off offset:176
	scratch_load_dwordx4 v[28:31], off, off offset:192
	scratch_load_dwordx4 v[32:35], off, off offset:208
	scratch_load_dwordx4 v[36:39], off, off offset:224
	scratch_load_dwordx4 v[40:43], off, off offset:240
	scratch_load_dwordx4 v[44:47], off, off offset:256
	scratch_load_dwordx4 v[48:51], off, off offset:272
	scratch_load_dwordx4 v[52:55], off, off offset:288
	scratch_load_dwordx4 v[56:59], off, off offset:304
	scratch_load_dwordx4 v[60:63], off, off offset:320
	scratch_load_dwordx4 v[64:67], off, off offset:336
	scratch_load_dwordx4 v[68:71], off, off offset:352
	scratch_load_dwordx4 v[72:75], off, off offset:368
	ds_read_b128 v[76:79], v2 offset:480
	ds_read_b128 v[80:83], v2 offset:496
	;; [unrolled: 1-line block ×18, first 2 shown]
	scratch_load_dwordx4 v[202:205], off, off offset:80
	v_cmp_lt_u32_e32 vcc, 4, v1
	s_waitcnt vmcnt(18) lgkmcnt(14)
	v_mul_f64 v[2:3], v[76:77], v[6:7]
	s_waitcnt vmcnt(17)
	v_mul_f64 v[120:121], v[80:81], v[14:15]
	v_fmac_f64_e32 v[2:3], v[78:79], v[4:5]
	s_waitcnt vmcnt(16)
	v_mul_f64 v[124:125], v[84:85], v[10:11]
	v_fmac_f64_e32 v[120:121], v[82:83], v[12:13]
	v_add_f64 v[2:3], v[2:3], 0
	s_waitcnt vmcnt(15)
	v_mul_f64 v[206:207], v[88:89], v[18:19]
	v_fmac_f64_e32 v[124:125], v[86:87], v[8:9]
	v_add_f64 v[2:3], v[2:3], v[120:121]
	s_waitcnt vmcnt(14) lgkmcnt(13)
	v_mul_f64 v[208:209], v[92:93], v[22:23]
	v_fmac_f64_e32 v[206:207], v[90:91], v[16:17]
	v_add_f64 v[2:3], v[2:3], v[124:125]
	s_waitcnt vmcnt(13) lgkmcnt(12)
	;; [unrolled: 4-line block ×13, first 2 shown]
	v_mul_f64 v[232:233], v[194:195], v[70:71]
	v_mul_f64 v[6:7], v[78:79], v[6:7]
	v_fmac_f64_e32 v[230:231], v[192:193], v[64:65]
	v_add_f64 v[2:3], v[2:3], v[228:229]
	s_waitcnt vmcnt(1) lgkmcnt(0)
	v_mul_f64 v[234:235], v[198:199], v[74:75]
	v_mul_f64 v[14:15], v[82:83], v[14:15]
	v_fmac_f64_e32 v[232:233], v[196:197], v[68:69]
	v_fma_f64 v[4:5], v[76:77], v[4:5], -v[6:7]
	v_add_f64 v[2:3], v[2:3], v[230:231]
	v_mul_f64 v[10:11], v[86:87], v[10:11]
	v_fmac_f64_e32 v[234:235], v[200:201], v[72:73]
	v_fma_f64 v[6:7], v[80:81], v[12:13], -v[14:15]
	v_add_f64 v[4:5], v[4:5], 0
	v_add_f64 v[2:3], v[2:3], v[232:233]
	;; [unrolled: 1-line block ×4, first 2 shown]
	v_fma_f64 v[2:3], v[84:85], v[8:9], -v[10:11]
	v_add_f64 v[2:3], v[4:5], v[2:3]
	v_mul_f64 v[4:5], v[90:91], v[18:19]
	v_fma_f64 v[4:5], v[88:89], v[16:17], -v[4:5]
	v_add_f64 v[2:3], v[2:3], v[4:5]
	v_mul_f64 v[4:5], v[94:95], v[22:23]
	;; [unrolled: 3-line block ×15, first 2 shown]
	v_fma_f64 v[4:5], v[198:199], v[72:73], -v[4:5]
	v_add_f64 v[2:3], v[2:3], v[4:5]
	s_waitcnt vmcnt(0)
	v_add_f64 v[2:3], v[202:203], -v[2:3]
	v_add_f64 v[4:5], v[204:205], -v[6:7]
	scratch_store_dwordx4 off, v[2:5], off offset:80
	s_and_saveexec_b64 s[2:3], vcc
	s_cbranch_execz .LBB23_149
; %bb.148:
	scratch_load_dwordx4 v[2:5], off, s16
	v_mov_b32_e32 v6, 0
	v_mov_b32_e32 v7, v6
	;; [unrolled: 1-line block ×4, first 2 shown]
	scratch_store_dwordx4 off, v[6:9], off offset:64
	s_waitcnt vmcnt(1)
	ds_write_b128 v122, v[2:5]
.LBB23_149:
	s_or_b64 exec, exec, s[2:3]
	s_waitcnt lgkmcnt(0)
	; wave barrier
	scratch_load_dwordx4 v[8:11], off, off offset:80
	scratch_load_dwordx4 v[4:7], off, off offset:96
	;; [unrolled: 1-line block ×20, first 2 shown]
	v_mov_b32_e32 v2, 0
	ds_read_b128 v[84:87], v2 offset:464
	ds_read_b128 v[88:91], v2 offset:480
	;; [unrolled: 1-line block ×19, first 2 shown]
	v_cmp_lt_u32_e32 vcc, 3, v1
	s_waitcnt vmcnt(19) lgkmcnt(14)
	v_mul_f64 v[120:121], v[84:85], v[10:11]
	v_mul_f64 v[10:11], v[86:87], v[10:11]
	s_waitcnt vmcnt(18)
	v_mul_f64 v[124:125], v[88:89], v[6:7]
	v_fmac_f64_e32 v[120:121], v[86:87], v[8:9]
	v_fma_f64 v[8:9], v[84:85], v[8:9], -v[10:11]
	v_mul_f64 v[6:7], v[90:91], v[6:7]
	v_fmac_f64_e32 v[124:125], v[90:91], v[4:5]
	v_add_f64 v[8:9], v[8:9], 0
	v_fma_f64 v[4:5], v[88:89], v[4:5], -v[6:7]
	s_waitcnt vmcnt(17)
	v_mul_f64 v[6:7], v[94:95], v[14:15]
	v_add_f64 v[4:5], v[8:9], v[4:5]
	v_fma_f64 v[6:7], v[92:93], v[12:13], -v[6:7]
	v_add_f64 v[4:5], v[4:5], v[6:7]
	s_waitcnt vmcnt(16)
	v_mul_f64 v[6:7], v[98:99], v[18:19]
	v_fma_f64 v[6:7], v[96:97], v[16:17], -v[6:7]
	v_add_f64 v[4:5], v[4:5], v[6:7]
	s_waitcnt vmcnt(15)
	v_mul_f64 v[6:7], v[102:103], v[22:23]
	v_fma_f64 v[6:7], v[100:101], v[20:21], -v[6:7]
	v_add_f64 v[4:5], v[4:5], v[6:7]
	s_waitcnt vmcnt(14) lgkmcnt(13)
	v_mul_f64 v[6:7], v[106:107], v[26:27]
	v_fma_f64 v[6:7], v[104:105], v[24:25], -v[6:7]
	v_add_f64 v[4:5], v[4:5], v[6:7]
	s_waitcnt vmcnt(13) lgkmcnt(12)
	;; [unrolled: 4-line block ×5, first 2 shown]
	v_mul_f64 v[6:7], v[176:177], v[42:43]
	v_fma_f64 v[6:7], v[174:175], v[40:41], -v[6:7]
	v_mul_f64 v[214:215], v[92:93], v[14:15]
	v_add_f64 v[10:11], v[120:121], 0
	v_add_f64 v[4:5], v[4:5], v[6:7]
	s_waitcnt vmcnt(9) lgkmcnt(8)
	v_mul_f64 v[6:7], v[180:181], v[46:47]
	v_mul_f64 v[216:217], v[96:97], v[18:19]
	v_fmac_f64_e32 v[214:215], v[94:95], v[12:13]
	v_add_f64 v[10:11], v[10:11], v[124:125]
	v_fma_f64 v[6:7], v[178:179], v[44:45], -v[6:7]
	v_mul_f64 v[218:219], v[100:101], v[22:23]
	v_fmac_f64_e32 v[216:217], v[98:99], v[16:17]
	v_add_f64 v[10:11], v[10:11], v[214:215]
	v_add_f64 v[4:5], v[4:5], v[6:7]
	s_waitcnt vmcnt(8) lgkmcnt(7)
	v_mul_f64 v[6:7], v[184:185], v[50:51]
	v_mul_f64 v[220:221], v[104:105], v[26:27]
	v_fmac_f64_e32 v[218:219], v[102:103], v[20:21]
	v_add_f64 v[10:11], v[10:11], v[216:217]
	v_fma_f64 v[6:7], v[182:183], v[48:49], -v[6:7]
	v_mul_f64 v[222:223], v[108:109], v[30:31]
	v_fmac_f64_e32 v[220:221], v[106:107], v[24:25]
	;; [unrolled: 10-line block ×7, first 2 shown]
	v_add_f64 v[10:11], v[10:11], v[238:239]
	v_add_f64 v[4:5], v[4:5], v[6:7]
	s_waitcnt vmcnt(2) lgkmcnt(1)
	v_mul_f64 v[6:7], v[208:209], v[74:75]
	v_mul_f64 v[244:245], v[206:207], v[74:75]
	v_fmac_f64_e32 v[242:243], v[204:205], v[68:69]
	v_add_f64 v[10:11], v[10:11], v[240:241]
	v_fma_f64 v[6:7], v[206:207], v[72:73], -v[6:7]
	s_waitcnt vmcnt(1) lgkmcnt(0)
	v_mul_f64 v[246:247], v[210:211], v[78:79]
	v_fmac_f64_e32 v[244:245], v[208:209], v[72:73]
	v_add_f64 v[10:11], v[10:11], v[242:243]
	v_add_f64 v[4:5], v[4:5], v[6:7]
	v_mul_f64 v[6:7], v[212:213], v[78:79]
	v_fmac_f64_e32 v[246:247], v[212:213], v[76:77]
	v_add_f64 v[10:11], v[10:11], v[244:245]
	v_fma_f64 v[6:7], v[210:211], v[76:77], -v[6:7]
	v_add_f64 v[10:11], v[10:11], v[246:247]
	v_add_f64 v[4:5], v[4:5], v[6:7]
	s_waitcnt vmcnt(0)
	v_add_f64 v[4:5], v[80:81], -v[4:5]
	v_add_f64 v[6:7], v[82:83], -v[10:11]
	scratch_store_dwordx4 off, v[4:7], off offset:64
	s_and_saveexec_b64 s[2:3], vcc
	s_cbranch_execz .LBB23_151
; %bb.150:
	scratch_load_dwordx4 v[6:9], off, s15
	v_mov_b32_e32 v3, v2
	v_mov_b32_e32 v4, v2
	;; [unrolled: 1-line block ×3, first 2 shown]
	scratch_store_dwordx4 off, v[2:5], off offset:48
	s_waitcnt vmcnt(1)
	ds_write_b128 v122, v[6:9]
.LBB23_151:
	s_or_b64 exec, exec, s[2:3]
	s_waitcnt lgkmcnt(0)
	; wave barrier
	ds_read_b128 v[16:19], v2 offset:448
	ds_read_b128 v[12:15], v2 offset:464
	;; [unrolled: 1-line block ×4, first 2 shown]
	scratch_load_dwordx4 v[20:23], off, off offset:64
	scratch_load_dwordx4 v[40:43], off, off offset:128
	;; [unrolled: 1-line block ×14, first 2 shown]
	v_cmp_lt_u32_e32 vcc, 2, v1
	scratch_load_dwordx4 v[48:51], off, off offset:144
	scratch_load_dwordx4 v[56:59], off, off offset:160
	;; [unrolled: 1-line block ×3, first 2 shown]
	ds_read_b128 v[178:181], v2 offset:688
	ds_read_b128 v[186:189], v2 offset:704
	;; [unrolled: 1-line block ×5, first 2 shown]
	s_waitcnt vmcnt(16) lgkmcnt(8)
	v_mul_f64 v[24:25], v[16:17], v[22:23]
	v_fmac_f64_e32 v[24:25], v[18:19], v[20:21]
	v_add_f64 v[28:29], v[24:25], 0
	scratch_load_dwordx4 v[24:27], off, off offset:80
	s_waitcnt vmcnt(0) lgkmcnt(7)
	v_mul_f64 v[30:31], v[12:13], v[26:27]
	v_fmac_f64_e32 v[30:31], v[14:15], v[24:25]
	v_add_f64 v[32:33], v[28:29], v[30:31]
	scratch_load_dwordx4 v[28:31], off, off offset:96
	v_mul_f64 v[14:15], v[14:15], v[26:27]
	v_fma_f64 v[12:13], v[12:13], v[24:25], -v[14:15]
	s_waitcnt vmcnt(0) lgkmcnt(6)
	v_mul_f64 v[34:35], v[8:9], v[30:31]
	v_fmac_f64_e32 v[34:35], v[10:11], v[28:29]
	v_add_f64 v[36:37], v[32:33], v[34:35]
	scratch_load_dwordx4 v[32:35], off, off offset:112
	v_mul_f64 v[10:11], v[10:11], v[30:31]
	v_fma_f64 v[8:9], v[8:9], v[28:29], -v[10:11]
	s_waitcnt vmcnt(0) lgkmcnt(5)
	v_mul_f64 v[38:39], v[4:5], v[34:35]
	v_fmac_f64_e32 v[38:39], v[6:7], v[32:33]
	v_add_f64 v[44:45], v[36:37], v[38:39]
	ds_read_b128 v[36:39], v2 offset:512
	v_mul_f64 v[6:7], v[6:7], v[34:35]
	v_fma_f64 v[4:5], v[4:5], v[32:33], -v[6:7]
	s_waitcnt lgkmcnt(0)
	v_mul_f64 v[46:47], v[36:37], v[42:43]
	v_fmac_f64_e32 v[46:47], v[38:39], v[40:41]
	v_add_f64 v[52:53], v[44:45], v[46:47]
	ds_read_b128 v[44:47], v2 offset:528
	s_waitcnt lgkmcnt(0)
	v_mul_f64 v[54:55], v[44:45], v[50:51]
	v_fmac_f64_e32 v[54:55], v[46:47], v[48:49]
	v_add_f64 v[60:61], v[52:53], v[54:55]
	ds_read_b128 v[52:55], v2 offset:544
	;; [unrolled: 5-line block ×10, first 2 shown]
	v_mul_f64 v[2:3], v[210:211], v[216:217]
	v_fmac_f64_e32 v[2:3], v[212:213], v[214:215]
	s_waitcnt lgkmcnt(0)
	v_mul_f64 v[124:125], v[118:119], v[176:177]
	v_fmac_f64_e32 v[124:125], v[120:121], v[174:175]
	v_add_f64 v[96:97], v[96:97], v[124:125]
	v_mul_f64 v[124:125], v[178:179], v[184:185]
	v_fmac_f64_e32 v[124:125], v[180:181], v[182:183]
	v_add_f64 v[96:97], v[96:97], v[124:125]
	;; [unrolled: 3-line block ×5, first 2 shown]
	v_add_f64 v[96:97], v[96:97], v[2:3]
	v_mul_f64 v[2:3], v[18:19], v[22:23]
	v_fma_f64 v[2:3], v[16:17], v[20:21], -v[2:3]
	v_add_f64 v[2:3], v[2:3], 0
	v_add_f64 v[2:3], v[2:3], v[12:13]
	;; [unrolled: 1-line block ×4, first 2 shown]
	v_mul_f64 v[4:5], v[38:39], v[42:43]
	v_fma_f64 v[4:5], v[36:37], v[40:41], -v[4:5]
	v_add_f64 v[2:3], v[2:3], v[4:5]
	v_mul_f64 v[4:5], v[46:47], v[50:51]
	v_fma_f64 v[4:5], v[44:45], v[48:49], -v[4:5]
	v_add_f64 v[2:3], v[2:3], v[4:5]
	;; [unrolled: 3-line block ×16, first 2 shown]
	scratch_load_dwordx4 v[2:5], off, off offset:48
	s_waitcnt vmcnt(0)
	v_add_f64 v[2:3], v[2:3], -v[6:7]
	v_add_f64 v[4:5], v[4:5], -v[96:97]
	scratch_store_dwordx4 off, v[2:5], off offset:48
	s_and_saveexec_b64 s[2:3], vcc
	s_cbranch_execz .LBB23_153
; %bb.152:
	scratch_load_dwordx4 v[2:5], off, s14
	v_mov_b32_e32 v6, 0
	v_mov_b32_e32 v7, v6
	v_mov_b32_e32 v8, v6
	v_mov_b32_e32 v9, v6
	scratch_store_dwordx4 off, v[6:9], off offset:32
	s_waitcnt vmcnt(1)
	ds_write_b128 v122, v[2:5]
.LBB23_153:
	s_or_b64 exec, exec, s[2:3]
	v_mov_b32_e32 v2, 0
	s_waitcnt lgkmcnt(0)
	; wave barrier
	ds_read_b128 v[16:19], v2 offset:432
	ds_read_b128 v[12:15], v2 offset:448
	;; [unrolled: 1-line block ×4, first 2 shown]
	scratch_load_dwordx4 v[20:23], off, off offset:48
	scratch_load_dwordx4 v[40:43], off, off offset:112
	;; [unrolled: 1-line block ×15, first 2 shown]
	v_cmp_lt_u32_e32 vcc, 1, v1
	scratch_load_dwordx4 v[48:51], off, off offset:128
	scratch_load_dwordx4 v[56:59], off, off offset:144
	;; [unrolled: 1-line block ×3, first 2 shown]
	ds_read_b128 v[178:181], v2 offset:672
	ds_read_b128 v[186:189], v2 offset:688
	;; [unrolled: 1-line block ×6, first 2 shown]
	s_waitcnt vmcnt(17) lgkmcnt(9)
	v_mul_f64 v[24:25], v[16:17], v[22:23]
	v_fmac_f64_e32 v[24:25], v[18:19], v[20:21]
	v_add_f64 v[28:29], v[24:25], 0
	scratch_load_dwordx4 v[24:27], off, off offset:64
	v_mul_f64 v[18:19], v[18:19], v[22:23]
	v_fma_f64 v[16:17], v[16:17], v[20:21], -v[18:19]
	v_add_f64 v[16:17], v[16:17], 0
	s_waitcnt vmcnt(0) lgkmcnt(8)
	v_mul_f64 v[30:31], v[12:13], v[26:27]
	v_fmac_f64_e32 v[30:31], v[14:15], v[24:25]
	v_add_f64 v[32:33], v[28:29], v[30:31]
	scratch_load_dwordx4 v[28:31], off, off offset:80
	v_mul_f64 v[14:15], v[14:15], v[26:27]
	v_fma_f64 v[12:13], v[12:13], v[24:25], -v[14:15]
	v_add_f64 v[12:13], v[16:17], v[12:13]
	s_waitcnt vmcnt(0) lgkmcnt(7)
	v_mul_f64 v[34:35], v[8:9], v[30:31]
	v_fmac_f64_e32 v[34:35], v[10:11], v[28:29]
	v_add_f64 v[36:37], v[32:33], v[34:35]
	scratch_load_dwordx4 v[32:35], off, off offset:96
	v_mul_f64 v[10:11], v[10:11], v[30:31]
	v_fma_f64 v[8:9], v[8:9], v[28:29], -v[10:11]
	v_add_f64 v[8:9], v[12:13], v[8:9]
	s_waitcnt vmcnt(0) lgkmcnt(6)
	v_mul_f64 v[38:39], v[4:5], v[34:35]
	v_fmac_f64_e32 v[38:39], v[6:7], v[32:33]
	v_add_f64 v[44:45], v[36:37], v[38:39]
	ds_read_b128 v[36:39], v2 offset:496
	v_mul_f64 v[6:7], v[6:7], v[34:35]
	v_fma_f64 v[4:5], v[4:5], v[32:33], -v[6:7]
	v_add_f64 v[4:5], v[8:9], v[4:5]
	s_waitcnt lgkmcnt(0)
	v_mul_f64 v[46:47], v[36:37], v[42:43]
	v_fmac_f64_e32 v[46:47], v[38:39], v[40:41]
	v_add_f64 v[52:53], v[44:45], v[46:47]
	ds_read_b128 v[44:47], v2 offset:512
	v_mul_f64 v[6:7], v[38:39], v[42:43]
	v_fma_f64 v[6:7], v[36:37], v[40:41], -v[6:7]
	v_add_f64 v[4:5], v[4:5], v[6:7]
	s_waitcnt lgkmcnt(0)
	;; [unrolled: 8-line block ×11, first 2 shown]
	v_mul_f64 v[6:7], v[120:121], v[176:177]
	v_fma_f64 v[6:7], v[118:119], v[174:175], -v[6:7]
	v_add_f64 v[4:5], v[4:5], v[6:7]
	v_mul_f64 v[6:7], v[180:181], v[184:185]
	v_fma_f64 v[6:7], v[178:179], v[182:183], -v[6:7]
	v_add_f64 v[4:5], v[4:5], v[6:7]
	;; [unrolled: 3-line block ×7, first 2 shown]
	scratch_load_dwordx4 v[4:7], off, off offset:32
	v_mul_f64 v[124:125], v[118:119], v[176:177]
	v_fmac_f64_e32 v[124:125], v[120:121], v[174:175]
	v_add_f64 v[104:105], v[104:105], v[124:125]
	v_mul_f64 v[124:125], v[178:179], v[184:185]
	v_fmac_f64_e32 v[124:125], v[180:181], v[182:183]
	v_add_f64 v[104:105], v[104:105], v[124:125]
	;; [unrolled: 3-line block ×7, first 2 shown]
	s_waitcnt vmcnt(0)
	v_add_f64 v[4:5], v[4:5], -v[8:9]
	v_add_f64 v[6:7], v[6:7], -v[104:105]
	scratch_store_dwordx4 off, v[4:7], off offset:32
	s_and_saveexec_b64 s[2:3], vcc
	s_cbranch_execz .LBB23_155
; %bb.154:
	scratch_load_dwordx4 v[6:9], off, s18
	v_mov_b32_e32 v3, v2
	v_mov_b32_e32 v4, v2
	;; [unrolled: 1-line block ×3, first 2 shown]
	scratch_store_dwordx4 off, v[2:5], off offset:16
	s_waitcnt vmcnt(1)
	ds_write_b128 v122, v[6:9]
.LBB23_155:
	s_or_b64 exec, exec, s[2:3]
	s_waitcnt lgkmcnt(0)
	; wave barrier
	ds_read_b128 v[16:19], v2 offset:416
	ds_read_b128 v[12:15], v2 offset:432
	;; [unrolled: 1-line block ×4, first 2 shown]
	scratch_load_dwordx4 v[20:23], off, off offset:32
	scratch_load_dwordx4 v[40:43], off, off offset:96
	scratch_load_dwordx4 v[72:75], off, off offset:160
	scratch_load_dwordx4 v[80:83], off, off offset:176
	scratch_load_dwordx4 v[88:91], off, off offset:192
	scratch_load_dwordx4 v[96:99], off, off offset:208
	scratch_load_dwordx4 v[104:107], off, off offset:224
	scratch_load_dwordx4 v[112:115], off, off offset:240
	scratch_load_dwordx4 v[174:177], off, off offset:256
	scratch_load_dwordx4 v[182:185], off, off offset:272
	scratch_load_dwordx4 v[190:193], off, off offset:288
	scratch_load_dwordx4 v[198:201], off, off offset:304
	scratch_load_dwordx4 v[206:209], off, off offset:320
	scratch_load_dwordx4 v[214:217], off, off offset:336
	scratch_load_dwordx4 v[222:225], off, off offset:352
	scratch_load_dwordx4 v[230:233], off, off offset:368
	v_cmp_ne_u32_e32 vcc, 0, v1
	scratch_load_dwordx4 v[48:51], off, off offset:112
	scratch_load_dwordx4 v[56:59], off, off offset:128
	;; [unrolled: 1-line block ×3, first 2 shown]
	ds_read_b128 v[178:181], v2 offset:656
	ds_read_b128 v[186:189], v2 offset:672
	;; [unrolled: 1-line block ×7, first 2 shown]
	s_waitcnt vmcnt(18) lgkmcnt(10)
	v_mul_f64 v[24:25], v[16:17], v[22:23]
	v_fmac_f64_e32 v[24:25], v[18:19], v[20:21]
	v_add_f64 v[28:29], v[24:25], 0
	scratch_load_dwordx4 v[24:27], off, off offset:48
	s_waitcnt vmcnt(0) lgkmcnt(9)
	v_mul_f64 v[30:31], v[12:13], v[26:27]
	v_fmac_f64_e32 v[30:31], v[14:15], v[24:25]
	v_add_f64 v[32:33], v[28:29], v[30:31]
	scratch_load_dwordx4 v[28:31], off, off offset:64
	v_mul_f64 v[14:15], v[14:15], v[26:27]
	v_fma_f64 v[12:13], v[12:13], v[24:25], -v[14:15]
	s_waitcnt vmcnt(0) lgkmcnt(8)
	v_mul_f64 v[34:35], v[8:9], v[30:31]
	v_fmac_f64_e32 v[34:35], v[10:11], v[28:29]
	v_add_f64 v[36:37], v[32:33], v[34:35]
	scratch_load_dwordx4 v[32:35], off, off offset:80
	v_mul_f64 v[10:11], v[10:11], v[30:31]
	v_fma_f64 v[8:9], v[8:9], v[28:29], -v[10:11]
	s_waitcnt vmcnt(0) lgkmcnt(7)
	v_mul_f64 v[38:39], v[4:5], v[34:35]
	v_fmac_f64_e32 v[38:39], v[6:7], v[32:33]
	v_add_f64 v[44:45], v[36:37], v[38:39]
	ds_read_b128 v[36:39], v2 offset:480
	v_mul_f64 v[6:7], v[6:7], v[34:35]
	v_fma_f64 v[4:5], v[4:5], v[32:33], -v[6:7]
	s_waitcnt lgkmcnt(0)
	v_mul_f64 v[46:47], v[36:37], v[42:43]
	v_fmac_f64_e32 v[46:47], v[38:39], v[40:41]
	v_add_f64 v[52:53], v[44:45], v[46:47]
	ds_read_b128 v[44:47], v2 offset:496
	s_waitcnt lgkmcnt(0)
	v_mul_f64 v[54:55], v[44:45], v[50:51]
	v_fmac_f64_e32 v[54:55], v[46:47], v[48:49]
	v_add_f64 v[60:61], v[52:53], v[54:55]
	ds_read_b128 v[52:55], v2 offset:512
	;; [unrolled: 5-line block ×10, first 2 shown]
	v_mul_f64 v[2:3], v[226:227], v[232:233]
	v_fmac_f64_e32 v[2:3], v[228:229], v[230:231]
	s_waitcnt lgkmcnt(0)
	v_mul_f64 v[124:125], v[116:117], v[176:177]
	v_fmac_f64_e32 v[124:125], v[118:119], v[174:175]
	v_add_f64 v[120:121], v[120:121], v[124:125]
	v_mul_f64 v[124:125], v[178:179], v[184:185]
	v_fmac_f64_e32 v[124:125], v[180:181], v[182:183]
	v_add_f64 v[120:121], v[120:121], v[124:125]
	;; [unrolled: 3-line block ×7, first 2 shown]
	v_add_f64 v[120:121], v[120:121], v[2:3]
	v_mul_f64 v[2:3], v[18:19], v[22:23]
	v_fma_f64 v[2:3], v[16:17], v[20:21], -v[2:3]
	v_add_f64 v[2:3], v[2:3], 0
	v_add_f64 v[2:3], v[2:3], v[12:13]
	;; [unrolled: 1-line block ×4, first 2 shown]
	v_mul_f64 v[4:5], v[38:39], v[42:43]
	v_fma_f64 v[4:5], v[36:37], v[40:41], -v[4:5]
	v_add_f64 v[2:3], v[2:3], v[4:5]
	v_mul_f64 v[4:5], v[46:47], v[50:51]
	v_fma_f64 v[4:5], v[44:45], v[48:49], -v[4:5]
	v_add_f64 v[2:3], v[2:3], v[4:5]
	v_mul_f64 v[4:5], v[54:55], v[58:59]
	v_fma_f64 v[4:5], v[52:53], v[56:57], -v[4:5]
	v_add_f64 v[2:3], v[2:3], v[4:5]
	v_mul_f64 v[4:5], v[62:63], v[66:67]
	v_fma_f64 v[4:5], v[60:61], v[64:65], -v[4:5]
	v_add_f64 v[2:3], v[2:3], v[4:5]
	v_mul_f64 v[4:5], v[70:71], v[74:75]
	v_fma_f64 v[4:5], v[68:69], v[72:73], -v[4:5]
	v_add_f64 v[2:3], v[2:3], v[4:5]
	v_mul_f64 v[4:5], v[78:79], v[82:83]
	v_fma_f64 v[4:5], v[76:77], v[80:81], -v[4:5]
	v_add_f64 v[2:3], v[2:3], v[4:5]
	v_mul_f64 v[4:5], v[86:87], v[90:91]
	v_fma_f64 v[4:5], v[84:85], v[88:89], -v[4:5]
	v_add_f64 v[2:3], v[2:3], v[4:5]
	v_mul_f64 v[4:5], v[94:95], v[98:99]
	v_fma_f64 v[4:5], v[92:93], v[96:97], -v[4:5]
	v_add_f64 v[2:3], v[2:3], v[4:5]
	v_mul_f64 v[4:5], v[102:103], v[106:107]
	v_fma_f64 v[4:5], v[100:101], v[104:105], -v[4:5]
	v_add_f64 v[2:3], v[2:3], v[4:5]
	v_mul_f64 v[4:5], v[110:111], v[114:115]
	v_fma_f64 v[4:5], v[108:109], v[112:113], -v[4:5]
	v_add_f64 v[2:3], v[2:3], v[4:5]
	v_mul_f64 v[4:5], v[118:119], v[176:177]
	v_fma_f64 v[4:5], v[116:117], v[174:175], -v[4:5]
	v_add_f64 v[2:3], v[2:3], v[4:5]
	v_mul_f64 v[4:5], v[180:181], v[184:185]
	v_fma_f64 v[4:5], v[178:179], v[182:183], -v[4:5]
	v_add_f64 v[2:3], v[2:3], v[4:5]
	v_mul_f64 v[4:5], v[188:189], v[192:193]
	v_fma_f64 v[4:5], v[186:187], v[190:191], -v[4:5]
	v_add_f64 v[2:3], v[2:3], v[4:5]
	v_mul_f64 v[4:5], v[196:197], v[200:201]
	v_fma_f64 v[4:5], v[194:195], v[198:199], -v[4:5]
	v_add_f64 v[2:3], v[2:3], v[4:5]
	v_mul_f64 v[4:5], v[204:205], v[208:209]
	v_fma_f64 v[4:5], v[202:203], v[206:207], -v[4:5]
	v_add_f64 v[2:3], v[2:3], v[4:5]
	v_mul_f64 v[4:5], v[212:213], v[216:217]
	v_fma_f64 v[4:5], v[210:211], v[214:215], -v[4:5]
	v_add_f64 v[2:3], v[2:3], v[4:5]
	v_mul_f64 v[4:5], v[220:221], v[224:225]
	v_fma_f64 v[4:5], v[218:219], v[222:223], -v[4:5]
	v_add_f64 v[2:3], v[2:3], v[4:5]
	v_mul_f64 v[4:5], v[228:229], v[232:233]
	v_fma_f64 v[4:5], v[226:227], v[230:231], -v[4:5]
	v_add_f64 v[6:7], v[2:3], v[4:5]
	scratch_load_dwordx4 v[2:5], off, off offset:16
	s_waitcnt vmcnt(0)
	v_add_f64 v[2:3], v[2:3], -v[6:7]
	v_add_f64 v[4:5], v[4:5], -v[120:121]
	scratch_store_dwordx4 off, v[2:5], off offset:16
	s_and_saveexec_b64 s[2:3], vcc
	s_cbranch_execz .LBB23_157
; %bb.156:
	scratch_load_dwordx4 v[2:5], off, off
	v_mov_b32_e32 v6, 0
	v_mov_b32_e32 v7, v6
	;; [unrolled: 1-line block ×4, first 2 shown]
	scratch_store_dwordx4 off, v[6:9], off
	s_waitcnt vmcnt(1)
	ds_write_b128 v122, v[2:5]
.LBB23_157:
	s_or_b64 exec, exec, s[2:3]
	v_mov_b32_e32 v176, 0
	s_waitcnt lgkmcnt(0)
	; wave barrier
	ds_read_b128 v[14:17], v176 offset:400
	ds_read_b128 v[10:13], v176 offset:416
	ds_read_b128 v[6:9], v176 offset:432
	ds_read_b128 v[2:5], v176 offset:448
	scratch_load_dwordx4 v[18:21], off, off offset:16
	scratch_load_dwordx4 v[38:41], off, off offset:80
	scratch_load_dwordx4 v[70:73], off, off offset:144
	scratch_load_dwordx4 v[78:81], off, off offset:160
	scratch_load_dwordx4 v[86:89], off, off offset:176
	scratch_load_dwordx4 v[94:97], off, off offset:192
	scratch_load_dwordx4 v[102:105], off, off offset:208
	scratch_load_dwordx4 v[110:113], off, off offset:224
	scratch_load_dwordx4 v[118:121], off, off offset:240
	scratch_load_dwordx4 v[178:181], off, off offset:256
	scratch_load_dwordx4 v[186:189], off, off offset:272
	scratch_load_dwordx4 v[194:197], off, off offset:288
	scratch_load_dwordx4 v[202:205], off, off offset:304
	scratch_load_dwordx4 v[210:213], off, off offset:320
	scratch_load_dwordx4 v[218:221], off, off offset:336
	scratch_load_dwordx4 v[226:229], off, off offset:352
	scratch_load_dwordx4 v[234:237], off, off offset:368
	s_and_b64 vcc, exec, s[22:23]
	scratch_load_dwordx4 v[46:49], off, off offset:96
	scratch_load_dwordx4 v[54:57], off, off offset:112
	;; [unrolled: 1-line block ×3, first 2 shown]
	s_waitcnt vmcnt(19) lgkmcnt(3)
	v_mul_f64 v[22:23], v[14:15], v[20:21]
	v_fmac_f64_e32 v[22:23], v[16:17], v[18:19]
	v_add_f64 v[26:27], v[22:23], 0
	scratch_load_dwordx4 v[22:25], off, off offset:32
	v_mul_f64 v[16:17], v[16:17], v[20:21]
	v_fma_f64 v[14:15], v[14:15], v[18:19], -v[16:17]
	v_add_f64 v[14:15], v[14:15], 0
	s_waitcnt vmcnt(0) lgkmcnt(2)
	v_mul_f64 v[28:29], v[10:11], v[24:25]
	v_fmac_f64_e32 v[28:29], v[12:13], v[22:23]
	v_add_f64 v[30:31], v[26:27], v[28:29]
	scratch_load_dwordx4 v[26:29], off, off offset:48
	v_mul_f64 v[12:13], v[12:13], v[24:25]
	v_fma_f64 v[10:11], v[10:11], v[22:23], -v[12:13]
	v_add_f64 v[10:11], v[14:15], v[10:11]
	;; [unrolled: 8-line block ×3, first 2 shown]
	s_waitcnt vmcnt(0) lgkmcnt(0)
	v_mul_f64 v[36:37], v[2:3], v[32:33]
	v_fmac_f64_e32 v[36:37], v[4:5], v[30:31]
	v_add_f64 v[42:43], v[34:35], v[36:37]
	ds_read_b128 v[34:37], v176 offset:464
	v_mul_f64 v[4:5], v[4:5], v[32:33]
	v_fma_f64 v[2:3], v[2:3], v[30:31], -v[4:5]
	v_add_f64 v[2:3], v[6:7], v[2:3]
	s_waitcnt lgkmcnt(0)
	v_mul_f64 v[44:45], v[34:35], v[40:41]
	v_fmac_f64_e32 v[44:45], v[36:37], v[38:39]
	v_add_f64 v[50:51], v[42:43], v[44:45]
	ds_read_b128 v[42:45], v176 offset:480
	v_mul_f64 v[4:5], v[36:37], v[40:41]
	v_fma_f64 v[4:5], v[34:35], v[38:39], -v[4:5]
	v_add_f64 v[2:3], v[2:3], v[4:5]
	s_waitcnt lgkmcnt(0)
	;; [unrolled: 8-line block ×19, first 2 shown]
	v_mul_f64 v[4:5], v[232:233], v[236:237]
	v_fma_f64 v[4:5], v[230:231], v[234:235], -v[4:5]
	v_add_f64 v[6:7], v[2:3], v[4:5]
	scratch_load_dwordx4 v[2:5], off, off
	v_mul_f64 v[238:239], v[230:231], v[236:237]
	v_fmac_f64_e32 v[238:239], v[232:233], v[234:235]
	v_add_f64 v[174:175], v[174:175], v[238:239]
	s_waitcnt vmcnt(0)
	v_add_f64 v[2:3], v[2:3], -v[6:7]
	v_add_f64 v[4:5], v[4:5], -v[174:175]
	scratch_store_dwordx4 off, v[2:5], off
	s_cbranch_vccz .LBB23_204
; %bb.158:
	global_load_dword v2, v176, s[20:21] offset:88
	s_load_dwordx2 s[2:3], s[0:1], 0x4
	v_bfe_u32 v3, v0, 10, 10
	v_bfe_u32 v0, v0, 20, 10
	s_waitcnt lgkmcnt(0)
	s_lshr_b32 s0, s2, 16
	s_mul_i32 s0, s0, s3
	v_mul_u32_u24_e32 v1, s0, v1
	v_mul_u32_u24_e32 v3, s3, v3
	v_add3_u32 v0, v1, v3, v0
	v_mov_b32_e32 v1, 0x308
	v_lshl_add_u32 v0, v0, 4, v1
	s_waitcnt vmcnt(0)
	v_readfirstlane_b32 s0, v2
	s_add_i32 s0, s0, -1
	s_cmp_lg_u32 s0, 22
	s_cbranch_scc0 .LBB23_160
; %bb.159:
	s_lshl_b32 s0, s0, 4
	scratch_load_dwordx4 v[2:5], off, s34
	scratch_load_dwordx4 v[6:9], off, s0
	s_waitcnt vmcnt(1)
	ds_write2_b64 v0, v[2:3], v[4:5] offset1:1
	s_waitcnt vmcnt(0)
	scratch_store_dwordx4 off, v[6:9], s34
	scratch_store_dwordx4 off, v[2:5], s0
.LBB23_160:
	v_mov_b32_e32 v1, 0
	global_load_dword v2, v1, s[20:21] offset:84
	s_waitcnt vmcnt(0)
	v_readfirstlane_b32 s0, v2
	s_add_i32 s0, s0, -1
	s_cmp_eq_u32 s0, 21
	s_cbranch_scc1 .LBB23_162
; %bb.161:
	s_lshl_b32 s0, s0, 4
	scratch_load_dwordx4 v[2:5], off, s33
	scratch_load_dwordx4 v[6:9], off, s0
	s_waitcnt vmcnt(1)
	ds_write2_b64 v0, v[2:3], v[4:5] offset1:1
	s_waitcnt vmcnt(0)
	scratch_store_dwordx4 off, v[6:9], s33
	scratch_store_dwordx4 off, v[2:5], s0
.LBB23_162:
	global_load_dword v1, v1, s[20:21] offset:80
	s_waitcnt vmcnt(0)
	v_readfirstlane_b32 s0, v1
	s_add_i32 s0, s0, -1
	s_cmp_eq_u32 s0, 20
	s_cbranch_scc1 .LBB23_164
; %bb.163:
	s_lshl_b32 s0, s0, 4
	scratch_load_dwordx4 v[2:5], off, s31
	scratch_load_dwordx4 v[6:9], off, s0
	s_waitcnt vmcnt(1)
	ds_write2_b64 v0, v[2:3], v[4:5] offset1:1
	s_waitcnt vmcnt(0)
	scratch_store_dwordx4 off, v[6:9], s31
	scratch_store_dwordx4 off, v[2:5], s0
.LBB23_164:
	v_mov_b32_e32 v1, 0
	global_load_dword v2, v1, s[20:21] offset:76
	s_waitcnt vmcnt(0)
	v_readfirstlane_b32 s0, v2
	s_add_i32 s0, s0, -1
	s_cmp_eq_u32 s0, 19
	s_cbranch_scc1 .LBB23_166
; %bb.165:
	s_lshl_b32 s0, s0, 4
	scratch_load_dwordx4 v[2:5], off, s37
	scratch_load_dwordx4 v[6:9], off, s0
	s_waitcnt vmcnt(1)
	ds_write2_b64 v0, v[2:3], v[4:5] offset1:1
	s_waitcnt vmcnt(0)
	scratch_store_dwordx4 off, v[6:9], s37
	scratch_store_dwordx4 off, v[2:5], s0
.LBB23_166:
	global_load_dword v1, v1, s[20:21] offset:72
	s_waitcnt vmcnt(0)
	v_readfirstlane_b32 s0, v1
	s_add_i32 s0, s0, -1
	s_cmp_eq_u32 s0, 18
	s_cbranch_scc1 .LBB23_168
; %bb.167:
	s_lshl_b32 s0, s0, 4
	scratch_load_dwordx4 v[2:5], off, s30
	scratch_load_dwordx4 v[6:9], off, s0
	s_waitcnt vmcnt(1)
	ds_write2_b64 v0, v[2:3], v[4:5] offset1:1
	s_waitcnt vmcnt(0)
	scratch_store_dwordx4 off, v[6:9], s30
	scratch_store_dwordx4 off, v[2:5], s0
.LBB23_168:
	;; [unrolled: 33-line block ×10, first 2 shown]
	v_mov_b32_e32 v1, 0
	global_load_dword v2, v1, s[20:21] offset:4
	s_waitcnt vmcnt(0)
	v_readfirstlane_b32 s0, v2
	s_add_i32 s0, s0, -1
	s_cmp_eq_u32 s0, 1
	s_cbranch_scc1 .LBB23_202
; %bb.201:
	s_lshl_b32 s0, s0, 4
	scratch_load_dwordx4 v[2:5], off, s18
	scratch_load_dwordx4 v[6:9], off, s0
	s_waitcnt vmcnt(1)
	ds_write2_b64 v0, v[2:3], v[4:5] offset1:1
	s_waitcnt vmcnt(0)
	scratch_store_dwordx4 off, v[6:9], s18
	scratch_store_dwordx4 off, v[2:5], s0
.LBB23_202:
	global_load_dword v1, v1, s[20:21]
	s_waitcnt vmcnt(0)
	v_readfirstlane_b32 s0, v1
	s_add_i32 s0, s0, -1
	s_cmp_eq_u32 s0, 0
	s_cbranch_scc1 .LBB23_204
; %bb.203:
	s_lshl_b32 s0, s0, 4
	scratch_load_dwordx4 v[2:5], off, off
	scratch_load_dwordx4 v[6:9], off, s0
	s_waitcnt vmcnt(1)
	ds_write2_b64 v0, v[2:3], v[4:5] offset1:1
	s_waitcnt vmcnt(0)
	scratch_store_dwordx4 off, v[6:9], off
	scratch_store_dwordx4 off, v[2:5], s0
.LBB23_204:
	scratch_load_dwordx4 v[0:3], off, off
	s_nop 0
	scratch_load_dwordx4 v[4:7], off, s18
	scratch_load_dwordx4 v[8:11], off, s14
	;; [unrolled: 1-line block ×15, first 2 shown]
                                        ; kill: killed $sgpr41
                                        ; kill: killed $sgpr18
                                        ; kill: killed $sgpr29
                                        ; kill: killed $sgpr40
                                        ; kill: killed $sgpr26
                                        ; kill: killed $sgpr39
                                        ; kill: killed $sgpr19
                                        ; kill: killed $sgpr36
                                        ; kill: killed $sgpr16
                                        ; kill: killed $sgpr28
                                        ; kill: killed $sgpr15
                                        ; kill: killed $sgpr25
                                        ; kill: killed $sgpr38
                                        ; kill: killed $sgpr14
                                        ; kill: killed $sgpr17
	scratch_load_dwordx4 v[64:67], off, s24
	scratch_load_dwordx4 v[68:71], off, s27
	;; [unrolled: 1-line block ×4, first 2 shown]
                                        ; kill: killed $sgpr37
                                        ; kill: killed $sgpr30
                                        ; kill: killed $sgpr27
                                        ; kill: killed $sgpr24
	scratch_load_dwordx4 v[80:83], off, s31
	scratch_load_dwordx4 v[84:87], off, s33
	;; [unrolled: 1-line block ×4, first 2 shown]
	s_waitcnt vmcnt(23)
	global_store_dwordx4 v[126:127], v[0:3], off
	s_waitcnt vmcnt(23)
	global_store_dwordx4 v[128:129], v[4:7], off
	;; [unrolled: 2-line block ×24, first 2 shown]
	s_endpgm
	.section	.rodata,"a",@progbits
	.p2align	6, 0x0
	.amdhsa_kernel _ZN9rocsolver6v33100L18getri_kernel_smallILi24E19rocblas_complex_numIdEPS3_EEvT1_iilPiilS6_bb
		.amdhsa_group_segment_fixed_size 1800
		.amdhsa_private_segment_fixed_size 400
		.amdhsa_kernarg_size 60
		.amdhsa_user_sgpr_count 4
		.amdhsa_user_sgpr_dispatch_ptr 1
		.amdhsa_user_sgpr_queue_ptr 0
		.amdhsa_user_sgpr_kernarg_segment_ptr 1
		.amdhsa_user_sgpr_dispatch_id 0
		.amdhsa_user_sgpr_kernarg_preload_length 0
		.amdhsa_user_sgpr_kernarg_preload_offset 0
		.amdhsa_user_sgpr_private_segment_size 0
		.amdhsa_uses_dynamic_stack 0
		.amdhsa_enable_private_segment 1
		.amdhsa_system_sgpr_workgroup_id_x 1
		.amdhsa_system_sgpr_workgroup_id_y 0
		.amdhsa_system_sgpr_workgroup_id_z 0
		.amdhsa_system_sgpr_workgroup_info 0
		.amdhsa_system_vgpr_workitem_id 2
		.amdhsa_next_free_vgpr 248
		.amdhsa_next_free_sgpr 42
		.amdhsa_accum_offset 248
		.amdhsa_reserve_vcc 1
		.amdhsa_float_round_mode_32 0
		.amdhsa_float_round_mode_16_64 0
		.amdhsa_float_denorm_mode_32 3
		.amdhsa_float_denorm_mode_16_64 3
		.amdhsa_dx10_clamp 1
		.amdhsa_ieee_mode 1
		.amdhsa_fp16_overflow 0
		.amdhsa_tg_split 0
		.amdhsa_exception_fp_ieee_invalid_op 0
		.amdhsa_exception_fp_denorm_src 0
		.amdhsa_exception_fp_ieee_div_zero 0
		.amdhsa_exception_fp_ieee_overflow 0
		.amdhsa_exception_fp_ieee_underflow 0
		.amdhsa_exception_fp_ieee_inexact 0
		.amdhsa_exception_int_div_zero 0
	.end_amdhsa_kernel
	.section	.text._ZN9rocsolver6v33100L18getri_kernel_smallILi24E19rocblas_complex_numIdEPS3_EEvT1_iilPiilS6_bb,"axG",@progbits,_ZN9rocsolver6v33100L18getri_kernel_smallILi24E19rocblas_complex_numIdEPS3_EEvT1_iilPiilS6_bb,comdat
.Lfunc_end23:
	.size	_ZN9rocsolver6v33100L18getri_kernel_smallILi24E19rocblas_complex_numIdEPS3_EEvT1_iilPiilS6_bb, .Lfunc_end23-_ZN9rocsolver6v33100L18getri_kernel_smallILi24E19rocblas_complex_numIdEPS3_EEvT1_iilPiilS6_bb
                                        ; -- End function
	.set _ZN9rocsolver6v33100L18getri_kernel_smallILi24E19rocblas_complex_numIdEPS3_EEvT1_iilPiilS6_bb.num_vgpr, 248
	.set _ZN9rocsolver6v33100L18getri_kernel_smallILi24E19rocblas_complex_numIdEPS3_EEvT1_iilPiilS6_bb.num_agpr, 0
	.set _ZN9rocsolver6v33100L18getri_kernel_smallILi24E19rocblas_complex_numIdEPS3_EEvT1_iilPiilS6_bb.numbered_sgpr, 42
	.set _ZN9rocsolver6v33100L18getri_kernel_smallILi24E19rocblas_complex_numIdEPS3_EEvT1_iilPiilS6_bb.num_named_barrier, 0
	.set _ZN9rocsolver6v33100L18getri_kernel_smallILi24E19rocblas_complex_numIdEPS3_EEvT1_iilPiilS6_bb.private_seg_size, 400
	.set _ZN9rocsolver6v33100L18getri_kernel_smallILi24E19rocblas_complex_numIdEPS3_EEvT1_iilPiilS6_bb.uses_vcc, 1
	.set _ZN9rocsolver6v33100L18getri_kernel_smallILi24E19rocblas_complex_numIdEPS3_EEvT1_iilPiilS6_bb.uses_flat_scratch, 0
	.set _ZN9rocsolver6v33100L18getri_kernel_smallILi24E19rocblas_complex_numIdEPS3_EEvT1_iilPiilS6_bb.has_dyn_sized_stack, 0
	.set _ZN9rocsolver6v33100L18getri_kernel_smallILi24E19rocblas_complex_numIdEPS3_EEvT1_iilPiilS6_bb.has_recursion, 0
	.set _ZN9rocsolver6v33100L18getri_kernel_smallILi24E19rocblas_complex_numIdEPS3_EEvT1_iilPiilS6_bb.has_indirect_call, 0
	.section	.AMDGPU.csdata,"",@progbits
; Kernel info:
; codeLenInByte = 29204
; TotalNumSgprs: 48
; NumVgprs: 248
; NumAgprs: 0
; TotalNumVgprs: 248
; ScratchSize: 400
; MemoryBound: 0
; FloatMode: 240
; IeeeMode: 1
; LDSByteSize: 1800 bytes/workgroup (compile time only)
; SGPRBlocks: 5
; VGPRBlocks: 30
; NumSGPRsForWavesPerEU: 48
; NumVGPRsForWavesPerEU: 248
; AccumOffset: 248
; Occupancy: 2
; WaveLimiterHint : 1
; COMPUTE_PGM_RSRC2:SCRATCH_EN: 1
; COMPUTE_PGM_RSRC2:USER_SGPR: 4
; COMPUTE_PGM_RSRC2:TRAP_HANDLER: 0
; COMPUTE_PGM_RSRC2:TGID_X_EN: 1
; COMPUTE_PGM_RSRC2:TGID_Y_EN: 0
; COMPUTE_PGM_RSRC2:TGID_Z_EN: 0
; COMPUTE_PGM_RSRC2:TIDIG_COMP_CNT: 2
; COMPUTE_PGM_RSRC3_GFX90A:ACCUM_OFFSET: 61
; COMPUTE_PGM_RSRC3_GFX90A:TG_SPLIT: 0
	.section	.text._ZN9rocsolver6v33100L18getri_kernel_smallILi25E19rocblas_complex_numIdEPS3_EEvT1_iilPiilS6_bb,"axG",@progbits,_ZN9rocsolver6v33100L18getri_kernel_smallILi25E19rocblas_complex_numIdEPS3_EEvT1_iilPiilS6_bb,comdat
	.globl	_ZN9rocsolver6v33100L18getri_kernel_smallILi25E19rocblas_complex_numIdEPS3_EEvT1_iilPiilS6_bb ; -- Begin function _ZN9rocsolver6v33100L18getri_kernel_smallILi25E19rocblas_complex_numIdEPS3_EEvT1_iilPiilS6_bb
	.p2align	8
	.type	_ZN9rocsolver6v33100L18getri_kernel_smallILi25E19rocblas_complex_numIdEPS3_EEvT1_iilPiilS6_bb,@function
_ZN9rocsolver6v33100L18getri_kernel_smallILi25E19rocblas_complex_numIdEPS3_EEvT1_iilPiilS6_bb: ; @_ZN9rocsolver6v33100L18getri_kernel_smallILi25E19rocblas_complex_numIdEPS3_EEvT1_iilPiilS6_bb
; %bb.0:
	v_and_b32_e32 v1, 0x3ff, v0
	v_cmp_gt_u32_e32 vcc, 25, v1
	s_and_saveexec_b64 s[6:7], vcc
	s_cbranch_execz .LBB24_114
; %bb.1:
	s_load_dword s6, s[2:3], 0x38
	s_load_dwordx4 s[16:19], s[2:3], 0x10
	s_load_dwordx4 s[8:11], s[2:3], 0x28
                                        ; implicit-def: $sgpr20_sgpr21
	s_waitcnt lgkmcnt(0)
	s_bitcmp1_b32 s6, 8
	s_cselect_b64 s[22:23], -1, 0
	s_ashr_i32 s5, s4, 31
	s_bfe_u32 s6, s6, 0x10008
	s_cmp_eq_u32 s6, 0
	s_cbranch_scc1 .LBB24_3
; %bb.2:
	s_load_dword s6, s[2:3], 0x20
	s_mul_i32 s7, s8, s5
	s_mul_hi_u32 s12, s8, s4
	s_mul_i32 s9, s9, s4
	s_add_i32 s12, s12, s7
	s_add_i32 s9, s12, s9
	s_mul_i32 s8, s8, s4
	s_waitcnt lgkmcnt(0)
	s_ashr_i32 s7, s6, 31
	s_lshl_b64 s[8:9], s[8:9], 2
	s_add_u32 s8, s18, s8
	s_addc_u32 s9, s19, s9
	s_lshl_b64 s[6:7], s[6:7], 2
	s_add_u32 s20, s8, s6
	s_addc_u32 s21, s9, s7
.LBB24_3:
	s_load_dwordx4 s[12:15], s[2:3], 0x0
	s_load_dword s6, s[2:3], 0x38
	s_mul_i32 s7, s16, s5
	s_mul_hi_u32 s8, s16, s4
	s_add_i32 s7, s8, s7
	s_mul_i32 s8, s17, s4
	s_add_i32 s9, s7, s8
	s_mul_i32 s8, s16, s4
	s_waitcnt lgkmcnt(0)
	s_ashr_i32 s3, s14, 31
	s_lshl_b64 s[8:9], s[8:9], 4
	s_mov_b32 s2, s14
	s_add_u32 s7, s12, s8
	s_addc_u32 s8, s13, s9
	s_lshl_b64 s[2:3], s[2:3], 4
	s_add_u32 s2, s7, s2
	s_addc_u32 s3, s8, s3
	s_add_i32 s7, s15, s15
	v_add_u32_e32 v16, s7, v1
	v_ashrrev_i32_e32 v17, 31, v16
	v_lshl_add_u64 v[152:153], v[16:17], 4, s[2:3]
	v_add_u32_e32 v16, s15, v16
	v_add_u32_e32 v24, s15, v16
	v_ashrrev_i32_e32 v25, 31, v24
	v_lshl_add_u64 v[156:157], v[24:25], 4, s[2:3]
	v_add_u32_e32 v24, s15, v24
	;; [unrolled: 4-line block ×3, first 2 shown]
	v_ashrrev_i32_e32 v33, 31, v32
	v_lshl_add_u64 v[162:163], v[32:33], 4, s[2:3]
	v_add_u32_e32 v32, s15, v32
	v_add_u32_e32 v40, s15, v32
	;; [unrolled: 1-line block ×6, first 2 shown]
	v_ashrrev_i32_e32 v57, 31, v56
	v_lshl_add_u64 v[174:175], v[56:57], 4, s[2:3]
	v_add_u32_e32 v56, s15, v56
	v_add_u32_e32 v64, s15, v56
	;; [unrolled: 1-line block ×5, first 2 shown]
	v_ashrrev_i32_e32 v81, 31, v80
	v_lshl_add_u64 v[184:185], v[80:81], 4, s[2:3]
	v_add_u32_e32 v80, s15, v80
	v_add_u32_e32 v88, s15, v80
	v_ashrrev_i32_e32 v89, 31, v88
	v_lshl_add_u64 v[188:189], v[88:89], 4, s[2:3]
	v_add_u32_e32 v88, s15, v88
	v_add_u32_e32 v96, s15, v88
	v_add_u32_e32 v100, s15, v96
	v_ashrrev_i32_e32 v101, 31, v100
	v_lshlrev_b32_e32 v14, 4, v1
	v_mov_b32_e32 v15, 0
	v_lshl_add_u64 v[194:195], v[100:101], 4, s[2:3]
	v_add_u32_e32 v100, s15, v100
	v_lshl_add_u64 v[148:149], s[2:3], 0, v[14:15]
	s_ashr_i32 s9, s15, 31
	s_mov_b32 s8, s15
	v_ashrrev_i32_e32 v17, 31, v16
	v_ashrrev_i32_e32 v25, 31, v24
	;; [unrolled: 1-line block ×9, first 2 shown]
	v_lshl_add_u64 v[150:151], s[8:9], 4, v[148:149]
	v_lshl_add_u64 v[154:155], v[16:17], 4, s[2:3]
	;; [unrolled: 1-line block ×3, first 2 shown]
	v_ashrrev_i32_e32 v33, 31, v32
	v_lshl_add_u64 v[166:167], v[40:41], 4, s[2:3]
	v_ashrrev_i32_e32 v43, 31, v42
	v_lshl_add_u64 v[170:171], v[48:49], 4, s[2:3]
	v_ashrrev_i32_e32 v51, 31, v50
	v_ashrrev_i32_e32 v57, 31, v56
	v_lshl_add_u64 v[178:179], v[64:65], 4, s[2:3]
	v_ashrrev_i32_e32 v67, 31, v66
	v_lshl_add_u64 v[182:183], v[72:73], 4, s[2:3]
	v_lshl_add_u64 v[186:187], v[80:81], 4, s[2:3]
	;; [unrolled: 1-line block ×3, first 2 shown]
	v_ashrrev_i32_e32 v97, 31, v96
	v_lshl_add_u64 v[196:197], v[100:101], 4, s[2:3]
	global_load_dwordx4 v[2:5], v14, s[2:3]
	global_load_dwordx4 v[6:9], v[150:151], off
	global_load_dwordx4 v[10:13], v[152:153], off
	;; [unrolled: 1-line block ×6, first 2 shown]
	v_lshl_add_u64 v[164:165], v[32:33], 4, s[2:3]
	global_load_dwordx4 v[32:35], v[162:163], off
	global_load_dwordx4 v[36:39], v[164:165], off
	v_lshl_add_u64 v[168:169], v[42:43], 4, s[2:3]
	global_load_dwordx4 v[40:43], v[166:167], off
	global_load_dwordx4 v[44:47], v[168:169], off
	;; [unrolled: 3-line block ×5, first 2 shown]
	global_load_dwordx4 v[72:75], v[182:183], off
	global_load_dwordx4 v[76:79], v[184:185], off
	;; [unrolled: 1-line block ×4, first 2 shown]
	v_lshl_add_u64 v[192:193], v[96:97], 4, s[2:3]
	global_load_dwordx4 v[88:91], v[190:191], off
	global_load_dwordx4 v[92:95], v[192:193], off
	;; [unrolled: 1-line block ×4, first 2 shown]
	s_mov_b32 s18, 16
	s_mov_b32 s14, 32
	;; [unrolled: 1-line block ×4, first 2 shown]
	s_movk_i32 s19, 0x50
	s_movk_i32 s25, 0x60
	;; [unrolled: 1-line block ×20, first 2 shown]
	s_bitcmp0_b32 s6, 0
	s_mov_b64 s[6:7], -1
	s_waitcnt vmcnt(24)
	scratch_store_dwordx4 off, v[2:5], off
	s_waitcnt vmcnt(24)
	scratch_store_dwordx4 off, v[6:9], off offset:16
	s_waitcnt vmcnt(24)
	scratch_store_dwordx4 off, v[10:13], off offset:32
	;; [unrolled: 2-line block ×24, first 2 shown]
	s_cbranch_scc1 .LBB24_112
; %bb.4:
	v_cmp_eq_u32_e64 s[2:3], 0, v1
	s_and_saveexec_b64 s[6:7], s[2:3]
; %bb.5:
	v_mov_b32_e32 v2, 0
	ds_write_b32 v2, v2 offset:800
; %bb.6:
	s_or_b64 exec, exec, s[6:7]
	s_waitcnt lgkmcnt(0)
	; wave barrier
	scratch_load_dwordx4 v[2:5], v14, off
	s_waitcnt vmcnt(0)
	v_cmp_eq_f64_e32 vcc, 0, v[2:3]
	v_cmp_eq_f64_e64 s[6:7], 0, v[4:5]
	s_and_b64 s[6:7], vcc, s[6:7]
	s_and_saveexec_b64 s[8:9], s[6:7]
	s_cbranch_execz .LBB24_10
; %bb.7:
	v_mov_b32_e32 v2, 0
	ds_read_b32 v4, v2 offset:800
	v_add_u32_e32 v3, 1, v1
	s_waitcnt lgkmcnt(0)
	v_readfirstlane_b32 s6, v4
	s_cmp_eq_u32 s6, 0
	s_cselect_b64 s[12:13], -1, 0
	v_cmp_gt_i32_e32 vcc, s6, v3
	s_or_b64 s[12:13], s[12:13], vcc
	s_and_b64 exec, exec, s[12:13]
	s_cbranch_execz .LBB24_10
; %bb.8:
	s_mov_b64 s[12:13], 0
	v_mov_b32_e32 v4, s6
.LBB24_9:                               ; =>This Inner Loop Header: Depth=1
	ds_cmpst_rtn_b32 v4, v2, v4, v3 offset:800
	s_waitcnt lgkmcnt(0)
	v_cmp_ne_u32_e32 vcc, 0, v4
	v_cmp_le_i32_e64 s[6:7], v4, v3
	s_and_b64 s[6:7], vcc, s[6:7]
	s_and_b64 s[6:7], exec, s[6:7]
	s_or_b64 s[12:13], s[6:7], s[12:13]
	s_andn2_b64 exec, exec, s[12:13]
	s_cbranch_execnz .LBB24_9
.LBB24_10:
	s_or_b64 exec, exec, s[8:9]
	v_mov_b32_e32 v3, 0
	; wave barrier
	ds_read_b32 v2, v3 offset:800
	s_and_saveexec_b64 s[6:7], s[2:3]
	s_cbranch_execz .LBB24_12
; %bb.11:
	s_lshl_b64 s[8:9], s[4:5], 2
	s_add_u32 s8, s10, s8
	s_addc_u32 s9, s11, s9
	s_waitcnt lgkmcnt(0)
	global_store_dword v3, v2, s[8:9]
.LBB24_12:
	s_or_b64 exec, exec, s[6:7]
	s_waitcnt lgkmcnt(0)
	v_cmp_ne_u32_e32 vcc, 0, v2
	s_mov_b64 s[6:7], 0
	s_cbranch_vccnz .LBB24_112
; %bb.13:
	v_mov_b32_e32 v15, v14
	scratch_load_dwordx4 v[2:5], v15, off
                                        ; implicit-def: $vgpr6_vgpr7
                                        ; implicit-def: $vgpr10_vgpr11
	s_waitcnt vmcnt(0)
	v_cmp_ngt_f64_e64 s[6:7], |v[2:3]|, |v[4:5]|
	s_and_saveexec_b64 s[8:9], s[6:7]
	s_xor_b64 s[6:7], exec, s[8:9]
	s_cbranch_execz .LBB24_15
; %bb.14:
	v_div_scale_f64 v[6:7], s[8:9], v[4:5], v[4:5], v[2:3]
	v_rcp_f64_e32 v[8:9], v[6:7]
	v_div_scale_f64 v[10:11], vcc, v[2:3], v[4:5], v[2:3]
	v_fma_f64 v[12:13], -v[6:7], v[8:9], 1.0
	v_fmac_f64_e32 v[8:9], v[8:9], v[12:13]
	v_fma_f64 v[12:13], -v[6:7], v[8:9], 1.0
	v_fmac_f64_e32 v[8:9], v[8:9], v[12:13]
	v_mul_f64 v[12:13], v[10:11], v[8:9]
	v_fma_f64 v[6:7], -v[6:7], v[12:13], v[10:11]
	v_div_fmas_f64 v[6:7], v[6:7], v[8:9], v[12:13]
	v_div_fixup_f64 v[6:7], v[6:7], v[4:5], v[2:3]
	v_fmac_f64_e32 v[4:5], v[2:3], v[6:7]
	v_div_scale_f64 v[2:3], s[8:9], v[4:5], v[4:5], 1.0
	v_rcp_f64_e32 v[8:9], v[2:3]
	s_nop 0
	v_fma_f64 v[10:11], -v[2:3], v[8:9], 1.0
	v_fmac_f64_e32 v[8:9], v[8:9], v[10:11]
	v_fma_f64 v[10:11], -v[2:3], v[8:9], 1.0
	v_fmac_f64_e32 v[8:9], v[8:9], v[10:11]
	v_div_scale_f64 v[10:11], vcc, 1.0, v[4:5], 1.0
	v_mul_f64 v[12:13], v[10:11], v[8:9]
	v_fma_f64 v[2:3], -v[2:3], v[12:13], v[10:11]
	s_nop 1
	v_div_fmas_f64 v[2:3], v[2:3], v[8:9], v[12:13]
	v_div_fixup_f64 v[8:9], v[2:3], v[4:5], 1.0
	v_mul_f64 v[6:7], v[6:7], v[8:9]
	v_xor_b32_e32 v9, 0x80000000, v9
	v_xor_b32_e32 v11, 0x80000000, v7
	v_mov_b32_e32 v10, v6
                                        ; implicit-def: $vgpr2_vgpr3
.LBB24_15:
	s_andn2_saveexec_b64 s[6:7], s[6:7]
	s_cbranch_execz .LBB24_17
; %bb.16:
	v_div_scale_f64 v[6:7], s[8:9], v[2:3], v[2:3], v[4:5]
	v_rcp_f64_e32 v[8:9], v[6:7]
	v_div_scale_f64 v[10:11], vcc, v[4:5], v[2:3], v[4:5]
	v_fma_f64 v[12:13], -v[6:7], v[8:9], 1.0
	v_fmac_f64_e32 v[8:9], v[8:9], v[12:13]
	v_fma_f64 v[12:13], -v[6:7], v[8:9], 1.0
	v_fmac_f64_e32 v[8:9], v[8:9], v[12:13]
	v_mul_f64 v[12:13], v[10:11], v[8:9]
	v_fma_f64 v[6:7], -v[6:7], v[12:13], v[10:11]
	v_div_fmas_f64 v[6:7], v[6:7], v[8:9], v[12:13]
	v_div_fixup_f64 v[8:9], v[6:7], v[2:3], v[4:5]
	v_fmac_f64_e32 v[2:3], v[4:5], v[8:9]
	v_div_scale_f64 v[4:5], s[8:9], v[2:3], v[2:3], 1.0
	v_rcp_f64_e32 v[6:7], v[4:5]
	s_nop 0
	v_fma_f64 v[10:11], -v[4:5], v[6:7], 1.0
	v_fmac_f64_e32 v[6:7], v[6:7], v[10:11]
	v_fma_f64 v[10:11], -v[4:5], v[6:7], 1.0
	v_fmac_f64_e32 v[6:7], v[6:7], v[10:11]
	v_div_scale_f64 v[10:11], vcc, 1.0, v[2:3], 1.0
	v_mul_f64 v[12:13], v[10:11], v[6:7]
	v_fma_f64 v[4:5], -v[4:5], v[12:13], v[10:11]
	s_nop 1
	v_div_fmas_f64 v[4:5], v[4:5], v[6:7], v[12:13]
	v_div_fixup_f64 v[6:7], v[4:5], v[2:3], 1.0
	v_xor_b32_e32 v11, 0x80000000, v7
	v_mov_b32_e32 v10, v6
	v_mul_f64 v[8:9], v[8:9], -v[6:7]
.LBB24_17:
	s_or_b64 exec, exec, s[6:7]
	scratch_store_dwordx4 v15, v[6:9], off
	scratch_load_dwordx4 v[2:5], off, s18
	v_xor_b32_e32 v13, 0x80000000, v9
	v_mov_b32_e32 v12, v8
	v_add_u32_e32 v6, 0x190, v14
	ds_write_b128 v14, v[10:13]
	s_waitcnt vmcnt(0)
	ds_write_b128 v14, v[2:5] offset:400
	s_waitcnt lgkmcnt(0)
	; wave barrier
	s_and_saveexec_b64 s[6:7], s[2:3]
	s_cbranch_execz .LBB24_19
; %bb.18:
	scratch_load_dwordx4 v[2:5], v15, off
	ds_read_b128 v[8:11], v6
	v_mov_b32_e32 v7, 0
	ds_read_b128 v[16:19], v7 offset:16
	s_waitcnt vmcnt(0) lgkmcnt(1)
	v_mul_f64 v[12:13], v[10:11], v[4:5]
	v_mul_f64 v[4:5], v[8:9], v[4:5]
	v_fma_f64 v[8:9], v[8:9], v[2:3], -v[12:13]
	v_fmac_f64_e32 v[4:5], v[10:11], v[2:3]
	v_add_f64 v[2:3], v[8:9], 0
	v_add_f64 v[8:9], v[4:5], 0
	s_waitcnt lgkmcnt(0)
	v_mul_f64 v[10:11], v[8:9], v[18:19]
	v_mul_f64 v[4:5], v[2:3], v[18:19]
	v_fma_f64 v[2:3], v[2:3], v[16:17], -v[10:11]
	v_fmac_f64_e32 v[4:5], v[8:9], v[16:17]
	scratch_store_dwordx4 off, v[2:5], off offset:16
.LBB24_19:
	s_or_b64 exec, exec, s[6:7]
	; wave barrier
	scratch_load_dwordx4 v[2:5], off, s14
	v_cmp_gt_u32_e32 vcc, 2, v1
	s_waitcnt vmcnt(0)
	ds_write_b128 v6, v[2:5]
	s_waitcnt lgkmcnt(0)
	; wave barrier
	s_and_saveexec_b64 s[6:7], vcc
	s_cbranch_execz .LBB24_23
; %bb.20:
	scratch_load_dwordx4 v[2:5], v15, off
	ds_read_b128 v[8:11], v6
	s_waitcnt vmcnt(0) lgkmcnt(0)
	v_mul_f64 v[12:13], v[10:11], v[4:5]
	v_mul_f64 v[16:17], v[8:9], v[4:5]
	v_fma_f64 v[4:5], v[8:9], v[2:3], -v[12:13]
	v_fmac_f64_e32 v[16:17], v[10:11], v[2:3]
	v_add_f64 v[4:5], v[4:5], 0
	v_add_f64 v[2:3], v[16:17], 0
	s_and_saveexec_b64 s[8:9], s[2:3]
	s_cbranch_execz .LBB24_22
; %bb.21:
	scratch_load_dwordx4 v[8:11], off, off offset:16
	v_mov_b32_e32 v7, 0
	ds_read_b128 v[16:19], v7 offset:416
	s_waitcnt vmcnt(0) lgkmcnt(0)
	v_mul_f64 v[12:13], v[16:17], v[10:11]
	v_mul_f64 v[10:11], v[18:19], v[10:11]
	v_fmac_f64_e32 v[12:13], v[18:19], v[8:9]
	v_fma_f64 v[8:9], v[16:17], v[8:9], -v[10:11]
	v_add_f64 v[2:3], v[2:3], v[12:13]
	v_add_f64 v[4:5], v[4:5], v[8:9]
.LBB24_22:
	s_or_b64 exec, exec, s[8:9]
	v_mov_b32_e32 v7, 0
	ds_read_b128 v[8:11], v7 offset:32
	s_waitcnt lgkmcnt(0)
	v_mul_f64 v[16:17], v[2:3], v[10:11]
	v_mul_f64 v[12:13], v[4:5], v[10:11]
	v_fma_f64 v[10:11], v[4:5], v[8:9], -v[16:17]
	v_fmac_f64_e32 v[12:13], v[2:3], v[8:9]
	scratch_store_dwordx4 off, v[10:13], off offset:32
.LBB24_23:
	s_or_b64 exec, exec, s[6:7]
	; wave barrier
	scratch_load_dwordx4 v[2:5], off, s15
	v_cmp_gt_u32_e32 vcc, 3, v1
	v_add_u32_e32 v7, -1, v1
	s_waitcnt vmcnt(0)
	ds_write_b128 v6, v[2:5]
	s_waitcnt lgkmcnt(0)
	; wave barrier
	s_and_saveexec_b64 s[2:3], vcc
	s_cbranch_execz .LBB24_27
; %bb.24:
	v_add_u32_e32 v8, -1, v1
	v_add_u32_e32 v9, 0x190, v14
	v_mov_b32_e32 v10, v14
	v_mov_b64_e32 v[2:3], 0
	s_mov_b64 s[6:7], 0
	v_mov_b64_e32 v[4:5], 0
.LBB24_25:                              ; =>This Inner Loop Header: Depth=1
	scratch_load_dwordx4 v[16:19], v10, off
	ds_read_b128 v[20:23], v9
	v_add_u32_e32 v8, 1, v8
	v_cmp_lt_u32_e32 vcc, 1, v8
	v_add_u32_e32 v9, 16, v9
	v_add_u32_e32 v10, 16, v10
	s_or_b64 s[6:7], vcc, s[6:7]
	s_waitcnt vmcnt(0) lgkmcnt(0)
	v_mul_f64 v[12:13], v[22:23], v[18:19]
	v_mul_f64 v[18:19], v[20:21], v[18:19]
	v_fma_f64 v[12:13], v[20:21], v[16:17], -v[12:13]
	v_fmac_f64_e32 v[18:19], v[22:23], v[16:17]
	v_add_f64 v[4:5], v[4:5], v[12:13]
	v_add_f64 v[2:3], v[2:3], v[18:19]
	s_andn2_b64 exec, exec, s[6:7]
	s_cbranch_execnz .LBB24_25
; %bb.26:
	s_or_b64 exec, exec, s[6:7]
	v_mov_b32_e32 v8, 0
	ds_read_b128 v[8:11], v8 offset:48
	s_waitcnt lgkmcnt(0)
	v_mul_f64 v[16:17], v[2:3], v[10:11]
	v_mul_f64 v[12:13], v[4:5], v[10:11]
	v_fma_f64 v[10:11], v[4:5], v[8:9], -v[16:17]
	v_fmac_f64_e32 v[12:13], v[2:3], v[8:9]
	scratch_store_dwordx4 off, v[10:13], off offset:48
.LBB24_27:
	s_or_b64 exec, exec, s[2:3]
	; wave barrier
	scratch_load_dwordx4 v[2:5], off, s16
	v_cmp_gt_u32_e32 vcc, 4, v1
	s_waitcnt vmcnt(0)
	ds_write_b128 v6, v[2:5]
	s_waitcnt lgkmcnt(0)
	; wave barrier
	s_and_saveexec_b64 s[2:3], vcc
	s_cbranch_execz .LBB24_31
; %bb.28:
	v_add_u32_e32 v8, -1, v1
	v_add_u32_e32 v9, 0x190, v14
	v_mov_b32_e32 v10, v14
	v_mov_b64_e32 v[2:3], 0
	s_mov_b64 s[6:7], 0
	v_mov_b64_e32 v[4:5], 0
.LBB24_29:                              ; =>This Inner Loop Header: Depth=1
	scratch_load_dwordx4 v[16:19], v10, off
	ds_read_b128 v[20:23], v9
	v_add_u32_e32 v8, 1, v8
	v_cmp_lt_u32_e32 vcc, 2, v8
	v_add_u32_e32 v9, 16, v9
	v_add_u32_e32 v10, 16, v10
	s_or_b64 s[6:7], vcc, s[6:7]
	s_waitcnt vmcnt(0) lgkmcnt(0)
	v_mul_f64 v[12:13], v[22:23], v[18:19]
	v_mul_f64 v[18:19], v[20:21], v[18:19]
	v_fma_f64 v[12:13], v[20:21], v[16:17], -v[12:13]
	v_fmac_f64_e32 v[18:19], v[22:23], v[16:17]
	v_add_f64 v[4:5], v[4:5], v[12:13]
	v_add_f64 v[2:3], v[2:3], v[18:19]
	s_andn2_b64 exec, exec, s[6:7]
	s_cbranch_execnz .LBB24_29
; %bb.30:
	s_or_b64 exec, exec, s[6:7]
	v_mov_b32_e32 v8, 0
	ds_read_b128 v[8:11], v8 offset:64
	s_waitcnt lgkmcnt(0)
	v_mul_f64 v[16:17], v[2:3], v[10:11]
	v_mul_f64 v[12:13], v[4:5], v[10:11]
	v_fma_f64 v[10:11], v[4:5], v[8:9], -v[16:17]
	v_fmac_f64_e32 v[12:13], v[2:3], v[8:9]
	scratch_store_dwordx4 off, v[10:13], off offset:64
.LBB24_31:
	s_or_b64 exec, exec, s[2:3]
	; wave barrier
	scratch_load_dwordx4 v[2:5], off, s19
	v_cmp_gt_u32_e32 vcc, 5, v1
	;; [unrolled: 45-line block ×19, first 2 shown]
	s_waitcnt vmcnt(0)
	ds_write_b128 v6, v[2:5]
	s_waitcnt lgkmcnt(0)
	; wave barrier
	s_and_saveexec_b64 s[2:3], vcc
	s_cbranch_execz .LBB24_103
; %bb.100:
	v_add_u32_e32 v8, -1, v1
	v_add_u32_e32 v9, 0x190, v14
	v_mov_b32_e32 v10, v14
	v_mov_b64_e32 v[2:3], 0
	s_mov_b64 s[6:7], 0
	v_mov_b64_e32 v[4:5], 0
.LBB24_101:                             ; =>This Inner Loop Header: Depth=1
	scratch_load_dwordx4 v[16:19], v10, off
	ds_read_b128 v[20:23], v9
	v_add_u32_e32 v8, 1, v8
	v_cmp_lt_u32_e32 vcc, 20, v8
	v_add_u32_e32 v9, 16, v9
	v_add_u32_e32 v10, 16, v10
	s_or_b64 s[6:7], vcc, s[6:7]
	s_waitcnt vmcnt(0) lgkmcnt(0)
	v_mul_f64 v[12:13], v[22:23], v[18:19]
	v_mul_f64 v[18:19], v[20:21], v[18:19]
	v_fma_f64 v[12:13], v[20:21], v[16:17], -v[12:13]
	v_fmac_f64_e32 v[18:19], v[22:23], v[16:17]
	v_add_f64 v[4:5], v[4:5], v[12:13]
	v_add_f64 v[2:3], v[2:3], v[18:19]
	s_andn2_b64 exec, exec, s[6:7]
	s_cbranch_execnz .LBB24_101
; %bb.102:
	s_or_b64 exec, exec, s[6:7]
	v_mov_b32_e32 v8, 0
	ds_read_b128 v[8:11], v8 offset:352
	s_waitcnt lgkmcnt(0)
	v_mul_f64 v[16:17], v[2:3], v[10:11]
	v_mul_f64 v[12:13], v[4:5], v[10:11]
	v_fma_f64 v[10:11], v[4:5], v[8:9], -v[16:17]
	v_fmac_f64_e32 v[12:13], v[2:3], v[8:9]
	scratch_store_dwordx4 off, v[10:13], off offset:352
.LBB24_103:
	s_or_b64 exec, exec, s[2:3]
	; wave barrier
	scratch_load_dwordx4 v[2:5], off, s35
	v_cmp_gt_u32_e32 vcc, 23, v1
	s_waitcnt vmcnt(0)
	ds_write_b128 v6, v[2:5]
	s_waitcnt lgkmcnt(0)
	; wave barrier
	s_and_saveexec_b64 s[2:3], vcc
	s_cbranch_execz .LBB24_107
; %bb.104:
	v_add_u32_e32 v8, -1, v1
	v_add_u32_e32 v9, 0x190, v14
	v_mov_b32_e32 v10, v14
	v_mov_b64_e32 v[2:3], 0
	s_mov_b64 s[6:7], 0
	v_mov_b64_e32 v[4:5], 0
.LBB24_105:                             ; =>This Inner Loop Header: Depth=1
	scratch_load_dwordx4 v[16:19], v10, off
	ds_read_b128 v[20:23], v9
	v_add_u32_e32 v8, 1, v8
	v_cmp_lt_u32_e32 vcc, 21, v8
	v_add_u32_e32 v9, 16, v9
	v_add_u32_e32 v10, 16, v10
	s_or_b64 s[6:7], vcc, s[6:7]
	s_waitcnt vmcnt(0) lgkmcnt(0)
	v_mul_f64 v[12:13], v[22:23], v[18:19]
	v_mul_f64 v[18:19], v[20:21], v[18:19]
	v_fma_f64 v[12:13], v[20:21], v[16:17], -v[12:13]
	v_fmac_f64_e32 v[18:19], v[22:23], v[16:17]
	v_add_f64 v[4:5], v[4:5], v[12:13]
	v_add_f64 v[2:3], v[2:3], v[18:19]
	s_andn2_b64 exec, exec, s[6:7]
	s_cbranch_execnz .LBB24_105
; %bb.106:
	s_or_b64 exec, exec, s[6:7]
	v_mov_b32_e32 v8, 0
	ds_read_b128 v[8:11], v8 offset:368
	s_waitcnt lgkmcnt(0)
	v_mul_f64 v[16:17], v[2:3], v[10:11]
	v_mul_f64 v[12:13], v[4:5], v[10:11]
	v_fma_f64 v[10:11], v[4:5], v[8:9], -v[16:17]
	v_fmac_f64_e32 v[12:13], v[2:3], v[8:9]
	scratch_store_dwordx4 off, v[10:13], off offset:368
.LBB24_107:
	s_or_b64 exec, exec, s[2:3]
	; wave barrier
	scratch_load_dwordx4 v[2:5], off, s36
	v_cmp_ne_u32_e32 vcc, 24, v1
	s_waitcnt vmcnt(0)
	ds_write_b128 v6, v[2:5]
	s_waitcnt lgkmcnt(0)
	; wave barrier
	s_and_saveexec_b64 s[2:3], vcc
	s_cbranch_execz .LBB24_111
; %bb.108:
	v_add_u32_e32 v6, 0x190, v14
	v_mov_b32_e32 v8, v14
	v_mov_b64_e32 v[2:3], 0
	s_mov_b64 s[6:7], 0
	v_mov_b64_e32 v[4:5], 0
.LBB24_109:                             ; =>This Inner Loop Header: Depth=1
	scratch_load_dwordx4 v[10:13], v8, off
	ds_read_b128 v[14:17], v6
	v_add_u32_e32 v7, 1, v7
	v_cmp_lt_u32_e32 vcc, 22, v7
	v_add_u32_e32 v6, 16, v6
	v_add_u32_e32 v8, 16, v8
	s_or_b64 s[6:7], vcc, s[6:7]
	s_waitcnt vmcnt(0) lgkmcnt(0)
	v_mul_f64 v[18:19], v[16:17], v[12:13]
	v_mul_f64 v[12:13], v[14:15], v[12:13]
	v_fma_f64 v[14:15], v[14:15], v[10:11], -v[18:19]
	v_fmac_f64_e32 v[12:13], v[16:17], v[10:11]
	v_add_f64 v[4:5], v[4:5], v[14:15]
	v_add_f64 v[2:3], v[2:3], v[12:13]
	s_andn2_b64 exec, exec, s[6:7]
	s_cbranch_execnz .LBB24_109
; %bb.110:
	s_or_b64 exec, exec, s[6:7]
	v_mov_b32_e32 v6, 0
	ds_read_b128 v[6:9], v6 offset:384
	s_waitcnt lgkmcnt(0)
	v_mul_f64 v[12:13], v[2:3], v[8:9]
	v_mul_f64 v[10:11], v[4:5], v[8:9]
	v_fma_f64 v[8:9], v[4:5], v[6:7], -v[12:13]
	v_fmac_f64_e32 v[10:11], v[2:3], v[6:7]
	scratch_store_dwordx4 off, v[8:11], off offset:384
.LBB24_111:
	s_or_b64 exec, exec, s[2:3]
	s_mov_b64 s[6:7], -1
	; wave barrier
.LBB24_112:
	s_and_b64 vcc, exec, s[6:7]
	s_cbranch_vccz .LBB24_114
; %bb.113:
	s_lshl_b64 s[2:3], s[4:5], 2
	s_add_u32 s2, s10, s2
	s_addc_u32 s3, s11, s3
	v_mov_b32_e32 v2, 0
	global_load_dword v2, v2, s[2:3]
	s_waitcnt vmcnt(0)
	v_cmp_ne_u32_e32 vcc, 0, v2
	s_cbranch_vccz .LBB24_115
.LBB24_114:
	s_endpgm
.LBB24_115:
	v_mov_b32_e32 v2, 0x190
	v_lshl_add_u32 v130, v1, 4, v2
	v_cmp_eq_u32_e32 vcc, 24, v1
	s_and_saveexec_b64 s[2:3], vcc
	s_cbranch_execz .LBB24_117
; %bb.116:
	scratch_load_dwordx4 v[2:5], off, s35
	v_mov_b32_e32 v6, 0
	v_mov_b32_e32 v7, v6
	;; [unrolled: 1-line block ×4, first 2 shown]
	scratch_store_dwordx4 off, v[6:9], off offset:368
	s_waitcnt vmcnt(1)
	ds_write_b128 v130, v[2:5]
.LBB24_117:
	s_or_b64 exec, exec, s[2:3]
	s_waitcnt lgkmcnt(0)
	; wave barrier
	scratch_load_dwordx4 v[4:7], off, off offset:384
	scratch_load_dwordx4 v[8:11], off, off offset:368
	v_mov_b32_e32 v2, 0
	ds_read_b128 v[12:15], v2 offset:784
	v_cmp_lt_u32_e32 vcc, 22, v1
	s_waitcnt vmcnt(1) lgkmcnt(0)
	v_mul_f64 v[16:17], v[12:13], v[6:7]
	v_mul_f64 v[6:7], v[14:15], v[6:7]
	v_fmac_f64_e32 v[16:17], v[14:15], v[4:5]
	v_fma_f64 v[4:5], v[12:13], v[4:5], -v[6:7]
	v_add_f64 v[6:7], v[16:17], 0
	v_add_f64 v[4:5], v[4:5], 0
	s_waitcnt vmcnt(0)
	v_add_f64 v[4:5], v[8:9], -v[4:5]
	v_add_f64 v[6:7], v[10:11], -v[6:7]
	scratch_store_dwordx4 off, v[4:7], off offset:368
	s_and_saveexec_b64 s[2:3], vcc
	s_cbranch_execz .LBB24_119
; %bb.118:
	scratch_load_dwordx4 v[6:9], off, s34
	v_mov_b32_e32 v3, v2
	v_mov_b32_e32 v4, v2
	;; [unrolled: 1-line block ×3, first 2 shown]
	scratch_store_dwordx4 off, v[2:5], off offset:352
	s_waitcnt vmcnt(1)
	ds_write_b128 v130, v[6:9]
.LBB24_119:
	s_or_b64 exec, exec, s[2:3]
	s_waitcnt lgkmcnt(0)
	; wave barrier
	scratch_load_dwordx4 v[4:7], off, off offset:368
	scratch_load_dwordx4 v[8:11], off, off offset:384
	;; [unrolled: 1-line block ×3, first 2 shown]
	ds_read_b128 v[16:19], v2 offset:768
	ds_read_b128 v[20:23], v2 offset:784
	v_cmp_lt_u32_e32 vcc, 21, v1
	s_waitcnt vmcnt(2) lgkmcnt(1)
	v_mul_f64 v[2:3], v[16:17], v[6:7]
	v_mul_f64 v[6:7], v[18:19], v[6:7]
	s_waitcnt vmcnt(1) lgkmcnt(0)
	v_mul_f64 v[24:25], v[20:21], v[10:11]
	v_mul_f64 v[10:11], v[22:23], v[10:11]
	v_fmac_f64_e32 v[2:3], v[18:19], v[4:5]
	v_fma_f64 v[4:5], v[16:17], v[4:5], -v[6:7]
	v_fmac_f64_e32 v[24:25], v[22:23], v[8:9]
	v_fma_f64 v[6:7], v[20:21], v[8:9], -v[10:11]
	v_add_f64 v[2:3], v[2:3], 0
	v_add_f64 v[4:5], v[4:5], 0
	;; [unrolled: 1-line block ×4, first 2 shown]
	s_waitcnt vmcnt(0)
	v_add_f64 v[2:3], v[12:13], -v[2:3]
	v_add_f64 v[4:5], v[14:15], -v[8:9]
	scratch_store_dwordx4 off, v[2:5], off offset:352
	s_and_saveexec_b64 s[2:3], vcc
	s_cbranch_execz .LBB24_121
; %bb.120:
	scratch_load_dwordx4 v[2:5], off, s33
	v_mov_b32_e32 v6, 0
	v_mov_b32_e32 v7, v6
	;; [unrolled: 1-line block ×4, first 2 shown]
	scratch_store_dwordx4 off, v[6:9], off offset:336
	s_waitcnt vmcnt(1)
	ds_write_b128 v130, v[2:5]
.LBB24_121:
	s_or_b64 exec, exec, s[2:3]
	s_waitcnt lgkmcnt(0)
	; wave barrier
	scratch_load_dwordx4 v[4:7], off, off offset:352
	scratch_load_dwordx4 v[8:11], off, off offset:368
	;; [unrolled: 1-line block ×4, first 2 shown]
	v_mov_b32_e32 v2, 0
	ds_read_b128 v[20:23], v2 offset:752
	ds_read_b128 v[24:27], v2 offset:768
	;; [unrolled: 1-line block ×3, first 2 shown]
	v_cmp_lt_u32_e32 vcc, 20, v1
	s_waitcnt vmcnt(3) lgkmcnt(2)
	v_mul_f64 v[32:33], v[20:21], v[6:7]
	v_mul_f64 v[6:7], v[22:23], v[6:7]
	s_waitcnt vmcnt(2) lgkmcnt(1)
	v_mul_f64 v[34:35], v[24:25], v[10:11]
	v_mul_f64 v[10:11], v[26:27], v[10:11]
	v_fmac_f64_e32 v[32:33], v[22:23], v[4:5]
	v_fma_f64 v[4:5], v[20:21], v[4:5], -v[6:7]
	s_waitcnt vmcnt(1) lgkmcnt(0)
	v_mul_f64 v[36:37], v[28:29], v[14:15]
	v_mul_f64 v[14:15], v[30:31], v[14:15]
	v_fmac_f64_e32 v[34:35], v[26:27], v[8:9]
	v_fma_f64 v[6:7], v[24:25], v[8:9], -v[10:11]
	v_add_f64 v[10:11], v[32:33], 0
	v_add_f64 v[4:5], v[4:5], 0
	v_fmac_f64_e32 v[36:37], v[30:31], v[12:13]
	v_fma_f64 v[8:9], v[28:29], v[12:13], -v[14:15]
	v_add_f64 v[10:11], v[10:11], v[34:35]
	v_add_f64 v[4:5], v[4:5], v[6:7]
	;; [unrolled: 1-line block ×4, first 2 shown]
	s_waitcnt vmcnt(0)
	v_add_f64 v[4:5], v[16:17], -v[4:5]
	v_add_f64 v[6:7], v[18:19], -v[6:7]
	scratch_store_dwordx4 off, v[4:7], off offset:336
	s_and_saveexec_b64 s[2:3], vcc
	s_cbranch_execz .LBB24_123
; %bb.122:
	scratch_load_dwordx4 v[6:9], off, s31
	v_mov_b32_e32 v3, v2
	v_mov_b32_e32 v4, v2
	;; [unrolled: 1-line block ×3, first 2 shown]
	scratch_store_dwordx4 off, v[2:5], off offset:320
	s_waitcnt vmcnt(1)
	ds_write_b128 v130, v[6:9]
.LBB24_123:
	s_or_b64 exec, exec, s[2:3]
	s_waitcnt lgkmcnt(0)
	; wave barrier
	scratch_load_dwordx4 v[4:7], off, off offset:336
	scratch_load_dwordx4 v[8:11], off, off offset:352
	;; [unrolled: 1-line block ×5, first 2 shown]
	ds_read_b128 v[24:27], v2 offset:736
	ds_read_b128 v[28:31], v2 offset:752
	;; [unrolled: 1-line block ×4, first 2 shown]
	v_cmp_lt_u32_e32 vcc, 19, v1
	s_waitcnt vmcnt(4) lgkmcnt(3)
	v_mul_f64 v[2:3], v[24:25], v[6:7]
	v_mul_f64 v[6:7], v[26:27], v[6:7]
	s_waitcnt vmcnt(3) lgkmcnt(2)
	v_mul_f64 v[40:41], v[28:29], v[10:11]
	v_mul_f64 v[10:11], v[30:31], v[10:11]
	v_fmac_f64_e32 v[2:3], v[26:27], v[4:5]
	v_fma_f64 v[4:5], v[24:25], v[4:5], -v[6:7]
	s_waitcnt vmcnt(2) lgkmcnt(1)
	v_mul_f64 v[42:43], v[32:33], v[14:15]
	v_mul_f64 v[14:15], v[34:35], v[14:15]
	v_fmac_f64_e32 v[40:41], v[30:31], v[8:9]
	v_fma_f64 v[6:7], v[28:29], v[8:9], -v[10:11]
	v_add_f64 v[2:3], v[2:3], 0
	v_add_f64 v[4:5], v[4:5], 0
	s_waitcnt vmcnt(1) lgkmcnt(0)
	v_mul_f64 v[44:45], v[36:37], v[18:19]
	v_mul_f64 v[18:19], v[38:39], v[18:19]
	v_fmac_f64_e32 v[42:43], v[34:35], v[12:13]
	v_fma_f64 v[8:9], v[32:33], v[12:13], -v[14:15]
	v_add_f64 v[2:3], v[2:3], v[40:41]
	v_add_f64 v[4:5], v[4:5], v[6:7]
	v_fmac_f64_e32 v[44:45], v[38:39], v[16:17]
	v_fma_f64 v[10:11], v[36:37], v[16:17], -v[18:19]
	v_add_f64 v[2:3], v[2:3], v[42:43]
	v_add_f64 v[4:5], v[4:5], v[8:9]
	;; [unrolled: 1-line block ×4, first 2 shown]
	s_waitcnt vmcnt(0)
	v_add_f64 v[2:3], v[20:21], -v[2:3]
	v_add_f64 v[4:5], v[22:23], -v[6:7]
	scratch_store_dwordx4 off, v[2:5], off offset:320
	s_and_saveexec_b64 s[2:3], vcc
	s_cbranch_execz .LBB24_125
; %bb.124:
	scratch_load_dwordx4 v[2:5], off, s30
	v_mov_b32_e32 v6, 0
	v_mov_b32_e32 v7, v6
	;; [unrolled: 1-line block ×4, first 2 shown]
	scratch_store_dwordx4 off, v[6:9], off offset:304
	s_waitcnt vmcnt(1)
	ds_write_b128 v130, v[2:5]
.LBB24_125:
	s_or_b64 exec, exec, s[2:3]
	s_waitcnt lgkmcnt(0)
	; wave barrier
	scratch_load_dwordx4 v[4:7], off, off offset:320
	scratch_load_dwordx4 v[8:11], off, off offset:336
	;; [unrolled: 1-line block ×6, first 2 shown]
	v_mov_b32_e32 v2, 0
	ds_read_b128 v[28:31], v2 offset:720
	ds_read_b128 v[32:35], v2 offset:736
	;; [unrolled: 1-line block ×5, first 2 shown]
	v_cmp_lt_u32_e32 vcc, 18, v1
	s_waitcnt vmcnt(5) lgkmcnt(4)
	v_mul_f64 v[48:49], v[28:29], v[6:7]
	v_mul_f64 v[6:7], v[30:31], v[6:7]
	s_waitcnt vmcnt(4) lgkmcnt(3)
	v_mul_f64 v[50:51], v[32:33], v[10:11]
	s_waitcnt vmcnt(3) lgkmcnt(2)
	v_mul_f64 v[52:53], v[36:37], v[14:15]
	v_mul_f64 v[10:11], v[34:35], v[10:11]
	v_mul_f64 v[14:15], v[38:39], v[14:15]
	v_fmac_f64_e32 v[48:49], v[30:31], v[4:5]
	v_fma_f64 v[4:5], v[28:29], v[4:5], -v[6:7]
	v_fmac_f64_e32 v[50:51], v[34:35], v[8:9]
	v_fma_f64 v[6:7], v[32:33], v[8:9], -v[10:11]
	v_fma_f64 v[8:9], v[36:37], v[12:13], -v[14:15]
	v_add_f64 v[14:15], v[48:49], 0
	v_add_f64 v[4:5], v[4:5], 0
	s_waitcnt vmcnt(2) lgkmcnt(1)
	v_mul_f64 v[54:55], v[40:41], v[18:19]
	v_mul_f64 v[18:19], v[42:43], v[18:19]
	v_fmac_f64_e32 v[52:53], v[38:39], v[12:13]
	v_add_f64 v[14:15], v[14:15], v[50:51]
	v_add_f64 v[4:5], v[4:5], v[6:7]
	s_waitcnt vmcnt(1) lgkmcnt(0)
	v_mul_f64 v[56:57], v[44:45], v[22:23]
	v_mul_f64 v[22:23], v[46:47], v[22:23]
	v_fmac_f64_e32 v[54:55], v[42:43], v[16:17]
	v_fma_f64 v[10:11], v[40:41], v[16:17], -v[18:19]
	v_add_f64 v[6:7], v[14:15], v[52:53]
	v_add_f64 v[4:5], v[4:5], v[8:9]
	v_fmac_f64_e32 v[56:57], v[46:47], v[20:21]
	v_fma_f64 v[12:13], v[44:45], v[20:21], -v[22:23]
	v_add_f64 v[6:7], v[6:7], v[54:55]
	v_add_f64 v[4:5], v[4:5], v[10:11]
	;; [unrolled: 1-line block ×4, first 2 shown]
	s_waitcnt vmcnt(0)
	v_add_f64 v[4:5], v[24:25], -v[4:5]
	v_add_f64 v[6:7], v[26:27], -v[6:7]
	scratch_store_dwordx4 off, v[4:7], off offset:304
	s_and_saveexec_b64 s[2:3], vcc
	s_cbranch_execz .LBB24_127
; %bb.126:
	scratch_load_dwordx4 v[6:9], off, s38
	v_mov_b32_e32 v3, v2
	v_mov_b32_e32 v4, v2
	;; [unrolled: 1-line block ×3, first 2 shown]
	scratch_store_dwordx4 off, v[2:5], off offset:288
	s_waitcnt vmcnt(1)
	ds_write_b128 v130, v[6:9]
.LBB24_127:
	s_or_b64 exec, exec, s[2:3]
	s_waitcnt lgkmcnt(0)
	; wave barrier
	scratch_load_dwordx4 v[4:7], off, off offset:304
	scratch_load_dwordx4 v[8:11], off, off offset:320
	;; [unrolled: 1-line block ×7, first 2 shown]
	ds_read_b128 v[32:35], v2 offset:704
	ds_read_b128 v[36:39], v2 offset:720
	;; [unrolled: 1-line block ×6, first 2 shown]
	v_cmp_lt_u32_e32 vcc, 17, v1
	s_waitcnt vmcnt(6) lgkmcnt(5)
	v_mul_f64 v[2:3], v[32:33], v[6:7]
	v_mul_f64 v[6:7], v[34:35], v[6:7]
	s_waitcnt vmcnt(5) lgkmcnt(4)
	v_mul_f64 v[56:57], v[36:37], v[10:11]
	v_mul_f64 v[10:11], v[38:39], v[10:11]
	v_fmac_f64_e32 v[2:3], v[34:35], v[4:5]
	v_fma_f64 v[4:5], v[32:33], v[4:5], -v[6:7]
	s_waitcnt vmcnt(4) lgkmcnt(3)
	v_mul_f64 v[58:59], v[40:41], v[14:15]
	v_mul_f64 v[14:15], v[42:43], v[14:15]
	v_fmac_f64_e32 v[56:57], v[38:39], v[8:9]
	v_fma_f64 v[6:7], v[36:37], v[8:9], -v[10:11]
	v_add_f64 v[2:3], v[2:3], 0
	v_add_f64 v[4:5], v[4:5], 0
	s_waitcnt vmcnt(3) lgkmcnt(2)
	v_mul_f64 v[60:61], v[44:45], v[18:19]
	v_mul_f64 v[18:19], v[46:47], v[18:19]
	v_fmac_f64_e32 v[58:59], v[42:43], v[12:13]
	v_fma_f64 v[8:9], v[40:41], v[12:13], -v[14:15]
	v_add_f64 v[2:3], v[2:3], v[56:57]
	v_add_f64 v[4:5], v[4:5], v[6:7]
	s_waitcnt vmcnt(2) lgkmcnt(1)
	v_mul_f64 v[62:63], v[48:49], v[22:23]
	v_mul_f64 v[22:23], v[50:51], v[22:23]
	v_fmac_f64_e32 v[60:61], v[46:47], v[16:17]
	v_fma_f64 v[10:11], v[44:45], v[16:17], -v[18:19]
	v_add_f64 v[2:3], v[2:3], v[58:59]
	v_add_f64 v[4:5], v[4:5], v[8:9]
	s_waitcnt vmcnt(1) lgkmcnt(0)
	v_mul_f64 v[64:65], v[52:53], v[26:27]
	v_mul_f64 v[26:27], v[54:55], v[26:27]
	v_fmac_f64_e32 v[62:63], v[50:51], v[20:21]
	v_fma_f64 v[12:13], v[48:49], v[20:21], -v[22:23]
	v_add_f64 v[2:3], v[2:3], v[60:61]
	v_add_f64 v[4:5], v[4:5], v[10:11]
	v_fmac_f64_e32 v[64:65], v[54:55], v[24:25]
	v_fma_f64 v[14:15], v[52:53], v[24:25], -v[26:27]
	v_add_f64 v[2:3], v[2:3], v[62:63]
	v_add_f64 v[4:5], v[4:5], v[12:13]
	;; [unrolled: 1-line block ×4, first 2 shown]
	s_waitcnt vmcnt(0)
	v_add_f64 v[2:3], v[28:29], -v[2:3]
	v_add_f64 v[4:5], v[30:31], -v[6:7]
	scratch_store_dwordx4 off, v[2:5], off offset:288
	s_and_saveexec_b64 s[2:3], vcc
	s_cbranch_execz .LBB24_129
; %bb.128:
	scratch_load_dwordx4 v[2:5], off, s29
	v_mov_b32_e32 v6, 0
	v_mov_b32_e32 v7, v6
	;; [unrolled: 1-line block ×4, first 2 shown]
	scratch_store_dwordx4 off, v[6:9], off offset:272
	s_waitcnt vmcnt(1)
	ds_write_b128 v130, v[2:5]
.LBB24_129:
	s_or_b64 exec, exec, s[2:3]
	v_mov_b32_e32 v2, 0
	s_waitcnt lgkmcnt(0)
	; wave barrier
	ds_read_b128 v[4:7], v2 offset:688
	ds_read_b128 v[8:11], v2 offset:704
	;; [unrolled: 1-line block ×4, first 2 shown]
	scratch_load_dwordx4 v[20:23], off, off offset:288
	scratch_load_dwordx4 v[40:43], off, off offset:352
	v_cmp_lt_u32_e32 vcc, 16, v1
	scratch_load_dwordx4 v[48:51], off, off offset:368
	scratch_load_dwordx4 v[56:59], off, off offset:384
	s_waitcnt vmcnt(3) lgkmcnt(3)
	v_mul_f64 v[24:25], v[4:5], v[22:23]
	v_fmac_f64_e32 v[24:25], v[6:7], v[20:21]
	v_add_f64 v[28:29], v[24:25], 0
	scratch_load_dwordx4 v[24:27], off, off offset:304
	v_mul_f64 v[6:7], v[6:7], v[22:23]
	v_fma_f64 v[4:5], v[4:5], v[20:21], -v[6:7]
	v_add_f64 v[4:5], v[4:5], 0
	s_waitcnt vmcnt(0) lgkmcnt(2)
	v_mul_f64 v[30:31], v[8:9], v[26:27]
	v_fmac_f64_e32 v[30:31], v[10:11], v[24:25]
	v_add_f64 v[32:33], v[28:29], v[30:31]
	scratch_load_dwordx4 v[28:31], off, off offset:320
	v_mul_f64 v[6:7], v[10:11], v[26:27]
	v_fma_f64 v[6:7], v[8:9], v[24:25], -v[6:7]
	v_add_f64 v[4:5], v[4:5], v[6:7]
	;; [unrolled: 8-line block ×3, first 2 shown]
	s_waitcnt vmcnt(0) lgkmcnt(0)
	v_mul_f64 v[38:39], v[16:17], v[34:35]
	v_fmac_f64_e32 v[38:39], v[18:19], v[32:33]
	v_add_f64 v[44:45], v[36:37], v[38:39]
	ds_read_b128 v[36:39], v2 offset:752
	v_mul_f64 v[6:7], v[18:19], v[34:35]
	v_fma_f64 v[6:7], v[16:17], v[32:33], -v[6:7]
	v_add_f64 v[4:5], v[4:5], v[6:7]
	s_waitcnt lgkmcnt(0)
	v_mul_f64 v[46:47], v[36:37], v[42:43]
	v_fmac_f64_e32 v[46:47], v[38:39], v[40:41]
	v_add_f64 v[52:53], v[44:45], v[46:47]
	ds_read_b128 v[44:47], v2 offset:768
	v_mul_f64 v[6:7], v[38:39], v[42:43]
	v_fma_f64 v[6:7], v[36:37], v[40:41], -v[6:7]
	v_add_f64 v[4:5], v[4:5], v[6:7]
	s_waitcnt lgkmcnt(0)
	;; [unrolled: 8-line block ×3, first 2 shown]
	v_mul_f64 v[6:7], v[54:55], v[58:59]
	v_fma_f64 v[6:7], v[52:53], v[56:57], -v[6:7]
	v_add_f64 v[8:9], v[4:5], v[6:7]
	scratch_load_dwordx4 v[4:7], off, off offset:272
	v_mul_f64 v[62:63], v[52:53], v[58:59]
	v_fmac_f64_e32 v[62:63], v[54:55], v[56:57]
	v_add_f64 v[60:61], v[60:61], v[62:63]
	s_waitcnt vmcnt(0)
	v_add_f64 v[4:5], v[4:5], -v[8:9]
	v_add_f64 v[6:7], v[6:7], -v[60:61]
	scratch_store_dwordx4 off, v[4:7], off offset:272
	s_and_saveexec_b64 s[2:3], vcc
	s_cbranch_execz .LBB24_131
; %bb.130:
	scratch_load_dwordx4 v[6:9], off, s26
	v_mov_b32_e32 v3, v2
	v_mov_b32_e32 v4, v2
	;; [unrolled: 1-line block ×3, first 2 shown]
	scratch_store_dwordx4 off, v[2:5], off offset:256
	s_waitcnt vmcnt(1)
	ds_write_b128 v130, v[6:9]
.LBB24_131:
	s_or_b64 exec, exec, s[2:3]
	s_waitcnt lgkmcnt(0)
	; wave barrier
	ds_read_b128 v[4:7], v2 offset:672
	ds_read_b128 v[8:11], v2 offset:688
	;; [unrolled: 1-line block ×4, first 2 shown]
	scratch_load_dwordx4 v[20:23], off, off offset:272
	scratch_load_dwordx4 v[40:43], off, off offset:336
	v_cmp_lt_u32_e32 vcc, 15, v1
	scratch_load_dwordx4 v[48:51], off, off offset:352
	scratch_load_dwordx4 v[56:59], off, off offset:368
	;; [unrolled: 1-line block ×3, first 2 shown]
	s_waitcnt vmcnt(4) lgkmcnt(3)
	v_mul_f64 v[24:25], v[4:5], v[22:23]
	v_fmac_f64_e32 v[24:25], v[6:7], v[20:21]
	v_add_f64 v[28:29], v[24:25], 0
	scratch_load_dwordx4 v[24:27], off, off offset:288
	s_waitcnt vmcnt(0) lgkmcnt(2)
	v_mul_f64 v[30:31], v[8:9], v[26:27]
	v_fmac_f64_e32 v[30:31], v[10:11], v[24:25]
	v_add_f64 v[32:33], v[28:29], v[30:31]
	scratch_load_dwordx4 v[28:31], off, off offset:304
	;; [unrolled: 5-line block ×3, first 2 shown]
	s_waitcnt vmcnt(0) lgkmcnt(0)
	v_mul_f64 v[38:39], v[16:17], v[34:35]
	v_fmac_f64_e32 v[38:39], v[18:19], v[32:33]
	v_add_f64 v[44:45], v[36:37], v[38:39]
	ds_read_b128 v[36:39], v2 offset:736
	s_waitcnt lgkmcnt(0)
	v_mul_f64 v[46:47], v[36:37], v[42:43]
	v_fmac_f64_e32 v[46:47], v[38:39], v[40:41]
	v_add_f64 v[52:53], v[44:45], v[46:47]
	ds_read_b128 v[44:47], v2 offset:752
	s_waitcnt lgkmcnt(0)
	;; [unrolled: 5-line block ×4, first 2 shown]
	v_mul_f64 v[2:3], v[60:61], v[66:67]
	v_fmac_f64_e32 v[2:3], v[62:63], v[64:65]
	v_add_f64 v[68:69], v[68:69], v[2:3]
	v_mul_f64 v[2:3], v[6:7], v[22:23]
	v_fma_f64 v[2:3], v[4:5], v[20:21], -v[2:3]
	v_mul_f64 v[4:5], v[10:11], v[26:27]
	v_add_f64 v[2:3], v[2:3], 0
	v_fma_f64 v[4:5], v[8:9], v[24:25], -v[4:5]
	v_add_f64 v[2:3], v[2:3], v[4:5]
	v_mul_f64 v[4:5], v[14:15], v[30:31]
	v_fma_f64 v[4:5], v[12:13], v[28:29], -v[4:5]
	v_add_f64 v[2:3], v[2:3], v[4:5]
	v_mul_f64 v[4:5], v[18:19], v[34:35]
	v_fma_f64 v[4:5], v[16:17], v[32:33], -v[4:5]
	v_add_f64 v[2:3], v[2:3], v[4:5]
	v_mul_f64 v[4:5], v[38:39], v[42:43]
	v_fma_f64 v[4:5], v[36:37], v[40:41], -v[4:5]
	v_add_f64 v[2:3], v[2:3], v[4:5]
	v_mul_f64 v[4:5], v[46:47], v[50:51]
	v_fma_f64 v[4:5], v[44:45], v[48:49], -v[4:5]
	v_add_f64 v[2:3], v[2:3], v[4:5]
	v_mul_f64 v[4:5], v[54:55], v[58:59]
	v_fma_f64 v[4:5], v[52:53], v[56:57], -v[4:5]
	v_add_f64 v[2:3], v[2:3], v[4:5]
	v_mul_f64 v[4:5], v[62:63], v[66:67]
	v_fma_f64 v[4:5], v[60:61], v[64:65], -v[4:5]
	v_add_f64 v[6:7], v[2:3], v[4:5]
	scratch_load_dwordx4 v[2:5], off, off offset:256
	s_waitcnt vmcnt(0)
	v_add_f64 v[2:3], v[2:3], -v[6:7]
	v_add_f64 v[4:5], v[4:5], -v[68:69]
	scratch_store_dwordx4 off, v[2:5], off offset:256
	s_and_saveexec_b64 s[2:3], vcc
	s_cbranch_execz .LBB24_133
; %bb.132:
	scratch_load_dwordx4 v[2:5], off, s39
	v_mov_b32_e32 v6, 0
	v_mov_b32_e32 v7, v6
	;; [unrolled: 1-line block ×4, first 2 shown]
	scratch_store_dwordx4 off, v[6:9], off offset:240
	s_waitcnt vmcnt(1)
	ds_write_b128 v130, v[2:5]
.LBB24_133:
	s_or_b64 exec, exec, s[2:3]
	s_waitcnt lgkmcnt(0)
	; wave barrier
	scratch_load_dwordx4 v[4:7], off, off offset:256
	scratch_load_dwordx4 v[8:11], off, off offset:272
	;; [unrolled: 1-line block ×10, first 2 shown]
	v_mov_b32_e32 v2, 0
	ds_read_b128 v[44:47], v2 offset:656
	ds_read_b128 v[48:51], v2 offset:672
	;; [unrolled: 1-line block ×9, first 2 shown]
	v_cmp_lt_u32_e32 vcc, 14, v1
	s_waitcnt vmcnt(9) lgkmcnt(8)
	v_mul_f64 v[80:81], v[44:45], v[6:7]
	v_mul_f64 v[6:7], v[46:47], v[6:7]
	s_waitcnt vmcnt(8) lgkmcnt(7)
	v_mul_f64 v[82:83], v[48:49], v[10:11]
	s_waitcnt vmcnt(7) lgkmcnt(6)
	;; [unrolled: 2-line block ×3, first 2 shown]
	v_mul_f64 v[88:89], v[60:61], v[22:23]
	v_mul_f64 v[10:11], v[50:51], v[10:11]
	;; [unrolled: 1-line block ×4, first 2 shown]
	v_fmac_f64_e32 v[80:81], v[46:47], v[4:5]
	v_fma_f64 v[4:5], v[44:45], v[4:5], -v[6:7]
	v_fmac_f64_e32 v[82:83], v[50:51], v[8:9]
	v_fmac_f64_e32 v[84:85], v[54:55], v[12:13]
	v_fma_f64 v[6:7], v[48:49], v[8:9], -v[10:11]
	v_fma_f64 v[8:9], v[52:53], v[12:13], -v[14:15]
	;; [unrolled: 1-line block ×3, first 2 shown]
	v_add_f64 v[22:23], v[80:81], 0
	v_add_f64 v[4:5], v[4:5], 0
	v_mul_f64 v[86:87], v[56:57], v[18:19]
	v_mul_f64 v[18:19], v[58:59], v[18:19]
	v_add_f64 v[22:23], v[22:23], v[82:83]
	v_add_f64 v[4:5], v[4:5], v[6:7]
	v_fmac_f64_e32 v[86:87], v[58:59], v[16:17]
	v_fma_f64 v[10:11], v[56:57], v[16:17], -v[18:19]
	v_add_f64 v[6:7], v[22:23], v[84:85]
	v_add_f64 v[4:5], v[4:5], v[8:9]
	s_waitcnt vmcnt(4) lgkmcnt(3)
	v_mul_f64 v[90:91], v[64:65], v[26:27]
	v_mul_f64 v[26:27], v[66:67], v[26:27]
	v_fmac_f64_e32 v[88:89], v[62:63], v[20:21]
	v_add_f64 v[6:7], v[6:7], v[86:87]
	v_add_f64 v[4:5], v[4:5], v[10:11]
	s_waitcnt vmcnt(3) lgkmcnt(2)
	v_mul_f64 v[92:93], v[68:69], v[30:31]
	v_mul_f64 v[30:31], v[70:71], v[30:31]
	v_fmac_f64_e32 v[90:91], v[66:67], v[24:25]
	v_fma_f64 v[14:15], v[64:65], v[24:25], -v[26:27]
	v_add_f64 v[6:7], v[6:7], v[88:89]
	v_add_f64 v[4:5], v[4:5], v[12:13]
	s_waitcnt vmcnt(2) lgkmcnt(1)
	v_mul_f64 v[94:95], v[72:73], v[34:35]
	v_mul_f64 v[34:35], v[74:75], v[34:35]
	v_fmac_f64_e32 v[92:93], v[70:71], v[28:29]
	v_fma_f64 v[16:17], v[68:69], v[28:29], -v[30:31]
	;; [unrolled: 7-line block ×3, first 2 shown]
	v_add_f64 v[6:7], v[6:7], v[92:93]
	v_add_f64 v[4:5], v[4:5], v[16:17]
	v_fmac_f64_e32 v[96:97], v[78:79], v[36:37]
	v_fma_f64 v[20:21], v[76:77], v[36:37], -v[38:39]
	v_add_f64 v[6:7], v[6:7], v[94:95]
	v_add_f64 v[4:5], v[4:5], v[18:19]
	v_add_f64 v[6:7], v[6:7], v[96:97]
	v_add_f64 v[4:5], v[4:5], v[20:21]
	s_waitcnt vmcnt(0)
	v_add_f64 v[4:5], v[40:41], -v[4:5]
	v_add_f64 v[6:7], v[42:43], -v[6:7]
	scratch_store_dwordx4 off, v[4:7], off offset:240
	s_and_saveexec_b64 s[2:3], vcc
	s_cbranch_execz .LBB24_135
; %bb.134:
	scratch_load_dwordx4 v[6:9], off, s42
	v_mov_b32_e32 v3, v2
	v_mov_b32_e32 v4, v2
	;; [unrolled: 1-line block ×3, first 2 shown]
	scratch_store_dwordx4 off, v[2:5], off offset:224
	s_waitcnt vmcnt(1)
	ds_write_b128 v130, v[6:9]
.LBB24_135:
	s_or_b64 exec, exec, s[2:3]
	s_waitcnt lgkmcnt(0)
	; wave barrier
	scratch_load_dwordx4 v[4:7], off, off offset:240
	scratch_load_dwordx4 v[8:11], off, off offset:256
	;; [unrolled: 1-line block ×11, first 2 shown]
	ds_read_b128 v[48:51], v2 offset:640
	ds_read_b128 v[52:55], v2 offset:656
	ds_read_b128 v[56:59], v2 offset:672
	ds_read_b128 v[60:63], v2 offset:688
	ds_read_b128 v[64:67], v2 offset:704
	ds_read_b128 v[68:71], v2 offset:720
	ds_read_b128 v[72:75], v2 offset:736
	ds_read_b128 v[76:79], v2 offset:752
	ds_read_b128 v[80:83], v2 offset:768
	ds_read_b128 v[84:87], v2 offset:784
	v_cmp_lt_u32_e32 vcc, 13, v1
	s_waitcnt vmcnt(10) lgkmcnt(9)
	v_mul_f64 v[2:3], v[48:49], v[6:7]
	v_mul_f64 v[6:7], v[50:51], v[6:7]
	s_waitcnt vmcnt(9) lgkmcnt(8)
	v_mul_f64 v[88:89], v[52:53], v[10:11]
	v_mul_f64 v[10:11], v[54:55], v[10:11]
	v_fmac_f64_e32 v[2:3], v[50:51], v[4:5]
	v_fma_f64 v[4:5], v[48:49], v[4:5], -v[6:7]
	s_waitcnt vmcnt(8) lgkmcnt(7)
	v_mul_f64 v[90:91], v[56:57], v[14:15]
	v_mul_f64 v[14:15], v[58:59], v[14:15]
	v_fmac_f64_e32 v[88:89], v[54:55], v[8:9]
	v_fma_f64 v[6:7], v[52:53], v[8:9], -v[10:11]
	v_add_f64 v[2:3], v[2:3], 0
	v_add_f64 v[4:5], v[4:5], 0
	s_waitcnt vmcnt(7) lgkmcnt(6)
	v_mul_f64 v[92:93], v[60:61], v[18:19]
	v_mul_f64 v[18:19], v[62:63], v[18:19]
	v_fmac_f64_e32 v[90:91], v[58:59], v[12:13]
	v_fma_f64 v[8:9], v[56:57], v[12:13], -v[14:15]
	v_add_f64 v[2:3], v[2:3], v[88:89]
	v_add_f64 v[4:5], v[4:5], v[6:7]
	;; [unrolled: 7-line block ×8, first 2 shown]
	v_fmac_f64_e32 v[104:105], v[86:87], v[40:41]
	v_fma_f64 v[22:23], v[84:85], v[40:41], -v[42:43]
	v_add_f64 v[2:3], v[2:3], v[102:103]
	v_add_f64 v[4:5], v[4:5], v[20:21]
	;; [unrolled: 1-line block ×4, first 2 shown]
	s_waitcnt vmcnt(0)
	v_add_f64 v[2:3], v[44:45], -v[2:3]
	v_add_f64 v[4:5], v[46:47], -v[6:7]
	scratch_store_dwordx4 off, v[2:5], off offset:224
	s_and_saveexec_b64 s[2:3], vcc
	s_cbranch_execz .LBB24_137
; %bb.136:
	scratch_load_dwordx4 v[2:5], off, s41
	v_mov_b32_e32 v6, 0
	v_mov_b32_e32 v7, v6
	v_mov_b32_e32 v8, v6
	v_mov_b32_e32 v9, v6
	scratch_store_dwordx4 off, v[6:9], off offset:208
	s_waitcnt vmcnt(1)
	ds_write_b128 v130, v[2:5]
.LBB24_137:
	s_or_b64 exec, exec, s[2:3]
	v_mov_b32_e32 v2, 0
	s_waitcnt lgkmcnt(0)
	; wave barrier
	ds_read_b128 v[4:7], v2 offset:624
	ds_read_b128 v[8:11], v2 offset:640
	;; [unrolled: 1-line block ×4, first 2 shown]
	scratch_load_dwordx4 v[20:23], off, off offset:224
	scratch_load_dwordx4 v[40:43], off, off offset:288
	;; [unrolled: 1-line block ×5, first 2 shown]
	v_cmp_lt_u32_e32 vcc, 12, v1
	scratch_load_dwordx4 v[48:51], off, off offset:304
	scratch_load_dwordx4 v[56:59], off, off offset:320
	;; [unrolled: 1-line block ×3, first 2 shown]
	s_waitcnt vmcnt(7) lgkmcnt(3)
	v_mul_f64 v[24:25], v[4:5], v[22:23]
	v_fmac_f64_e32 v[24:25], v[6:7], v[20:21]
	v_add_f64 v[28:29], v[24:25], 0
	scratch_load_dwordx4 v[24:27], off, off offset:240
	v_mul_f64 v[6:7], v[6:7], v[22:23]
	v_fma_f64 v[4:5], v[4:5], v[20:21], -v[6:7]
	v_add_f64 v[4:5], v[4:5], 0
	s_waitcnt vmcnt(0) lgkmcnt(2)
	v_mul_f64 v[30:31], v[8:9], v[26:27]
	v_fmac_f64_e32 v[30:31], v[10:11], v[24:25]
	v_add_f64 v[32:33], v[28:29], v[30:31]
	scratch_load_dwordx4 v[28:31], off, off offset:256
	v_mul_f64 v[6:7], v[10:11], v[26:27]
	v_fma_f64 v[6:7], v[8:9], v[24:25], -v[6:7]
	v_add_f64 v[4:5], v[4:5], v[6:7]
	;; [unrolled: 8-line block ×3, first 2 shown]
	s_waitcnt vmcnt(0) lgkmcnt(0)
	v_mul_f64 v[38:39], v[16:17], v[34:35]
	v_fmac_f64_e32 v[38:39], v[18:19], v[32:33]
	v_add_f64 v[44:45], v[36:37], v[38:39]
	ds_read_b128 v[36:39], v2 offset:688
	v_mul_f64 v[6:7], v[18:19], v[34:35]
	v_fma_f64 v[6:7], v[16:17], v[32:33], -v[6:7]
	v_add_f64 v[4:5], v[4:5], v[6:7]
	s_waitcnt lgkmcnt(0)
	v_mul_f64 v[46:47], v[36:37], v[42:43]
	v_fmac_f64_e32 v[46:47], v[38:39], v[40:41]
	v_add_f64 v[52:53], v[44:45], v[46:47]
	ds_read_b128 v[44:47], v2 offset:704
	v_mul_f64 v[6:7], v[38:39], v[42:43]
	v_fma_f64 v[6:7], v[36:37], v[40:41], -v[6:7]
	v_add_f64 v[4:5], v[4:5], v[6:7]
	s_waitcnt lgkmcnt(0)
	;; [unrolled: 8-line block ×7, first 2 shown]
	v_mul_f64 v[6:7], v[86:87], v[90:91]
	v_fma_f64 v[6:7], v[84:85], v[88:89], -v[6:7]
	v_add_f64 v[8:9], v[4:5], v[6:7]
	scratch_load_dwordx4 v[4:7], off, off offset:208
	v_mul_f64 v[94:95], v[84:85], v[90:91]
	v_fmac_f64_e32 v[94:95], v[86:87], v[88:89]
	v_add_f64 v[92:93], v[92:93], v[94:95]
	s_waitcnt vmcnt(0)
	v_add_f64 v[4:5], v[4:5], -v[8:9]
	v_add_f64 v[6:7], v[6:7], -v[92:93]
	scratch_store_dwordx4 off, v[4:7], off offset:208
	s_and_saveexec_b64 s[2:3], vcc
	s_cbranch_execz .LBB24_139
; %bb.138:
	scratch_load_dwordx4 v[6:9], off, s40
	v_mov_b32_e32 v3, v2
	v_mov_b32_e32 v4, v2
	;; [unrolled: 1-line block ×3, first 2 shown]
	scratch_store_dwordx4 off, v[2:5], off offset:192
	s_waitcnt vmcnt(1)
	ds_write_b128 v130, v[6:9]
.LBB24_139:
	s_or_b64 exec, exec, s[2:3]
	s_waitcnt lgkmcnt(0)
	; wave barrier
	ds_read_b128 v[4:7], v2 offset:608
	ds_read_b128 v[8:11], v2 offset:624
	;; [unrolled: 1-line block ×4, first 2 shown]
	scratch_load_dwordx4 v[20:23], off, off offset:208
	scratch_load_dwordx4 v[40:43], off, off offset:272
	scratch_load_dwordx4 v[72:75], off, off offset:336
	scratch_load_dwordx4 v[80:83], off, off offset:352
	scratch_load_dwordx4 v[88:91], off, off offset:368
	scratch_load_dwordx4 v[96:99], off, off offset:384
	v_cmp_lt_u32_e32 vcc, 11, v1
	scratch_load_dwordx4 v[48:51], off, off offset:288
	scratch_load_dwordx4 v[56:59], off, off offset:304
	;; [unrolled: 1-line block ×3, first 2 shown]
	s_waitcnt vmcnt(8) lgkmcnt(3)
	v_mul_f64 v[24:25], v[4:5], v[22:23]
	v_fmac_f64_e32 v[24:25], v[6:7], v[20:21]
	v_add_f64 v[28:29], v[24:25], 0
	scratch_load_dwordx4 v[24:27], off, off offset:224
	s_waitcnt vmcnt(0) lgkmcnt(2)
	v_mul_f64 v[30:31], v[8:9], v[26:27]
	v_fmac_f64_e32 v[30:31], v[10:11], v[24:25]
	v_add_f64 v[32:33], v[28:29], v[30:31]
	scratch_load_dwordx4 v[28:31], off, off offset:240
	;; [unrolled: 5-line block ×3, first 2 shown]
	s_waitcnt vmcnt(0) lgkmcnt(0)
	v_mul_f64 v[38:39], v[16:17], v[34:35]
	v_fmac_f64_e32 v[38:39], v[18:19], v[32:33]
	v_add_f64 v[44:45], v[36:37], v[38:39]
	ds_read_b128 v[36:39], v2 offset:672
	s_waitcnt lgkmcnt(0)
	v_mul_f64 v[46:47], v[36:37], v[42:43]
	v_fmac_f64_e32 v[46:47], v[38:39], v[40:41]
	v_add_f64 v[52:53], v[44:45], v[46:47]
	ds_read_b128 v[44:47], v2 offset:688
	s_waitcnt lgkmcnt(0)
	;; [unrolled: 5-line block ×8, first 2 shown]
	v_mul_f64 v[2:3], v[92:93], v[98:99]
	v_fmac_f64_e32 v[2:3], v[94:95], v[96:97]
	v_add_f64 v[100:101], v[100:101], v[2:3]
	v_mul_f64 v[2:3], v[6:7], v[22:23]
	v_fma_f64 v[2:3], v[4:5], v[20:21], -v[2:3]
	v_mul_f64 v[4:5], v[10:11], v[26:27]
	v_add_f64 v[2:3], v[2:3], 0
	v_fma_f64 v[4:5], v[8:9], v[24:25], -v[4:5]
	v_add_f64 v[2:3], v[2:3], v[4:5]
	v_mul_f64 v[4:5], v[14:15], v[30:31]
	v_fma_f64 v[4:5], v[12:13], v[28:29], -v[4:5]
	v_add_f64 v[2:3], v[2:3], v[4:5]
	v_mul_f64 v[4:5], v[18:19], v[34:35]
	;; [unrolled: 3-line block ×10, first 2 shown]
	v_fma_f64 v[4:5], v[92:93], v[96:97], -v[4:5]
	v_add_f64 v[6:7], v[2:3], v[4:5]
	scratch_load_dwordx4 v[2:5], off, off offset:192
	s_waitcnt vmcnt(0)
	v_add_f64 v[2:3], v[2:3], -v[6:7]
	v_add_f64 v[4:5], v[4:5], -v[100:101]
	scratch_store_dwordx4 off, v[2:5], off offset:192
	s_and_saveexec_b64 s[2:3], vcc
	s_cbranch_execz .LBB24_141
; %bb.140:
	scratch_load_dwordx4 v[2:5], off, s37
	v_mov_b32_e32 v6, 0
	v_mov_b32_e32 v7, v6
	;; [unrolled: 1-line block ×4, first 2 shown]
	scratch_store_dwordx4 off, v[6:9], off offset:176
	s_waitcnt vmcnt(1)
	ds_write_b128 v130, v[2:5]
.LBB24_141:
	s_or_b64 exec, exec, s[2:3]
	v_mov_b32_e32 v2, 0
	s_waitcnt lgkmcnt(0)
	; wave barrier
	ds_read_b128 v[4:7], v2 offset:592
	ds_read_b128 v[8:11], v2 offset:608
	;; [unrolled: 1-line block ×4, first 2 shown]
	scratch_load_dwordx4 v[20:23], off, off offset:192
	scratch_load_dwordx4 v[40:43], off, off offset:256
	;; [unrolled: 1-line block ×7, first 2 shown]
	v_cmp_lt_u32_e32 vcc, 10, v1
	scratch_load_dwordx4 v[48:51], off, off offset:272
	scratch_load_dwordx4 v[56:59], off, off offset:288
	;; [unrolled: 1-line block ×3, first 2 shown]
	s_waitcnt vmcnt(9) lgkmcnt(3)
	v_mul_f64 v[24:25], v[4:5], v[22:23]
	v_fmac_f64_e32 v[24:25], v[6:7], v[20:21]
	v_add_f64 v[28:29], v[24:25], 0
	scratch_load_dwordx4 v[24:27], off, off offset:208
	v_mul_f64 v[6:7], v[6:7], v[22:23]
	v_fma_f64 v[4:5], v[4:5], v[20:21], -v[6:7]
	v_add_f64 v[4:5], v[4:5], 0
	s_waitcnt vmcnt(0) lgkmcnt(2)
	v_mul_f64 v[30:31], v[8:9], v[26:27]
	v_fmac_f64_e32 v[30:31], v[10:11], v[24:25]
	v_add_f64 v[32:33], v[28:29], v[30:31]
	scratch_load_dwordx4 v[28:31], off, off offset:224
	v_mul_f64 v[6:7], v[10:11], v[26:27]
	v_fma_f64 v[6:7], v[8:9], v[24:25], -v[6:7]
	v_add_f64 v[4:5], v[4:5], v[6:7]
	;; [unrolled: 8-line block ×3, first 2 shown]
	s_waitcnt vmcnt(0) lgkmcnt(0)
	v_mul_f64 v[38:39], v[16:17], v[34:35]
	v_fmac_f64_e32 v[38:39], v[18:19], v[32:33]
	v_add_f64 v[44:45], v[36:37], v[38:39]
	ds_read_b128 v[36:39], v2 offset:656
	v_mul_f64 v[6:7], v[18:19], v[34:35]
	v_fma_f64 v[6:7], v[16:17], v[32:33], -v[6:7]
	v_add_f64 v[4:5], v[4:5], v[6:7]
	s_waitcnt lgkmcnt(0)
	v_mul_f64 v[46:47], v[36:37], v[42:43]
	v_fmac_f64_e32 v[46:47], v[38:39], v[40:41]
	v_add_f64 v[52:53], v[44:45], v[46:47]
	ds_read_b128 v[44:47], v2 offset:672
	v_mul_f64 v[6:7], v[38:39], v[42:43]
	v_fma_f64 v[6:7], v[36:37], v[40:41], -v[6:7]
	v_add_f64 v[4:5], v[4:5], v[6:7]
	s_waitcnt lgkmcnt(0)
	;; [unrolled: 8-line block ×9, first 2 shown]
	v_mul_f64 v[6:7], v[102:103], v[106:107]
	v_fma_f64 v[6:7], v[100:101], v[104:105], -v[6:7]
	v_add_f64 v[8:9], v[4:5], v[6:7]
	scratch_load_dwordx4 v[4:7], off, off offset:176
	v_mul_f64 v[110:111], v[100:101], v[106:107]
	v_fmac_f64_e32 v[110:111], v[102:103], v[104:105]
	v_add_f64 v[108:109], v[108:109], v[110:111]
	s_waitcnt vmcnt(0)
	v_add_f64 v[4:5], v[4:5], -v[8:9]
	v_add_f64 v[6:7], v[6:7], -v[108:109]
	scratch_store_dwordx4 off, v[4:7], off offset:176
	s_and_saveexec_b64 s[2:3], vcc
	s_cbranch_execz .LBB24_143
; %bb.142:
	scratch_load_dwordx4 v[6:9], off, s27
	v_mov_b32_e32 v3, v2
	v_mov_b32_e32 v4, v2
	;; [unrolled: 1-line block ×3, first 2 shown]
	scratch_store_dwordx4 off, v[2:5], off offset:160
	s_waitcnt vmcnt(1)
	ds_write_b128 v130, v[6:9]
.LBB24_143:
	s_or_b64 exec, exec, s[2:3]
	s_waitcnt lgkmcnt(0)
	; wave barrier
	scratch_load_dwordx4 v[8:11], off, off offset:176
	scratch_load_dwordx4 v[4:7], off, off offset:192
	;; [unrolled: 1-line block ×14, first 2 shown]
	ds_read_b128 v[60:63], v2 offset:576
	ds_read_b128 v[64:67], v2 offset:592
	;; [unrolled: 1-line block ×14, first 2 shown]
	scratch_load_dwordx4 v[116:119], off, off offset:160
	v_cmp_lt_u32_e32 vcc, 9, v1
	s_waitcnt vmcnt(14) lgkmcnt(13)
	v_mul_f64 v[2:3], v[60:61], v[10:11]
	s_waitcnt vmcnt(13) lgkmcnt(12)
	v_mul_f64 v[120:121], v[64:65], v[6:7]
	v_fmac_f64_e32 v[2:3], v[62:63], v[8:9]
	s_waitcnt vmcnt(12) lgkmcnt(11)
	v_mul_f64 v[122:123], v[68:69], v[14:15]
	v_fmac_f64_e32 v[120:121], v[66:67], v[4:5]
	v_add_f64 v[2:3], v[2:3], 0
	s_waitcnt vmcnt(11) lgkmcnt(10)
	v_mul_f64 v[124:125], v[72:73], v[18:19]
	v_fmac_f64_e32 v[122:123], v[70:71], v[12:13]
	v_add_f64 v[2:3], v[2:3], v[120:121]
	;; [unrolled: 4-line block ×4, first 2 shown]
	s_waitcnt vmcnt(8) lgkmcnt(7)
	v_mul_f64 v[132:133], v[84:85], v[30:31]
	v_mul_f64 v[10:11], v[62:63], v[10:11]
	v_fmac_f64_e32 v[128:129], v[82:83], v[24:25]
	v_add_f64 v[2:3], v[2:3], v[126:127]
	s_waitcnt vmcnt(7) lgkmcnt(6)
	v_mul_f64 v[134:135], v[88:89], v[34:35]
	v_mul_f64 v[6:7], v[66:67], v[6:7]
	v_fma_f64 v[8:9], v[60:61], v[8:9], -v[10:11]
	v_fmac_f64_e32 v[132:133], v[86:87], v[28:29]
	v_add_f64 v[2:3], v[2:3], v[128:129]
	s_waitcnt vmcnt(6) lgkmcnt(5)
	v_mul_f64 v[136:137], v[92:93], v[38:39]
	v_mul_f64 v[14:15], v[70:71], v[14:15]
	v_fmac_f64_e32 v[134:135], v[90:91], v[32:33]
	v_fma_f64 v[4:5], v[64:65], v[4:5], -v[6:7]
	v_add_f64 v[8:9], v[8:9], 0
	v_add_f64 v[2:3], v[2:3], v[132:133]
	s_waitcnt vmcnt(5) lgkmcnt(4)
	v_mul_f64 v[138:139], v[96:97], v[42:43]
	v_mul_f64 v[18:19], v[74:75], v[18:19]
	v_fmac_f64_e32 v[136:137], v[94:95], v[36:37]
	v_fma_f64 v[6:7], v[68:69], v[12:13], -v[14:15]
	v_add_f64 v[4:5], v[8:9], v[4:5]
	v_add_f64 v[2:3], v[2:3], v[134:135]
	s_waitcnt vmcnt(4) lgkmcnt(3)
	v_mul_f64 v[140:141], v[100:101], v[46:47]
	v_mul_f64 v[22:23], v[78:79], v[22:23]
	v_fmac_f64_e32 v[138:139], v[98:99], v[40:41]
	v_fma_f64 v[10:11], v[72:73], v[16:17], -v[18:19]
	v_add_f64 v[4:5], v[4:5], v[6:7]
	v_add_f64 v[2:3], v[2:3], v[136:137]
	s_waitcnt vmcnt(3) lgkmcnt(2)
	v_mul_f64 v[142:143], v[104:105], v[50:51]
	v_mul_f64 v[26:27], v[82:83], v[26:27]
	v_fmac_f64_e32 v[140:141], v[102:103], v[44:45]
	v_fma_f64 v[12:13], v[76:77], v[20:21], -v[22:23]
	v_add_f64 v[4:5], v[4:5], v[10:11]
	v_add_f64 v[2:3], v[2:3], v[138:139]
	s_waitcnt vmcnt(2) lgkmcnt(1)
	v_mul_f64 v[144:145], v[108:109], v[54:55]
	v_mul_f64 v[30:31], v[86:87], v[30:31]
	v_fmac_f64_e32 v[142:143], v[106:107], v[48:49]
	v_fma_f64 v[14:15], v[80:81], v[24:25], -v[26:27]
	v_add_f64 v[4:5], v[4:5], v[12:13]
	v_add_f64 v[2:3], v[2:3], v[140:141]
	s_waitcnt vmcnt(1) lgkmcnt(0)
	v_mul_f64 v[146:147], v[112:113], v[58:59]
	v_mul_f64 v[34:35], v[90:91], v[34:35]
	v_fmac_f64_e32 v[144:145], v[110:111], v[52:53]
	v_fma_f64 v[16:17], v[84:85], v[28:29], -v[30:31]
	v_add_f64 v[4:5], v[4:5], v[14:15]
	v_add_f64 v[2:3], v[2:3], v[142:143]
	v_fmac_f64_e32 v[146:147], v[114:115], v[56:57]
	v_fma_f64 v[18:19], v[88:89], v[32:33], -v[34:35]
	v_add_f64 v[4:5], v[4:5], v[16:17]
	v_add_f64 v[2:3], v[2:3], v[144:145]
	;; [unrolled: 1-line block ×4, first 2 shown]
	v_mul_f64 v[4:5], v[94:95], v[38:39]
	v_fma_f64 v[4:5], v[92:93], v[36:37], -v[4:5]
	v_add_f64 v[2:3], v[2:3], v[4:5]
	v_mul_f64 v[4:5], v[98:99], v[42:43]
	v_fma_f64 v[4:5], v[96:97], v[40:41], -v[4:5]
	v_add_f64 v[2:3], v[2:3], v[4:5]
	;; [unrolled: 3-line block ×6, first 2 shown]
	s_waitcnt vmcnt(0)
	v_add_f64 v[2:3], v[116:117], -v[2:3]
	v_add_f64 v[4:5], v[118:119], -v[6:7]
	scratch_store_dwordx4 off, v[2:5], off offset:160
	s_and_saveexec_b64 s[2:3], vcc
	s_cbranch_execz .LBB24_145
; %bb.144:
	scratch_load_dwordx4 v[2:5], off, s24
	v_mov_b32_e32 v6, 0
	v_mov_b32_e32 v7, v6
	;; [unrolled: 1-line block ×4, first 2 shown]
	scratch_store_dwordx4 off, v[6:9], off offset:144
	s_waitcnt vmcnt(1)
	ds_write_b128 v130, v[2:5]
.LBB24_145:
	s_or_b64 exec, exec, s[2:3]
	s_waitcnt lgkmcnt(0)
	; wave barrier
	scratch_load_dwordx4 v[4:7], off, off offset:160
	scratch_load_dwordx4 v[8:11], off, off offset:176
	;; [unrolled: 1-line block ×16, first 2 shown]
	v_mov_b32_e32 v2, 0
	ds_read_b128 v[68:71], v2 offset:560
	ds_read_b128 v[72:75], v2 offset:576
	;; [unrolled: 1-line block ×15, first 2 shown]
	v_cmp_lt_u32_e32 vcc, 8, v1
	s_waitcnt vmcnt(15) lgkmcnt(14)
	v_mul_f64 v[128:129], v[68:69], v[6:7]
	v_mul_f64 v[6:7], v[70:71], v[6:7]
	s_waitcnt vmcnt(14) lgkmcnt(13)
	v_mul_f64 v[132:133], v[72:73], v[10:11]
	v_mul_f64 v[10:11], v[74:75], v[10:11]
	v_fmac_f64_e32 v[128:129], v[70:71], v[4:5]
	v_fma_f64 v[4:5], v[68:69], v[4:5], -v[6:7]
	s_waitcnt vmcnt(13) lgkmcnt(12)
	v_mul_f64 v[134:135], v[76:77], v[14:15]
	v_mul_f64 v[14:15], v[78:79], v[14:15]
	v_fma_f64 v[6:7], v[72:73], v[8:9], -v[10:11]
	v_add_f64 v[4:5], v[4:5], 0
	s_waitcnt vmcnt(12) lgkmcnt(11)
	v_mul_f64 v[136:137], v[80:81], v[18:19]
	v_mul_f64 v[18:19], v[82:83], v[18:19]
	v_fmac_f64_e32 v[132:133], v[74:75], v[8:9]
	v_fma_f64 v[8:9], v[76:77], v[12:13], -v[14:15]
	v_add_f64 v[4:5], v[4:5], v[6:7]
	s_waitcnt vmcnt(11) lgkmcnt(10)
	v_mul_f64 v[138:139], v[84:85], v[22:23]
	v_mul_f64 v[22:23], v[86:87], v[22:23]
	v_fma_f64 v[10:11], v[80:81], v[16:17], -v[18:19]
	v_add_f64 v[4:5], v[4:5], v[8:9]
	s_waitcnt vmcnt(10) lgkmcnt(9)
	v_mul_f64 v[140:141], v[88:89], v[26:27]
	v_mul_f64 v[26:27], v[90:91], v[26:27]
	v_fmac_f64_e32 v[134:135], v[78:79], v[12:13]
	v_fma_f64 v[12:13], v[84:85], v[20:21], -v[22:23]
	v_add_f64 v[4:5], v[4:5], v[10:11]
	v_fma_f64 v[14:15], v[88:89], v[24:25], -v[26:27]
	v_add_f64 v[4:5], v[4:5], v[12:13]
	s_waitcnt vmcnt(9) lgkmcnt(8)
	v_mul_f64 v[8:9], v[94:95], v[30:31]
	v_add_f64 v[4:5], v[4:5], v[14:15]
	v_fma_f64 v[8:9], v[92:93], v[28:29], -v[8:9]
	v_add_f64 v[4:5], v[4:5], v[8:9]
	s_waitcnt vmcnt(8) lgkmcnt(7)
	v_mul_f64 v[8:9], v[98:99], v[34:35]
	v_fma_f64 v[8:9], v[96:97], v[32:33], -v[8:9]
	v_fmac_f64_e32 v[136:137], v[82:83], v[16:17]
	v_add_f64 v[16:17], v[128:129], 0
	v_add_f64 v[4:5], v[4:5], v[8:9]
	s_waitcnt vmcnt(7) lgkmcnt(6)
	v_mul_f64 v[8:9], v[102:103], v[38:39]
	v_add_f64 v[16:17], v[16:17], v[132:133]
	v_fma_f64 v[8:9], v[100:101], v[36:37], -v[8:9]
	v_add_f64 v[6:7], v[16:17], v[134:135]
	v_add_f64 v[4:5], v[4:5], v[8:9]
	s_waitcnt vmcnt(6) lgkmcnt(5)
	v_mul_f64 v[8:9], v[106:107], v[42:43]
	v_fmac_f64_e32 v[138:139], v[86:87], v[20:21]
	v_add_f64 v[6:7], v[6:7], v[136:137]
	v_fma_f64 v[8:9], v[104:105], v[40:41], -v[8:9]
	v_mul_f64 v[142:143], v[92:93], v[30:31]
	v_fmac_f64_e32 v[140:141], v[90:91], v[24:25]
	v_add_f64 v[6:7], v[6:7], v[138:139]
	v_add_f64 v[4:5], v[4:5], v[8:9]
	s_waitcnt vmcnt(5) lgkmcnt(4)
	v_mul_f64 v[8:9], v[110:111], v[46:47]
	v_mul_f64 v[144:145], v[96:97], v[34:35]
	v_fmac_f64_e32 v[142:143], v[94:95], v[28:29]
	v_add_f64 v[6:7], v[6:7], v[140:141]
	v_fma_f64 v[8:9], v[108:109], v[44:45], -v[8:9]
	v_mul_f64 v[146:147], v[100:101], v[38:39]
	v_fmac_f64_e32 v[144:145], v[98:99], v[32:33]
	v_add_f64 v[6:7], v[6:7], v[142:143]
	v_add_f64 v[4:5], v[4:5], v[8:9]
	s_waitcnt vmcnt(4) lgkmcnt(3)
	v_mul_f64 v[8:9], v[114:115], v[50:51]
	;; [unrolled: 10-line block ×4, first 2 shown]
	v_mul_f64 v[206:207], v[120:121], v[58:59]
	v_fmac_f64_e32 v[204:205], v[118:119], v[52:53]
	v_add_f64 v[6:7], v[6:7], v[202:203]
	v_fma_f64 v[8:9], v[120:121], v[56:57], -v[8:9]
	s_waitcnt vmcnt(1) lgkmcnt(0)
	v_mul_f64 v[208:209], v[124:125], v[62:63]
	v_fmac_f64_e32 v[206:207], v[122:123], v[56:57]
	v_add_f64 v[6:7], v[6:7], v[204:205]
	v_add_f64 v[4:5], v[4:5], v[8:9]
	v_mul_f64 v[8:9], v[126:127], v[62:63]
	v_fmac_f64_e32 v[208:209], v[126:127], v[60:61]
	v_add_f64 v[6:7], v[6:7], v[206:207]
	v_fma_f64 v[8:9], v[124:125], v[60:61], -v[8:9]
	v_add_f64 v[6:7], v[6:7], v[208:209]
	v_add_f64 v[4:5], v[4:5], v[8:9]
	s_waitcnt vmcnt(0)
	v_add_f64 v[4:5], v[64:65], -v[4:5]
	v_add_f64 v[6:7], v[66:67], -v[6:7]
	scratch_store_dwordx4 off, v[4:7], off offset:144
	s_and_saveexec_b64 s[2:3], vcc
	s_cbranch_execz .LBB24_147
; %bb.146:
	scratch_load_dwordx4 v[6:9], off, s17
	v_mov_b32_e32 v3, v2
	v_mov_b32_e32 v4, v2
	;; [unrolled: 1-line block ×3, first 2 shown]
	scratch_store_dwordx4 off, v[2:5], off offset:128
	s_waitcnt vmcnt(1)
	ds_write_b128 v130, v[6:9]
.LBB24_147:
	s_or_b64 exec, exec, s[2:3]
	s_waitcnt lgkmcnt(0)
	; wave barrier
	scratch_load_dwordx4 v[4:7], off, off offset:144
	scratch_load_dwordx4 v[8:11], off, off offset:160
	;; [unrolled: 1-line block ×16, first 2 shown]
	ds_read_b128 v[68:71], v2 offset:544
	ds_read_b128 v[72:75], v2 offset:560
	;; [unrolled: 1-line block ×16, first 2 shown]
	scratch_load_dwordx4 v[136:139], off, off offset:128
	v_cmp_lt_u32_e32 vcc, 7, v1
	s_waitcnt vmcnt(16) lgkmcnt(14)
	v_mul_f64 v[2:3], v[68:69], v[6:7]
	s_waitcnt vmcnt(15)
	v_mul_f64 v[128:129], v[72:73], v[10:11]
	v_fmac_f64_e32 v[2:3], v[70:71], v[4:5]
	s_waitcnt vmcnt(14) lgkmcnt(13)
	v_mul_f64 v[140:141], v[76:77], v[14:15]
	v_fmac_f64_e32 v[128:129], v[74:75], v[8:9]
	v_add_f64 v[2:3], v[2:3], 0
	s_waitcnt vmcnt(13) lgkmcnt(12)
	v_mul_f64 v[142:143], v[80:81], v[18:19]
	v_fmac_f64_e32 v[140:141], v[78:79], v[12:13]
	v_add_f64 v[2:3], v[2:3], v[128:129]
	s_waitcnt vmcnt(12) lgkmcnt(11)
	v_mul_f64 v[144:145], v[84:85], v[26:27]
	v_fmac_f64_e32 v[142:143], v[82:83], v[16:17]
	v_add_f64 v[2:3], v[2:3], v[140:141]
	s_waitcnt vmcnt(11) lgkmcnt(10)
	v_mul_f64 v[146:147], v[88:89], v[22:23]
	v_fmac_f64_e32 v[144:145], v[86:87], v[24:25]
	v_add_f64 v[2:3], v[2:3], v[142:143]
	s_waitcnt vmcnt(10) lgkmcnt(9)
	v_mul_f64 v[198:199], v[92:93], v[30:31]
	v_fmac_f64_e32 v[146:147], v[90:91], v[20:21]
	v_add_f64 v[2:3], v[2:3], v[144:145]
	s_waitcnt vmcnt(9) lgkmcnt(8)
	v_mul_f64 v[200:201], v[96:97], v[34:35]
	v_fmac_f64_e32 v[198:199], v[94:95], v[28:29]
	v_add_f64 v[2:3], v[2:3], v[146:147]
	s_waitcnt vmcnt(8) lgkmcnt(7)
	v_mul_f64 v[202:203], v[100:101], v[38:39]
	v_fmac_f64_e32 v[200:201], v[98:99], v[32:33]
	v_add_f64 v[2:3], v[2:3], v[198:199]
	s_waitcnt vmcnt(7) lgkmcnt(6)
	v_mul_f64 v[204:205], v[104:105], v[42:43]
	v_fmac_f64_e32 v[202:203], v[102:103], v[36:37]
	v_add_f64 v[2:3], v[2:3], v[200:201]
	s_waitcnt vmcnt(6) lgkmcnt(5)
	v_mul_f64 v[206:207], v[108:109], v[46:47]
	v_fmac_f64_e32 v[204:205], v[106:107], v[40:41]
	v_add_f64 v[2:3], v[2:3], v[202:203]
	s_waitcnt vmcnt(5) lgkmcnt(4)
	v_mul_f64 v[208:209], v[112:113], v[50:51]
	v_fmac_f64_e32 v[206:207], v[110:111], v[44:45]
	v_add_f64 v[2:3], v[2:3], v[204:205]
	s_waitcnt vmcnt(4) lgkmcnt(3)
	v_mul_f64 v[210:211], v[116:117], v[54:55]
	v_mul_f64 v[6:7], v[70:71], v[6:7]
	v_fmac_f64_e32 v[208:209], v[114:115], v[48:49]
	v_add_f64 v[2:3], v[2:3], v[206:207]
	s_waitcnt vmcnt(3) lgkmcnt(2)
	v_mul_f64 v[212:213], v[120:121], v[58:59]
	v_mul_f64 v[10:11], v[74:75], v[10:11]
	v_fmac_f64_e32 v[210:211], v[118:119], v[52:53]
	v_fma_f64 v[4:5], v[68:69], v[4:5], -v[6:7]
	v_add_f64 v[2:3], v[2:3], v[208:209]
	s_waitcnt vmcnt(2) lgkmcnt(1)
	v_mul_f64 v[214:215], v[124:125], v[62:63]
	v_mul_f64 v[14:15], v[78:79], v[14:15]
	v_fmac_f64_e32 v[212:213], v[122:123], v[56:57]
	v_fma_f64 v[6:7], v[72:73], v[8:9], -v[10:11]
	v_add_f64 v[4:5], v[4:5], 0
	v_add_f64 v[2:3], v[2:3], v[210:211]
	s_waitcnt vmcnt(1) lgkmcnt(0)
	v_mul_f64 v[216:217], v[132:133], v[66:67]
	v_mul_f64 v[18:19], v[82:83], v[18:19]
	v_fmac_f64_e32 v[214:215], v[126:127], v[60:61]
	v_fma_f64 v[8:9], v[76:77], v[12:13], -v[14:15]
	v_add_f64 v[4:5], v[4:5], v[6:7]
	v_add_f64 v[2:3], v[2:3], v[212:213]
	v_mul_f64 v[26:27], v[86:87], v[26:27]
	v_fmac_f64_e32 v[216:217], v[134:135], v[64:65]
	v_fma_f64 v[10:11], v[80:81], v[16:17], -v[18:19]
	v_add_f64 v[4:5], v[4:5], v[8:9]
	v_add_f64 v[2:3], v[2:3], v[214:215]
	v_fma_f64 v[12:13], v[84:85], v[24:25], -v[26:27]
	v_add_f64 v[4:5], v[4:5], v[10:11]
	v_add_f64 v[6:7], v[2:3], v[216:217]
	v_mul_f64 v[2:3], v[90:91], v[22:23]
	v_add_f64 v[4:5], v[4:5], v[12:13]
	v_fma_f64 v[2:3], v[88:89], v[20:21], -v[2:3]
	v_add_f64 v[2:3], v[4:5], v[2:3]
	v_mul_f64 v[4:5], v[94:95], v[30:31]
	v_fma_f64 v[4:5], v[92:93], v[28:29], -v[4:5]
	v_add_f64 v[2:3], v[2:3], v[4:5]
	v_mul_f64 v[4:5], v[98:99], v[34:35]
	;; [unrolled: 3-line block ×10, first 2 shown]
	v_fma_f64 v[4:5], v[132:133], v[64:65], -v[4:5]
	v_add_f64 v[2:3], v[2:3], v[4:5]
	s_waitcnt vmcnt(0)
	v_add_f64 v[2:3], v[136:137], -v[2:3]
	v_add_f64 v[4:5], v[138:139], -v[6:7]
	scratch_store_dwordx4 off, v[2:5], off offset:128
	s_and_saveexec_b64 s[2:3], vcc
	s_cbranch_execz .LBB24_149
; %bb.148:
	scratch_load_dwordx4 v[2:5], off, s28
	v_mov_b32_e32 v6, 0
	v_mov_b32_e32 v7, v6
	;; [unrolled: 1-line block ×4, first 2 shown]
	scratch_store_dwordx4 off, v[6:9], off offset:112
	s_waitcnt vmcnt(1)
	ds_write_b128 v130, v[2:5]
.LBB24_149:
	s_or_b64 exec, exec, s[2:3]
	s_waitcnt lgkmcnt(0)
	; wave barrier
	scratch_load_dwordx4 v[4:7], off, off offset:128
	scratch_load_dwordx4 v[8:11], off, off offset:144
	;; [unrolled: 1-line block ×18, first 2 shown]
	v_mov_b32_e32 v2, 0
	ds_read_b128 v[76:79], v2 offset:528
	ds_read_b128 v[80:83], v2 offset:544
	;; [unrolled: 1-line block ×17, first 2 shown]
	v_cmp_lt_u32_e32 vcc, 6, v1
	s_waitcnt vmcnt(17) lgkmcnt(14)
	v_mul_f64 v[128:129], v[76:77], v[6:7]
	v_mul_f64 v[6:7], v[78:79], v[6:7]
	s_waitcnt vmcnt(16)
	v_mul_f64 v[198:199], v[80:81], v[10:11]
	v_mul_f64 v[10:11], v[82:83], v[10:11]
	v_fmac_f64_e32 v[128:129], v[78:79], v[4:5]
	v_fma_f64 v[4:5], v[76:77], v[4:5], -v[6:7]
	s_waitcnt vmcnt(15)
	v_mul_f64 v[200:201], v[84:85], v[18:19]
	v_mul_f64 v[18:19], v[86:87], v[18:19]
	v_fma_f64 v[6:7], v[80:81], v[8:9], -v[10:11]
	v_add_f64 v[4:5], v[4:5], 0
	s_waitcnt vmcnt(14) lgkmcnt(13)
	v_mul_f64 v[202:203], v[88:89], v[14:15]
	v_mul_f64 v[14:15], v[90:91], v[14:15]
	v_fmac_f64_e32 v[198:199], v[82:83], v[8:9]
	v_fma_f64 v[8:9], v[84:85], v[16:17], -v[18:19]
	v_add_f64 v[4:5], v[4:5], v[6:7]
	v_add_f64 v[4:5], v[4:5], v[8:9]
	v_fma_f64 v[8:9], v[88:89], v[12:13], -v[14:15]
	v_add_f64 v[4:5], v[4:5], v[8:9]
	s_waitcnt vmcnt(13) lgkmcnt(12)
	v_mul_f64 v[8:9], v[94:95], v[22:23]
	v_fma_f64 v[8:9], v[92:93], v[20:21], -v[8:9]
	v_add_f64 v[4:5], v[4:5], v[8:9]
	s_waitcnt vmcnt(12) lgkmcnt(11)
	v_mul_f64 v[8:9], v[98:99], v[26:27]
	;; [unrolled: 4-line block ×5, first 2 shown]
	v_fma_f64 v[8:9], v[108:109], v[36:37], -v[8:9]
	v_add_f64 v[10:11], v[128:129], 0
	v_add_f64 v[4:5], v[4:5], v[8:9]
	s_waitcnt vmcnt(8) lgkmcnt(7)
	v_mul_f64 v[8:9], v[114:115], v[42:43]
	v_fmac_f64_e32 v[200:201], v[86:87], v[16:17]
	v_add_f64 v[10:11], v[10:11], v[198:199]
	v_fma_f64 v[8:9], v[112:113], v[40:41], -v[8:9]
	v_mul_f64 v[204:205], v[92:93], v[22:23]
	v_fmac_f64_e32 v[202:203], v[90:91], v[12:13]
	v_add_f64 v[6:7], v[10:11], v[200:201]
	v_add_f64 v[4:5], v[4:5], v[8:9]
	s_waitcnt vmcnt(7) lgkmcnt(6)
	v_mul_f64 v[8:9], v[118:119], v[46:47]
	v_mul_f64 v[206:207], v[96:97], v[26:27]
	v_fmac_f64_e32 v[204:205], v[94:95], v[20:21]
	v_add_f64 v[6:7], v[6:7], v[202:203]
	v_fma_f64 v[8:9], v[116:117], v[44:45], -v[8:9]
	v_mul_f64 v[208:209], v[100:101], v[30:31]
	v_fmac_f64_e32 v[206:207], v[98:99], v[24:25]
	v_add_f64 v[6:7], v[6:7], v[204:205]
	v_add_f64 v[4:5], v[4:5], v[8:9]
	s_waitcnt vmcnt(6) lgkmcnt(5)
	v_mul_f64 v[8:9], v[122:123], v[50:51]
	;; [unrolled: 10-line block ×6, first 2 shown]
	v_mul_f64 v[226:227], v[140:141], v[66:67]
	v_fmac_f64_e32 v[224:225], v[138:139], v[60:61]
	v_add_f64 v[6:7], v[6:7], v[222:223]
	v_fma_f64 v[8:9], v[140:141], v[64:65], -v[8:9]
	s_waitcnt vmcnt(1) lgkmcnt(0)
	v_mul_f64 v[228:229], v[144:145], v[70:71]
	v_fmac_f64_e32 v[226:227], v[142:143], v[64:65]
	v_add_f64 v[6:7], v[6:7], v[224:225]
	v_add_f64 v[4:5], v[4:5], v[8:9]
	v_mul_f64 v[8:9], v[146:147], v[70:71]
	v_fmac_f64_e32 v[228:229], v[146:147], v[68:69]
	v_add_f64 v[6:7], v[6:7], v[226:227]
	v_fma_f64 v[8:9], v[144:145], v[68:69], -v[8:9]
	v_add_f64 v[6:7], v[6:7], v[228:229]
	v_add_f64 v[4:5], v[4:5], v[8:9]
	s_waitcnt vmcnt(0)
	v_add_f64 v[4:5], v[72:73], -v[4:5]
	v_add_f64 v[6:7], v[74:75], -v[6:7]
	scratch_store_dwordx4 off, v[4:7], off offset:112
	s_and_saveexec_b64 s[2:3], vcc
	s_cbranch_execz .LBB24_151
; %bb.150:
	scratch_load_dwordx4 v[6:9], off, s25
	v_mov_b32_e32 v3, v2
	v_mov_b32_e32 v4, v2
	;; [unrolled: 1-line block ×3, first 2 shown]
	scratch_store_dwordx4 off, v[2:5], off offset:96
	s_waitcnt vmcnt(1)
	ds_write_b128 v130, v[6:9]
.LBB24_151:
	s_or_b64 exec, exec, s[2:3]
	s_waitcnt lgkmcnt(0)
	; wave barrier
	scratch_load_dwordx4 v[4:7], off, off offset:112
	scratch_load_dwordx4 v[12:15], off, off offset:128
	;; [unrolled: 1-line block ×18, first 2 shown]
	ds_read_b128 v[76:79], v2 offset:512
	ds_read_b128 v[80:83], v2 offset:528
	ds_read_b128 v[84:87], v2 offset:544
	ds_read_b128 v[88:91], v2 offset:560
	ds_read_b128 v[92:95], v2 offset:576
	ds_read_b128 v[96:99], v2 offset:592
	ds_read_b128 v[100:103], v2 offset:608
	ds_read_b128 v[104:107], v2 offset:624
	ds_read_b128 v[108:111], v2 offset:640
	ds_read_b128 v[112:115], v2 offset:656
	ds_read_b128 v[116:119], v2 offset:672
	ds_read_b128 v[120:123], v2 offset:688
	ds_read_b128 v[124:127], v2 offset:704
	ds_read_b128 v[132:135], v2 offset:720
	ds_read_b128 v[136:139], v2 offset:736
	ds_read_b128 v[140:143], v2 offset:752
	ds_read_b128 v[144:147], v2 offset:768
	ds_read_b128 v[198:201], v2 offset:784
	scratch_load_dwordx4 v[202:205], off, off offset:96
	v_cmp_lt_u32_e32 vcc, 5, v1
	s_waitcnt vmcnt(18) lgkmcnt(14)
	v_mul_f64 v[2:3], v[76:77], v[6:7]
	s_waitcnt vmcnt(17)
	v_mul_f64 v[128:129], v[80:81], v[14:15]
	v_fmac_f64_e32 v[2:3], v[78:79], v[4:5]
	s_waitcnt vmcnt(16)
	v_mul_f64 v[206:207], v[84:85], v[10:11]
	v_fmac_f64_e32 v[128:129], v[82:83], v[12:13]
	v_add_f64 v[2:3], v[2:3], 0
	s_waitcnt vmcnt(15)
	v_mul_f64 v[208:209], v[88:89], v[18:19]
	v_fmac_f64_e32 v[206:207], v[86:87], v[8:9]
	v_add_f64 v[2:3], v[2:3], v[128:129]
	s_waitcnt vmcnt(14) lgkmcnt(13)
	v_mul_f64 v[210:211], v[92:93], v[22:23]
	v_fmac_f64_e32 v[208:209], v[90:91], v[16:17]
	v_add_f64 v[2:3], v[2:3], v[206:207]
	s_waitcnt vmcnt(13) lgkmcnt(12)
	;; [unrolled: 4-line block ×13, first 2 shown]
	v_mul_f64 v[234:235], v[144:145], v[70:71]
	v_mul_f64 v[6:7], v[78:79], v[6:7]
	v_fmac_f64_e32 v[232:233], v[142:143], v[64:65]
	v_add_f64 v[2:3], v[2:3], v[230:231]
	s_waitcnt vmcnt(1) lgkmcnt(0)
	v_mul_f64 v[236:237], v[198:199], v[74:75]
	v_mul_f64 v[14:15], v[82:83], v[14:15]
	v_fmac_f64_e32 v[234:235], v[146:147], v[68:69]
	v_fma_f64 v[4:5], v[76:77], v[4:5], -v[6:7]
	v_add_f64 v[2:3], v[2:3], v[232:233]
	v_mul_f64 v[10:11], v[86:87], v[10:11]
	v_fmac_f64_e32 v[236:237], v[200:201], v[72:73]
	v_fma_f64 v[6:7], v[80:81], v[12:13], -v[14:15]
	v_add_f64 v[4:5], v[4:5], 0
	v_add_f64 v[2:3], v[2:3], v[234:235]
	;; [unrolled: 1-line block ×4, first 2 shown]
	v_fma_f64 v[2:3], v[84:85], v[8:9], -v[10:11]
	v_add_f64 v[2:3], v[4:5], v[2:3]
	v_mul_f64 v[4:5], v[90:91], v[18:19]
	v_fma_f64 v[4:5], v[88:89], v[16:17], -v[4:5]
	v_add_f64 v[2:3], v[2:3], v[4:5]
	v_mul_f64 v[4:5], v[94:95], v[22:23]
	;; [unrolled: 3-line block ×15, first 2 shown]
	v_fma_f64 v[4:5], v[198:199], v[72:73], -v[4:5]
	v_add_f64 v[2:3], v[2:3], v[4:5]
	s_waitcnt vmcnt(0)
	v_add_f64 v[2:3], v[202:203], -v[2:3]
	v_add_f64 v[4:5], v[204:205], -v[6:7]
	scratch_store_dwordx4 off, v[2:5], off offset:96
	s_and_saveexec_b64 s[2:3], vcc
	s_cbranch_execz .LBB24_153
; %bb.152:
	scratch_load_dwordx4 v[2:5], off, s19
	v_mov_b32_e32 v6, 0
	v_mov_b32_e32 v7, v6
	;; [unrolled: 1-line block ×4, first 2 shown]
	scratch_store_dwordx4 off, v[6:9], off offset:80
	s_waitcnt vmcnt(1)
	ds_write_b128 v130, v[2:5]
.LBB24_153:
	s_or_b64 exec, exec, s[2:3]
	s_waitcnt lgkmcnt(0)
	; wave barrier
	scratch_load_dwordx4 v[8:11], off, off offset:96
	scratch_load_dwordx4 v[4:7], off, off offset:112
	;; [unrolled: 1-line block ×20, first 2 shown]
	v_mov_b32_e32 v2, 0
	ds_read_b128 v[84:87], v2 offset:496
	ds_read_b128 v[88:91], v2 offset:512
	;; [unrolled: 1-line block ×19, first 2 shown]
	v_cmp_lt_u32_e32 vcc, 4, v1
	s_waitcnt vmcnt(19) lgkmcnt(14)
	v_mul_f64 v[128:129], v[84:85], v[10:11]
	v_mul_f64 v[10:11], v[86:87], v[10:11]
	s_waitcnt vmcnt(18)
	v_mul_f64 v[214:215], v[88:89], v[6:7]
	v_fmac_f64_e32 v[128:129], v[86:87], v[8:9]
	v_fma_f64 v[8:9], v[84:85], v[8:9], -v[10:11]
	v_mul_f64 v[6:7], v[90:91], v[6:7]
	v_fmac_f64_e32 v[214:215], v[90:91], v[4:5]
	v_add_f64 v[8:9], v[8:9], 0
	v_fma_f64 v[4:5], v[88:89], v[4:5], -v[6:7]
	s_waitcnt vmcnt(17)
	v_mul_f64 v[6:7], v[94:95], v[14:15]
	v_add_f64 v[4:5], v[8:9], v[4:5]
	v_fma_f64 v[6:7], v[92:93], v[12:13], -v[6:7]
	v_add_f64 v[4:5], v[4:5], v[6:7]
	s_waitcnt vmcnt(16)
	v_mul_f64 v[6:7], v[98:99], v[18:19]
	v_fma_f64 v[6:7], v[96:97], v[16:17], -v[6:7]
	v_add_f64 v[4:5], v[4:5], v[6:7]
	s_waitcnt vmcnt(15)
	v_mul_f64 v[6:7], v[102:103], v[22:23]
	v_fma_f64 v[6:7], v[100:101], v[20:21], -v[6:7]
	v_add_f64 v[4:5], v[4:5], v[6:7]
	s_waitcnt vmcnt(14) lgkmcnt(13)
	v_mul_f64 v[6:7], v[106:107], v[26:27]
	v_fma_f64 v[6:7], v[104:105], v[24:25], -v[6:7]
	v_add_f64 v[4:5], v[4:5], v[6:7]
	s_waitcnt vmcnt(13) lgkmcnt(12)
	v_mul_f64 v[6:7], v[110:111], v[30:31]
	v_fma_f64 v[6:7], v[108:109], v[28:29], -v[6:7]
	v_add_f64 v[4:5], v[4:5], v[6:7]
	s_waitcnt vmcnt(12) lgkmcnt(11)
	v_mul_f64 v[6:7], v[114:115], v[34:35]
	v_fma_f64 v[6:7], v[112:113], v[32:33], -v[6:7]
	v_add_f64 v[4:5], v[4:5], v[6:7]
	s_waitcnt vmcnt(11) lgkmcnt(10)
	v_mul_f64 v[6:7], v[118:119], v[38:39]
	v_fma_f64 v[6:7], v[116:117], v[36:37], -v[6:7]
	v_add_f64 v[4:5], v[4:5], v[6:7]
	s_waitcnt vmcnt(10) lgkmcnt(9)
	v_mul_f64 v[6:7], v[122:123], v[42:43]
	v_fma_f64 v[6:7], v[120:121], v[40:41], -v[6:7]
	v_mul_f64 v[216:217], v[92:93], v[14:15]
	v_add_f64 v[10:11], v[128:129], 0
	v_add_f64 v[4:5], v[4:5], v[6:7]
	s_waitcnt vmcnt(9) lgkmcnt(8)
	v_mul_f64 v[6:7], v[126:127], v[46:47]
	v_mul_f64 v[218:219], v[96:97], v[18:19]
	v_fmac_f64_e32 v[216:217], v[94:95], v[12:13]
	v_add_f64 v[10:11], v[10:11], v[214:215]
	v_fma_f64 v[6:7], v[124:125], v[44:45], -v[6:7]
	v_mul_f64 v[220:221], v[100:101], v[22:23]
	v_fmac_f64_e32 v[218:219], v[98:99], v[16:17]
	v_add_f64 v[10:11], v[10:11], v[216:217]
	v_add_f64 v[4:5], v[4:5], v[6:7]
	s_waitcnt vmcnt(8) lgkmcnt(7)
	v_mul_f64 v[6:7], v[134:135], v[50:51]
	v_mul_f64 v[222:223], v[104:105], v[26:27]
	v_fmac_f64_e32 v[220:221], v[102:103], v[20:21]
	v_add_f64 v[10:11], v[10:11], v[218:219]
	v_fma_f64 v[6:7], v[132:133], v[48:49], -v[6:7]
	v_mul_f64 v[224:225], v[108:109], v[30:31]
	v_fmac_f64_e32 v[222:223], v[106:107], v[24:25]
	v_add_f64 v[10:11], v[10:11], v[220:221]
	v_add_f64 v[4:5], v[4:5], v[6:7]
	s_waitcnt vmcnt(7) lgkmcnt(6)
	v_mul_f64 v[6:7], v[138:139], v[54:55]
	v_mul_f64 v[226:227], v[112:113], v[34:35]
	v_fmac_f64_e32 v[224:225], v[110:111], v[28:29]
	v_add_f64 v[10:11], v[10:11], v[222:223]
	v_fma_f64 v[6:7], v[136:137], v[52:53], -v[6:7]
	v_mul_f64 v[228:229], v[116:117], v[38:39]
	v_fmac_f64_e32 v[226:227], v[114:115], v[32:33]
	v_add_f64 v[10:11], v[10:11], v[224:225]
	v_add_f64 v[4:5], v[4:5], v[6:7]
	s_waitcnt vmcnt(6) lgkmcnt(5)
	v_mul_f64 v[6:7], v[142:143], v[58:59]
	v_mul_f64 v[230:231], v[120:121], v[42:43]
	v_fmac_f64_e32 v[228:229], v[118:119], v[36:37]
	v_add_f64 v[10:11], v[10:11], v[226:227]
	v_fma_f64 v[6:7], v[140:141], v[56:57], -v[6:7]
	v_mul_f64 v[232:233], v[124:125], v[46:47]
	v_fmac_f64_e32 v[230:231], v[122:123], v[40:41]
	v_add_f64 v[10:11], v[10:11], v[228:229]
	v_add_f64 v[4:5], v[4:5], v[6:7]
	s_waitcnt vmcnt(5) lgkmcnt(4)
	v_mul_f64 v[6:7], v[146:147], v[62:63]
	v_mul_f64 v[234:235], v[132:133], v[50:51]
	v_fmac_f64_e32 v[232:233], v[126:127], v[44:45]
	v_add_f64 v[10:11], v[10:11], v[230:231]
	v_fma_f64 v[6:7], v[144:145], v[60:61], -v[6:7]
	v_mul_f64 v[236:237], v[136:137], v[54:55]
	v_fmac_f64_e32 v[234:235], v[134:135], v[48:49]
	v_add_f64 v[10:11], v[10:11], v[232:233]
	v_add_f64 v[4:5], v[4:5], v[6:7]
	s_waitcnt vmcnt(4) lgkmcnt(3)
	v_mul_f64 v[6:7], v[200:201], v[66:67]
	v_mul_f64 v[238:239], v[140:141], v[58:59]
	v_fmac_f64_e32 v[236:237], v[138:139], v[52:53]
	v_add_f64 v[10:11], v[10:11], v[234:235]
	v_fma_f64 v[6:7], v[198:199], v[64:65], -v[6:7]
	v_mul_f64 v[240:241], v[144:145], v[62:63]
	v_fmac_f64_e32 v[238:239], v[142:143], v[56:57]
	v_add_f64 v[10:11], v[10:11], v[236:237]
	v_add_f64 v[4:5], v[4:5], v[6:7]
	s_waitcnt vmcnt(3) lgkmcnt(2)
	v_mul_f64 v[6:7], v[204:205], v[70:71]
	v_mul_f64 v[242:243], v[198:199], v[66:67]
	v_fmac_f64_e32 v[240:241], v[146:147], v[60:61]
	v_add_f64 v[10:11], v[10:11], v[238:239]
	v_fma_f64 v[6:7], v[202:203], v[68:69], -v[6:7]
	v_mul_f64 v[244:245], v[202:203], v[70:71]
	v_fmac_f64_e32 v[242:243], v[200:201], v[64:65]
	v_add_f64 v[10:11], v[10:11], v[240:241]
	v_add_f64 v[4:5], v[4:5], v[6:7]
	s_waitcnt vmcnt(2) lgkmcnt(1)
	v_mul_f64 v[6:7], v[208:209], v[74:75]
	v_mul_f64 v[246:247], v[206:207], v[74:75]
	v_fmac_f64_e32 v[244:245], v[204:205], v[68:69]
	v_add_f64 v[10:11], v[10:11], v[242:243]
	v_fma_f64 v[6:7], v[206:207], v[72:73], -v[6:7]
	s_waitcnt vmcnt(1) lgkmcnt(0)
	v_mul_f64 v[248:249], v[210:211], v[78:79]
	v_fmac_f64_e32 v[246:247], v[208:209], v[72:73]
	v_add_f64 v[10:11], v[10:11], v[244:245]
	v_add_f64 v[4:5], v[4:5], v[6:7]
	v_mul_f64 v[6:7], v[212:213], v[78:79]
	v_fmac_f64_e32 v[248:249], v[212:213], v[76:77]
	v_add_f64 v[10:11], v[10:11], v[246:247]
	v_fma_f64 v[6:7], v[210:211], v[76:77], -v[6:7]
	v_add_f64 v[10:11], v[10:11], v[248:249]
	v_add_f64 v[4:5], v[4:5], v[6:7]
	s_waitcnt vmcnt(0)
	v_add_f64 v[4:5], v[80:81], -v[4:5]
	v_add_f64 v[6:7], v[82:83], -v[10:11]
	scratch_store_dwordx4 off, v[4:7], off offset:80
	s_and_saveexec_b64 s[2:3], vcc
	s_cbranch_execz .LBB24_155
; %bb.154:
	scratch_load_dwordx4 v[6:9], off, s16
	v_mov_b32_e32 v3, v2
	v_mov_b32_e32 v4, v2
	;; [unrolled: 1-line block ×3, first 2 shown]
	scratch_store_dwordx4 off, v[2:5], off offset:64
	s_waitcnt vmcnt(1)
	ds_write_b128 v130, v[6:9]
.LBB24_155:
	s_or_b64 exec, exec, s[2:3]
	s_waitcnt lgkmcnt(0)
	; wave barrier
	ds_read_b128 v[16:19], v2 offset:480
	ds_read_b128 v[12:15], v2 offset:496
	ds_read_b128 v[8:11], v2 offset:512
	ds_read_b128 v[4:7], v2 offset:528
	scratch_load_dwordx4 v[20:23], off, off offset:80
	scratch_load_dwordx4 v[40:43], off, off offset:144
	scratch_load_dwordx4 v[72:75], off, off offset:208
	scratch_load_dwordx4 v[80:83], off, off offset:224
	scratch_load_dwordx4 v[88:91], off, off offset:240
	scratch_load_dwordx4 v[98:101], off, off offset:256
	scratch_load_dwordx4 v[106:109], off, off offset:272
	scratch_load_dwordx4 v[114:117], off, off offset:288
	scratch_load_dwordx4 v[122:125], off, off offset:304
	scratch_load_dwordx4 v[132:135], off, off offset:320
	scratch_load_dwordx4 v[140:143], off, off offset:336
	scratch_load_dwordx4 v[198:201], off, off offset:352
	scratch_load_dwordx4 v[206:209], off, off offset:368
	scratch_load_dwordx4 v[214:217], off, off offset:384
	v_cmp_lt_u32_e32 vcc, 3, v1
	scratch_load_dwordx4 v[48:51], off, off offset:160
	scratch_load_dwordx4 v[56:59], off, off offset:176
	;; [unrolled: 1-line block ×3, first 2 shown]
	s_waitcnt vmcnt(16) lgkmcnt(3)
	v_mul_f64 v[24:25], v[16:17], v[22:23]
	v_fmac_f64_e32 v[24:25], v[18:19], v[20:21]
	v_add_f64 v[28:29], v[24:25], 0
	scratch_load_dwordx4 v[24:27], off, off offset:96
	s_waitcnt vmcnt(0) lgkmcnt(2)
	v_mul_f64 v[30:31], v[12:13], v[26:27]
	v_fmac_f64_e32 v[30:31], v[14:15], v[24:25]
	v_add_f64 v[32:33], v[28:29], v[30:31]
	scratch_load_dwordx4 v[28:31], off, off offset:112
	v_mul_f64 v[14:15], v[14:15], v[26:27]
	v_fma_f64 v[12:13], v[12:13], v[24:25], -v[14:15]
	s_waitcnt vmcnt(0) lgkmcnt(1)
	v_mul_f64 v[34:35], v[8:9], v[30:31]
	v_fmac_f64_e32 v[34:35], v[10:11], v[28:29]
	v_add_f64 v[36:37], v[32:33], v[34:35]
	scratch_load_dwordx4 v[32:35], off, off offset:128
	v_mul_f64 v[10:11], v[10:11], v[30:31]
	v_fma_f64 v[8:9], v[8:9], v[28:29], -v[10:11]
	s_waitcnt vmcnt(0) lgkmcnt(0)
	v_mul_f64 v[38:39], v[4:5], v[34:35]
	v_fmac_f64_e32 v[38:39], v[6:7], v[32:33]
	v_add_f64 v[44:45], v[36:37], v[38:39]
	ds_read_b128 v[36:39], v2 offset:544
	v_mul_f64 v[6:7], v[6:7], v[34:35]
	v_fma_f64 v[4:5], v[4:5], v[32:33], -v[6:7]
	s_waitcnt lgkmcnt(0)
	v_mul_f64 v[46:47], v[36:37], v[42:43]
	v_fmac_f64_e32 v[46:47], v[38:39], v[40:41]
	v_add_f64 v[52:53], v[44:45], v[46:47]
	ds_read_b128 v[44:47], v2 offset:560
	s_waitcnt lgkmcnt(0)
	v_mul_f64 v[54:55], v[44:45], v[50:51]
	v_fmac_f64_e32 v[54:55], v[46:47], v[48:49]
	v_add_f64 v[60:61], v[52:53], v[54:55]
	ds_read_b128 v[52:55], v2 offset:576
	;; [unrolled: 5-line block ×15, first 2 shown]
	s_waitcnt lgkmcnt(0)
	v_mul_f64 v[2:3], v[210:211], v[216:217]
	v_fmac_f64_e32 v[2:3], v[212:213], v[214:215]
	v_add_f64 v[96:97], v[96:97], v[2:3]
	v_mul_f64 v[2:3], v[18:19], v[22:23]
	v_fma_f64 v[2:3], v[16:17], v[20:21], -v[2:3]
	v_add_f64 v[2:3], v[2:3], 0
	v_add_f64 v[2:3], v[2:3], v[12:13]
	;; [unrolled: 1-line block ×4, first 2 shown]
	v_mul_f64 v[4:5], v[38:39], v[42:43]
	v_fma_f64 v[4:5], v[36:37], v[40:41], -v[4:5]
	v_add_f64 v[2:3], v[2:3], v[4:5]
	v_mul_f64 v[4:5], v[46:47], v[50:51]
	v_fma_f64 v[4:5], v[44:45], v[48:49], -v[4:5]
	v_add_f64 v[2:3], v[2:3], v[4:5]
	;; [unrolled: 3-line block ×16, first 2 shown]
	scratch_load_dwordx4 v[2:5], off, off offset:64
	s_waitcnt vmcnt(0)
	v_add_f64 v[2:3], v[2:3], -v[6:7]
	v_add_f64 v[4:5], v[4:5], -v[96:97]
	scratch_store_dwordx4 off, v[2:5], off offset:64
	s_and_saveexec_b64 s[2:3], vcc
	s_cbranch_execz .LBB24_157
; %bb.156:
	scratch_load_dwordx4 v[2:5], off, s15
	v_mov_b32_e32 v6, 0
	v_mov_b32_e32 v7, v6
	;; [unrolled: 1-line block ×4, first 2 shown]
	scratch_store_dwordx4 off, v[6:9], off offset:48
	s_waitcnt vmcnt(1)
	ds_write_b128 v130, v[2:5]
.LBB24_157:
	s_or_b64 exec, exec, s[2:3]
	v_mov_b32_e32 v2, 0
	s_waitcnt lgkmcnt(0)
	; wave barrier
	ds_read_b128 v[16:19], v2 offset:464
	ds_read_b128 v[12:15], v2 offset:480
	;; [unrolled: 1-line block ×4, first 2 shown]
	scratch_load_dwordx4 v[20:23], off, off offset:64
	scratch_load_dwordx4 v[40:43], off, off offset:128
	;; [unrolled: 1-line block ×15, first 2 shown]
	v_cmp_lt_u32_e32 vcc, 2, v1
	scratch_load_dwordx4 v[48:51], off, off offset:144
	scratch_load_dwordx4 v[56:59], off, off offset:160
	;; [unrolled: 1-line block ×3, first 2 shown]
	s_waitcnt vmcnt(17) lgkmcnt(3)
	v_mul_f64 v[24:25], v[16:17], v[22:23]
	v_fmac_f64_e32 v[24:25], v[18:19], v[20:21]
	v_add_f64 v[28:29], v[24:25], 0
	scratch_load_dwordx4 v[24:27], off, off offset:80
	v_mul_f64 v[18:19], v[18:19], v[22:23]
	v_fma_f64 v[16:17], v[16:17], v[20:21], -v[18:19]
	v_add_f64 v[16:17], v[16:17], 0
	s_waitcnt vmcnt(0) lgkmcnt(2)
	v_mul_f64 v[30:31], v[12:13], v[26:27]
	v_fmac_f64_e32 v[30:31], v[14:15], v[24:25]
	v_add_f64 v[32:33], v[28:29], v[30:31]
	scratch_load_dwordx4 v[28:31], off, off offset:96
	v_mul_f64 v[14:15], v[14:15], v[26:27]
	v_fma_f64 v[12:13], v[12:13], v[24:25], -v[14:15]
	v_add_f64 v[12:13], v[16:17], v[12:13]
	;; [unrolled: 8-line block ×3, first 2 shown]
	s_waitcnt vmcnt(0) lgkmcnt(0)
	v_mul_f64 v[38:39], v[4:5], v[34:35]
	v_fmac_f64_e32 v[38:39], v[6:7], v[32:33]
	v_add_f64 v[44:45], v[36:37], v[38:39]
	ds_read_b128 v[36:39], v2 offset:528
	v_mul_f64 v[6:7], v[6:7], v[34:35]
	v_fma_f64 v[4:5], v[4:5], v[32:33], -v[6:7]
	v_add_f64 v[4:5], v[8:9], v[4:5]
	s_waitcnt lgkmcnt(0)
	v_mul_f64 v[46:47], v[36:37], v[42:43]
	v_fmac_f64_e32 v[46:47], v[38:39], v[40:41]
	v_add_f64 v[52:53], v[44:45], v[46:47]
	ds_read_b128 v[44:47], v2 offset:544
	v_mul_f64 v[6:7], v[38:39], v[42:43]
	v_fma_f64 v[6:7], v[36:37], v[40:41], -v[6:7]
	v_add_f64 v[4:5], v[4:5], v[6:7]
	s_waitcnt lgkmcnt(0)
	;; [unrolled: 8-line block ×17, first 2 shown]
	v_mul_f64 v[6:7], v[220:221], v[224:225]
	v_fma_f64 v[6:7], v[218:219], v[222:223], -v[6:7]
	v_add_f64 v[8:9], v[4:5], v[6:7]
	scratch_load_dwordx4 v[4:7], off, off offset:48
	v_mul_f64 v[226:227], v[218:219], v[224:225]
	v_fmac_f64_e32 v[226:227], v[220:221], v[222:223]
	v_add_f64 v[104:105], v[104:105], v[226:227]
	s_waitcnt vmcnt(0)
	v_add_f64 v[4:5], v[4:5], -v[8:9]
	v_add_f64 v[6:7], v[6:7], -v[104:105]
	scratch_store_dwordx4 off, v[4:7], off offset:48
	s_and_saveexec_b64 s[2:3], vcc
	s_cbranch_execz .LBB24_159
; %bb.158:
	scratch_load_dwordx4 v[6:9], off, s14
	v_mov_b32_e32 v3, v2
	v_mov_b32_e32 v4, v2
	;; [unrolled: 1-line block ×3, first 2 shown]
	scratch_store_dwordx4 off, v[2:5], off offset:32
	s_waitcnt vmcnt(1)
	ds_write_b128 v130, v[6:9]
.LBB24_159:
	s_or_b64 exec, exec, s[2:3]
	s_waitcnt lgkmcnt(0)
	; wave barrier
	ds_read_b128 v[16:19], v2 offset:448
	ds_read_b128 v[12:15], v2 offset:464
	ds_read_b128 v[8:11], v2 offset:480
	ds_read_b128 v[4:7], v2 offset:496
	scratch_load_dwordx4 v[20:23], off, off offset:48
	scratch_load_dwordx4 v[40:43], off, off offset:112
	;; [unrolled: 1-line block ×16, first 2 shown]
	v_cmp_lt_u32_e32 vcc, 1, v1
	scratch_load_dwordx4 v[48:51], off, off offset:128
	scratch_load_dwordx4 v[56:59], off, off offset:144
	scratch_load_dwordx4 v[64:67], off, off offset:160
	s_waitcnt vmcnt(18) lgkmcnt(3)
	v_mul_f64 v[24:25], v[16:17], v[22:23]
	v_fmac_f64_e32 v[24:25], v[18:19], v[20:21]
	v_add_f64 v[28:29], v[24:25], 0
	scratch_load_dwordx4 v[24:27], off, off offset:64
	s_waitcnt vmcnt(0) lgkmcnt(2)
	v_mul_f64 v[30:31], v[12:13], v[26:27]
	v_fmac_f64_e32 v[30:31], v[14:15], v[24:25]
	v_add_f64 v[32:33], v[28:29], v[30:31]
	scratch_load_dwordx4 v[28:31], off, off offset:80
	v_mul_f64 v[14:15], v[14:15], v[26:27]
	v_fma_f64 v[12:13], v[12:13], v[24:25], -v[14:15]
	s_waitcnt vmcnt(0) lgkmcnt(1)
	v_mul_f64 v[34:35], v[8:9], v[30:31]
	v_fmac_f64_e32 v[34:35], v[10:11], v[28:29]
	v_add_f64 v[36:37], v[32:33], v[34:35]
	scratch_load_dwordx4 v[32:35], off, off offset:96
	v_mul_f64 v[10:11], v[10:11], v[30:31]
	v_fma_f64 v[8:9], v[8:9], v[28:29], -v[10:11]
	s_waitcnt vmcnt(0) lgkmcnt(0)
	v_mul_f64 v[38:39], v[4:5], v[34:35]
	v_fmac_f64_e32 v[38:39], v[6:7], v[32:33]
	v_add_f64 v[44:45], v[36:37], v[38:39]
	ds_read_b128 v[36:39], v2 offset:512
	v_mul_f64 v[6:7], v[6:7], v[34:35]
	v_fma_f64 v[4:5], v[4:5], v[32:33], -v[6:7]
	s_waitcnt lgkmcnt(0)
	v_mul_f64 v[46:47], v[36:37], v[42:43]
	v_fmac_f64_e32 v[46:47], v[38:39], v[40:41]
	v_add_f64 v[52:53], v[44:45], v[46:47]
	ds_read_b128 v[44:47], v2 offset:528
	s_waitcnt lgkmcnt(0)
	v_mul_f64 v[54:55], v[44:45], v[50:51]
	v_fmac_f64_e32 v[54:55], v[46:47], v[48:49]
	v_add_f64 v[60:61], v[52:53], v[54:55]
	ds_read_b128 v[52:55], v2 offset:544
	;; [unrolled: 5-line block ×17, first 2 shown]
	s_waitcnt lgkmcnt(0)
	v_mul_f64 v[2:3], v[226:227], v[232:233]
	v_fmac_f64_e32 v[2:3], v[228:229], v[230:231]
	v_add_f64 v[120:121], v[120:121], v[2:3]
	v_mul_f64 v[2:3], v[18:19], v[22:23]
	v_fma_f64 v[2:3], v[16:17], v[20:21], -v[2:3]
	v_add_f64 v[2:3], v[2:3], 0
	v_add_f64 v[2:3], v[2:3], v[12:13]
	;; [unrolled: 1-line block ×4, first 2 shown]
	v_mul_f64 v[4:5], v[38:39], v[42:43]
	v_fma_f64 v[4:5], v[36:37], v[40:41], -v[4:5]
	v_add_f64 v[2:3], v[2:3], v[4:5]
	v_mul_f64 v[4:5], v[46:47], v[50:51]
	v_fma_f64 v[4:5], v[44:45], v[48:49], -v[4:5]
	v_add_f64 v[2:3], v[2:3], v[4:5]
	;; [unrolled: 3-line block ×18, first 2 shown]
	scratch_load_dwordx4 v[2:5], off, off offset:32
	s_waitcnt vmcnt(0)
	v_add_f64 v[2:3], v[2:3], -v[6:7]
	v_add_f64 v[4:5], v[4:5], -v[120:121]
	scratch_store_dwordx4 off, v[2:5], off offset:32
	s_and_saveexec_b64 s[2:3], vcc
	s_cbranch_execz .LBB24_161
; %bb.160:
	scratch_load_dwordx4 v[2:5], off, s18
	v_mov_b32_e32 v6, 0
	v_mov_b32_e32 v7, v6
	;; [unrolled: 1-line block ×4, first 2 shown]
	scratch_store_dwordx4 off, v[6:9], off offset:16
	s_waitcnt vmcnt(1)
	ds_write_b128 v130, v[2:5]
.LBB24_161:
	s_or_b64 exec, exec, s[2:3]
	v_mov_b32_e32 v2, 0
	s_waitcnt lgkmcnt(0)
	; wave barrier
	ds_read_b128 v[16:19], v2 offset:432
	ds_read_b128 v[12:15], v2 offset:448
	;; [unrolled: 1-line block ×4, first 2 shown]
	scratch_load_dwordx4 v[20:23], off, off offset:32
	scratch_load_dwordx4 v[40:43], off, off offset:96
	;; [unrolled: 1-line block ×17, first 2 shown]
	v_cmp_ne_u32_e32 vcc, 0, v1
	scratch_load_dwordx4 v[48:51], off, off offset:112
	scratch_load_dwordx4 v[56:59], off, off offset:128
	;; [unrolled: 1-line block ×3, first 2 shown]
	s_waitcnt vmcnt(19) lgkmcnt(3)
	v_mul_f64 v[24:25], v[16:17], v[22:23]
	v_fmac_f64_e32 v[24:25], v[18:19], v[20:21]
	v_add_f64 v[28:29], v[24:25], 0
	scratch_load_dwordx4 v[24:27], off, off offset:48
	v_mul_f64 v[18:19], v[18:19], v[22:23]
	v_fma_f64 v[16:17], v[16:17], v[20:21], -v[18:19]
	v_add_f64 v[16:17], v[16:17], 0
	s_waitcnt vmcnt(0) lgkmcnt(2)
	v_mul_f64 v[30:31], v[12:13], v[26:27]
	v_fmac_f64_e32 v[30:31], v[14:15], v[24:25]
	v_add_f64 v[32:33], v[28:29], v[30:31]
	scratch_load_dwordx4 v[28:31], off, off offset:64
	v_mul_f64 v[14:15], v[14:15], v[26:27]
	v_fma_f64 v[12:13], v[12:13], v[24:25], -v[14:15]
	v_add_f64 v[12:13], v[16:17], v[12:13]
	;; [unrolled: 8-line block ×3, first 2 shown]
	s_waitcnt vmcnt(0) lgkmcnt(0)
	v_mul_f64 v[38:39], v[4:5], v[34:35]
	v_fmac_f64_e32 v[38:39], v[6:7], v[32:33]
	v_add_f64 v[44:45], v[36:37], v[38:39]
	ds_read_b128 v[36:39], v2 offset:496
	v_mul_f64 v[6:7], v[6:7], v[34:35]
	v_fma_f64 v[4:5], v[4:5], v[32:33], -v[6:7]
	v_add_f64 v[4:5], v[8:9], v[4:5]
	s_waitcnt lgkmcnt(0)
	v_mul_f64 v[46:47], v[36:37], v[42:43]
	v_fmac_f64_e32 v[46:47], v[38:39], v[40:41]
	v_add_f64 v[52:53], v[44:45], v[46:47]
	ds_read_b128 v[44:47], v2 offset:512
	v_mul_f64 v[6:7], v[38:39], v[42:43]
	v_fma_f64 v[6:7], v[36:37], v[40:41], -v[6:7]
	v_add_f64 v[4:5], v[4:5], v[6:7]
	s_waitcnt lgkmcnt(0)
	;; [unrolled: 8-line block ×19, first 2 shown]
	v_mul_f64 v[6:7], v[236:237], v[240:241]
	v_fma_f64 v[6:7], v[234:235], v[238:239], -v[6:7]
	v_add_f64 v[8:9], v[4:5], v[6:7]
	scratch_load_dwordx4 v[4:7], off, off offset:16
	v_mul_f64 v[242:243], v[234:235], v[240:241]
	v_fmac_f64_e32 v[242:243], v[236:237], v[238:239]
	v_add_f64 v[128:129], v[128:129], v[242:243]
	s_waitcnt vmcnt(0)
	v_add_f64 v[4:5], v[4:5], -v[8:9]
	v_add_f64 v[6:7], v[6:7], -v[128:129]
	scratch_store_dwordx4 off, v[4:7], off offset:16
	s_and_saveexec_b64 s[2:3], vcc
	s_cbranch_execz .LBB24_163
; %bb.162:
	scratch_load_dwordx4 v[6:9], off, off
	v_mov_b32_e32 v3, v2
	v_mov_b32_e32 v4, v2
	;; [unrolled: 1-line block ×3, first 2 shown]
	scratch_store_dwordx4 off, v[2:5], off
	s_waitcnt vmcnt(1)
	ds_write_b128 v130, v[6:9]
.LBB24_163:
	s_or_b64 exec, exec, s[2:3]
	s_waitcnt lgkmcnt(0)
	; wave barrier
	ds_read_b128 v[16:19], v2 offset:416
	ds_read_b128 v[12:15], v2 offset:432
	;; [unrolled: 1-line block ×4, first 2 shown]
	scratch_load_dwordx4 v[20:23], off, off offset:16
	scratch_load_dwordx4 v[40:43], off, off offset:80
	;; [unrolled: 1-line block ×18, first 2 shown]
	s_and_b64 vcc, exec, s[22:23]
	scratch_load_dwordx4 v[48:51], off, off offset:96
	scratch_load_dwordx4 v[56:59], off, off offset:112
	;; [unrolled: 1-line block ×3, first 2 shown]
	s_waitcnt vmcnt(20) lgkmcnt(3)
	v_mul_f64 v[24:25], v[16:17], v[22:23]
	v_fmac_f64_e32 v[24:25], v[18:19], v[20:21]
	v_add_f64 v[28:29], v[24:25], 0
	scratch_load_dwordx4 v[24:27], off, off offset:32
	s_waitcnt vmcnt(0) lgkmcnt(2)
	v_mul_f64 v[30:31], v[12:13], v[26:27]
	v_fmac_f64_e32 v[30:31], v[14:15], v[24:25]
	v_add_f64 v[32:33], v[28:29], v[30:31]
	scratch_load_dwordx4 v[28:31], off, off offset:48
	v_mul_f64 v[14:15], v[14:15], v[26:27]
	v_fma_f64 v[12:13], v[12:13], v[24:25], -v[14:15]
	s_waitcnt vmcnt(0) lgkmcnt(1)
	v_mul_f64 v[34:35], v[8:9], v[30:31]
	v_fmac_f64_e32 v[34:35], v[10:11], v[28:29]
	v_add_f64 v[36:37], v[32:33], v[34:35]
	scratch_load_dwordx4 v[32:35], off, off offset:64
	v_mul_f64 v[10:11], v[10:11], v[30:31]
	v_fma_f64 v[8:9], v[8:9], v[28:29], -v[10:11]
	s_waitcnt vmcnt(0) lgkmcnt(0)
	v_mul_f64 v[38:39], v[4:5], v[34:35]
	v_fmac_f64_e32 v[38:39], v[6:7], v[32:33]
	v_add_f64 v[44:45], v[36:37], v[38:39]
	ds_read_b128 v[36:39], v2 offset:480
	v_mul_f64 v[6:7], v[6:7], v[34:35]
	v_fma_f64 v[4:5], v[4:5], v[32:33], -v[6:7]
	s_waitcnt lgkmcnt(0)
	v_mul_f64 v[46:47], v[36:37], v[42:43]
	v_fmac_f64_e32 v[46:47], v[38:39], v[40:41]
	v_add_f64 v[52:53], v[44:45], v[46:47]
	ds_read_b128 v[44:47], v2 offset:496
	s_waitcnt lgkmcnt(0)
	v_mul_f64 v[54:55], v[44:45], v[50:51]
	v_fmac_f64_e32 v[54:55], v[46:47], v[48:49]
	v_add_f64 v[60:61], v[52:53], v[54:55]
	ds_read_b128 v[52:55], v2 offset:512
	;; [unrolled: 5-line block ×19, first 2 shown]
	s_waitcnt lgkmcnt(0)
	v_mul_f64 v[2:3], v[240:241], v[246:247]
	v_fmac_f64_e32 v[2:3], v[242:243], v[244:245]
	v_add_f64 v[198:199], v[198:199], v[2:3]
	v_mul_f64 v[2:3], v[18:19], v[22:23]
	v_fma_f64 v[2:3], v[16:17], v[20:21], -v[2:3]
	v_add_f64 v[2:3], v[2:3], 0
	v_add_f64 v[2:3], v[2:3], v[12:13]
	;; [unrolled: 1-line block ×4, first 2 shown]
	v_mul_f64 v[4:5], v[38:39], v[42:43]
	v_fma_f64 v[4:5], v[36:37], v[40:41], -v[4:5]
	v_add_f64 v[2:3], v[2:3], v[4:5]
	v_mul_f64 v[4:5], v[46:47], v[50:51]
	v_fma_f64 v[4:5], v[44:45], v[48:49], -v[4:5]
	v_add_f64 v[2:3], v[2:3], v[4:5]
	;; [unrolled: 3-line block ×20, first 2 shown]
	scratch_load_dwordx4 v[2:5], off, off
	s_waitcnt vmcnt(0)
	v_add_f64 v[2:3], v[2:3], -v[6:7]
	v_add_f64 v[4:5], v[4:5], -v[198:199]
	scratch_store_dwordx4 off, v[2:5], off
	s_cbranch_vccz .LBB24_212
; %bb.164:
	s_nop 0
	v_mov_b32_e32 v2, 0
	global_load_dword v3, v2, s[20:21] offset:92
	s_load_dwordx2 s[2:3], s[0:1], 0x4
	v_bfe_u32 v4, v0, 10, 10
	v_bfe_u32 v0, v0, 20, 10
	s_waitcnt lgkmcnt(0)
	s_lshr_b32 s0, s2, 16
	s_mul_i32 s0, s0, s3
	v_mul_u32_u24_e32 v1, s0, v1
	v_mul_u32_u24_e32 v4, s3, v4
	v_add3_u32 v0, v1, v4, v0
	v_mov_b32_e32 v1, 0x328
	v_lshl_add_u32 v0, v0, 4, v1
	s_waitcnt vmcnt(0)
	v_readfirstlane_b32 s0, v3
	s_add_i32 s0, s0, -1
	s_cmp_lg_u32 s0, 23
	s_cbranch_scc0 .LBB24_166
; %bb.165:
	s_lshl_b32 s0, s0, 4
	scratch_load_dwordx4 v[4:7], off, s35
	scratch_load_dwordx4 v[8:11], off, s0
	s_waitcnt vmcnt(1)
	ds_write2_b64 v0, v[4:5], v[6:7] offset1:1
	s_waitcnt vmcnt(0)
	scratch_store_dwordx4 off, v[8:11], s35
	scratch_store_dwordx4 off, v[4:7], s0
.LBB24_166:
	global_load_dword v1, v2, s[20:21] offset:88
	s_waitcnt vmcnt(0)
	v_readfirstlane_b32 s0, v1
	s_add_i32 s0, s0, -1
	s_cmp_eq_u32 s0, 22
	s_cbranch_scc1 .LBB24_168
; %bb.167:
	s_lshl_b32 s0, s0, 4
	scratch_load_dwordx4 v[2:5], off, s34
	scratch_load_dwordx4 v[6:9], off, s0
	s_waitcnt vmcnt(1)
	ds_write2_b64 v0, v[2:3], v[4:5] offset1:1
	s_waitcnt vmcnt(0)
	scratch_store_dwordx4 off, v[6:9], s34
	scratch_store_dwordx4 off, v[2:5], s0
.LBB24_168:
	v_mov_b32_e32 v1, 0
	global_load_dword v2, v1, s[20:21] offset:84
	s_waitcnt vmcnt(0)
	v_readfirstlane_b32 s0, v2
	s_add_i32 s0, s0, -1
	s_cmp_eq_u32 s0, 21
	s_cbranch_scc1 .LBB24_170
; %bb.169:
	s_lshl_b32 s0, s0, 4
	scratch_load_dwordx4 v[2:5], off, s33
	scratch_load_dwordx4 v[6:9], off, s0
	s_waitcnt vmcnt(1)
	ds_write2_b64 v0, v[2:3], v[4:5] offset1:1
	s_waitcnt vmcnt(0)
	scratch_store_dwordx4 off, v[6:9], s33
	scratch_store_dwordx4 off, v[2:5], s0
.LBB24_170:
	global_load_dword v1, v1, s[20:21] offset:80
	s_waitcnt vmcnt(0)
	v_readfirstlane_b32 s0, v1
	s_add_i32 s0, s0, -1
	s_cmp_eq_u32 s0, 20
	s_cbranch_scc1 .LBB24_172
; %bb.171:
	s_lshl_b32 s0, s0, 4
	scratch_load_dwordx4 v[2:5], off, s31
	scratch_load_dwordx4 v[6:9], off, s0
	s_waitcnt vmcnt(1)
	ds_write2_b64 v0, v[2:3], v[4:5] offset1:1
	s_waitcnt vmcnt(0)
	scratch_store_dwordx4 off, v[6:9], s31
	scratch_store_dwordx4 off, v[2:5], s0
.LBB24_172:
	v_mov_b32_e32 v1, 0
	global_load_dword v2, v1, s[20:21] offset:76
	s_waitcnt vmcnt(0)
	v_readfirstlane_b32 s0, v2
	s_add_i32 s0, s0, -1
	s_cmp_eq_u32 s0, 19
	s_cbranch_scc1 .LBB24_174
; %bb.173:
	s_lshl_b32 s0, s0, 4
	scratch_load_dwordx4 v[2:5], off, s30
	scratch_load_dwordx4 v[6:9], off, s0
	s_waitcnt vmcnt(1)
	ds_write2_b64 v0, v[2:3], v[4:5] offset1:1
	s_waitcnt vmcnt(0)
	scratch_store_dwordx4 off, v[6:9], s30
	scratch_store_dwordx4 off, v[2:5], s0
.LBB24_174:
	;; [unrolled: 33-line block ×11, first 2 shown]
	global_load_dword v1, v1, s[20:21]
	s_waitcnt vmcnt(0)
	v_readfirstlane_b32 s0, v1
	s_add_i32 s0, s0, -1
	s_cmp_eq_u32 s0, 0
	s_cbranch_scc1 .LBB24_212
; %bb.211:
	s_lshl_b32 s0, s0, 4
	scratch_load_dwordx4 v[2:5], off, off
	scratch_load_dwordx4 v[6:9], off, s0
	s_waitcnt vmcnt(1)
	ds_write2_b64 v0, v[2:3], v[4:5] offset1:1
	s_waitcnt vmcnt(0)
	scratch_store_dwordx4 off, v[6:9], off
	scratch_store_dwordx4 off, v[2:5], s0
.LBB24_212:
	scratch_load_dwordx4 v[0:3], off, off
	s_nop 0
	scratch_load_dwordx4 v[4:7], off, s18
	scratch_load_dwordx4 v[8:11], off, s14
	;; [unrolled: 1-line block ×15, first 2 shown]
                                        ; kill: killed $sgpr42
                                        ; kill: killed $sgpr18
                                        ; kill: killed $sgpr28
                                        ; kill: killed $sgpr41
                                        ; kill: killed $sgpr25
                                        ; kill: killed $sgpr40
                                        ; kill: killed $sgpr19
                                        ; kill: killed $sgpr37
                                        ; kill: killed $sgpr16
                                        ; kill: killed $sgpr27
                                        ; kill: killed $sgpr15
                                        ; kill: killed $sgpr24
                                        ; kill: killed $sgpr39
                                        ; kill: killed $sgpr14
                                        ; kill: killed $sgpr17
	scratch_load_dwordx4 v[64:67], off, s26
	scratch_load_dwordx4 v[68:71], off, s29
	;; [unrolled: 1-line block ×3, first 2 shown]
                                        ; kill: killed $sgpr38
                                        ; kill: killed $sgpr29
                                        ; kill: killed $sgpr26
	scratch_load_dwordx4 v[76:79], off, s30
	scratch_load_dwordx4 v[80:83], off, s31
	;; [unrolled: 1-line block ×6, first 2 shown]
	s_waitcnt vmcnt(24)
	global_store_dwordx4 v[148:149], v[0:3], off
	s_waitcnt vmcnt(24)
	global_store_dwordx4 v[150:151], v[4:7], off
	s_waitcnt vmcnt(24)
	global_store_dwordx4 v[152:153], v[8:11], off
	s_waitcnt vmcnt(24)
	global_store_dwordx4 v[154:155], v[12:15], off
	s_waitcnt vmcnt(24)
	global_store_dwordx4 v[156:157], v[16:19], off
	s_waitcnt vmcnt(24)
	global_store_dwordx4 v[158:159], v[20:23], off
	s_waitcnt vmcnt(24)
	global_store_dwordx4 v[160:161], v[24:27], off
	s_waitcnt vmcnt(24)
	global_store_dwordx4 v[162:163], v[28:31], off
	s_waitcnt vmcnt(24)
	global_store_dwordx4 v[164:165], v[32:35], off
	s_waitcnt vmcnt(24)
	global_store_dwordx4 v[166:167], v[36:39], off
	s_waitcnt vmcnt(24)
	global_store_dwordx4 v[168:169], v[40:43], off
	s_waitcnt vmcnt(24)
	global_store_dwordx4 v[170:171], v[44:47], off
	s_waitcnt vmcnt(24)
	global_store_dwordx4 v[172:173], v[48:51], off
	s_waitcnt vmcnt(24)
	global_store_dwordx4 v[174:175], v[52:55], off
	s_waitcnt vmcnt(24)
	global_store_dwordx4 v[176:177], v[56:59], off
	s_waitcnt vmcnt(24)
	global_store_dwordx4 v[178:179], v[60:63], off
	s_waitcnt vmcnt(24)
	global_store_dwordx4 v[180:181], v[64:67], off
	s_waitcnt vmcnt(24)
	global_store_dwordx4 v[182:183], v[68:71], off
	s_waitcnt vmcnt(24)
	global_store_dwordx4 v[184:185], v[72:75], off
	s_waitcnt vmcnt(24)
	global_store_dwordx4 v[186:187], v[76:79], off
	s_waitcnt vmcnt(24)
	global_store_dwordx4 v[188:189], v[80:83], off
	s_waitcnt vmcnt(24)
	global_store_dwordx4 v[190:191], v[84:87], off
	s_waitcnt vmcnt(24)
	global_store_dwordx4 v[192:193], v[88:91], off
	s_waitcnt vmcnt(24)
	global_store_dwordx4 v[194:195], v[92:95], off
	s_waitcnt vmcnt(24)
	global_store_dwordx4 v[196:197], v[96:99], off
	s_endpgm
	.section	.rodata,"a",@progbits
	.p2align	6, 0x0
	.amdhsa_kernel _ZN9rocsolver6v33100L18getri_kernel_smallILi25E19rocblas_complex_numIdEPS3_EEvT1_iilPiilS6_bb
		.amdhsa_group_segment_fixed_size 1832
		.amdhsa_private_segment_fixed_size 416
		.amdhsa_kernarg_size 60
		.amdhsa_user_sgpr_count 4
		.amdhsa_user_sgpr_dispatch_ptr 1
		.amdhsa_user_sgpr_queue_ptr 0
		.amdhsa_user_sgpr_kernarg_segment_ptr 1
		.amdhsa_user_sgpr_dispatch_id 0
		.amdhsa_user_sgpr_kernarg_preload_length 0
		.amdhsa_user_sgpr_kernarg_preload_offset 0
		.amdhsa_user_sgpr_private_segment_size 0
		.amdhsa_uses_dynamic_stack 0
		.amdhsa_enable_private_segment 1
		.amdhsa_system_sgpr_workgroup_id_x 1
		.amdhsa_system_sgpr_workgroup_id_y 0
		.amdhsa_system_sgpr_workgroup_id_z 0
		.amdhsa_system_sgpr_workgroup_info 0
		.amdhsa_system_vgpr_workitem_id 2
		.amdhsa_next_free_vgpr 250
		.amdhsa_next_free_sgpr 43
		.amdhsa_accum_offset 252
		.amdhsa_reserve_vcc 1
		.amdhsa_float_round_mode_32 0
		.amdhsa_float_round_mode_16_64 0
		.amdhsa_float_denorm_mode_32 3
		.amdhsa_float_denorm_mode_16_64 3
		.amdhsa_dx10_clamp 1
		.amdhsa_ieee_mode 1
		.amdhsa_fp16_overflow 0
		.amdhsa_tg_split 0
		.amdhsa_exception_fp_ieee_invalid_op 0
		.amdhsa_exception_fp_denorm_src 0
		.amdhsa_exception_fp_ieee_div_zero 0
		.amdhsa_exception_fp_ieee_overflow 0
		.amdhsa_exception_fp_ieee_underflow 0
		.amdhsa_exception_fp_ieee_inexact 0
		.amdhsa_exception_int_div_zero 0
	.end_amdhsa_kernel
	.section	.text._ZN9rocsolver6v33100L18getri_kernel_smallILi25E19rocblas_complex_numIdEPS3_EEvT1_iilPiilS6_bb,"axG",@progbits,_ZN9rocsolver6v33100L18getri_kernel_smallILi25E19rocblas_complex_numIdEPS3_EEvT1_iilPiilS6_bb,comdat
.Lfunc_end24:
	.size	_ZN9rocsolver6v33100L18getri_kernel_smallILi25E19rocblas_complex_numIdEPS3_EEvT1_iilPiilS6_bb, .Lfunc_end24-_ZN9rocsolver6v33100L18getri_kernel_smallILi25E19rocblas_complex_numIdEPS3_EEvT1_iilPiilS6_bb
                                        ; -- End function
	.set _ZN9rocsolver6v33100L18getri_kernel_smallILi25E19rocblas_complex_numIdEPS3_EEvT1_iilPiilS6_bb.num_vgpr, 250
	.set _ZN9rocsolver6v33100L18getri_kernel_smallILi25E19rocblas_complex_numIdEPS3_EEvT1_iilPiilS6_bb.num_agpr, 0
	.set _ZN9rocsolver6v33100L18getri_kernel_smallILi25E19rocblas_complex_numIdEPS3_EEvT1_iilPiilS6_bb.numbered_sgpr, 43
	.set _ZN9rocsolver6v33100L18getri_kernel_smallILi25E19rocblas_complex_numIdEPS3_EEvT1_iilPiilS6_bb.num_named_barrier, 0
	.set _ZN9rocsolver6v33100L18getri_kernel_smallILi25E19rocblas_complex_numIdEPS3_EEvT1_iilPiilS6_bb.private_seg_size, 416
	.set _ZN9rocsolver6v33100L18getri_kernel_smallILi25E19rocblas_complex_numIdEPS3_EEvT1_iilPiilS6_bb.uses_vcc, 1
	.set _ZN9rocsolver6v33100L18getri_kernel_smallILi25E19rocblas_complex_numIdEPS3_EEvT1_iilPiilS6_bb.uses_flat_scratch, 0
	.set _ZN9rocsolver6v33100L18getri_kernel_smallILi25E19rocblas_complex_numIdEPS3_EEvT1_iilPiilS6_bb.has_dyn_sized_stack, 0
	.set _ZN9rocsolver6v33100L18getri_kernel_smallILi25E19rocblas_complex_numIdEPS3_EEvT1_iilPiilS6_bb.has_recursion, 0
	.set _ZN9rocsolver6v33100L18getri_kernel_smallILi25E19rocblas_complex_numIdEPS3_EEvT1_iilPiilS6_bb.has_indirect_call, 0
	.section	.AMDGPU.csdata,"",@progbits
; Kernel info:
; codeLenInByte = 31284
; TotalNumSgprs: 49
; NumVgprs: 250
; NumAgprs: 0
; TotalNumVgprs: 250
; ScratchSize: 416
; MemoryBound: 0
; FloatMode: 240
; IeeeMode: 1
; LDSByteSize: 1832 bytes/workgroup (compile time only)
; SGPRBlocks: 6
; VGPRBlocks: 31
; NumSGPRsForWavesPerEU: 49
; NumVGPRsForWavesPerEU: 250
; AccumOffset: 252
; Occupancy: 2
; WaveLimiterHint : 1
; COMPUTE_PGM_RSRC2:SCRATCH_EN: 1
; COMPUTE_PGM_RSRC2:USER_SGPR: 4
; COMPUTE_PGM_RSRC2:TRAP_HANDLER: 0
; COMPUTE_PGM_RSRC2:TGID_X_EN: 1
; COMPUTE_PGM_RSRC2:TGID_Y_EN: 0
; COMPUTE_PGM_RSRC2:TGID_Z_EN: 0
; COMPUTE_PGM_RSRC2:TIDIG_COMP_CNT: 2
; COMPUTE_PGM_RSRC3_GFX90A:ACCUM_OFFSET: 62
; COMPUTE_PGM_RSRC3_GFX90A:TG_SPLIT: 0
	.section	.text._ZN9rocsolver6v33100L18getri_kernel_smallILi26E19rocblas_complex_numIdEPS3_EEvT1_iilPiilS6_bb,"axG",@progbits,_ZN9rocsolver6v33100L18getri_kernel_smallILi26E19rocblas_complex_numIdEPS3_EEvT1_iilPiilS6_bb,comdat
	.globl	_ZN9rocsolver6v33100L18getri_kernel_smallILi26E19rocblas_complex_numIdEPS3_EEvT1_iilPiilS6_bb ; -- Begin function _ZN9rocsolver6v33100L18getri_kernel_smallILi26E19rocblas_complex_numIdEPS3_EEvT1_iilPiilS6_bb
	.p2align	8
	.type	_ZN9rocsolver6v33100L18getri_kernel_smallILi26E19rocblas_complex_numIdEPS3_EEvT1_iilPiilS6_bb,@function
_ZN9rocsolver6v33100L18getri_kernel_smallILi26E19rocblas_complex_numIdEPS3_EEvT1_iilPiilS6_bb: ; @_ZN9rocsolver6v33100L18getri_kernel_smallILi26E19rocblas_complex_numIdEPS3_EEvT1_iilPiilS6_bb
; %bb.0:
	v_and_b32_e32 v1, 0x3ff, v0
	v_cmp_gt_u32_e32 vcc, 26, v1
	s_and_saveexec_b64 s[6:7], vcc
	s_cbranch_execz .LBB25_118
; %bb.1:
	s_load_dword s6, s[2:3], 0x38
	s_load_dwordx4 s[16:19], s[2:3], 0x10
	s_load_dwordx4 s[8:11], s[2:3], 0x28
                                        ; implicit-def: $sgpr20_sgpr21
	s_waitcnt lgkmcnt(0)
	s_bitcmp1_b32 s6, 8
	s_cselect_b64 s[22:23], -1, 0
	s_ashr_i32 s5, s4, 31
	s_bfe_u32 s6, s6, 0x10008
	s_cmp_eq_u32 s6, 0
	s_cbranch_scc1 .LBB25_3
; %bb.2:
	s_load_dword s6, s[2:3], 0x20
	s_mul_i32 s7, s8, s5
	s_mul_hi_u32 s12, s8, s4
	s_mul_i32 s9, s9, s4
	s_add_i32 s12, s12, s7
	s_add_i32 s9, s12, s9
	s_mul_i32 s8, s8, s4
	s_waitcnt lgkmcnt(0)
	s_ashr_i32 s7, s6, 31
	s_lshl_b64 s[8:9], s[8:9], 2
	s_add_u32 s8, s18, s8
	s_addc_u32 s9, s19, s9
	s_lshl_b64 s[6:7], s[6:7], 2
	s_add_u32 s20, s8, s6
	s_addc_u32 s21, s9, s7
.LBB25_3:
	s_load_dwordx4 s[12:15], s[2:3], 0x0
	s_load_dword s6, s[2:3], 0x38
	s_mul_i32 s7, s16, s5
	s_mul_hi_u32 s8, s16, s4
	s_add_i32 s7, s8, s7
	s_mul_i32 s8, s17, s4
	s_add_i32 s9, s7, s8
	s_mul_i32 s8, s16, s4
	s_waitcnt lgkmcnt(0)
	s_ashr_i32 s3, s14, 31
	s_lshl_b64 s[8:9], s[8:9], 4
	s_mov_b32 s2, s14
	s_add_u32 s7, s12, s8
	s_addc_u32 s8, s13, s9
	s_lshl_b64 s[2:3], s[2:3], 4
	s_add_u32 s2, s7, s2
	s_addc_u32 s3, s8, s3
	s_add_i32 s7, s15, s15
	v_add_u32_e32 v16, s7, v1
	v_ashrrev_i32_e32 v17, 31, v16
	v_lshl_add_u64 v[152:153], v[16:17], 4, s[2:3]
	v_add_u32_e32 v16, s15, v16
	v_add_u32_e32 v24, s15, v16
	v_ashrrev_i32_e32 v25, 31, v24
	v_lshl_add_u64 v[156:157], v[24:25], 4, s[2:3]
	v_add_u32_e32 v24, s15, v24
	;; [unrolled: 4-line block ×3, first 2 shown]
	v_ashrrev_i32_e32 v33, 31, v32
	v_lshl_add_u64 v[162:163], v[32:33], 4, s[2:3]
	v_add_u32_e32 v32, s15, v32
	v_add_u32_e32 v40, s15, v32
	;; [unrolled: 1-line block ×6, first 2 shown]
	v_ashrrev_i32_e32 v57, 31, v56
	v_lshl_add_u64 v[174:175], v[56:57], 4, s[2:3]
	v_add_u32_e32 v56, s15, v56
	v_add_u32_e32 v64, s15, v56
	;; [unrolled: 1-line block ×5, first 2 shown]
	v_ashrrev_i32_e32 v81, 31, v80
	v_lshl_add_u64 v[184:185], v[80:81], 4, s[2:3]
	v_add_u32_e32 v80, s15, v80
	v_add_u32_e32 v88, s15, v80
	v_ashrrev_i32_e32 v89, 31, v88
	v_lshl_add_u64 v[188:189], v[88:89], 4, s[2:3]
	v_add_u32_e32 v88, s15, v88
	v_add_u32_e32 v96, s15, v88
	v_ashrrev_i32_e32 v97, 31, v96
	v_lshl_add_u64 v[192:193], v[96:97], 4, s[2:3]
	v_add_u32_e32 v96, s15, v96
	v_lshlrev_b32_e32 v14, 4, v1
	v_mov_b32_e32 v15, 0
	v_add_u32_e32 v104, s15, v96
	v_lshl_add_u64 v[6:7], s[2:3], 0, v[14:15]
	v_ashrrev_i32_e32 v105, 31, v104
	s_ashr_i32 s9, s15, 31
	s_mov_b32 s8, s15
	v_accvgpr_write_b32 a0, v6
	v_lshl_add_u64 v[196:197], v[104:105], 4, s[2:3]
	v_add_u32_e32 v104, s15, v104
	v_accvgpr_write_b32 a1, v7
	v_lshl_add_u64 v[6:7], s[8:9], 4, v[6:7]
	v_ashrrev_i32_e32 v17, 31, v16
	v_ashrrev_i32_e32 v25, 31, v24
	;; [unrolled: 1-line block ×10, first 2 shown]
	v_accvgpr_write_b32 a2, v6
	v_lshl_add_u64 v[154:155], v[16:17], 4, s[2:3]
	v_lshl_add_u64 v[158:159], v[24:25], 4, s[2:3]
	v_ashrrev_i32_e32 v33, 31, v32
	v_lshl_add_u64 v[166:167], v[40:41], 4, s[2:3]
	v_ashrrev_i32_e32 v43, 31, v42
	;; [unrolled: 2-line block ×3, first 2 shown]
	v_ashrrev_i32_e32 v57, 31, v56
	v_lshl_add_u64 v[178:179], v[64:65], 4, s[2:3]
	v_ashrrev_i32_e32 v67, 31, v66
	v_lshl_add_u64 v[182:183], v[72:73], 4, s[2:3]
	v_lshl_add_u64 v[186:187], v[80:81], 4, s[2:3]
	;; [unrolled: 1-line block ×5, first 2 shown]
	global_load_dwordx4 v[2:5], v14, s[2:3]
	v_accvgpr_write_b32 a3, v7
	global_load_dwordx4 v[6:9], v[6:7], off
	s_nop 0
	global_load_dwordx4 v[10:13], v[152:153], off
	global_load_dwordx4 v[16:19], v[154:155], off
	;; [unrolled: 1-line block ×5, first 2 shown]
	v_lshl_add_u64 v[164:165], v[32:33], 4, s[2:3]
	global_load_dwordx4 v[32:35], v[162:163], off
	global_load_dwordx4 v[36:39], v[164:165], off
	v_lshl_add_u64 v[168:169], v[42:43], 4, s[2:3]
	global_load_dwordx4 v[40:43], v[166:167], off
	global_load_dwordx4 v[44:47], v[168:169], off
	;; [unrolled: 3-line block ×5, first 2 shown]
	global_load_dwordx4 v[72:75], v[182:183], off
	global_load_dwordx4 v[76:79], v[184:185], off
	;; [unrolled: 1-line block ×9, first 2 shown]
	s_mov_b32 s18, 16
	s_mov_b32 s14, 32
	;; [unrolled: 1-line block ×4, first 2 shown]
	s_movk_i32 s19, 0x50
	s_movk_i32 s25, 0x60
	;; [unrolled: 1-line block ×21, first 2 shown]
	s_bitcmp0_b32 s6, 0
	s_mov_b64 s[6:7], -1
	s_waitcnt vmcnt(25)
	scratch_store_dwordx4 off, v[2:5], off
	s_waitcnt vmcnt(25)
	scratch_store_dwordx4 off, v[6:9], off offset:16
	s_waitcnt vmcnt(25)
	scratch_store_dwordx4 off, v[10:13], off offset:32
	;; [unrolled: 2-line block ×25, first 2 shown]
	s_cbranch_scc1 .LBB25_116
; %bb.4:
	v_cmp_eq_u32_e64 s[2:3], 0, v1
	s_and_saveexec_b64 s[6:7], s[2:3]
; %bb.5:
	v_mov_b32_e32 v2, 0
	ds_write_b32 v2, v2 offset:832
; %bb.6:
	s_or_b64 exec, exec, s[6:7]
	s_waitcnt lgkmcnt(0)
	; wave barrier
	scratch_load_dwordx4 v[2:5], v14, off
	s_waitcnt vmcnt(0)
	v_cmp_eq_f64_e32 vcc, 0, v[2:3]
	v_cmp_eq_f64_e64 s[6:7], 0, v[4:5]
	s_and_b64 s[6:7], vcc, s[6:7]
	s_and_saveexec_b64 s[8:9], s[6:7]
	s_cbranch_execz .LBB25_10
; %bb.7:
	v_mov_b32_e32 v2, 0
	ds_read_b32 v4, v2 offset:832
	v_add_u32_e32 v3, 1, v1
	s_waitcnt lgkmcnt(0)
	v_readfirstlane_b32 s6, v4
	s_cmp_eq_u32 s6, 0
	s_cselect_b64 s[12:13], -1, 0
	v_cmp_gt_i32_e32 vcc, s6, v3
	s_or_b64 s[12:13], s[12:13], vcc
	s_and_b64 exec, exec, s[12:13]
	s_cbranch_execz .LBB25_10
; %bb.8:
	s_mov_b64 s[12:13], 0
	v_mov_b32_e32 v4, s6
.LBB25_9:                               ; =>This Inner Loop Header: Depth=1
	ds_cmpst_rtn_b32 v4, v2, v4, v3 offset:832
	s_waitcnt lgkmcnt(0)
	v_cmp_ne_u32_e32 vcc, 0, v4
	v_cmp_le_i32_e64 s[6:7], v4, v3
	s_and_b64 s[6:7], vcc, s[6:7]
	s_and_b64 s[6:7], exec, s[6:7]
	s_or_b64 s[12:13], s[6:7], s[12:13]
	s_andn2_b64 exec, exec, s[12:13]
	s_cbranch_execnz .LBB25_9
.LBB25_10:
	s_or_b64 exec, exec, s[8:9]
	v_mov_b32_e32 v3, 0
	; wave barrier
	ds_read_b32 v2, v3 offset:832
	s_and_saveexec_b64 s[6:7], s[2:3]
	s_cbranch_execz .LBB25_12
; %bb.11:
	s_lshl_b64 s[8:9], s[4:5], 2
	s_add_u32 s8, s10, s8
	s_addc_u32 s9, s11, s9
	s_waitcnt lgkmcnt(0)
	global_store_dword v3, v2, s[8:9]
.LBB25_12:
	s_or_b64 exec, exec, s[6:7]
	s_waitcnt lgkmcnt(0)
	v_cmp_ne_u32_e32 vcc, 0, v2
	s_mov_b64 s[6:7], 0
	s_cbranch_vccnz .LBB25_116
; %bb.13:
	v_mov_b32_e32 v15, v14
	scratch_load_dwordx4 v[2:5], v15, off
                                        ; implicit-def: $vgpr6_vgpr7
                                        ; implicit-def: $vgpr10_vgpr11
	s_waitcnt vmcnt(0)
	v_cmp_ngt_f64_e64 s[6:7], |v[2:3]|, |v[4:5]|
	s_and_saveexec_b64 s[8:9], s[6:7]
	s_xor_b64 s[6:7], exec, s[8:9]
	s_cbranch_execz .LBB25_15
; %bb.14:
	v_div_scale_f64 v[6:7], s[8:9], v[4:5], v[4:5], v[2:3]
	v_rcp_f64_e32 v[8:9], v[6:7]
	v_div_scale_f64 v[10:11], vcc, v[2:3], v[4:5], v[2:3]
	v_fma_f64 v[12:13], -v[6:7], v[8:9], 1.0
	v_fmac_f64_e32 v[8:9], v[8:9], v[12:13]
	v_fma_f64 v[12:13], -v[6:7], v[8:9], 1.0
	v_fmac_f64_e32 v[8:9], v[8:9], v[12:13]
	v_mul_f64 v[12:13], v[10:11], v[8:9]
	v_fma_f64 v[6:7], -v[6:7], v[12:13], v[10:11]
	v_div_fmas_f64 v[6:7], v[6:7], v[8:9], v[12:13]
	v_div_fixup_f64 v[6:7], v[6:7], v[4:5], v[2:3]
	v_fmac_f64_e32 v[4:5], v[2:3], v[6:7]
	v_div_scale_f64 v[2:3], s[8:9], v[4:5], v[4:5], 1.0
	v_rcp_f64_e32 v[8:9], v[2:3]
	s_nop 0
	v_fma_f64 v[10:11], -v[2:3], v[8:9], 1.0
	v_fmac_f64_e32 v[8:9], v[8:9], v[10:11]
	v_fma_f64 v[10:11], -v[2:3], v[8:9], 1.0
	v_fmac_f64_e32 v[8:9], v[8:9], v[10:11]
	v_div_scale_f64 v[10:11], vcc, 1.0, v[4:5], 1.0
	v_mul_f64 v[12:13], v[10:11], v[8:9]
	v_fma_f64 v[2:3], -v[2:3], v[12:13], v[10:11]
	s_nop 1
	v_div_fmas_f64 v[2:3], v[2:3], v[8:9], v[12:13]
	v_div_fixup_f64 v[8:9], v[2:3], v[4:5], 1.0
	v_mul_f64 v[6:7], v[6:7], v[8:9]
	v_xor_b32_e32 v9, 0x80000000, v9
	v_xor_b32_e32 v11, 0x80000000, v7
	v_mov_b32_e32 v10, v6
                                        ; implicit-def: $vgpr2_vgpr3
.LBB25_15:
	s_andn2_saveexec_b64 s[6:7], s[6:7]
	s_cbranch_execz .LBB25_17
; %bb.16:
	v_div_scale_f64 v[6:7], s[8:9], v[2:3], v[2:3], v[4:5]
	v_rcp_f64_e32 v[8:9], v[6:7]
	v_div_scale_f64 v[10:11], vcc, v[4:5], v[2:3], v[4:5]
	v_fma_f64 v[12:13], -v[6:7], v[8:9], 1.0
	v_fmac_f64_e32 v[8:9], v[8:9], v[12:13]
	v_fma_f64 v[12:13], -v[6:7], v[8:9], 1.0
	v_fmac_f64_e32 v[8:9], v[8:9], v[12:13]
	v_mul_f64 v[12:13], v[10:11], v[8:9]
	v_fma_f64 v[6:7], -v[6:7], v[12:13], v[10:11]
	v_div_fmas_f64 v[6:7], v[6:7], v[8:9], v[12:13]
	v_div_fixup_f64 v[8:9], v[6:7], v[2:3], v[4:5]
	v_fmac_f64_e32 v[2:3], v[4:5], v[8:9]
	v_div_scale_f64 v[4:5], s[8:9], v[2:3], v[2:3], 1.0
	v_rcp_f64_e32 v[6:7], v[4:5]
	s_nop 0
	v_fma_f64 v[10:11], -v[4:5], v[6:7], 1.0
	v_fmac_f64_e32 v[6:7], v[6:7], v[10:11]
	v_fma_f64 v[10:11], -v[4:5], v[6:7], 1.0
	v_fmac_f64_e32 v[6:7], v[6:7], v[10:11]
	v_div_scale_f64 v[10:11], vcc, 1.0, v[2:3], 1.0
	v_mul_f64 v[12:13], v[10:11], v[6:7]
	v_fma_f64 v[4:5], -v[4:5], v[12:13], v[10:11]
	s_nop 1
	v_div_fmas_f64 v[4:5], v[4:5], v[6:7], v[12:13]
	v_div_fixup_f64 v[6:7], v[4:5], v[2:3], 1.0
	v_xor_b32_e32 v11, 0x80000000, v7
	v_mov_b32_e32 v10, v6
	v_mul_f64 v[8:9], v[8:9], -v[6:7]
.LBB25_17:
	s_or_b64 exec, exec, s[6:7]
	scratch_store_dwordx4 v15, v[6:9], off
	scratch_load_dwordx4 v[2:5], off, s18
	v_xor_b32_e32 v13, 0x80000000, v9
	v_mov_b32_e32 v12, v8
	v_add_u32_e32 v6, 0x1a0, v14
	ds_write_b128 v14, v[10:13]
	s_waitcnt vmcnt(0)
	ds_write_b128 v14, v[2:5] offset:416
	s_waitcnt lgkmcnt(0)
	; wave barrier
	s_and_saveexec_b64 s[6:7], s[2:3]
	s_cbranch_execz .LBB25_19
; %bb.18:
	scratch_load_dwordx4 v[2:5], v15, off
	ds_read_b128 v[8:11], v6
	v_mov_b32_e32 v7, 0
	ds_read_b128 v[16:19], v7 offset:16
	s_waitcnt vmcnt(0) lgkmcnt(1)
	v_mul_f64 v[12:13], v[10:11], v[4:5]
	v_mul_f64 v[4:5], v[8:9], v[4:5]
	v_fma_f64 v[8:9], v[8:9], v[2:3], -v[12:13]
	v_fmac_f64_e32 v[4:5], v[10:11], v[2:3]
	v_add_f64 v[2:3], v[8:9], 0
	v_add_f64 v[8:9], v[4:5], 0
	s_waitcnt lgkmcnt(0)
	v_mul_f64 v[10:11], v[8:9], v[18:19]
	v_mul_f64 v[4:5], v[2:3], v[18:19]
	v_fma_f64 v[2:3], v[2:3], v[16:17], -v[10:11]
	v_fmac_f64_e32 v[4:5], v[8:9], v[16:17]
	scratch_store_dwordx4 off, v[2:5], off offset:16
.LBB25_19:
	s_or_b64 exec, exec, s[6:7]
	; wave barrier
	scratch_load_dwordx4 v[2:5], off, s14
	v_cmp_gt_u32_e32 vcc, 2, v1
	s_waitcnt vmcnt(0)
	ds_write_b128 v6, v[2:5]
	s_waitcnt lgkmcnt(0)
	; wave barrier
	s_and_saveexec_b64 s[6:7], vcc
	s_cbranch_execz .LBB25_23
; %bb.20:
	scratch_load_dwordx4 v[2:5], v15, off
	ds_read_b128 v[8:11], v6
	s_waitcnt vmcnt(0) lgkmcnt(0)
	v_mul_f64 v[12:13], v[10:11], v[4:5]
	v_mul_f64 v[16:17], v[8:9], v[4:5]
	v_fma_f64 v[4:5], v[8:9], v[2:3], -v[12:13]
	v_fmac_f64_e32 v[16:17], v[10:11], v[2:3]
	v_add_f64 v[4:5], v[4:5], 0
	v_add_f64 v[2:3], v[16:17], 0
	s_and_saveexec_b64 s[8:9], s[2:3]
	s_cbranch_execz .LBB25_22
; %bb.21:
	scratch_load_dwordx4 v[8:11], off, off offset:16
	v_mov_b32_e32 v7, 0
	ds_read_b128 v[16:19], v7 offset:432
	s_waitcnt vmcnt(0) lgkmcnt(0)
	v_mul_f64 v[12:13], v[16:17], v[10:11]
	v_mul_f64 v[10:11], v[18:19], v[10:11]
	v_fmac_f64_e32 v[12:13], v[18:19], v[8:9]
	v_fma_f64 v[8:9], v[16:17], v[8:9], -v[10:11]
	v_add_f64 v[2:3], v[2:3], v[12:13]
	v_add_f64 v[4:5], v[4:5], v[8:9]
.LBB25_22:
	s_or_b64 exec, exec, s[8:9]
	v_mov_b32_e32 v7, 0
	ds_read_b128 v[8:11], v7 offset:32
	s_waitcnt lgkmcnt(0)
	v_mul_f64 v[16:17], v[2:3], v[10:11]
	v_mul_f64 v[12:13], v[4:5], v[10:11]
	v_fma_f64 v[10:11], v[4:5], v[8:9], -v[16:17]
	v_fmac_f64_e32 v[12:13], v[2:3], v[8:9]
	scratch_store_dwordx4 off, v[10:13], off offset:32
.LBB25_23:
	s_or_b64 exec, exec, s[6:7]
	; wave barrier
	scratch_load_dwordx4 v[2:5], off, s15
	v_cmp_gt_u32_e32 vcc, 3, v1
	v_add_u32_e32 v7, -1, v1
	s_waitcnt vmcnt(0)
	ds_write_b128 v6, v[2:5]
	s_waitcnt lgkmcnt(0)
	; wave barrier
	s_and_saveexec_b64 s[2:3], vcc
	s_cbranch_execz .LBB25_27
; %bb.24:
	v_add_u32_e32 v8, -1, v1
	v_add_u32_e32 v9, 0x1a0, v14
	v_mov_b32_e32 v10, v14
	v_mov_b64_e32 v[2:3], 0
	s_mov_b64 s[6:7], 0
	v_mov_b64_e32 v[4:5], 0
.LBB25_25:                              ; =>This Inner Loop Header: Depth=1
	scratch_load_dwordx4 v[16:19], v10, off
	ds_read_b128 v[20:23], v9
	v_add_u32_e32 v8, 1, v8
	v_cmp_lt_u32_e32 vcc, 1, v8
	v_add_u32_e32 v9, 16, v9
	v_add_u32_e32 v10, 16, v10
	s_or_b64 s[6:7], vcc, s[6:7]
	s_waitcnt vmcnt(0) lgkmcnt(0)
	v_mul_f64 v[12:13], v[22:23], v[18:19]
	v_mul_f64 v[18:19], v[20:21], v[18:19]
	v_fma_f64 v[12:13], v[20:21], v[16:17], -v[12:13]
	v_fmac_f64_e32 v[18:19], v[22:23], v[16:17]
	v_add_f64 v[4:5], v[4:5], v[12:13]
	v_add_f64 v[2:3], v[2:3], v[18:19]
	s_andn2_b64 exec, exec, s[6:7]
	s_cbranch_execnz .LBB25_25
; %bb.26:
	s_or_b64 exec, exec, s[6:7]
	v_mov_b32_e32 v8, 0
	ds_read_b128 v[8:11], v8 offset:48
	s_waitcnt lgkmcnt(0)
	v_mul_f64 v[16:17], v[2:3], v[10:11]
	v_mul_f64 v[12:13], v[4:5], v[10:11]
	v_fma_f64 v[10:11], v[4:5], v[8:9], -v[16:17]
	v_fmac_f64_e32 v[12:13], v[2:3], v[8:9]
	scratch_store_dwordx4 off, v[10:13], off offset:48
.LBB25_27:
	s_or_b64 exec, exec, s[2:3]
	; wave barrier
	scratch_load_dwordx4 v[2:5], off, s16
	v_cmp_gt_u32_e32 vcc, 4, v1
	s_waitcnt vmcnt(0)
	ds_write_b128 v6, v[2:5]
	s_waitcnt lgkmcnt(0)
	; wave barrier
	s_and_saveexec_b64 s[2:3], vcc
	s_cbranch_execz .LBB25_31
; %bb.28:
	v_add_u32_e32 v8, -1, v1
	v_add_u32_e32 v9, 0x1a0, v14
	v_mov_b32_e32 v10, v14
	v_mov_b64_e32 v[2:3], 0
	s_mov_b64 s[6:7], 0
	v_mov_b64_e32 v[4:5], 0
.LBB25_29:                              ; =>This Inner Loop Header: Depth=1
	scratch_load_dwordx4 v[16:19], v10, off
	ds_read_b128 v[20:23], v9
	v_add_u32_e32 v8, 1, v8
	v_cmp_lt_u32_e32 vcc, 2, v8
	v_add_u32_e32 v9, 16, v9
	v_add_u32_e32 v10, 16, v10
	s_or_b64 s[6:7], vcc, s[6:7]
	s_waitcnt vmcnt(0) lgkmcnt(0)
	v_mul_f64 v[12:13], v[22:23], v[18:19]
	v_mul_f64 v[18:19], v[20:21], v[18:19]
	v_fma_f64 v[12:13], v[20:21], v[16:17], -v[12:13]
	v_fmac_f64_e32 v[18:19], v[22:23], v[16:17]
	v_add_f64 v[4:5], v[4:5], v[12:13]
	v_add_f64 v[2:3], v[2:3], v[18:19]
	s_andn2_b64 exec, exec, s[6:7]
	s_cbranch_execnz .LBB25_29
; %bb.30:
	s_or_b64 exec, exec, s[6:7]
	v_mov_b32_e32 v8, 0
	ds_read_b128 v[8:11], v8 offset:64
	s_waitcnt lgkmcnt(0)
	v_mul_f64 v[16:17], v[2:3], v[10:11]
	v_mul_f64 v[12:13], v[4:5], v[10:11]
	v_fma_f64 v[10:11], v[4:5], v[8:9], -v[16:17]
	v_fmac_f64_e32 v[12:13], v[2:3], v[8:9]
	scratch_store_dwordx4 off, v[10:13], off offset:64
.LBB25_31:
	s_or_b64 exec, exec, s[2:3]
	; wave barrier
	scratch_load_dwordx4 v[2:5], off, s19
	v_cmp_gt_u32_e32 vcc, 5, v1
	;; [unrolled: 45-line block ×19, first 2 shown]
	s_waitcnt vmcnt(0)
	ds_write_b128 v6, v[2:5]
	s_waitcnt lgkmcnt(0)
	; wave barrier
	s_and_saveexec_b64 s[2:3], vcc
	s_cbranch_execz .LBB25_103
; %bb.100:
	v_add_u32_e32 v8, -1, v1
	v_add_u32_e32 v9, 0x1a0, v14
	v_mov_b32_e32 v10, v14
	v_mov_b64_e32 v[2:3], 0
	s_mov_b64 s[6:7], 0
	v_mov_b64_e32 v[4:5], 0
.LBB25_101:                             ; =>This Inner Loop Header: Depth=1
	scratch_load_dwordx4 v[16:19], v10, off
	ds_read_b128 v[20:23], v9
	v_add_u32_e32 v8, 1, v8
	v_cmp_lt_u32_e32 vcc, 20, v8
	v_add_u32_e32 v9, 16, v9
	v_add_u32_e32 v10, 16, v10
	s_or_b64 s[6:7], vcc, s[6:7]
	s_waitcnt vmcnt(0) lgkmcnt(0)
	v_mul_f64 v[12:13], v[22:23], v[18:19]
	v_mul_f64 v[18:19], v[20:21], v[18:19]
	v_fma_f64 v[12:13], v[20:21], v[16:17], -v[12:13]
	v_fmac_f64_e32 v[18:19], v[22:23], v[16:17]
	v_add_f64 v[4:5], v[4:5], v[12:13]
	v_add_f64 v[2:3], v[2:3], v[18:19]
	s_andn2_b64 exec, exec, s[6:7]
	s_cbranch_execnz .LBB25_101
; %bb.102:
	s_or_b64 exec, exec, s[6:7]
	v_mov_b32_e32 v8, 0
	ds_read_b128 v[8:11], v8 offset:352
	s_waitcnt lgkmcnt(0)
	v_mul_f64 v[16:17], v[2:3], v[10:11]
	v_mul_f64 v[12:13], v[4:5], v[10:11]
	v_fma_f64 v[10:11], v[4:5], v[8:9], -v[16:17]
	v_fmac_f64_e32 v[12:13], v[2:3], v[8:9]
	scratch_store_dwordx4 off, v[10:13], off offset:352
.LBB25_103:
	s_or_b64 exec, exec, s[2:3]
	; wave barrier
	scratch_load_dwordx4 v[2:5], off, s35
	v_cmp_gt_u32_e32 vcc, 23, v1
	s_waitcnt vmcnt(0)
	ds_write_b128 v6, v[2:5]
	s_waitcnt lgkmcnt(0)
	; wave barrier
	s_and_saveexec_b64 s[2:3], vcc
	s_cbranch_execz .LBB25_107
; %bb.104:
	v_add_u32_e32 v8, -1, v1
	v_add_u32_e32 v9, 0x1a0, v14
	v_mov_b32_e32 v10, v14
	v_mov_b64_e32 v[2:3], 0
	s_mov_b64 s[6:7], 0
	v_mov_b64_e32 v[4:5], 0
.LBB25_105:                             ; =>This Inner Loop Header: Depth=1
	scratch_load_dwordx4 v[16:19], v10, off
	ds_read_b128 v[20:23], v9
	v_add_u32_e32 v8, 1, v8
	v_cmp_lt_u32_e32 vcc, 21, v8
	v_add_u32_e32 v9, 16, v9
	v_add_u32_e32 v10, 16, v10
	s_or_b64 s[6:7], vcc, s[6:7]
	s_waitcnt vmcnt(0) lgkmcnt(0)
	v_mul_f64 v[12:13], v[22:23], v[18:19]
	v_mul_f64 v[18:19], v[20:21], v[18:19]
	v_fma_f64 v[12:13], v[20:21], v[16:17], -v[12:13]
	v_fmac_f64_e32 v[18:19], v[22:23], v[16:17]
	v_add_f64 v[4:5], v[4:5], v[12:13]
	v_add_f64 v[2:3], v[2:3], v[18:19]
	s_andn2_b64 exec, exec, s[6:7]
	s_cbranch_execnz .LBB25_105
; %bb.106:
	s_or_b64 exec, exec, s[6:7]
	v_mov_b32_e32 v8, 0
	ds_read_b128 v[8:11], v8 offset:368
	s_waitcnt lgkmcnt(0)
	v_mul_f64 v[16:17], v[2:3], v[10:11]
	v_mul_f64 v[12:13], v[4:5], v[10:11]
	v_fma_f64 v[10:11], v[4:5], v[8:9], -v[16:17]
	v_fmac_f64_e32 v[12:13], v[2:3], v[8:9]
	scratch_store_dwordx4 off, v[10:13], off offset:368
.LBB25_107:
	s_or_b64 exec, exec, s[2:3]
	; wave barrier
	scratch_load_dwordx4 v[2:5], off, s36
	v_cmp_gt_u32_e32 vcc, 24, v1
	s_waitcnt vmcnt(0)
	ds_write_b128 v6, v[2:5]
	s_waitcnt lgkmcnt(0)
	; wave barrier
	s_and_saveexec_b64 s[2:3], vcc
	s_cbranch_execz .LBB25_111
; %bb.108:
	v_add_u32_e32 v8, -1, v1
	v_add_u32_e32 v9, 0x1a0, v14
	v_mov_b32_e32 v10, v14
	v_mov_b64_e32 v[2:3], 0
	s_mov_b64 s[6:7], 0
	v_mov_b64_e32 v[4:5], 0
.LBB25_109:                             ; =>This Inner Loop Header: Depth=1
	scratch_load_dwordx4 v[16:19], v10, off
	ds_read_b128 v[20:23], v9
	v_add_u32_e32 v8, 1, v8
	v_cmp_lt_u32_e32 vcc, 22, v8
	v_add_u32_e32 v9, 16, v9
	v_add_u32_e32 v10, 16, v10
	s_or_b64 s[6:7], vcc, s[6:7]
	s_waitcnt vmcnt(0) lgkmcnt(0)
	v_mul_f64 v[12:13], v[22:23], v[18:19]
	v_mul_f64 v[18:19], v[20:21], v[18:19]
	v_fma_f64 v[12:13], v[20:21], v[16:17], -v[12:13]
	v_fmac_f64_e32 v[18:19], v[22:23], v[16:17]
	v_add_f64 v[4:5], v[4:5], v[12:13]
	v_add_f64 v[2:3], v[2:3], v[18:19]
	s_andn2_b64 exec, exec, s[6:7]
	s_cbranch_execnz .LBB25_109
; %bb.110:
	s_or_b64 exec, exec, s[6:7]
	v_mov_b32_e32 v8, 0
	ds_read_b128 v[8:11], v8 offset:384
	s_waitcnt lgkmcnt(0)
	v_mul_f64 v[16:17], v[2:3], v[10:11]
	v_mul_f64 v[12:13], v[4:5], v[10:11]
	v_fma_f64 v[10:11], v[4:5], v[8:9], -v[16:17]
	v_fmac_f64_e32 v[12:13], v[2:3], v[8:9]
	scratch_store_dwordx4 off, v[10:13], off offset:384
.LBB25_111:
	s_or_b64 exec, exec, s[2:3]
	; wave barrier
	scratch_load_dwordx4 v[2:5], off, s37
	v_cmp_ne_u32_e32 vcc, 25, v1
	s_waitcnt vmcnt(0)
	ds_write_b128 v6, v[2:5]
	s_waitcnt lgkmcnt(0)
	; wave barrier
	s_and_saveexec_b64 s[2:3], vcc
	s_cbranch_execz .LBB25_115
; %bb.112:
	v_add_u32_e32 v6, 0x1a0, v14
	v_mov_b32_e32 v8, v14
	v_mov_b64_e32 v[2:3], 0
	s_mov_b64 s[6:7], 0
	v_mov_b64_e32 v[4:5], 0
.LBB25_113:                             ; =>This Inner Loop Header: Depth=1
	scratch_load_dwordx4 v[10:13], v8, off
	ds_read_b128 v[14:17], v6
	v_add_u32_e32 v7, 1, v7
	v_cmp_lt_u32_e32 vcc, 23, v7
	v_add_u32_e32 v6, 16, v6
	v_add_u32_e32 v8, 16, v8
	s_or_b64 s[6:7], vcc, s[6:7]
	s_waitcnt vmcnt(0) lgkmcnt(0)
	v_mul_f64 v[18:19], v[16:17], v[12:13]
	v_mul_f64 v[12:13], v[14:15], v[12:13]
	v_fma_f64 v[14:15], v[14:15], v[10:11], -v[18:19]
	v_fmac_f64_e32 v[12:13], v[16:17], v[10:11]
	v_add_f64 v[4:5], v[4:5], v[14:15]
	v_add_f64 v[2:3], v[2:3], v[12:13]
	s_andn2_b64 exec, exec, s[6:7]
	s_cbranch_execnz .LBB25_113
; %bb.114:
	s_or_b64 exec, exec, s[6:7]
	v_mov_b32_e32 v6, 0
	ds_read_b128 v[6:9], v6 offset:400
	s_waitcnt lgkmcnt(0)
	v_mul_f64 v[12:13], v[2:3], v[8:9]
	v_mul_f64 v[10:11], v[4:5], v[8:9]
	v_fma_f64 v[8:9], v[4:5], v[6:7], -v[12:13]
	v_fmac_f64_e32 v[10:11], v[2:3], v[6:7]
	scratch_store_dwordx4 off, v[8:11], off offset:400
.LBB25_115:
	s_or_b64 exec, exec, s[2:3]
	s_mov_b64 s[6:7], -1
	; wave barrier
.LBB25_116:
	s_and_b64 vcc, exec, s[6:7]
	s_cbranch_vccz .LBB25_118
; %bb.117:
	s_lshl_b64 s[2:3], s[4:5], 2
	s_add_u32 s2, s10, s2
	s_addc_u32 s3, s11, s3
	v_mov_b32_e32 v2, 0
	global_load_dword v2, v2, s[2:3]
	s_waitcnt vmcnt(0)
	v_cmp_ne_u32_e32 vcc, 0, v2
	s_cbranch_vccz .LBB25_119
.LBB25_118:
	s_endpgm
.LBB25_119:
	v_mov_b32_e32 v2, 0x1a0
	v_lshl_add_u32 v202, v1, 4, v2
	v_cmp_eq_u32_e32 vcc, 25, v1
	s_and_saveexec_b64 s[2:3], vcc
	s_cbranch_execz .LBB25_121
; %bb.120:
	scratch_load_dwordx4 v[2:5], off, s36
	v_mov_b32_e32 v6, 0
	v_mov_b32_e32 v7, v6
	;; [unrolled: 1-line block ×4, first 2 shown]
	scratch_store_dwordx4 off, v[6:9], off offset:384
	s_waitcnt vmcnt(1)
	ds_write_b128 v202, v[2:5]
.LBB25_121:
	s_or_b64 exec, exec, s[2:3]
	s_waitcnt lgkmcnt(0)
	; wave barrier
	scratch_load_dwordx4 v[4:7], off, off offset:400
	scratch_load_dwordx4 v[8:11], off, off offset:384
	v_mov_b32_e32 v2, 0
	ds_read_b128 v[12:15], v2 offset:816
	v_cmp_lt_u32_e32 vcc, 23, v1
	s_waitcnt vmcnt(1) lgkmcnt(0)
	v_mul_f64 v[16:17], v[12:13], v[6:7]
	v_mul_f64 v[6:7], v[14:15], v[6:7]
	v_fmac_f64_e32 v[16:17], v[14:15], v[4:5]
	v_fma_f64 v[4:5], v[12:13], v[4:5], -v[6:7]
	v_add_f64 v[6:7], v[16:17], 0
	v_add_f64 v[4:5], v[4:5], 0
	s_waitcnt vmcnt(0)
	v_add_f64 v[4:5], v[8:9], -v[4:5]
	v_add_f64 v[6:7], v[10:11], -v[6:7]
	scratch_store_dwordx4 off, v[4:7], off offset:384
	s_and_saveexec_b64 s[2:3], vcc
	s_cbranch_execz .LBB25_123
; %bb.122:
	scratch_load_dwordx4 v[6:9], off, s35
	v_mov_b32_e32 v3, v2
	v_mov_b32_e32 v4, v2
	;; [unrolled: 1-line block ×3, first 2 shown]
	scratch_store_dwordx4 off, v[2:5], off offset:368
	s_waitcnt vmcnt(1)
	ds_write_b128 v202, v[6:9]
.LBB25_123:
	s_or_b64 exec, exec, s[2:3]
	s_waitcnt lgkmcnt(0)
	; wave barrier
	scratch_load_dwordx4 v[4:7], off, off offset:384
	scratch_load_dwordx4 v[8:11], off, off offset:400
	;; [unrolled: 1-line block ×3, first 2 shown]
	ds_read_b128 v[16:19], v2 offset:800
	ds_read_b128 v[20:23], v2 offset:816
	v_cmp_lt_u32_e32 vcc, 22, v1
	s_waitcnt vmcnt(2) lgkmcnt(1)
	v_mul_f64 v[2:3], v[16:17], v[6:7]
	v_mul_f64 v[6:7], v[18:19], v[6:7]
	s_waitcnt vmcnt(1) lgkmcnt(0)
	v_mul_f64 v[24:25], v[20:21], v[10:11]
	v_mul_f64 v[10:11], v[22:23], v[10:11]
	v_fmac_f64_e32 v[2:3], v[18:19], v[4:5]
	v_fma_f64 v[4:5], v[16:17], v[4:5], -v[6:7]
	v_fmac_f64_e32 v[24:25], v[22:23], v[8:9]
	v_fma_f64 v[6:7], v[20:21], v[8:9], -v[10:11]
	v_add_f64 v[2:3], v[2:3], 0
	v_add_f64 v[4:5], v[4:5], 0
	;; [unrolled: 1-line block ×4, first 2 shown]
	s_waitcnt vmcnt(0)
	v_add_f64 v[2:3], v[12:13], -v[2:3]
	v_add_f64 v[4:5], v[14:15], -v[8:9]
	scratch_store_dwordx4 off, v[2:5], off offset:368
	s_and_saveexec_b64 s[2:3], vcc
	s_cbranch_execz .LBB25_125
; %bb.124:
	scratch_load_dwordx4 v[2:5], off, s34
	v_mov_b32_e32 v6, 0
	v_mov_b32_e32 v7, v6
	v_mov_b32_e32 v8, v6
	v_mov_b32_e32 v9, v6
	scratch_store_dwordx4 off, v[6:9], off offset:352
	s_waitcnt vmcnt(1)
	ds_write_b128 v202, v[2:5]
.LBB25_125:
	s_or_b64 exec, exec, s[2:3]
	s_waitcnt lgkmcnt(0)
	; wave barrier
	scratch_load_dwordx4 v[4:7], off, off offset:368
	scratch_load_dwordx4 v[8:11], off, off offset:384
	;; [unrolled: 1-line block ×4, first 2 shown]
	v_mov_b32_e32 v2, 0
	ds_read_b128 v[20:23], v2 offset:784
	ds_read_b128 v[24:27], v2 offset:800
	;; [unrolled: 1-line block ×3, first 2 shown]
	v_cmp_lt_u32_e32 vcc, 21, v1
	s_waitcnt vmcnt(3) lgkmcnt(2)
	v_mul_f64 v[32:33], v[20:21], v[6:7]
	v_mul_f64 v[6:7], v[22:23], v[6:7]
	s_waitcnt vmcnt(2) lgkmcnt(1)
	v_mul_f64 v[34:35], v[24:25], v[10:11]
	v_mul_f64 v[10:11], v[26:27], v[10:11]
	v_fmac_f64_e32 v[32:33], v[22:23], v[4:5]
	v_fma_f64 v[4:5], v[20:21], v[4:5], -v[6:7]
	s_waitcnt vmcnt(1) lgkmcnt(0)
	v_mul_f64 v[36:37], v[28:29], v[14:15]
	v_mul_f64 v[14:15], v[30:31], v[14:15]
	v_fmac_f64_e32 v[34:35], v[26:27], v[8:9]
	v_fma_f64 v[6:7], v[24:25], v[8:9], -v[10:11]
	v_add_f64 v[10:11], v[32:33], 0
	v_add_f64 v[4:5], v[4:5], 0
	v_fmac_f64_e32 v[36:37], v[30:31], v[12:13]
	v_fma_f64 v[8:9], v[28:29], v[12:13], -v[14:15]
	v_add_f64 v[10:11], v[10:11], v[34:35]
	v_add_f64 v[4:5], v[4:5], v[6:7]
	v_add_f64 v[6:7], v[10:11], v[36:37]
	v_add_f64 v[4:5], v[4:5], v[8:9]
	s_waitcnt vmcnt(0)
	v_add_f64 v[4:5], v[16:17], -v[4:5]
	v_add_f64 v[6:7], v[18:19], -v[6:7]
	scratch_store_dwordx4 off, v[4:7], off offset:352
	s_and_saveexec_b64 s[2:3], vcc
	s_cbranch_execz .LBB25_127
; %bb.126:
	scratch_load_dwordx4 v[6:9], off, s33
	v_mov_b32_e32 v3, v2
	v_mov_b32_e32 v4, v2
	;; [unrolled: 1-line block ×3, first 2 shown]
	scratch_store_dwordx4 off, v[2:5], off offset:336
	s_waitcnt vmcnt(1)
	ds_write_b128 v202, v[6:9]
.LBB25_127:
	s_or_b64 exec, exec, s[2:3]
	s_waitcnt lgkmcnt(0)
	; wave barrier
	scratch_load_dwordx4 v[4:7], off, off offset:352
	scratch_load_dwordx4 v[8:11], off, off offset:368
	;; [unrolled: 1-line block ×5, first 2 shown]
	ds_read_b128 v[24:27], v2 offset:768
	ds_read_b128 v[28:31], v2 offset:784
	;; [unrolled: 1-line block ×4, first 2 shown]
	v_cmp_lt_u32_e32 vcc, 20, v1
	s_waitcnt vmcnt(4) lgkmcnt(3)
	v_mul_f64 v[2:3], v[24:25], v[6:7]
	v_mul_f64 v[6:7], v[26:27], v[6:7]
	s_waitcnt vmcnt(3) lgkmcnt(2)
	v_mul_f64 v[40:41], v[28:29], v[10:11]
	v_mul_f64 v[10:11], v[30:31], v[10:11]
	v_fmac_f64_e32 v[2:3], v[26:27], v[4:5]
	v_fma_f64 v[4:5], v[24:25], v[4:5], -v[6:7]
	s_waitcnt vmcnt(2) lgkmcnt(1)
	v_mul_f64 v[42:43], v[32:33], v[14:15]
	v_mul_f64 v[14:15], v[34:35], v[14:15]
	v_fmac_f64_e32 v[40:41], v[30:31], v[8:9]
	v_fma_f64 v[6:7], v[28:29], v[8:9], -v[10:11]
	v_add_f64 v[2:3], v[2:3], 0
	v_add_f64 v[4:5], v[4:5], 0
	s_waitcnt vmcnt(1) lgkmcnt(0)
	v_mul_f64 v[44:45], v[36:37], v[18:19]
	v_mul_f64 v[18:19], v[38:39], v[18:19]
	v_fmac_f64_e32 v[42:43], v[34:35], v[12:13]
	v_fma_f64 v[8:9], v[32:33], v[12:13], -v[14:15]
	v_add_f64 v[2:3], v[2:3], v[40:41]
	v_add_f64 v[4:5], v[4:5], v[6:7]
	v_fmac_f64_e32 v[44:45], v[38:39], v[16:17]
	v_fma_f64 v[10:11], v[36:37], v[16:17], -v[18:19]
	v_add_f64 v[2:3], v[2:3], v[42:43]
	v_add_f64 v[4:5], v[4:5], v[8:9]
	;; [unrolled: 1-line block ×4, first 2 shown]
	s_waitcnt vmcnt(0)
	v_add_f64 v[2:3], v[20:21], -v[2:3]
	v_add_f64 v[4:5], v[22:23], -v[6:7]
	scratch_store_dwordx4 off, v[2:5], off offset:336
	s_and_saveexec_b64 s[2:3], vcc
	s_cbranch_execz .LBB25_129
; %bb.128:
	scratch_load_dwordx4 v[2:5], off, s31
	v_mov_b32_e32 v6, 0
	v_mov_b32_e32 v7, v6
	;; [unrolled: 1-line block ×4, first 2 shown]
	scratch_store_dwordx4 off, v[6:9], off offset:320
	s_waitcnt vmcnt(1)
	ds_write_b128 v202, v[2:5]
.LBB25_129:
	s_or_b64 exec, exec, s[2:3]
	s_waitcnt lgkmcnt(0)
	; wave barrier
	scratch_load_dwordx4 v[4:7], off, off offset:336
	scratch_load_dwordx4 v[8:11], off, off offset:352
	;; [unrolled: 1-line block ×6, first 2 shown]
	v_mov_b32_e32 v2, 0
	ds_read_b128 v[28:31], v2 offset:752
	ds_read_b128 v[32:35], v2 offset:768
	;; [unrolled: 1-line block ×5, first 2 shown]
	v_cmp_lt_u32_e32 vcc, 19, v1
	s_waitcnt vmcnt(5) lgkmcnt(4)
	v_mul_f64 v[48:49], v[28:29], v[6:7]
	v_mul_f64 v[6:7], v[30:31], v[6:7]
	s_waitcnt vmcnt(4) lgkmcnt(3)
	v_mul_f64 v[50:51], v[32:33], v[10:11]
	s_waitcnt vmcnt(3) lgkmcnt(2)
	v_mul_f64 v[52:53], v[36:37], v[14:15]
	v_mul_f64 v[10:11], v[34:35], v[10:11]
	;; [unrolled: 1-line block ×3, first 2 shown]
	v_fmac_f64_e32 v[48:49], v[30:31], v[4:5]
	v_fma_f64 v[4:5], v[28:29], v[4:5], -v[6:7]
	v_fmac_f64_e32 v[50:51], v[34:35], v[8:9]
	v_fma_f64 v[6:7], v[32:33], v[8:9], -v[10:11]
	v_fma_f64 v[8:9], v[36:37], v[12:13], -v[14:15]
	v_add_f64 v[14:15], v[48:49], 0
	v_add_f64 v[4:5], v[4:5], 0
	s_waitcnt vmcnt(2) lgkmcnt(1)
	v_mul_f64 v[54:55], v[40:41], v[18:19]
	v_mul_f64 v[18:19], v[42:43], v[18:19]
	v_fmac_f64_e32 v[52:53], v[38:39], v[12:13]
	v_add_f64 v[14:15], v[14:15], v[50:51]
	v_add_f64 v[4:5], v[4:5], v[6:7]
	s_waitcnt vmcnt(1) lgkmcnt(0)
	v_mul_f64 v[56:57], v[44:45], v[22:23]
	v_mul_f64 v[22:23], v[46:47], v[22:23]
	v_fmac_f64_e32 v[54:55], v[42:43], v[16:17]
	v_fma_f64 v[10:11], v[40:41], v[16:17], -v[18:19]
	v_add_f64 v[6:7], v[14:15], v[52:53]
	v_add_f64 v[4:5], v[4:5], v[8:9]
	v_fmac_f64_e32 v[56:57], v[46:47], v[20:21]
	v_fma_f64 v[12:13], v[44:45], v[20:21], -v[22:23]
	v_add_f64 v[6:7], v[6:7], v[54:55]
	v_add_f64 v[4:5], v[4:5], v[10:11]
	;; [unrolled: 1-line block ×4, first 2 shown]
	s_waitcnt vmcnt(0)
	v_add_f64 v[4:5], v[24:25], -v[4:5]
	v_add_f64 v[6:7], v[26:27], -v[6:7]
	scratch_store_dwordx4 off, v[4:7], off offset:320
	s_and_saveexec_b64 s[2:3], vcc
	s_cbranch_execz .LBB25_131
; %bb.130:
	scratch_load_dwordx4 v[6:9], off, s30
	v_mov_b32_e32 v3, v2
	v_mov_b32_e32 v4, v2
	v_mov_b32_e32 v5, v2
	scratch_store_dwordx4 off, v[2:5], off offset:304
	s_waitcnt vmcnt(1)
	ds_write_b128 v202, v[6:9]
.LBB25_131:
	s_or_b64 exec, exec, s[2:3]
	s_waitcnt lgkmcnt(0)
	; wave barrier
	scratch_load_dwordx4 v[4:7], off, off offset:320
	scratch_load_dwordx4 v[8:11], off, off offset:336
	;; [unrolled: 1-line block ×7, first 2 shown]
	ds_read_b128 v[32:35], v2 offset:736
	ds_read_b128 v[36:39], v2 offset:752
	;; [unrolled: 1-line block ×6, first 2 shown]
	v_cmp_lt_u32_e32 vcc, 18, v1
	s_waitcnt vmcnt(6) lgkmcnt(5)
	v_mul_f64 v[2:3], v[32:33], v[6:7]
	v_mul_f64 v[6:7], v[34:35], v[6:7]
	s_waitcnt vmcnt(5) lgkmcnt(4)
	v_mul_f64 v[56:57], v[36:37], v[10:11]
	v_mul_f64 v[10:11], v[38:39], v[10:11]
	v_fmac_f64_e32 v[2:3], v[34:35], v[4:5]
	v_fma_f64 v[4:5], v[32:33], v[4:5], -v[6:7]
	s_waitcnt vmcnt(4) lgkmcnt(3)
	v_mul_f64 v[58:59], v[40:41], v[14:15]
	v_mul_f64 v[14:15], v[42:43], v[14:15]
	v_fmac_f64_e32 v[56:57], v[38:39], v[8:9]
	v_fma_f64 v[6:7], v[36:37], v[8:9], -v[10:11]
	v_add_f64 v[2:3], v[2:3], 0
	v_add_f64 v[4:5], v[4:5], 0
	s_waitcnt vmcnt(3) lgkmcnt(2)
	v_mul_f64 v[60:61], v[44:45], v[18:19]
	v_mul_f64 v[18:19], v[46:47], v[18:19]
	v_fmac_f64_e32 v[58:59], v[42:43], v[12:13]
	v_fma_f64 v[8:9], v[40:41], v[12:13], -v[14:15]
	v_add_f64 v[2:3], v[2:3], v[56:57]
	v_add_f64 v[4:5], v[4:5], v[6:7]
	;; [unrolled: 7-line block ×4, first 2 shown]
	v_fmac_f64_e32 v[64:65], v[54:55], v[24:25]
	v_fma_f64 v[14:15], v[52:53], v[24:25], -v[26:27]
	v_add_f64 v[2:3], v[2:3], v[62:63]
	v_add_f64 v[4:5], v[4:5], v[12:13]
	;; [unrolled: 1-line block ×4, first 2 shown]
	s_waitcnt vmcnt(0)
	v_add_f64 v[2:3], v[28:29], -v[2:3]
	v_add_f64 v[4:5], v[30:31], -v[6:7]
	scratch_store_dwordx4 off, v[2:5], off offset:304
	s_and_saveexec_b64 s[2:3], vcc
	s_cbranch_execz .LBB25_133
; %bb.132:
	scratch_load_dwordx4 v[2:5], off, s39
	v_mov_b32_e32 v6, 0
	v_mov_b32_e32 v7, v6
	;; [unrolled: 1-line block ×4, first 2 shown]
	scratch_store_dwordx4 off, v[6:9], off offset:288
	s_waitcnt vmcnt(1)
	ds_write_b128 v202, v[2:5]
.LBB25_133:
	s_or_b64 exec, exec, s[2:3]
	v_mov_b32_e32 v2, 0
	s_waitcnt lgkmcnt(0)
	; wave barrier
	ds_read_b128 v[4:7], v2 offset:720
	ds_read_b128 v[8:11], v2 offset:736
	;; [unrolled: 1-line block ×4, first 2 shown]
	scratch_load_dwordx4 v[20:23], off, off offset:304
	scratch_load_dwordx4 v[40:43], off, off offset:368
	v_cmp_lt_u32_e32 vcc, 17, v1
	scratch_load_dwordx4 v[48:51], off, off offset:384
	scratch_load_dwordx4 v[56:59], off, off offset:400
	s_waitcnt vmcnt(3) lgkmcnt(3)
	v_mul_f64 v[24:25], v[4:5], v[22:23]
	v_fmac_f64_e32 v[24:25], v[6:7], v[20:21]
	v_add_f64 v[28:29], v[24:25], 0
	scratch_load_dwordx4 v[24:27], off, off offset:320
	v_mul_f64 v[6:7], v[6:7], v[22:23]
	v_fma_f64 v[4:5], v[4:5], v[20:21], -v[6:7]
	v_add_f64 v[4:5], v[4:5], 0
	s_waitcnt vmcnt(0) lgkmcnt(2)
	v_mul_f64 v[30:31], v[8:9], v[26:27]
	v_fmac_f64_e32 v[30:31], v[10:11], v[24:25]
	v_add_f64 v[32:33], v[28:29], v[30:31]
	scratch_load_dwordx4 v[28:31], off, off offset:336
	v_mul_f64 v[6:7], v[10:11], v[26:27]
	v_fma_f64 v[6:7], v[8:9], v[24:25], -v[6:7]
	v_add_f64 v[4:5], v[4:5], v[6:7]
	;; [unrolled: 8-line block ×3, first 2 shown]
	s_waitcnt vmcnt(0) lgkmcnt(0)
	v_mul_f64 v[38:39], v[16:17], v[34:35]
	v_fmac_f64_e32 v[38:39], v[18:19], v[32:33]
	v_add_f64 v[44:45], v[36:37], v[38:39]
	ds_read_b128 v[36:39], v2 offset:784
	v_mul_f64 v[6:7], v[18:19], v[34:35]
	v_fma_f64 v[6:7], v[16:17], v[32:33], -v[6:7]
	v_add_f64 v[4:5], v[4:5], v[6:7]
	s_waitcnt lgkmcnt(0)
	v_mul_f64 v[46:47], v[36:37], v[42:43]
	v_fmac_f64_e32 v[46:47], v[38:39], v[40:41]
	v_add_f64 v[52:53], v[44:45], v[46:47]
	ds_read_b128 v[44:47], v2 offset:800
	v_mul_f64 v[6:7], v[38:39], v[42:43]
	v_fma_f64 v[6:7], v[36:37], v[40:41], -v[6:7]
	v_add_f64 v[4:5], v[4:5], v[6:7]
	s_waitcnt lgkmcnt(0)
	v_mul_f64 v[54:55], v[44:45], v[50:51]
	v_fmac_f64_e32 v[54:55], v[46:47], v[48:49]
	v_add_f64 v[60:61], v[52:53], v[54:55]
	ds_read_b128 v[52:55], v2 offset:816
	v_mul_f64 v[6:7], v[46:47], v[50:51]
	v_fma_f64 v[6:7], v[44:45], v[48:49], -v[6:7]
	v_add_f64 v[4:5], v[4:5], v[6:7]
	s_waitcnt lgkmcnt(0)
	v_mul_f64 v[6:7], v[54:55], v[58:59]
	v_fma_f64 v[6:7], v[52:53], v[56:57], -v[6:7]
	v_add_f64 v[8:9], v[4:5], v[6:7]
	scratch_load_dwordx4 v[4:7], off, off offset:288
	v_mul_f64 v[62:63], v[52:53], v[58:59]
	v_fmac_f64_e32 v[62:63], v[54:55], v[56:57]
	v_add_f64 v[60:61], v[60:61], v[62:63]
	s_waitcnt vmcnt(0)
	v_add_f64 v[4:5], v[4:5], -v[8:9]
	v_add_f64 v[6:7], v[6:7], -v[60:61]
	scratch_store_dwordx4 off, v[4:7], off offset:288
	s_and_saveexec_b64 s[2:3], vcc
	s_cbranch_execz .LBB25_135
; %bb.134:
	scratch_load_dwordx4 v[6:9], off, s29
	v_mov_b32_e32 v3, v2
	v_mov_b32_e32 v4, v2
	;; [unrolled: 1-line block ×3, first 2 shown]
	scratch_store_dwordx4 off, v[2:5], off offset:272
	s_waitcnt vmcnt(1)
	ds_write_b128 v202, v[6:9]
.LBB25_135:
	s_or_b64 exec, exec, s[2:3]
	s_waitcnt lgkmcnt(0)
	; wave barrier
	ds_read_b128 v[4:7], v2 offset:704
	ds_read_b128 v[8:11], v2 offset:720
	;; [unrolled: 1-line block ×4, first 2 shown]
	scratch_load_dwordx4 v[20:23], off, off offset:288
	scratch_load_dwordx4 v[40:43], off, off offset:352
	v_cmp_lt_u32_e32 vcc, 16, v1
	scratch_load_dwordx4 v[48:51], off, off offset:368
	scratch_load_dwordx4 v[56:59], off, off offset:384
	;; [unrolled: 1-line block ×3, first 2 shown]
	s_waitcnt vmcnt(4) lgkmcnt(3)
	v_mul_f64 v[24:25], v[4:5], v[22:23]
	v_fmac_f64_e32 v[24:25], v[6:7], v[20:21]
	v_add_f64 v[28:29], v[24:25], 0
	scratch_load_dwordx4 v[24:27], off, off offset:304
	s_waitcnt vmcnt(0) lgkmcnt(2)
	v_mul_f64 v[30:31], v[8:9], v[26:27]
	v_fmac_f64_e32 v[30:31], v[10:11], v[24:25]
	v_add_f64 v[32:33], v[28:29], v[30:31]
	scratch_load_dwordx4 v[28:31], off, off offset:320
	;; [unrolled: 5-line block ×3, first 2 shown]
	s_waitcnt vmcnt(0) lgkmcnt(0)
	v_mul_f64 v[38:39], v[16:17], v[34:35]
	v_fmac_f64_e32 v[38:39], v[18:19], v[32:33]
	v_add_f64 v[44:45], v[36:37], v[38:39]
	ds_read_b128 v[36:39], v2 offset:768
	s_waitcnt lgkmcnt(0)
	v_mul_f64 v[46:47], v[36:37], v[42:43]
	v_fmac_f64_e32 v[46:47], v[38:39], v[40:41]
	v_add_f64 v[52:53], v[44:45], v[46:47]
	ds_read_b128 v[44:47], v2 offset:784
	s_waitcnt lgkmcnt(0)
	;; [unrolled: 5-line block ×4, first 2 shown]
	v_mul_f64 v[2:3], v[60:61], v[66:67]
	v_fmac_f64_e32 v[2:3], v[62:63], v[64:65]
	v_add_f64 v[68:69], v[68:69], v[2:3]
	v_mul_f64 v[2:3], v[6:7], v[22:23]
	v_fma_f64 v[2:3], v[4:5], v[20:21], -v[2:3]
	v_mul_f64 v[4:5], v[10:11], v[26:27]
	v_add_f64 v[2:3], v[2:3], 0
	v_fma_f64 v[4:5], v[8:9], v[24:25], -v[4:5]
	v_add_f64 v[2:3], v[2:3], v[4:5]
	v_mul_f64 v[4:5], v[14:15], v[30:31]
	v_fma_f64 v[4:5], v[12:13], v[28:29], -v[4:5]
	v_add_f64 v[2:3], v[2:3], v[4:5]
	v_mul_f64 v[4:5], v[18:19], v[34:35]
	;; [unrolled: 3-line block ×6, first 2 shown]
	v_fma_f64 v[4:5], v[60:61], v[64:65], -v[4:5]
	v_add_f64 v[6:7], v[2:3], v[4:5]
	scratch_load_dwordx4 v[2:5], off, off offset:272
	s_waitcnt vmcnt(0)
	v_add_f64 v[2:3], v[2:3], -v[6:7]
	v_add_f64 v[4:5], v[4:5], -v[68:69]
	scratch_store_dwordx4 off, v[2:5], off offset:272
	s_and_saveexec_b64 s[2:3], vcc
	s_cbranch_execz .LBB25_137
; %bb.136:
	scratch_load_dwordx4 v[2:5], off, s26
	v_mov_b32_e32 v6, 0
	v_mov_b32_e32 v7, v6
	;; [unrolled: 1-line block ×4, first 2 shown]
	scratch_store_dwordx4 off, v[6:9], off offset:256
	s_waitcnt vmcnt(1)
	ds_write_b128 v202, v[2:5]
.LBB25_137:
	s_or_b64 exec, exec, s[2:3]
	s_waitcnt lgkmcnt(0)
	; wave barrier
	scratch_load_dwordx4 v[4:7], off, off offset:272
	scratch_load_dwordx4 v[8:11], off, off offset:288
	scratch_load_dwordx4 v[12:15], off, off offset:304
	scratch_load_dwordx4 v[16:19], off, off offset:320
	scratch_load_dwordx4 v[20:23], off, off offset:336
	scratch_load_dwordx4 v[24:27], off, off offset:352
	scratch_load_dwordx4 v[28:31], off, off offset:368
	scratch_load_dwordx4 v[32:35], off, off offset:384
	scratch_load_dwordx4 v[36:39], off, off offset:400
	scratch_load_dwordx4 v[40:43], off, off offset:256
	v_mov_b32_e32 v2, 0
	ds_read_b128 v[44:47], v2 offset:688
	ds_read_b128 v[48:51], v2 offset:704
	;; [unrolled: 1-line block ×9, first 2 shown]
	v_cmp_lt_u32_e32 vcc, 15, v1
	s_waitcnt vmcnt(9) lgkmcnt(8)
	v_mul_f64 v[80:81], v[44:45], v[6:7]
	v_mul_f64 v[6:7], v[46:47], v[6:7]
	s_waitcnt vmcnt(8) lgkmcnt(7)
	v_mul_f64 v[82:83], v[48:49], v[10:11]
	s_waitcnt vmcnt(7) lgkmcnt(6)
	;; [unrolled: 2-line block ×3, first 2 shown]
	v_mul_f64 v[88:89], v[60:61], v[22:23]
	v_mul_f64 v[10:11], v[50:51], v[10:11]
	;; [unrolled: 1-line block ×4, first 2 shown]
	v_fmac_f64_e32 v[80:81], v[46:47], v[4:5]
	v_fma_f64 v[4:5], v[44:45], v[4:5], -v[6:7]
	v_fmac_f64_e32 v[82:83], v[50:51], v[8:9]
	v_fmac_f64_e32 v[84:85], v[54:55], v[12:13]
	v_fma_f64 v[6:7], v[48:49], v[8:9], -v[10:11]
	v_fma_f64 v[8:9], v[52:53], v[12:13], -v[14:15]
	;; [unrolled: 1-line block ×3, first 2 shown]
	v_add_f64 v[22:23], v[80:81], 0
	v_add_f64 v[4:5], v[4:5], 0
	v_mul_f64 v[86:87], v[56:57], v[18:19]
	v_mul_f64 v[18:19], v[58:59], v[18:19]
	v_add_f64 v[22:23], v[22:23], v[82:83]
	v_add_f64 v[4:5], v[4:5], v[6:7]
	v_fmac_f64_e32 v[86:87], v[58:59], v[16:17]
	v_fma_f64 v[10:11], v[56:57], v[16:17], -v[18:19]
	v_add_f64 v[6:7], v[22:23], v[84:85]
	v_add_f64 v[4:5], v[4:5], v[8:9]
	s_waitcnt vmcnt(4) lgkmcnt(3)
	v_mul_f64 v[90:91], v[64:65], v[26:27]
	v_mul_f64 v[26:27], v[66:67], v[26:27]
	v_fmac_f64_e32 v[88:89], v[62:63], v[20:21]
	v_add_f64 v[6:7], v[6:7], v[86:87]
	v_add_f64 v[4:5], v[4:5], v[10:11]
	s_waitcnt vmcnt(3) lgkmcnt(2)
	v_mul_f64 v[92:93], v[68:69], v[30:31]
	v_mul_f64 v[30:31], v[70:71], v[30:31]
	v_fmac_f64_e32 v[90:91], v[66:67], v[24:25]
	v_fma_f64 v[14:15], v[64:65], v[24:25], -v[26:27]
	v_add_f64 v[6:7], v[6:7], v[88:89]
	v_add_f64 v[4:5], v[4:5], v[12:13]
	s_waitcnt vmcnt(2) lgkmcnt(1)
	v_mul_f64 v[94:95], v[72:73], v[34:35]
	v_mul_f64 v[34:35], v[74:75], v[34:35]
	v_fmac_f64_e32 v[92:93], v[70:71], v[28:29]
	v_fma_f64 v[16:17], v[68:69], v[28:29], -v[30:31]
	v_add_f64 v[6:7], v[6:7], v[90:91]
	v_add_f64 v[4:5], v[4:5], v[14:15]
	s_waitcnt vmcnt(1) lgkmcnt(0)
	v_mul_f64 v[96:97], v[76:77], v[38:39]
	v_mul_f64 v[38:39], v[78:79], v[38:39]
	v_fmac_f64_e32 v[94:95], v[74:75], v[32:33]
	v_fma_f64 v[18:19], v[72:73], v[32:33], -v[34:35]
	v_add_f64 v[6:7], v[6:7], v[92:93]
	v_add_f64 v[4:5], v[4:5], v[16:17]
	v_fmac_f64_e32 v[96:97], v[78:79], v[36:37]
	v_fma_f64 v[20:21], v[76:77], v[36:37], -v[38:39]
	v_add_f64 v[6:7], v[6:7], v[94:95]
	v_add_f64 v[4:5], v[4:5], v[18:19]
	;; [unrolled: 1-line block ×4, first 2 shown]
	s_waitcnt vmcnt(0)
	v_add_f64 v[4:5], v[40:41], -v[4:5]
	v_add_f64 v[6:7], v[42:43], -v[6:7]
	scratch_store_dwordx4 off, v[4:7], off offset:256
	s_and_saveexec_b64 s[2:3], vcc
	s_cbranch_execz .LBB25_139
; %bb.138:
	scratch_load_dwordx4 v[6:9], off, s40
	v_mov_b32_e32 v3, v2
	v_mov_b32_e32 v4, v2
	;; [unrolled: 1-line block ×3, first 2 shown]
	scratch_store_dwordx4 off, v[2:5], off offset:240
	s_waitcnt vmcnt(1)
	ds_write_b128 v202, v[6:9]
.LBB25_139:
	s_or_b64 exec, exec, s[2:3]
	s_waitcnt lgkmcnt(0)
	; wave barrier
	scratch_load_dwordx4 v[4:7], off, off offset:256
	scratch_load_dwordx4 v[8:11], off, off offset:272
	;; [unrolled: 1-line block ×11, first 2 shown]
	ds_read_b128 v[48:51], v2 offset:672
	ds_read_b128 v[52:55], v2 offset:688
	;; [unrolled: 1-line block ×10, first 2 shown]
	v_cmp_lt_u32_e32 vcc, 14, v1
	s_waitcnt vmcnt(10) lgkmcnt(9)
	v_mul_f64 v[2:3], v[48:49], v[6:7]
	v_mul_f64 v[6:7], v[50:51], v[6:7]
	s_waitcnt vmcnt(9) lgkmcnt(8)
	v_mul_f64 v[88:89], v[52:53], v[10:11]
	v_mul_f64 v[10:11], v[54:55], v[10:11]
	v_fmac_f64_e32 v[2:3], v[50:51], v[4:5]
	v_fma_f64 v[4:5], v[48:49], v[4:5], -v[6:7]
	s_waitcnt vmcnt(8) lgkmcnt(7)
	v_mul_f64 v[90:91], v[56:57], v[14:15]
	v_mul_f64 v[14:15], v[58:59], v[14:15]
	v_fmac_f64_e32 v[88:89], v[54:55], v[8:9]
	v_fma_f64 v[6:7], v[52:53], v[8:9], -v[10:11]
	v_add_f64 v[2:3], v[2:3], 0
	v_add_f64 v[4:5], v[4:5], 0
	s_waitcnt vmcnt(7) lgkmcnt(6)
	v_mul_f64 v[92:93], v[60:61], v[18:19]
	v_mul_f64 v[18:19], v[62:63], v[18:19]
	v_fmac_f64_e32 v[90:91], v[58:59], v[12:13]
	v_fma_f64 v[8:9], v[56:57], v[12:13], -v[14:15]
	v_add_f64 v[2:3], v[2:3], v[88:89]
	v_add_f64 v[4:5], v[4:5], v[6:7]
	;; [unrolled: 7-line block ×8, first 2 shown]
	v_fmac_f64_e32 v[104:105], v[86:87], v[40:41]
	v_fma_f64 v[22:23], v[84:85], v[40:41], -v[42:43]
	v_add_f64 v[2:3], v[2:3], v[102:103]
	v_add_f64 v[4:5], v[4:5], v[20:21]
	;; [unrolled: 1-line block ×4, first 2 shown]
	s_waitcnt vmcnt(0)
	v_add_f64 v[2:3], v[44:45], -v[2:3]
	v_add_f64 v[4:5], v[46:47], -v[6:7]
	scratch_store_dwordx4 off, v[2:5], off offset:240
	s_and_saveexec_b64 s[2:3], vcc
	s_cbranch_execz .LBB25_141
; %bb.140:
	scratch_load_dwordx4 v[2:5], off, s43
	v_mov_b32_e32 v6, 0
	v_mov_b32_e32 v7, v6
	;; [unrolled: 1-line block ×4, first 2 shown]
	scratch_store_dwordx4 off, v[6:9], off offset:224
	s_waitcnt vmcnt(1)
	ds_write_b128 v202, v[2:5]
.LBB25_141:
	s_or_b64 exec, exec, s[2:3]
	v_mov_b32_e32 v2, 0
	s_waitcnt lgkmcnt(0)
	; wave barrier
	ds_read_b128 v[4:7], v2 offset:656
	ds_read_b128 v[8:11], v2 offset:672
	;; [unrolled: 1-line block ×4, first 2 shown]
	scratch_load_dwordx4 v[20:23], off, off offset:240
	scratch_load_dwordx4 v[40:43], off, off offset:304
	;; [unrolled: 1-line block ×5, first 2 shown]
	v_cmp_lt_u32_e32 vcc, 13, v1
	scratch_load_dwordx4 v[48:51], off, off offset:320
	scratch_load_dwordx4 v[56:59], off, off offset:336
	;; [unrolled: 1-line block ×3, first 2 shown]
	s_waitcnt vmcnt(7) lgkmcnt(3)
	v_mul_f64 v[24:25], v[4:5], v[22:23]
	v_fmac_f64_e32 v[24:25], v[6:7], v[20:21]
	v_add_f64 v[28:29], v[24:25], 0
	scratch_load_dwordx4 v[24:27], off, off offset:256
	v_mul_f64 v[6:7], v[6:7], v[22:23]
	v_fma_f64 v[4:5], v[4:5], v[20:21], -v[6:7]
	v_add_f64 v[4:5], v[4:5], 0
	s_waitcnt vmcnt(0) lgkmcnt(2)
	v_mul_f64 v[30:31], v[8:9], v[26:27]
	v_fmac_f64_e32 v[30:31], v[10:11], v[24:25]
	v_add_f64 v[32:33], v[28:29], v[30:31]
	scratch_load_dwordx4 v[28:31], off, off offset:272
	v_mul_f64 v[6:7], v[10:11], v[26:27]
	v_fma_f64 v[6:7], v[8:9], v[24:25], -v[6:7]
	v_add_f64 v[4:5], v[4:5], v[6:7]
	;; [unrolled: 8-line block ×3, first 2 shown]
	s_waitcnt vmcnt(0) lgkmcnt(0)
	v_mul_f64 v[38:39], v[16:17], v[34:35]
	v_fmac_f64_e32 v[38:39], v[18:19], v[32:33]
	v_add_f64 v[44:45], v[36:37], v[38:39]
	ds_read_b128 v[36:39], v2 offset:720
	v_mul_f64 v[6:7], v[18:19], v[34:35]
	v_fma_f64 v[6:7], v[16:17], v[32:33], -v[6:7]
	v_add_f64 v[4:5], v[4:5], v[6:7]
	s_waitcnt lgkmcnt(0)
	v_mul_f64 v[46:47], v[36:37], v[42:43]
	v_fmac_f64_e32 v[46:47], v[38:39], v[40:41]
	v_add_f64 v[52:53], v[44:45], v[46:47]
	ds_read_b128 v[44:47], v2 offset:736
	v_mul_f64 v[6:7], v[38:39], v[42:43]
	v_fma_f64 v[6:7], v[36:37], v[40:41], -v[6:7]
	v_add_f64 v[4:5], v[4:5], v[6:7]
	s_waitcnt lgkmcnt(0)
	;; [unrolled: 8-line block ×7, first 2 shown]
	v_mul_f64 v[6:7], v[86:87], v[90:91]
	v_fma_f64 v[6:7], v[84:85], v[88:89], -v[6:7]
	v_add_f64 v[8:9], v[4:5], v[6:7]
	scratch_load_dwordx4 v[4:7], off, off offset:224
	v_mul_f64 v[94:95], v[84:85], v[90:91]
	v_fmac_f64_e32 v[94:95], v[86:87], v[88:89]
	v_add_f64 v[92:93], v[92:93], v[94:95]
	s_waitcnt vmcnt(0)
	v_add_f64 v[4:5], v[4:5], -v[8:9]
	v_add_f64 v[6:7], v[6:7], -v[92:93]
	scratch_store_dwordx4 off, v[4:7], off offset:224
	s_and_saveexec_b64 s[2:3], vcc
	s_cbranch_execz .LBB25_143
; %bb.142:
	scratch_load_dwordx4 v[6:9], off, s42
	v_mov_b32_e32 v3, v2
	v_mov_b32_e32 v4, v2
	;; [unrolled: 1-line block ×3, first 2 shown]
	scratch_store_dwordx4 off, v[2:5], off offset:208
	s_waitcnt vmcnt(1)
	ds_write_b128 v202, v[6:9]
.LBB25_143:
	s_or_b64 exec, exec, s[2:3]
	s_waitcnt lgkmcnt(0)
	; wave barrier
	ds_read_b128 v[4:7], v2 offset:640
	ds_read_b128 v[8:11], v2 offset:656
	;; [unrolled: 1-line block ×4, first 2 shown]
	scratch_load_dwordx4 v[20:23], off, off offset:224
	scratch_load_dwordx4 v[40:43], off, off offset:288
	;; [unrolled: 1-line block ×6, first 2 shown]
	v_cmp_lt_u32_e32 vcc, 12, v1
	scratch_load_dwordx4 v[48:51], off, off offset:304
	scratch_load_dwordx4 v[56:59], off, off offset:320
	;; [unrolled: 1-line block ×3, first 2 shown]
	s_waitcnt vmcnt(8) lgkmcnt(3)
	v_mul_f64 v[24:25], v[4:5], v[22:23]
	v_fmac_f64_e32 v[24:25], v[6:7], v[20:21]
	v_add_f64 v[28:29], v[24:25], 0
	scratch_load_dwordx4 v[24:27], off, off offset:240
	s_waitcnt vmcnt(0) lgkmcnt(2)
	v_mul_f64 v[30:31], v[8:9], v[26:27]
	v_fmac_f64_e32 v[30:31], v[10:11], v[24:25]
	v_add_f64 v[32:33], v[28:29], v[30:31]
	scratch_load_dwordx4 v[28:31], off, off offset:256
	;; [unrolled: 5-line block ×3, first 2 shown]
	s_waitcnt vmcnt(0) lgkmcnt(0)
	v_mul_f64 v[38:39], v[16:17], v[34:35]
	v_fmac_f64_e32 v[38:39], v[18:19], v[32:33]
	v_add_f64 v[44:45], v[36:37], v[38:39]
	ds_read_b128 v[36:39], v2 offset:704
	s_waitcnt lgkmcnt(0)
	v_mul_f64 v[46:47], v[36:37], v[42:43]
	v_fmac_f64_e32 v[46:47], v[38:39], v[40:41]
	v_add_f64 v[52:53], v[44:45], v[46:47]
	ds_read_b128 v[44:47], v2 offset:720
	s_waitcnt lgkmcnt(0)
	;; [unrolled: 5-line block ×8, first 2 shown]
	v_mul_f64 v[2:3], v[92:93], v[98:99]
	v_fmac_f64_e32 v[2:3], v[94:95], v[96:97]
	v_add_f64 v[100:101], v[100:101], v[2:3]
	v_mul_f64 v[2:3], v[6:7], v[22:23]
	v_fma_f64 v[2:3], v[4:5], v[20:21], -v[2:3]
	v_mul_f64 v[4:5], v[10:11], v[26:27]
	v_add_f64 v[2:3], v[2:3], 0
	v_fma_f64 v[4:5], v[8:9], v[24:25], -v[4:5]
	v_add_f64 v[2:3], v[2:3], v[4:5]
	v_mul_f64 v[4:5], v[14:15], v[30:31]
	v_fma_f64 v[4:5], v[12:13], v[28:29], -v[4:5]
	v_add_f64 v[2:3], v[2:3], v[4:5]
	v_mul_f64 v[4:5], v[18:19], v[34:35]
	v_fma_f64 v[4:5], v[16:17], v[32:33], -v[4:5]
	v_add_f64 v[2:3], v[2:3], v[4:5]
	v_mul_f64 v[4:5], v[38:39], v[42:43]
	v_fma_f64 v[4:5], v[36:37], v[40:41], -v[4:5]
	v_add_f64 v[2:3], v[2:3], v[4:5]
	v_mul_f64 v[4:5], v[46:47], v[50:51]
	v_fma_f64 v[4:5], v[44:45], v[48:49], -v[4:5]
	v_add_f64 v[2:3], v[2:3], v[4:5]
	v_mul_f64 v[4:5], v[54:55], v[58:59]
	v_fma_f64 v[4:5], v[52:53], v[56:57], -v[4:5]
	v_add_f64 v[2:3], v[2:3], v[4:5]
	v_mul_f64 v[4:5], v[62:63], v[66:67]
	v_fma_f64 v[4:5], v[60:61], v[64:65], -v[4:5]
	v_add_f64 v[2:3], v[2:3], v[4:5]
	v_mul_f64 v[4:5], v[70:71], v[74:75]
	v_fma_f64 v[4:5], v[68:69], v[72:73], -v[4:5]
	v_add_f64 v[2:3], v[2:3], v[4:5]
	v_mul_f64 v[4:5], v[78:79], v[82:83]
	v_fma_f64 v[4:5], v[76:77], v[80:81], -v[4:5]
	v_add_f64 v[2:3], v[2:3], v[4:5]
	v_mul_f64 v[4:5], v[86:87], v[90:91]
	v_fma_f64 v[4:5], v[84:85], v[88:89], -v[4:5]
	v_add_f64 v[2:3], v[2:3], v[4:5]
	v_mul_f64 v[4:5], v[94:95], v[98:99]
	v_fma_f64 v[4:5], v[92:93], v[96:97], -v[4:5]
	v_add_f64 v[6:7], v[2:3], v[4:5]
	scratch_load_dwordx4 v[2:5], off, off offset:208
	s_waitcnt vmcnt(0)
	v_add_f64 v[2:3], v[2:3], -v[6:7]
	v_add_f64 v[4:5], v[4:5], -v[100:101]
	scratch_store_dwordx4 off, v[2:5], off offset:208
	s_and_saveexec_b64 s[2:3], vcc
	s_cbranch_execz .LBB25_145
; %bb.144:
	scratch_load_dwordx4 v[2:5], off, s41
	v_mov_b32_e32 v6, 0
	v_mov_b32_e32 v7, v6
	;; [unrolled: 1-line block ×4, first 2 shown]
	scratch_store_dwordx4 off, v[6:9], off offset:192
	s_waitcnt vmcnt(1)
	ds_write_b128 v202, v[2:5]
.LBB25_145:
	s_or_b64 exec, exec, s[2:3]
	v_mov_b32_e32 v2, 0
	s_waitcnt lgkmcnt(0)
	; wave barrier
	ds_read_b128 v[4:7], v2 offset:624
	ds_read_b128 v[8:11], v2 offset:640
	;; [unrolled: 1-line block ×4, first 2 shown]
	scratch_load_dwordx4 v[20:23], off, off offset:208
	scratch_load_dwordx4 v[40:43], off, off offset:272
	;; [unrolled: 1-line block ×7, first 2 shown]
	v_cmp_lt_u32_e32 vcc, 11, v1
	scratch_load_dwordx4 v[48:51], off, off offset:288
	scratch_load_dwordx4 v[56:59], off, off offset:304
	;; [unrolled: 1-line block ×3, first 2 shown]
	s_waitcnt vmcnt(9) lgkmcnt(3)
	v_mul_f64 v[24:25], v[4:5], v[22:23]
	v_fmac_f64_e32 v[24:25], v[6:7], v[20:21]
	v_add_f64 v[28:29], v[24:25], 0
	scratch_load_dwordx4 v[24:27], off, off offset:224
	v_mul_f64 v[6:7], v[6:7], v[22:23]
	v_fma_f64 v[4:5], v[4:5], v[20:21], -v[6:7]
	v_add_f64 v[4:5], v[4:5], 0
	s_waitcnt vmcnt(0) lgkmcnt(2)
	v_mul_f64 v[30:31], v[8:9], v[26:27]
	v_fmac_f64_e32 v[30:31], v[10:11], v[24:25]
	v_add_f64 v[32:33], v[28:29], v[30:31]
	scratch_load_dwordx4 v[28:31], off, off offset:240
	v_mul_f64 v[6:7], v[10:11], v[26:27]
	v_fma_f64 v[6:7], v[8:9], v[24:25], -v[6:7]
	v_add_f64 v[4:5], v[4:5], v[6:7]
	;; [unrolled: 8-line block ×3, first 2 shown]
	s_waitcnt vmcnt(0) lgkmcnt(0)
	v_mul_f64 v[38:39], v[16:17], v[34:35]
	v_fmac_f64_e32 v[38:39], v[18:19], v[32:33]
	v_add_f64 v[44:45], v[36:37], v[38:39]
	ds_read_b128 v[36:39], v2 offset:688
	v_mul_f64 v[6:7], v[18:19], v[34:35]
	v_fma_f64 v[6:7], v[16:17], v[32:33], -v[6:7]
	v_add_f64 v[4:5], v[4:5], v[6:7]
	s_waitcnt lgkmcnt(0)
	v_mul_f64 v[46:47], v[36:37], v[42:43]
	v_fmac_f64_e32 v[46:47], v[38:39], v[40:41]
	v_add_f64 v[52:53], v[44:45], v[46:47]
	ds_read_b128 v[44:47], v2 offset:704
	v_mul_f64 v[6:7], v[38:39], v[42:43]
	v_fma_f64 v[6:7], v[36:37], v[40:41], -v[6:7]
	v_add_f64 v[4:5], v[4:5], v[6:7]
	s_waitcnt lgkmcnt(0)
	v_mul_f64 v[54:55], v[44:45], v[50:51]
	v_fmac_f64_e32 v[54:55], v[46:47], v[48:49]
	v_add_f64 v[60:61], v[52:53], v[54:55]
	ds_read_b128 v[52:55], v2 offset:720
	v_mul_f64 v[6:7], v[46:47], v[50:51]
	v_fma_f64 v[6:7], v[44:45], v[48:49], -v[6:7]
	v_add_f64 v[4:5], v[4:5], v[6:7]
	s_waitcnt lgkmcnt(0)
	v_mul_f64 v[62:63], v[52:53], v[58:59]
	v_fmac_f64_e32 v[62:63], v[54:55], v[56:57]
	v_add_f64 v[68:69], v[60:61], v[62:63]
	ds_read_b128 v[60:63], v2 offset:736
	v_mul_f64 v[6:7], v[54:55], v[58:59]
	v_fma_f64 v[6:7], v[52:53], v[56:57], -v[6:7]
	v_add_f64 v[4:5], v[4:5], v[6:7]
	s_waitcnt lgkmcnt(0)
	v_mul_f64 v[70:71], v[60:61], v[66:67]
	v_fmac_f64_e32 v[70:71], v[62:63], v[64:65]
	v_add_f64 v[76:77], v[68:69], v[70:71]
	ds_read_b128 v[68:71], v2 offset:752
	v_mul_f64 v[6:7], v[62:63], v[66:67]
	v_fma_f64 v[6:7], v[60:61], v[64:65], -v[6:7]
	v_add_f64 v[4:5], v[4:5], v[6:7]
	s_waitcnt lgkmcnt(0)
	v_mul_f64 v[78:79], v[68:69], v[74:75]
	v_fmac_f64_e32 v[78:79], v[70:71], v[72:73]
	v_add_f64 v[84:85], v[76:77], v[78:79]
	ds_read_b128 v[76:79], v2 offset:768
	v_mul_f64 v[6:7], v[70:71], v[74:75]
	v_fma_f64 v[6:7], v[68:69], v[72:73], -v[6:7]
	v_add_f64 v[4:5], v[4:5], v[6:7]
	s_waitcnt lgkmcnt(0)
	v_mul_f64 v[86:87], v[76:77], v[82:83]
	v_fmac_f64_e32 v[86:87], v[78:79], v[80:81]
	v_add_f64 v[92:93], v[84:85], v[86:87]
	ds_read_b128 v[84:87], v2 offset:784
	v_mul_f64 v[6:7], v[78:79], v[82:83]
	v_fma_f64 v[6:7], v[76:77], v[80:81], -v[6:7]
	v_add_f64 v[4:5], v[4:5], v[6:7]
	s_waitcnt lgkmcnt(0)
	v_mul_f64 v[94:95], v[84:85], v[90:91]
	v_fmac_f64_e32 v[94:95], v[86:87], v[88:89]
	v_add_f64 v[100:101], v[92:93], v[94:95]
	ds_read_b128 v[92:95], v2 offset:800
	v_mul_f64 v[6:7], v[86:87], v[90:91]
	v_fma_f64 v[6:7], v[84:85], v[88:89], -v[6:7]
	v_add_f64 v[4:5], v[4:5], v[6:7]
	s_waitcnt lgkmcnt(0)
	v_mul_f64 v[102:103], v[92:93], v[98:99]
	v_fmac_f64_e32 v[102:103], v[94:95], v[96:97]
	v_add_f64 v[108:109], v[100:101], v[102:103]
	ds_read_b128 v[100:103], v2 offset:816
	v_mul_f64 v[6:7], v[94:95], v[98:99]
	v_fma_f64 v[6:7], v[92:93], v[96:97], -v[6:7]
	v_add_f64 v[4:5], v[4:5], v[6:7]
	s_waitcnt lgkmcnt(0)
	v_mul_f64 v[6:7], v[102:103], v[106:107]
	v_fma_f64 v[6:7], v[100:101], v[104:105], -v[6:7]
	v_add_f64 v[8:9], v[4:5], v[6:7]
	scratch_load_dwordx4 v[4:7], off, off offset:192
	v_mul_f64 v[110:111], v[100:101], v[106:107]
	v_fmac_f64_e32 v[110:111], v[102:103], v[104:105]
	v_add_f64 v[108:109], v[108:109], v[110:111]
	s_waitcnt vmcnt(0)
	v_add_f64 v[4:5], v[4:5], -v[8:9]
	v_add_f64 v[6:7], v[6:7], -v[108:109]
	scratch_store_dwordx4 off, v[4:7], off offset:192
	s_and_saveexec_b64 s[2:3], vcc
	s_cbranch_execz .LBB25_147
; %bb.146:
	scratch_load_dwordx4 v[6:9], off, s38
	v_mov_b32_e32 v3, v2
	v_mov_b32_e32 v4, v2
	;; [unrolled: 1-line block ×3, first 2 shown]
	scratch_store_dwordx4 off, v[2:5], off offset:176
	s_waitcnt vmcnt(1)
	ds_write_b128 v202, v[6:9]
.LBB25_147:
	s_or_b64 exec, exec, s[2:3]
	s_waitcnt lgkmcnt(0)
	; wave barrier
	scratch_load_dwordx4 v[4:7], off, off offset:192
	scratch_load_dwordx4 v[8:11], off, off offset:208
	;; [unrolled: 1-line block ×14, first 2 shown]
	ds_read_b128 v[60:63], v2 offset:608
	ds_read_b128 v[64:67], v2 offset:624
	ds_read_b128 v[68:71], v2 offset:640
	ds_read_b128 v[72:75], v2 offset:656
	ds_read_b128 v[76:79], v2 offset:672
	ds_read_b128 v[80:83], v2 offset:688
	ds_read_b128 v[84:87], v2 offset:704
	ds_read_b128 v[88:91], v2 offset:720
	ds_read_b128 v[92:95], v2 offset:736
	ds_read_b128 v[96:99], v2 offset:752
	ds_read_b128 v[100:103], v2 offset:768
	ds_read_b128 v[104:107], v2 offset:784
	ds_read_b128 v[108:111], v2 offset:800
	ds_read_b128 v[112:115], v2 offset:816
	scratch_load_dwordx4 v[116:119], off, off offset:176
	v_cmp_lt_u32_e32 vcc, 10, v1
	s_waitcnt vmcnt(14) lgkmcnt(13)
	v_mul_f64 v[2:3], v[60:61], v[6:7]
	s_waitcnt vmcnt(13) lgkmcnt(12)
	v_mul_f64 v[120:121], v[64:65], v[10:11]
	v_fmac_f64_e32 v[2:3], v[62:63], v[4:5]
	s_waitcnt vmcnt(12) lgkmcnt(11)
	v_mul_f64 v[122:123], v[68:69], v[14:15]
	v_fmac_f64_e32 v[120:121], v[66:67], v[8:9]
	v_add_f64 v[2:3], v[2:3], 0
	s_waitcnt vmcnt(11) lgkmcnt(10)
	v_mul_f64 v[124:125], v[72:73], v[18:19]
	v_fmac_f64_e32 v[122:123], v[70:71], v[12:13]
	v_add_f64 v[2:3], v[2:3], v[120:121]
	;; [unrolled: 4-line block ×4, first 2 shown]
	s_waitcnt vmcnt(8) lgkmcnt(7)
	v_mul_f64 v[130:131], v[84:85], v[30:31]
	v_mul_f64 v[6:7], v[62:63], v[6:7]
	v_fmac_f64_e32 v[128:129], v[82:83], v[24:25]
	v_add_f64 v[2:3], v[2:3], v[126:127]
	s_waitcnt vmcnt(7) lgkmcnt(6)
	v_mul_f64 v[132:133], v[88:89], v[34:35]
	v_mul_f64 v[10:11], v[66:67], v[10:11]
	v_fmac_f64_e32 v[130:131], v[86:87], v[28:29]
	v_fma_f64 v[4:5], v[60:61], v[4:5], -v[6:7]
	v_add_f64 v[2:3], v[2:3], v[128:129]
	s_waitcnt vmcnt(6) lgkmcnt(5)
	v_mul_f64 v[134:135], v[92:93], v[38:39]
	v_mul_f64 v[14:15], v[70:71], v[14:15]
	v_fmac_f64_e32 v[132:133], v[90:91], v[32:33]
	v_fma_f64 v[6:7], v[64:65], v[8:9], -v[10:11]
	v_add_f64 v[4:5], v[4:5], 0
	v_add_f64 v[2:3], v[2:3], v[130:131]
	s_waitcnt vmcnt(5) lgkmcnt(4)
	v_mul_f64 v[136:137], v[96:97], v[42:43]
	v_mul_f64 v[18:19], v[74:75], v[18:19]
	v_fmac_f64_e32 v[134:135], v[94:95], v[36:37]
	v_fma_f64 v[8:9], v[68:69], v[12:13], -v[14:15]
	v_add_f64 v[4:5], v[4:5], v[6:7]
	;; [unrolled: 7-line block ×6, first 2 shown]
	v_add_f64 v[2:3], v[2:3], v[140:141]
	v_fmac_f64_e32 v[144:145], v[114:115], v[56:57]
	v_fma_f64 v[18:19], v[88:89], v[32:33], -v[34:35]
	v_add_f64 v[4:5], v[4:5], v[16:17]
	v_add_f64 v[2:3], v[2:3], v[142:143]
	;; [unrolled: 1-line block ×4, first 2 shown]
	v_mul_f64 v[4:5], v[94:95], v[38:39]
	v_fma_f64 v[4:5], v[92:93], v[36:37], -v[4:5]
	v_add_f64 v[2:3], v[2:3], v[4:5]
	v_mul_f64 v[4:5], v[98:99], v[42:43]
	v_fma_f64 v[4:5], v[96:97], v[40:41], -v[4:5]
	v_add_f64 v[2:3], v[2:3], v[4:5]
	;; [unrolled: 3-line block ×6, first 2 shown]
	s_waitcnt vmcnt(0)
	v_add_f64 v[2:3], v[116:117], -v[2:3]
	v_add_f64 v[4:5], v[118:119], -v[6:7]
	scratch_store_dwordx4 off, v[2:5], off offset:176
	s_and_saveexec_b64 s[2:3], vcc
	s_cbranch_execz .LBB25_149
; %bb.148:
	scratch_load_dwordx4 v[2:5], off, s27
	v_mov_b32_e32 v6, 0
	v_mov_b32_e32 v7, v6
	;; [unrolled: 1-line block ×4, first 2 shown]
	scratch_store_dwordx4 off, v[6:9], off offset:160
	s_waitcnt vmcnt(1)
	ds_write_b128 v202, v[2:5]
.LBB25_149:
	s_or_b64 exec, exec, s[2:3]
	s_waitcnt lgkmcnt(0)
	; wave barrier
	scratch_load_dwordx4 v[4:7], off, off offset:176
	scratch_load_dwordx4 v[8:11], off, off offset:192
	;; [unrolled: 1-line block ×16, first 2 shown]
	v_mov_b32_e32 v2, 0
	ds_read_b128 v[68:71], v2 offset:592
	ds_read_b128 v[72:75], v2 offset:608
	;; [unrolled: 1-line block ×15, first 2 shown]
	v_cmp_lt_u32_e32 vcc, 9, v1
	s_waitcnt vmcnt(15) lgkmcnt(14)
	v_mul_f64 v[128:129], v[68:69], v[6:7]
	v_mul_f64 v[6:7], v[70:71], v[6:7]
	s_waitcnt vmcnt(14) lgkmcnt(13)
	v_mul_f64 v[130:131], v[72:73], v[10:11]
	v_mul_f64 v[10:11], v[74:75], v[10:11]
	v_fmac_f64_e32 v[128:129], v[70:71], v[4:5]
	v_fma_f64 v[4:5], v[68:69], v[4:5], -v[6:7]
	s_waitcnt vmcnt(13) lgkmcnt(12)
	v_mul_f64 v[132:133], v[76:77], v[14:15]
	v_mul_f64 v[14:15], v[78:79], v[14:15]
	v_fma_f64 v[6:7], v[72:73], v[8:9], -v[10:11]
	v_add_f64 v[4:5], v[4:5], 0
	s_waitcnt vmcnt(12) lgkmcnt(11)
	v_mul_f64 v[134:135], v[80:81], v[18:19]
	v_mul_f64 v[18:19], v[82:83], v[18:19]
	v_fmac_f64_e32 v[130:131], v[74:75], v[8:9]
	v_fma_f64 v[8:9], v[76:77], v[12:13], -v[14:15]
	v_add_f64 v[4:5], v[4:5], v[6:7]
	s_waitcnt vmcnt(11) lgkmcnt(10)
	v_mul_f64 v[136:137], v[84:85], v[22:23]
	v_mul_f64 v[22:23], v[86:87], v[22:23]
	v_fma_f64 v[10:11], v[80:81], v[16:17], -v[18:19]
	v_add_f64 v[4:5], v[4:5], v[8:9]
	s_waitcnt vmcnt(10) lgkmcnt(9)
	v_mul_f64 v[138:139], v[88:89], v[26:27]
	v_mul_f64 v[26:27], v[90:91], v[26:27]
	v_fmac_f64_e32 v[132:133], v[78:79], v[12:13]
	v_fma_f64 v[12:13], v[84:85], v[20:21], -v[22:23]
	v_add_f64 v[4:5], v[4:5], v[10:11]
	v_fma_f64 v[14:15], v[88:89], v[24:25], -v[26:27]
	v_add_f64 v[4:5], v[4:5], v[12:13]
	s_waitcnt vmcnt(9) lgkmcnt(8)
	v_mul_f64 v[8:9], v[94:95], v[30:31]
	v_add_f64 v[4:5], v[4:5], v[14:15]
	v_fma_f64 v[8:9], v[92:93], v[28:29], -v[8:9]
	v_add_f64 v[4:5], v[4:5], v[8:9]
	s_waitcnt vmcnt(8) lgkmcnt(7)
	v_mul_f64 v[8:9], v[98:99], v[34:35]
	v_fma_f64 v[8:9], v[96:97], v[32:33], -v[8:9]
	v_fmac_f64_e32 v[134:135], v[82:83], v[16:17]
	v_add_f64 v[16:17], v[128:129], 0
	v_add_f64 v[4:5], v[4:5], v[8:9]
	s_waitcnt vmcnt(7) lgkmcnt(6)
	v_mul_f64 v[8:9], v[102:103], v[38:39]
	v_add_f64 v[16:17], v[16:17], v[130:131]
	v_fma_f64 v[8:9], v[100:101], v[36:37], -v[8:9]
	v_add_f64 v[6:7], v[16:17], v[132:133]
	v_add_f64 v[4:5], v[4:5], v[8:9]
	s_waitcnt vmcnt(6) lgkmcnt(5)
	v_mul_f64 v[8:9], v[106:107], v[42:43]
	v_fmac_f64_e32 v[136:137], v[86:87], v[20:21]
	v_add_f64 v[6:7], v[6:7], v[134:135]
	v_fma_f64 v[8:9], v[104:105], v[40:41], -v[8:9]
	v_mul_f64 v[140:141], v[92:93], v[30:31]
	v_fmac_f64_e32 v[138:139], v[90:91], v[24:25]
	v_add_f64 v[6:7], v[6:7], v[136:137]
	v_add_f64 v[4:5], v[4:5], v[8:9]
	s_waitcnt vmcnt(5) lgkmcnt(4)
	v_mul_f64 v[8:9], v[110:111], v[46:47]
	v_mul_f64 v[142:143], v[96:97], v[34:35]
	v_fmac_f64_e32 v[140:141], v[94:95], v[28:29]
	v_add_f64 v[6:7], v[6:7], v[138:139]
	v_fma_f64 v[8:9], v[108:109], v[44:45], -v[8:9]
	v_mul_f64 v[144:145], v[100:101], v[38:39]
	v_fmac_f64_e32 v[142:143], v[98:99], v[32:33]
	v_add_f64 v[6:7], v[6:7], v[140:141]
	v_add_f64 v[4:5], v[4:5], v[8:9]
	s_waitcnt vmcnt(4) lgkmcnt(3)
	v_mul_f64 v[8:9], v[114:115], v[50:51]
	;; [unrolled: 10-line block ×4, first 2 shown]
	v_mul_f64 v[206:207], v[120:121], v[58:59]
	v_fmac_f64_e32 v[204:205], v[118:119], v[52:53]
	v_add_f64 v[6:7], v[6:7], v[200:201]
	v_fma_f64 v[8:9], v[120:121], v[56:57], -v[8:9]
	s_waitcnt vmcnt(1) lgkmcnt(0)
	v_mul_f64 v[208:209], v[124:125], v[62:63]
	v_fmac_f64_e32 v[206:207], v[122:123], v[56:57]
	v_add_f64 v[6:7], v[6:7], v[204:205]
	v_add_f64 v[4:5], v[4:5], v[8:9]
	v_mul_f64 v[8:9], v[126:127], v[62:63]
	v_fmac_f64_e32 v[208:209], v[126:127], v[60:61]
	v_add_f64 v[6:7], v[6:7], v[206:207]
	v_fma_f64 v[8:9], v[124:125], v[60:61], -v[8:9]
	v_add_f64 v[6:7], v[6:7], v[208:209]
	v_add_f64 v[4:5], v[4:5], v[8:9]
	s_waitcnt vmcnt(0)
	v_add_f64 v[4:5], v[64:65], -v[4:5]
	v_add_f64 v[6:7], v[66:67], -v[6:7]
	scratch_store_dwordx4 off, v[4:7], off offset:160
	s_and_saveexec_b64 s[2:3], vcc
	s_cbranch_execz .LBB25_151
; %bb.150:
	scratch_load_dwordx4 v[6:9], off, s24
	v_mov_b32_e32 v3, v2
	v_mov_b32_e32 v4, v2
	;; [unrolled: 1-line block ×3, first 2 shown]
	scratch_store_dwordx4 off, v[2:5], off offset:144
	s_waitcnt vmcnt(1)
	ds_write_b128 v202, v[6:9]
.LBB25_151:
	s_or_b64 exec, exec, s[2:3]
	s_waitcnt lgkmcnt(0)
	; wave barrier
	scratch_load_dwordx4 v[4:7], off, off offset:160
	scratch_load_dwordx4 v[8:11], off, off offset:176
	;; [unrolled: 1-line block ×16, first 2 shown]
	ds_read_b128 v[68:71], v2 offset:576
	ds_read_b128 v[72:75], v2 offset:592
	;; [unrolled: 1-line block ×16, first 2 shown]
	scratch_load_dwordx4 v[132:135], off, off offset:144
	v_cmp_lt_u32_e32 vcc, 8, v1
	s_waitcnt vmcnt(16) lgkmcnt(14)
	v_mul_f64 v[2:3], v[68:69], v[6:7]
	s_waitcnt vmcnt(15)
	v_mul_f64 v[136:137], v[72:73], v[10:11]
	v_fmac_f64_e32 v[2:3], v[70:71], v[4:5]
	s_waitcnt vmcnt(14) lgkmcnt(13)
	v_mul_f64 v[138:139], v[76:77], v[14:15]
	v_fmac_f64_e32 v[136:137], v[74:75], v[8:9]
	v_add_f64 v[2:3], v[2:3], 0
	s_waitcnt vmcnt(13) lgkmcnt(12)
	v_mul_f64 v[140:141], v[80:81], v[18:19]
	v_fmac_f64_e32 v[138:139], v[78:79], v[12:13]
	v_add_f64 v[2:3], v[2:3], v[136:137]
	;; [unrolled: 4-line block ×10, first 2 shown]
	s_waitcnt vmcnt(4) lgkmcnt(3)
	v_mul_f64 v[210:211], v[116:117], v[54:55]
	v_mul_f64 v[6:7], v[70:71], v[6:7]
	v_fmac_f64_e32 v[208:209], v[114:115], v[48:49]
	v_add_f64 v[2:3], v[2:3], v[206:207]
	s_waitcnt vmcnt(3) lgkmcnt(2)
	v_mul_f64 v[212:213], v[120:121], v[58:59]
	v_mul_f64 v[10:11], v[74:75], v[10:11]
	v_fmac_f64_e32 v[210:211], v[118:119], v[52:53]
	v_fma_f64 v[4:5], v[68:69], v[4:5], -v[6:7]
	v_add_f64 v[2:3], v[2:3], v[208:209]
	s_waitcnt vmcnt(2) lgkmcnt(1)
	v_mul_f64 v[214:215], v[124:125], v[62:63]
	v_mul_f64 v[14:15], v[78:79], v[14:15]
	v_fmac_f64_e32 v[212:213], v[122:123], v[56:57]
	v_fma_f64 v[6:7], v[72:73], v[8:9], -v[10:11]
	v_add_f64 v[4:5], v[4:5], 0
	v_add_f64 v[2:3], v[2:3], v[210:211]
	s_waitcnt vmcnt(1) lgkmcnt(0)
	v_mul_f64 v[216:217], v[128:129], v[66:67]
	v_mul_f64 v[18:19], v[82:83], v[18:19]
	v_fmac_f64_e32 v[214:215], v[126:127], v[60:61]
	v_fma_f64 v[8:9], v[76:77], v[12:13], -v[14:15]
	v_add_f64 v[4:5], v[4:5], v[6:7]
	v_add_f64 v[2:3], v[2:3], v[212:213]
	v_mul_f64 v[26:27], v[86:87], v[26:27]
	v_fmac_f64_e32 v[216:217], v[130:131], v[64:65]
	v_fma_f64 v[10:11], v[80:81], v[16:17], -v[18:19]
	v_add_f64 v[4:5], v[4:5], v[8:9]
	v_add_f64 v[2:3], v[2:3], v[214:215]
	v_fma_f64 v[12:13], v[84:85], v[24:25], -v[26:27]
	v_add_f64 v[4:5], v[4:5], v[10:11]
	v_add_f64 v[6:7], v[2:3], v[216:217]
	v_mul_f64 v[2:3], v[90:91], v[22:23]
	v_add_f64 v[4:5], v[4:5], v[12:13]
	v_fma_f64 v[2:3], v[88:89], v[20:21], -v[2:3]
	v_add_f64 v[2:3], v[4:5], v[2:3]
	v_mul_f64 v[4:5], v[94:95], v[30:31]
	v_fma_f64 v[4:5], v[92:93], v[28:29], -v[4:5]
	v_add_f64 v[2:3], v[2:3], v[4:5]
	v_mul_f64 v[4:5], v[98:99], v[34:35]
	;; [unrolled: 3-line block ×10, first 2 shown]
	v_fma_f64 v[4:5], v[128:129], v[64:65], -v[4:5]
	v_add_f64 v[2:3], v[2:3], v[4:5]
	s_waitcnt vmcnt(0)
	v_add_f64 v[2:3], v[132:133], -v[2:3]
	v_add_f64 v[4:5], v[134:135], -v[6:7]
	scratch_store_dwordx4 off, v[2:5], off offset:144
	s_and_saveexec_b64 s[2:3], vcc
	s_cbranch_execz .LBB25_153
; %bb.152:
	scratch_load_dwordx4 v[2:5], off, s17
	v_mov_b32_e32 v6, 0
	v_mov_b32_e32 v7, v6
	;; [unrolled: 1-line block ×4, first 2 shown]
	scratch_store_dwordx4 off, v[6:9], off offset:128
	s_waitcnt vmcnt(1)
	ds_write_b128 v202, v[2:5]
.LBB25_153:
	s_or_b64 exec, exec, s[2:3]
	s_waitcnt lgkmcnt(0)
	; wave barrier
	scratch_load_dwordx4 v[4:7], off, off offset:144
	scratch_load_dwordx4 v[8:11], off, off offset:160
	;; [unrolled: 1-line block ×18, first 2 shown]
	v_mov_b32_e32 v2, 0
	ds_read_b128 v[76:79], v2 offset:560
	ds_read_b128 v[80:83], v2 offset:576
	;; [unrolled: 1-line block ×17, first 2 shown]
	v_cmp_lt_u32_e32 vcc, 7, v1
	s_waitcnt vmcnt(17) lgkmcnt(14)
	v_mul_f64 v[144:145], v[76:77], v[6:7]
	v_mul_f64 v[6:7], v[78:79], v[6:7]
	s_waitcnt vmcnt(16)
	v_mul_f64 v[146:147], v[80:81], v[10:11]
	v_mul_f64 v[10:11], v[82:83], v[10:11]
	v_fmac_f64_e32 v[144:145], v[78:79], v[4:5]
	v_fma_f64 v[4:5], v[76:77], v[4:5], -v[6:7]
	s_waitcnt vmcnt(15)
	v_mul_f64 v[148:149], v[84:85], v[18:19]
	v_mul_f64 v[18:19], v[86:87], v[18:19]
	v_fma_f64 v[6:7], v[80:81], v[8:9], -v[10:11]
	v_add_f64 v[4:5], v[4:5], 0
	s_waitcnt vmcnt(14) lgkmcnt(13)
	v_mul_f64 v[200:201], v[88:89], v[14:15]
	v_mul_f64 v[14:15], v[90:91], v[14:15]
	v_fmac_f64_e32 v[146:147], v[82:83], v[8:9]
	v_fma_f64 v[8:9], v[84:85], v[16:17], -v[18:19]
	v_add_f64 v[4:5], v[4:5], v[6:7]
	v_add_f64 v[4:5], v[4:5], v[8:9]
	v_fma_f64 v[8:9], v[88:89], v[12:13], -v[14:15]
	v_add_f64 v[4:5], v[4:5], v[8:9]
	s_waitcnt vmcnt(13) lgkmcnt(12)
	v_mul_f64 v[8:9], v[94:95], v[22:23]
	v_fma_f64 v[8:9], v[92:93], v[20:21], -v[8:9]
	v_add_f64 v[4:5], v[4:5], v[8:9]
	s_waitcnt vmcnt(12) lgkmcnt(11)
	v_mul_f64 v[8:9], v[98:99], v[26:27]
	;; [unrolled: 4-line block ×5, first 2 shown]
	v_fma_f64 v[8:9], v[108:109], v[36:37], -v[8:9]
	v_add_f64 v[10:11], v[144:145], 0
	v_add_f64 v[4:5], v[4:5], v[8:9]
	s_waitcnt vmcnt(8) lgkmcnt(7)
	v_mul_f64 v[8:9], v[114:115], v[42:43]
	v_fmac_f64_e32 v[148:149], v[86:87], v[16:17]
	v_add_f64 v[10:11], v[10:11], v[146:147]
	v_fma_f64 v[8:9], v[112:113], v[40:41], -v[8:9]
	v_mul_f64 v[204:205], v[92:93], v[22:23]
	v_fmac_f64_e32 v[200:201], v[90:91], v[12:13]
	v_add_f64 v[6:7], v[10:11], v[148:149]
	v_add_f64 v[4:5], v[4:5], v[8:9]
	s_waitcnt vmcnt(7) lgkmcnt(6)
	v_mul_f64 v[8:9], v[118:119], v[46:47]
	v_mul_f64 v[206:207], v[96:97], v[26:27]
	v_fmac_f64_e32 v[204:205], v[94:95], v[20:21]
	v_add_f64 v[6:7], v[6:7], v[200:201]
	v_fma_f64 v[8:9], v[116:117], v[44:45], -v[8:9]
	v_mul_f64 v[208:209], v[100:101], v[30:31]
	v_fmac_f64_e32 v[206:207], v[98:99], v[24:25]
	v_add_f64 v[6:7], v[6:7], v[204:205]
	v_add_f64 v[4:5], v[4:5], v[8:9]
	s_waitcnt vmcnt(6) lgkmcnt(5)
	v_mul_f64 v[8:9], v[122:123], v[50:51]
	;; [unrolled: 10-line block ×6, first 2 shown]
	v_mul_f64 v[226:227], v[136:137], v[66:67]
	v_fmac_f64_e32 v[224:225], v[134:135], v[60:61]
	v_add_f64 v[6:7], v[6:7], v[222:223]
	v_fma_f64 v[8:9], v[136:137], v[64:65], -v[8:9]
	s_waitcnt vmcnt(1) lgkmcnt(0)
	v_mul_f64 v[228:229], v[140:141], v[70:71]
	v_fmac_f64_e32 v[226:227], v[138:139], v[64:65]
	v_add_f64 v[6:7], v[6:7], v[224:225]
	v_add_f64 v[4:5], v[4:5], v[8:9]
	v_mul_f64 v[8:9], v[142:143], v[70:71]
	v_fmac_f64_e32 v[228:229], v[142:143], v[68:69]
	v_add_f64 v[6:7], v[6:7], v[226:227]
	v_fma_f64 v[8:9], v[140:141], v[68:69], -v[8:9]
	v_add_f64 v[6:7], v[6:7], v[228:229]
	v_add_f64 v[4:5], v[4:5], v[8:9]
	s_waitcnt vmcnt(0)
	v_add_f64 v[4:5], v[72:73], -v[4:5]
	v_add_f64 v[6:7], v[74:75], -v[6:7]
	scratch_store_dwordx4 off, v[4:7], off offset:128
	s_and_saveexec_b64 s[2:3], vcc
	s_cbranch_execz .LBB25_155
; %bb.154:
	scratch_load_dwordx4 v[6:9], off, s28
	v_mov_b32_e32 v3, v2
	v_mov_b32_e32 v4, v2
	;; [unrolled: 1-line block ×3, first 2 shown]
	scratch_store_dwordx4 off, v[2:5], off offset:112
	s_waitcnt vmcnt(1)
	ds_write_b128 v202, v[6:9]
.LBB25_155:
	s_or_b64 exec, exec, s[2:3]
	s_waitcnt lgkmcnt(0)
	; wave barrier
	scratch_load_dwordx4 v[4:7], off, off offset:128
	scratch_load_dwordx4 v[12:15], off, off offset:144
	;; [unrolled: 1-line block ×18, first 2 shown]
	ds_read_b128 v[76:79], v2 offset:544
	ds_read_b128 v[80:83], v2 offset:560
	;; [unrolled: 1-line block ×18, first 2 shown]
	scratch_load_dwordx4 v[204:207], off, off offset:112
	v_cmp_lt_u32_e32 vcc, 6, v1
	s_waitcnt vmcnt(18) lgkmcnt(14)
	v_mul_f64 v[2:3], v[76:77], v[6:7]
	s_waitcnt vmcnt(17)
	v_mul_f64 v[148:149], v[80:81], v[14:15]
	v_fmac_f64_e32 v[2:3], v[78:79], v[4:5]
	s_waitcnt vmcnt(16)
	v_mul_f64 v[200:201], v[84:85], v[10:11]
	v_fmac_f64_e32 v[148:149], v[82:83], v[12:13]
	v_add_f64 v[2:3], v[2:3], 0
	s_waitcnt vmcnt(15)
	v_mul_f64 v[208:209], v[88:89], v[18:19]
	v_fmac_f64_e32 v[200:201], v[86:87], v[8:9]
	v_add_f64 v[2:3], v[2:3], v[148:149]
	s_waitcnt vmcnt(14) lgkmcnt(13)
	v_mul_f64 v[210:211], v[92:93], v[22:23]
	v_fmac_f64_e32 v[208:209], v[90:91], v[16:17]
	v_add_f64 v[2:3], v[2:3], v[200:201]
	s_waitcnt vmcnt(13) lgkmcnt(12)
	v_mul_f64 v[212:213], v[96:97], v[26:27]
	v_fmac_f64_e32 v[210:211], v[94:95], v[20:21]
	v_add_f64 v[2:3], v[2:3], v[208:209]
	s_waitcnt vmcnt(12) lgkmcnt(11)
	v_mul_f64 v[214:215], v[100:101], v[30:31]
	v_fmac_f64_e32 v[212:213], v[98:99], v[24:25]
	v_add_f64 v[2:3], v[2:3], v[210:211]
	s_waitcnt vmcnt(11) lgkmcnt(10)
	v_mul_f64 v[216:217], v[104:105], v[34:35]
	v_fmac_f64_e32 v[214:215], v[102:103], v[28:29]
	v_add_f64 v[2:3], v[2:3], v[212:213]
	s_waitcnt vmcnt(10) lgkmcnt(9)
	v_mul_f64 v[218:219], v[108:109], v[38:39]
	v_fmac_f64_e32 v[216:217], v[106:107], v[32:33]
	v_add_f64 v[2:3], v[2:3], v[214:215]
	s_waitcnt vmcnt(9) lgkmcnt(8)
	v_mul_f64 v[220:221], v[112:113], v[42:43]
	v_fmac_f64_e32 v[218:219], v[110:111], v[36:37]
	v_add_f64 v[2:3], v[2:3], v[216:217]
	s_waitcnt vmcnt(8) lgkmcnt(7)
	v_mul_f64 v[222:223], v[116:117], v[46:47]
	v_fmac_f64_e32 v[220:221], v[114:115], v[40:41]
	v_add_f64 v[2:3], v[2:3], v[218:219]
	s_waitcnt vmcnt(7) lgkmcnt(6)
	v_mul_f64 v[224:225], v[120:121], v[50:51]
	v_fmac_f64_e32 v[222:223], v[118:119], v[44:45]
	v_add_f64 v[2:3], v[2:3], v[220:221]
	s_waitcnt vmcnt(6) lgkmcnt(5)
	v_mul_f64 v[226:227], v[124:125], v[54:55]
	v_fmac_f64_e32 v[224:225], v[122:123], v[48:49]
	v_add_f64 v[2:3], v[2:3], v[222:223]
	s_waitcnt vmcnt(5) lgkmcnt(4)
	v_mul_f64 v[228:229], v[128:129], v[58:59]
	v_fmac_f64_e32 v[226:227], v[126:127], v[52:53]
	v_add_f64 v[2:3], v[2:3], v[224:225]
	s_waitcnt vmcnt(4) lgkmcnt(3)
	v_mul_f64 v[230:231], v[132:133], v[62:63]
	v_fmac_f64_e32 v[228:229], v[130:131], v[56:57]
	v_add_f64 v[2:3], v[2:3], v[226:227]
	s_waitcnt vmcnt(3) lgkmcnt(2)
	v_mul_f64 v[232:233], v[136:137], v[66:67]
	v_fmac_f64_e32 v[230:231], v[134:135], v[60:61]
	v_add_f64 v[2:3], v[2:3], v[228:229]
	s_waitcnt vmcnt(2) lgkmcnt(1)
	v_mul_f64 v[234:235], v[140:141], v[70:71]
	v_mul_f64 v[6:7], v[78:79], v[6:7]
	v_fmac_f64_e32 v[232:233], v[138:139], v[64:65]
	v_add_f64 v[2:3], v[2:3], v[230:231]
	s_waitcnt vmcnt(1) lgkmcnt(0)
	v_mul_f64 v[236:237], v[144:145], v[74:75]
	v_mul_f64 v[14:15], v[82:83], v[14:15]
	v_fmac_f64_e32 v[234:235], v[142:143], v[68:69]
	v_fma_f64 v[4:5], v[76:77], v[4:5], -v[6:7]
	v_add_f64 v[2:3], v[2:3], v[232:233]
	v_mul_f64 v[10:11], v[86:87], v[10:11]
	v_fmac_f64_e32 v[236:237], v[146:147], v[72:73]
	v_fma_f64 v[6:7], v[80:81], v[12:13], -v[14:15]
	v_add_f64 v[4:5], v[4:5], 0
	v_add_f64 v[2:3], v[2:3], v[234:235]
	;; [unrolled: 1-line block ×4, first 2 shown]
	v_fma_f64 v[2:3], v[84:85], v[8:9], -v[10:11]
	v_add_f64 v[2:3], v[4:5], v[2:3]
	v_mul_f64 v[4:5], v[90:91], v[18:19]
	v_fma_f64 v[4:5], v[88:89], v[16:17], -v[4:5]
	v_add_f64 v[2:3], v[2:3], v[4:5]
	v_mul_f64 v[4:5], v[94:95], v[22:23]
	;; [unrolled: 3-line block ×15, first 2 shown]
	v_fma_f64 v[4:5], v[144:145], v[72:73], -v[4:5]
	v_add_f64 v[2:3], v[2:3], v[4:5]
	s_waitcnt vmcnt(0)
	v_add_f64 v[2:3], v[204:205], -v[2:3]
	v_add_f64 v[4:5], v[206:207], -v[6:7]
	scratch_store_dwordx4 off, v[2:5], off offset:112
	s_and_saveexec_b64 s[2:3], vcc
	s_cbranch_execz .LBB25_157
; %bb.156:
	scratch_load_dwordx4 v[2:5], off, s25
	v_mov_b32_e32 v6, 0
	v_mov_b32_e32 v7, v6
	;; [unrolled: 1-line block ×4, first 2 shown]
	scratch_store_dwordx4 off, v[6:9], off offset:96
	s_waitcnt vmcnt(1)
	ds_write_b128 v202, v[2:5]
.LBB25_157:
	s_or_b64 exec, exec, s[2:3]
	s_waitcnt lgkmcnt(0)
	; wave barrier
	scratch_load_dwordx4 v[8:11], off, off offset:112
	scratch_load_dwordx4 v[4:7], off, off offset:128
	;; [unrolled: 1-line block ×20, first 2 shown]
	v_mov_b32_e32 v2, 0
	ds_read_b128 v[84:87], v2 offset:528
	ds_read_b128 v[88:91], v2 offset:544
	;; [unrolled: 1-line block ×19, first 2 shown]
	v_cmp_lt_u32_e32 vcc, 5, v1
	s_waitcnt vmcnt(19) lgkmcnt(14)
	v_mul_f64 v[148:149], v[84:85], v[10:11]
	v_mul_f64 v[10:11], v[86:87], v[10:11]
	s_waitcnt vmcnt(18)
	v_mul_f64 v[200:201], v[88:89], v[6:7]
	v_fmac_f64_e32 v[148:149], v[86:87], v[8:9]
	v_fma_f64 v[8:9], v[84:85], v[8:9], -v[10:11]
	v_mul_f64 v[6:7], v[90:91], v[6:7]
	v_fmac_f64_e32 v[200:201], v[90:91], v[4:5]
	v_add_f64 v[8:9], v[8:9], 0
	v_fma_f64 v[4:5], v[88:89], v[4:5], -v[6:7]
	s_waitcnt vmcnt(17)
	v_mul_f64 v[6:7], v[94:95], v[14:15]
	v_add_f64 v[4:5], v[8:9], v[4:5]
	v_fma_f64 v[6:7], v[92:93], v[12:13], -v[6:7]
	v_add_f64 v[4:5], v[4:5], v[6:7]
	s_waitcnt vmcnt(16)
	v_mul_f64 v[6:7], v[98:99], v[18:19]
	v_fma_f64 v[6:7], v[96:97], v[16:17], -v[6:7]
	v_add_f64 v[4:5], v[4:5], v[6:7]
	s_waitcnt vmcnt(15)
	v_mul_f64 v[6:7], v[102:103], v[22:23]
	v_fma_f64 v[6:7], v[100:101], v[20:21], -v[6:7]
	v_add_f64 v[4:5], v[4:5], v[6:7]
	s_waitcnt vmcnt(14) lgkmcnt(13)
	v_mul_f64 v[6:7], v[106:107], v[26:27]
	v_fma_f64 v[6:7], v[104:105], v[24:25], -v[6:7]
	v_add_f64 v[4:5], v[4:5], v[6:7]
	s_waitcnt vmcnt(13) lgkmcnt(12)
	;; [unrolled: 4-line block ×5, first 2 shown]
	v_mul_f64 v[6:7], v[122:123], v[42:43]
	v_fma_f64 v[6:7], v[120:121], v[40:41], -v[6:7]
	v_mul_f64 v[216:217], v[92:93], v[14:15]
	v_add_f64 v[10:11], v[148:149], 0
	v_add_f64 v[4:5], v[4:5], v[6:7]
	s_waitcnt vmcnt(9) lgkmcnt(8)
	v_mul_f64 v[6:7], v[126:127], v[46:47]
	v_mul_f64 v[218:219], v[96:97], v[18:19]
	v_fmac_f64_e32 v[216:217], v[94:95], v[12:13]
	v_add_f64 v[10:11], v[10:11], v[200:201]
	v_fma_f64 v[6:7], v[124:125], v[44:45], -v[6:7]
	v_mul_f64 v[220:221], v[100:101], v[22:23]
	v_fmac_f64_e32 v[218:219], v[98:99], v[16:17]
	v_add_f64 v[10:11], v[10:11], v[216:217]
	v_add_f64 v[4:5], v[4:5], v[6:7]
	s_waitcnt vmcnt(8) lgkmcnt(7)
	v_mul_f64 v[6:7], v[130:131], v[50:51]
	v_mul_f64 v[222:223], v[104:105], v[26:27]
	v_fmac_f64_e32 v[220:221], v[102:103], v[20:21]
	v_add_f64 v[10:11], v[10:11], v[218:219]
	v_fma_f64 v[6:7], v[128:129], v[48:49], -v[6:7]
	v_mul_f64 v[224:225], v[108:109], v[30:31]
	v_fmac_f64_e32 v[222:223], v[106:107], v[24:25]
	;; [unrolled: 10-line block ×7, first 2 shown]
	v_add_f64 v[10:11], v[10:11], v[240:241]
	v_add_f64 v[4:5], v[4:5], v[6:7]
	s_waitcnt vmcnt(2) lgkmcnt(1)
	v_mul_f64 v[6:7], v[210:211], v[74:75]
	v_mul_f64 v[246:247], v[208:209], v[74:75]
	v_fmac_f64_e32 v[244:245], v[206:207], v[68:69]
	v_add_f64 v[10:11], v[10:11], v[242:243]
	v_fma_f64 v[6:7], v[208:209], v[72:73], -v[6:7]
	s_waitcnt vmcnt(1) lgkmcnt(0)
	v_mul_f64 v[248:249], v[212:213], v[78:79]
	v_fmac_f64_e32 v[246:247], v[210:211], v[72:73]
	v_add_f64 v[10:11], v[10:11], v[244:245]
	v_add_f64 v[4:5], v[4:5], v[6:7]
	v_mul_f64 v[6:7], v[214:215], v[78:79]
	v_fmac_f64_e32 v[248:249], v[214:215], v[76:77]
	v_add_f64 v[10:11], v[10:11], v[246:247]
	v_fma_f64 v[6:7], v[212:213], v[76:77], -v[6:7]
	v_add_f64 v[10:11], v[10:11], v[248:249]
	v_add_f64 v[4:5], v[4:5], v[6:7]
	s_waitcnt vmcnt(0)
	v_add_f64 v[4:5], v[80:81], -v[4:5]
	v_add_f64 v[6:7], v[82:83], -v[10:11]
	scratch_store_dwordx4 off, v[4:7], off offset:96
	s_and_saveexec_b64 s[2:3], vcc
	s_cbranch_execz .LBB25_159
; %bb.158:
	scratch_load_dwordx4 v[6:9], off, s19
	v_mov_b32_e32 v3, v2
	v_mov_b32_e32 v4, v2
	;; [unrolled: 1-line block ×3, first 2 shown]
	scratch_store_dwordx4 off, v[2:5], off offset:80
	s_waitcnt vmcnt(1)
	ds_write_b128 v202, v[6:9]
.LBB25_159:
	s_or_b64 exec, exec, s[2:3]
	s_waitcnt lgkmcnt(0)
	; wave barrier
	ds_read_b128 v[16:19], v2 offset:512
	ds_read_b128 v[12:15], v2 offset:528
	;; [unrolled: 1-line block ×4, first 2 shown]
	scratch_load_dwordx4 v[20:23], off, off offset:96
	scratch_load_dwordx4 v[40:43], off, off offset:160
	;; [unrolled: 1-line block ×14, first 2 shown]
	v_cmp_lt_u32_e32 vcc, 4, v1
	scratch_load_dwordx4 v[48:51], off, off offset:176
	scratch_load_dwordx4 v[56:59], off, off offset:192
	;; [unrolled: 1-line block ×3, first 2 shown]
	ds_read_b128 v[208:211], v2 offset:800
	ds_read_b128 v[216:219], v2 offset:816
	s_waitcnt vmcnt(16) lgkmcnt(5)
	v_mul_f64 v[24:25], v[16:17], v[22:23]
	v_fmac_f64_e32 v[24:25], v[18:19], v[20:21]
	v_add_f64 v[28:29], v[24:25], 0
	scratch_load_dwordx4 v[24:27], off, off offset:112
	s_waitcnt vmcnt(0) lgkmcnt(4)
	v_mul_f64 v[30:31], v[12:13], v[26:27]
	v_fmac_f64_e32 v[30:31], v[14:15], v[24:25]
	v_add_f64 v[32:33], v[28:29], v[30:31]
	scratch_load_dwordx4 v[28:31], off, off offset:128
	v_mul_f64 v[14:15], v[14:15], v[26:27]
	v_fma_f64 v[12:13], v[12:13], v[24:25], -v[14:15]
	s_waitcnt vmcnt(0) lgkmcnt(3)
	v_mul_f64 v[34:35], v[8:9], v[30:31]
	v_fmac_f64_e32 v[34:35], v[10:11], v[28:29]
	v_add_f64 v[36:37], v[32:33], v[34:35]
	scratch_load_dwordx4 v[32:35], off, off offset:144
	v_mul_f64 v[10:11], v[10:11], v[30:31]
	v_fma_f64 v[8:9], v[8:9], v[28:29], -v[10:11]
	s_waitcnt vmcnt(0) lgkmcnt(2)
	v_mul_f64 v[38:39], v[4:5], v[34:35]
	v_fmac_f64_e32 v[38:39], v[6:7], v[32:33]
	v_add_f64 v[44:45], v[36:37], v[38:39]
	ds_read_b128 v[36:39], v2 offset:576
	v_mul_f64 v[6:7], v[6:7], v[34:35]
	v_fma_f64 v[4:5], v[4:5], v[32:33], -v[6:7]
	s_waitcnt lgkmcnt(0)
	v_mul_f64 v[46:47], v[36:37], v[42:43]
	v_fmac_f64_e32 v[46:47], v[38:39], v[40:41]
	v_add_f64 v[52:53], v[44:45], v[46:47]
	ds_read_b128 v[44:47], v2 offset:592
	s_waitcnt lgkmcnt(0)
	v_mul_f64 v[54:55], v[44:45], v[50:51]
	v_fmac_f64_e32 v[54:55], v[46:47], v[48:49]
	v_add_f64 v[60:61], v[52:53], v[54:55]
	ds_read_b128 v[52:55], v2 offset:608
	;; [unrolled: 5-line block ×13, first 2 shown]
	v_mul_f64 v[2:3], v[216:217], v[222:223]
	v_fmac_f64_e32 v[2:3], v[218:219], v[220:221]
	s_waitcnt lgkmcnt(0)
	v_mul_f64 v[146:147], v[142:143], v[206:207]
	v_fmac_f64_e32 v[146:147], v[144:145], v[204:205]
	v_add_f64 v[96:97], v[96:97], v[146:147]
	v_mul_f64 v[146:147], v[208:209], v[214:215]
	v_fmac_f64_e32 v[146:147], v[210:211], v[212:213]
	v_add_f64 v[96:97], v[96:97], v[146:147]
	v_add_f64 v[96:97], v[96:97], v[2:3]
	v_mul_f64 v[2:3], v[18:19], v[22:23]
	v_fma_f64 v[2:3], v[16:17], v[20:21], -v[2:3]
	v_add_f64 v[2:3], v[2:3], 0
	v_add_f64 v[2:3], v[2:3], v[12:13]
	;; [unrolled: 1-line block ×4, first 2 shown]
	v_mul_f64 v[4:5], v[38:39], v[42:43]
	v_fma_f64 v[4:5], v[36:37], v[40:41], -v[4:5]
	v_add_f64 v[2:3], v[2:3], v[4:5]
	v_mul_f64 v[4:5], v[46:47], v[50:51]
	v_fma_f64 v[4:5], v[44:45], v[48:49], -v[4:5]
	v_add_f64 v[2:3], v[2:3], v[4:5]
	;; [unrolled: 3-line block ×16, first 2 shown]
	scratch_load_dwordx4 v[2:5], off, off offset:80
	s_waitcnt vmcnt(0)
	v_add_f64 v[2:3], v[2:3], -v[6:7]
	v_add_f64 v[4:5], v[4:5], -v[96:97]
	scratch_store_dwordx4 off, v[2:5], off offset:80
	s_and_saveexec_b64 s[2:3], vcc
	s_cbranch_execz .LBB25_161
; %bb.160:
	scratch_load_dwordx4 v[2:5], off, s16
	v_mov_b32_e32 v6, 0
	v_mov_b32_e32 v7, v6
	;; [unrolled: 1-line block ×4, first 2 shown]
	scratch_store_dwordx4 off, v[6:9], off offset:64
	s_waitcnt vmcnt(1)
	ds_write_b128 v202, v[2:5]
.LBB25_161:
	s_or_b64 exec, exec, s[2:3]
	v_mov_b32_e32 v2, 0
	s_waitcnt lgkmcnt(0)
	; wave barrier
	ds_read_b128 v[16:19], v2 offset:496
	ds_read_b128 v[12:15], v2 offset:512
	;; [unrolled: 1-line block ×4, first 2 shown]
	scratch_load_dwordx4 v[20:23], off, off offset:80
	scratch_load_dwordx4 v[40:43], off, off offset:144
	;; [unrolled: 1-line block ×15, first 2 shown]
	v_cmp_lt_u32_e32 vcc, 3, v1
	scratch_load_dwordx4 v[48:51], off, off offset:160
	scratch_load_dwordx4 v[56:59], off, off offset:176
	;; [unrolled: 1-line block ×3, first 2 shown]
	ds_read_b128 v[208:211], v2 offset:784
	ds_read_b128 v[216:219], v2 offset:800
	;; [unrolled: 1-line block ×3, first 2 shown]
	s_waitcnt vmcnt(17) lgkmcnt(6)
	v_mul_f64 v[24:25], v[16:17], v[22:23]
	v_fmac_f64_e32 v[24:25], v[18:19], v[20:21]
	v_add_f64 v[28:29], v[24:25], 0
	scratch_load_dwordx4 v[24:27], off, off offset:96
	v_mul_f64 v[18:19], v[18:19], v[22:23]
	v_fma_f64 v[16:17], v[16:17], v[20:21], -v[18:19]
	v_add_f64 v[16:17], v[16:17], 0
	s_waitcnt vmcnt(0) lgkmcnt(5)
	v_mul_f64 v[30:31], v[12:13], v[26:27]
	v_fmac_f64_e32 v[30:31], v[14:15], v[24:25]
	v_add_f64 v[32:33], v[28:29], v[30:31]
	scratch_load_dwordx4 v[28:31], off, off offset:112
	v_mul_f64 v[14:15], v[14:15], v[26:27]
	v_fma_f64 v[12:13], v[12:13], v[24:25], -v[14:15]
	v_add_f64 v[12:13], v[16:17], v[12:13]
	;; [unrolled: 8-line block ×3, first 2 shown]
	s_waitcnt vmcnt(0) lgkmcnt(3)
	v_mul_f64 v[38:39], v[4:5], v[34:35]
	v_fmac_f64_e32 v[38:39], v[6:7], v[32:33]
	v_add_f64 v[44:45], v[36:37], v[38:39]
	ds_read_b128 v[36:39], v2 offset:560
	v_mul_f64 v[6:7], v[6:7], v[34:35]
	v_fma_f64 v[4:5], v[4:5], v[32:33], -v[6:7]
	v_add_f64 v[4:5], v[8:9], v[4:5]
	s_waitcnt lgkmcnt(0)
	v_mul_f64 v[46:47], v[36:37], v[42:43]
	v_fmac_f64_e32 v[46:47], v[38:39], v[40:41]
	v_add_f64 v[52:53], v[44:45], v[46:47]
	ds_read_b128 v[44:47], v2 offset:576
	v_mul_f64 v[6:7], v[38:39], v[42:43]
	v_fma_f64 v[6:7], v[36:37], v[40:41], -v[6:7]
	v_add_f64 v[4:5], v[4:5], v[6:7]
	s_waitcnt lgkmcnt(0)
	;; [unrolled: 8-line block ×14, first 2 shown]
	v_mul_f64 v[6:7], v[144:145], v[206:207]
	v_fma_f64 v[6:7], v[142:143], v[204:205], -v[6:7]
	v_add_f64 v[4:5], v[4:5], v[6:7]
	v_mul_f64 v[6:7], v[210:211], v[214:215]
	v_fma_f64 v[6:7], v[208:209], v[212:213], -v[6:7]
	v_add_f64 v[4:5], v[4:5], v[6:7]
	;; [unrolled: 3-line block ×4, first 2 shown]
	scratch_load_dwordx4 v[4:7], off, off offset:64
	v_mul_f64 v[146:147], v[142:143], v[206:207]
	v_fmac_f64_e32 v[146:147], v[144:145], v[204:205]
	v_add_f64 v[104:105], v[104:105], v[146:147]
	v_mul_f64 v[146:147], v[208:209], v[214:215]
	v_fmac_f64_e32 v[146:147], v[210:211], v[212:213]
	v_add_f64 v[104:105], v[104:105], v[146:147]
	;; [unrolled: 3-line block ×4, first 2 shown]
	s_waitcnt vmcnt(0)
	v_add_f64 v[4:5], v[4:5], -v[8:9]
	v_add_f64 v[6:7], v[6:7], -v[104:105]
	scratch_store_dwordx4 off, v[4:7], off offset:64
	s_and_saveexec_b64 s[2:3], vcc
	s_cbranch_execz .LBB25_163
; %bb.162:
	scratch_load_dwordx4 v[6:9], off, s15
	v_mov_b32_e32 v3, v2
	v_mov_b32_e32 v4, v2
	;; [unrolled: 1-line block ×3, first 2 shown]
	scratch_store_dwordx4 off, v[2:5], off offset:48
	s_waitcnt vmcnt(1)
	ds_write_b128 v202, v[6:9]
.LBB25_163:
	s_or_b64 exec, exec, s[2:3]
	s_waitcnt lgkmcnt(0)
	; wave barrier
	ds_read_b128 v[16:19], v2 offset:480
	ds_read_b128 v[12:15], v2 offset:496
	;; [unrolled: 1-line block ×4, first 2 shown]
	scratch_load_dwordx4 v[20:23], off, off offset:64
	scratch_load_dwordx4 v[40:43], off, off offset:128
	;; [unrolled: 1-line block ×16, first 2 shown]
	v_cmp_lt_u32_e32 vcc, 2, v1
	scratch_load_dwordx4 v[48:51], off, off offset:144
	scratch_load_dwordx4 v[56:59], off, off offset:160
	;; [unrolled: 1-line block ×3, first 2 shown]
	ds_read_b128 v[208:211], v2 offset:768
	ds_read_b128 v[216:219], v2 offset:784
	;; [unrolled: 1-line block ×4, first 2 shown]
	s_waitcnt vmcnt(18) lgkmcnt(7)
	v_mul_f64 v[24:25], v[16:17], v[22:23]
	v_fmac_f64_e32 v[24:25], v[18:19], v[20:21]
	v_add_f64 v[28:29], v[24:25], 0
	scratch_load_dwordx4 v[24:27], off, off offset:80
	s_waitcnt vmcnt(0) lgkmcnt(6)
	v_mul_f64 v[30:31], v[12:13], v[26:27]
	v_fmac_f64_e32 v[30:31], v[14:15], v[24:25]
	v_add_f64 v[32:33], v[28:29], v[30:31]
	scratch_load_dwordx4 v[28:31], off, off offset:96
	v_mul_f64 v[14:15], v[14:15], v[26:27]
	v_fma_f64 v[12:13], v[12:13], v[24:25], -v[14:15]
	s_waitcnt vmcnt(0) lgkmcnt(5)
	v_mul_f64 v[34:35], v[8:9], v[30:31]
	v_fmac_f64_e32 v[34:35], v[10:11], v[28:29]
	v_add_f64 v[36:37], v[32:33], v[34:35]
	scratch_load_dwordx4 v[32:35], off, off offset:112
	v_mul_f64 v[10:11], v[10:11], v[30:31]
	v_fma_f64 v[8:9], v[8:9], v[28:29], -v[10:11]
	s_waitcnt vmcnt(0) lgkmcnt(4)
	v_mul_f64 v[38:39], v[4:5], v[34:35]
	v_fmac_f64_e32 v[38:39], v[6:7], v[32:33]
	v_add_f64 v[44:45], v[36:37], v[38:39]
	ds_read_b128 v[36:39], v2 offset:544
	v_mul_f64 v[6:7], v[6:7], v[34:35]
	v_fma_f64 v[4:5], v[4:5], v[32:33], -v[6:7]
	s_waitcnt lgkmcnt(0)
	v_mul_f64 v[46:47], v[36:37], v[42:43]
	v_fmac_f64_e32 v[46:47], v[38:39], v[40:41]
	v_add_f64 v[52:53], v[44:45], v[46:47]
	ds_read_b128 v[44:47], v2 offset:560
	s_waitcnt lgkmcnt(0)
	v_mul_f64 v[54:55], v[44:45], v[50:51]
	v_fmac_f64_e32 v[54:55], v[46:47], v[48:49]
	v_add_f64 v[60:61], v[52:53], v[54:55]
	ds_read_b128 v[52:55], v2 offset:576
	s_waitcnt lgkmcnt(0)
	v_mul_f64 v[62:63], v[52:53], v[58:59]
	v_fmac_f64_e32 v[62:63], v[54:55], v[56:57]
	v_add_f64 v[68:69], v[60:61], v[62:63]
	ds_read_b128 v[60:63], v2 offset:592
	s_waitcnt lgkmcnt(0)
	v_mul_f64 v[70:71], v[60:61], v[66:67]
	v_fmac_f64_e32 v[70:71], v[62:63], v[64:65]
	v_add_f64 v[76:77], v[68:69], v[70:71]
	ds_read_b128 v[68:71], v2 offset:608
	s_waitcnt lgkmcnt(0)
	v_mul_f64 v[78:79], v[68:69], v[74:75]
	v_fmac_f64_e32 v[78:79], v[70:71], v[72:73]
	v_add_f64 v[84:85], v[76:77], v[78:79]
	ds_read_b128 v[76:79], v2 offset:624
	s_waitcnt lgkmcnt(0)
	v_mul_f64 v[86:87], v[76:77], v[82:83]
	v_fmac_f64_e32 v[86:87], v[78:79], v[80:81]
	v_add_f64 v[92:93], v[84:85], v[86:87]
	ds_read_b128 v[84:87], v2 offset:640
	s_waitcnt lgkmcnt(0)
	v_mul_f64 v[94:95], v[84:85], v[90:91]
	v_fmac_f64_e32 v[94:95], v[86:87], v[88:89]
	v_add_f64 v[100:101], v[92:93], v[94:95]
	ds_read_b128 v[92:95], v2 offset:656
	s_waitcnt lgkmcnt(0)
	v_mul_f64 v[102:103], v[92:93], v[98:99]
	v_fmac_f64_e32 v[102:103], v[94:95], v[96:97]
	v_add_f64 v[108:109], v[100:101], v[102:103]
	ds_read_b128 v[100:103], v2 offset:672
	s_waitcnt lgkmcnt(0)
	v_mul_f64 v[110:111], v[100:101], v[106:107]
	v_fmac_f64_e32 v[110:111], v[102:103], v[104:105]
	v_add_f64 v[116:117], v[108:109], v[110:111]
	ds_read_b128 v[108:111], v2 offset:688
	s_waitcnt lgkmcnt(0)
	v_mul_f64 v[118:119], v[108:109], v[114:115]
	v_fmac_f64_e32 v[118:119], v[110:111], v[112:113]
	v_add_f64 v[120:121], v[116:117], v[118:119]
	ds_read_b128 v[116:119], v2 offset:704
	s_waitcnt lgkmcnt(0)
	v_mul_f64 v[126:127], v[116:117], v[124:125]
	v_fmac_f64_e32 v[126:127], v[118:119], v[122:123]
	v_add_f64 v[120:121], v[120:121], v[126:127]
	ds_read_b128 v[126:129], v2 offset:720
	s_waitcnt lgkmcnt(0)
	v_mul_f64 v[134:135], v[126:127], v[132:133]
	v_fmac_f64_e32 v[134:135], v[128:129], v[130:131]
	v_add_f64 v[120:121], v[120:121], v[134:135]
	ds_read_b128 v[134:137], v2 offset:736
	s_waitcnt lgkmcnt(0)
	v_mul_f64 v[142:143], v[134:135], v[140:141]
	v_fmac_f64_e32 v[142:143], v[136:137], v[138:139]
	v_add_f64 v[120:121], v[120:121], v[142:143]
	ds_read_b128 v[142:145], v2 offset:752
	v_mul_f64 v[2:3], v[232:233], v[238:239]
	v_fmac_f64_e32 v[2:3], v[234:235], v[236:237]
	s_waitcnt lgkmcnt(0)
	v_mul_f64 v[146:147], v[142:143], v[206:207]
	v_fmac_f64_e32 v[146:147], v[144:145], v[204:205]
	v_add_f64 v[120:121], v[120:121], v[146:147]
	v_mul_f64 v[146:147], v[208:209], v[214:215]
	v_fmac_f64_e32 v[146:147], v[210:211], v[212:213]
	v_add_f64 v[120:121], v[120:121], v[146:147]
	;; [unrolled: 3-line block ×4, first 2 shown]
	v_add_f64 v[120:121], v[120:121], v[2:3]
	v_mul_f64 v[2:3], v[18:19], v[22:23]
	v_fma_f64 v[2:3], v[16:17], v[20:21], -v[2:3]
	v_add_f64 v[2:3], v[2:3], 0
	v_add_f64 v[2:3], v[2:3], v[12:13]
	;; [unrolled: 1-line block ×4, first 2 shown]
	v_mul_f64 v[4:5], v[38:39], v[42:43]
	v_fma_f64 v[4:5], v[36:37], v[40:41], -v[4:5]
	v_add_f64 v[2:3], v[2:3], v[4:5]
	v_mul_f64 v[4:5], v[46:47], v[50:51]
	v_fma_f64 v[4:5], v[44:45], v[48:49], -v[4:5]
	v_add_f64 v[2:3], v[2:3], v[4:5]
	v_mul_f64 v[4:5], v[54:55], v[58:59]
	v_fma_f64 v[4:5], v[52:53], v[56:57], -v[4:5]
	v_add_f64 v[2:3], v[2:3], v[4:5]
	v_mul_f64 v[4:5], v[62:63], v[66:67]
	v_fma_f64 v[4:5], v[60:61], v[64:65], -v[4:5]
	v_add_f64 v[2:3], v[2:3], v[4:5]
	v_mul_f64 v[4:5], v[70:71], v[74:75]
	v_fma_f64 v[4:5], v[68:69], v[72:73], -v[4:5]
	v_add_f64 v[2:3], v[2:3], v[4:5]
	v_mul_f64 v[4:5], v[78:79], v[82:83]
	v_fma_f64 v[4:5], v[76:77], v[80:81], -v[4:5]
	v_add_f64 v[2:3], v[2:3], v[4:5]
	v_mul_f64 v[4:5], v[86:87], v[90:91]
	v_fma_f64 v[4:5], v[84:85], v[88:89], -v[4:5]
	v_add_f64 v[2:3], v[2:3], v[4:5]
	v_mul_f64 v[4:5], v[94:95], v[98:99]
	v_fma_f64 v[4:5], v[92:93], v[96:97], -v[4:5]
	v_add_f64 v[2:3], v[2:3], v[4:5]
	v_mul_f64 v[4:5], v[102:103], v[106:107]
	v_fma_f64 v[4:5], v[100:101], v[104:105], -v[4:5]
	v_add_f64 v[2:3], v[2:3], v[4:5]
	v_mul_f64 v[4:5], v[110:111], v[114:115]
	v_fma_f64 v[4:5], v[108:109], v[112:113], -v[4:5]
	v_add_f64 v[2:3], v[2:3], v[4:5]
	v_mul_f64 v[4:5], v[118:119], v[124:125]
	v_fma_f64 v[4:5], v[116:117], v[122:123], -v[4:5]
	v_add_f64 v[2:3], v[2:3], v[4:5]
	v_mul_f64 v[4:5], v[128:129], v[132:133]
	v_fma_f64 v[4:5], v[126:127], v[130:131], -v[4:5]
	v_add_f64 v[2:3], v[2:3], v[4:5]
	v_mul_f64 v[4:5], v[136:137], v[140:141]
	v_fma_f64 v[4:5], v[134:135], v[138:139], -v[4:5]
	v_add_f64 v[2:3], v[2:3], v[4:5]
	v_mul_f64 v[4:5], v[144:145], v[206:207]
	v_fma_f64 v[4:5], v[142:143], v[204:205], -v[4:5]
	v_add_f64 v[2:3], v[2:3], v[4:5]
	v_mul_f64 v[4:5], v[210:211], v[214:215]
	v_fma_f64 v[4:5], v[208:209], v[212:213], -v[4:5]
	v_add_f64 v[2:3], v[2:3], v[4:5]
	v_mul_f64 v[4:5], v[218:219], v[222:223]
	v_fma_f64 v[4:5], v[216:217], v[220:221], -v[4:5]
	v_add_f64 v[2:3], v[2:3], v[4:5]
	v_mul_f64 v[4:5], v[226:227], v[230:231]
	v_fma_f64 v[4:5], v[224:225], v[228:229], -v[4:5]
	v_add_f64 v[2:3], v[2:3], v[4:5]
	v_mul_f64 v[4:5], v[234:235], v[238:239]
	v_fma_f64 v[4:5], v[232:233], v[236:237], -v[4:5]
	v_add_f64 v[6:7], v[2:3], v[4:5]
	scratch_load_dwordx4 v[2:5], off, off offset:48
	s_waitcnt vmcnt(0)
	v_add_f64 v[2:3], v[2:3], -v[6:7]
	v_add_f64 v[4:5], v[4:5], -v[120:121]
	scratch_store_dwordx4 off, v[2:5], off offset:48
	s_and_saveexec_b64 s[2:3], vcc
	s_cbranch_execz .LBB25_165
; %bb.164:
	scratch_load_dwordx4 v[2:5], off, s14
	v_mov_b32_e32 v6, 0
	v_mov_b32_e32 v7, v6
	v_mov_b32_e32 v8, v6
	v_mov_b32_e32 v9, v6
	scratch_store_dwordx4 off, v[6:9], off offset:32
	s_waitcnt vmcnt(1)
	ds_write_b128 v202, v[2:5]
.LBB25_165:
	s_or_b64 exec, exec, s[2:3]
	v_mov_b32_e32 v2, 0
	s_waitcnt lgkmcnt(0)
	; wave barrier
	ds_read_b128 v[16:19], v2 offset:464
	ds_read_b128 v[12:15], v2 offset:480
	;; [unrolled: 1-line block ×4, first 2 shown]
	scratch_load_dwordx4 v[20:23], off, off offset:48
	scratch_load_dwordx4 v[40:43], off, off offset:112
	;; [unrolled: 1-line block ×17, first 2 shown]
	v_cmp_lt_u32_e32 vcc, 1, v1
	scratch_load_dwordx4 v[48:51], off, off offset:128
	scratch_load_dwordx4 v[56:59], off, off offset:144
	;; [unrolled: 1-line block ×3, first 2 shown]
	ds_read_b128 v[208:211], v2 offset:752
	ds_read_b128 v[216:219], v2 offset:768
	;; [unrolled: 1-line block ×5, first 2 shown]
	s_waitcnt vmcnt(19) lgkmcnt(8)
	v_mul_f64 v[24:25], v[16:17], v[22:23]
	v_fmac_f64_e32 v[24:25], v[18:19], v[20:21]
	v_add_f64 v[28:29], v[24:25], 0
	scratch_load_dwordx4 v[24:27], off, off offset:64
	v_mul_f64 v[18:19], v[18:19], v[22:23]
	v_fma_f64 v[16:17], v[16:17], v[20:21], -v[18:19]
	v_add_f64 v[16:17], v[16:17], 0
	s_waitcnt vmcnt(0) lgkmcnt(7)
	v_mul_f64 v[30:31], v[12:13], v[26:27]
	v_fmac_f64_e32 v[30:31], v[14:15], v[24:25]
	v_add_f64 v[32:33], v[28:29], v[30:31]
	scratch_load_dwordx4 v[28:31], off, off offset:80
	v_mul_f64 v[14:15], v[14:15], v[26:27]
	v_fma_f64 v[12:13], v[12:13], v[24:25], -v[14:15]
	v_add_f64 v[12:13], v[16:17], v[12:13]
	;; [unrolled: 8-line block ×3, first 2 shown]
	s_waitcnt vmcnt(0) lgkmcnt(5)
	v_mul_f64 v[38:39], v[4:5], v[34:35]
	v_fmac_f64_e32 v[38:39], v[6:7], v[32:33]
	v_add_f64 v[44:45], v[36:37], v[38:39]
	ds_read_b128 v[36:39], v2 offset:528
	v_mul_f64 v[6:7], v[6:7], v[34:35]
	v_fma_f64 v[4:5], v[4:5], v[32:33], -v[6:7]
	v_add_f64 v[4:5], v[8:9], v[4:5]
	s_waitcnt lgkmcnt(0)
	v_mul_f64 v[46:47], v[36:37], v[42:43]
	v_fmac_f64_e32 v[46:47], v[38:39], v[40:41]
	v_add_f64 v[52:53], v[44:45], v[46:47]
	ds_read_b128 v[44:47], v2 offset:544
	v_mul_f64 v[6:7], v[38:39], v[42:43]
	v_fma_f64 v[6:7], v[36:37], v[40:41], -v[6:7]
	v_add_f64 v[4:5], v[4:5], v[6:7]
	s_waitcnt lgkmcnt(0)
	;; [unrolled: 8-line block ×14, first 2 shown]
	v_mul_f64 v[6:7], v[144:145], v[206:207]
	v_fma_f64 v[6:7], v[142:143], v[204:205], -v[6:7]
	v_add_f64 v[4:5], v[4:5], v[6:7]
	v_mul_f64 v[6:7], v[210:211], v[214:215]
	v_fma_f64 v[6:7], v[208:209], v[212:213], -v[6:7]
	v_add_f64 v[4:5], v[4:5], v[6:7]
	;; [unrolled: 3-line block ×6, first 2 shown]
	scratch_load_dwordx4 v[4:7], off, off offset:32
	v_mul_f64 v[146:147], v[142:143], v[206:207]
	v_fmac_f64_e32 v[146:147], v[144:145], v[204:205]
	v_add_f64 v[128:129], v[128:129], v[146:147]
	v_mul_f64 v[146:147], v[208:209], v[214:215]
	v_fmac_f64_e32 v[146:147], v[210:211], v[212:213]
	v_add_f64 v[128:129], v[128:129], v[146:147]
	;; [unrolled: 3-line block ×6, first 2 shown]
	s_waitcnt vmcnt(0)
	v_add_f64 v[4:5], v[4:5], -v[8:9]
	v_add_f64 v[6:7], v[6:7], -v[128:129]
	scratch_store_dwordx4 off, v[4:7], off offset:32
	s_and_saveexec_b64 s[2:3], vcc
	s_cbranch_execz .LBB25_167
; %bb.166:
	scratch_load_dwordx4 v[6:9], off, s18
	v_mov_b32_e32 v3, v2
	v_mov_b32_e32 v4, v2
	;; [unrolled: 1-line block ×3, first 2 shown]
	scratch_store_dwordx4 off, v[2:5], off offset:16
	s_waitcnt vmcnt(1)
	ds_write_b128 v202, v[6:9]
.LBB25_167:
	s_or_b64 exec, exec, s[2:3]
	s_waitcnt lgkmcnt(0)
	; wave barrier
	ds_read_b128 v[16:19], v2 offset:448
	ds_read_b128 v[12:15], v2 offset:464
	;; [unrolled: 1-line block ×4, first 2 shown]
	scratch_load_dwordx4 v[20:23], off, off offset:32
	scratch_load_dwordx4 v[40:43], off, off offset:96
	;; [unrolled: 1-line block ×18, first 2 shown]
	v_cmp_ne_u32_e32 vcc, 0, v1
	scratch_load_dwordx4 v[48:51], off, off offset:112
	scratch_load_dwordx4 v[56:59], off, off offset:128
	;; [unrolled: 1-line block ×3, first 2 shown]
	ds_read_b128 v[204:207], v2 offset:736
	ds_read_b128 v[212:215], v2 offset:752
	;; [unrolled: 1-line block ×6, first 2 shown]
	s_waitcnt vmcnt(20) lgkmcnt(9)
	v_mul_f64 v[24:25], v[16:17], v[22:23]
	v_fmac_f64_e32 v[24:25], v[18:19], v[20:21]
	v_add_f64 v[28:29], v[24:25], 0
	scratch_load_dwordx4 v[24:27], off, off offset:48
	s_waitcnt vmcnt(0) lgkmcnt(8)
	v_mul_f64 v[30:31], v[12:13], v[26:27]
	v_fmac_f64_e32 v[30:31], v[14:15], v[24:25]
	v_add_f64 v[32:33], v[28:29], v[30:31]
	scratch_load_dwordx4 v[28:31], off, off offset:64
	v_mul_f64 v[14:15], v[14:15], v[26:27]
	v_fma_f64 v[12:13], v[12:13], v[24:25], -v[14:15]
	s_waitcnt vmcnt(0) lgkmcnt(7)
	v_mul_f64 v[34:35], v[8:9], v[30:31]
	v_fmac_f64_e32 v[34:35], v[10:11], v[28:29]
	v_add_f64 v[36:37], v[32:33], v[34:35]
	scratch_load_dwordx4 v[32:35], off, off offset:80
	v_mul_f64 v[10:11], v[10:11], v[30:31]
	v_fma_f64 v[8:9], v[8:9], v[28:29], -v[10:11]
	s_waitcnt vmcnt(0) lgkmcnt(6)
	v_mul_f64 v[38:39], v[4:5], v[34:35]
	v_fmac_f64_e32 v[38:39], v[6:7], v[32:33]
	v_add_f64 v[44:45], v[36:37], v[38:39]
	ds_read_b128 v[36:39], v2 offset:512
	v_mul_f64 v[6:7], v[6:7], v[34:35]
	v_fma_f64 v[4:5], v[4:5], v[32:33], -v[6:7]
	s_waitcnt lgkmcnt(0)
	v_mul_f64 v[46:47], v[36:37], v[42:43]
	v_fmac_f64_e32 v[46:47], v[38:39], v[40:41]
	v_add_f64 v[52:53], v[44:45], v[46:47]
	ds_read_b128 v[44:47], v2 offset:528
	s_waitcnt lgkmcnt(0)
	v_mul_f64 v[54:55], v[44:45], v[50:51]
	v_fmac_f64_e32 v[54:55], v[46:47], v[48:49]
	v_add_f64 v[60:61], v[52:53], v[54:55]
	ds_read_b128 v[52:55], v2 offset:544
	;; [unrolled: 5-line block ×13, first 2 shown]
	v_mul_f64 v[2:3], v[244:245], v[250:251]
	v_fmac_f64_e32 v[2:3], v[246:247], v[248:249]
	s_waitcnt lgkmcnt(0)
	v_mul_f64 v[200:201], v[140:141], v[146:147]
	v_fmac_f64_e32 v[200:201], v[142:143], v[144:145]
	v_add_f64 v[148:149], v[148:149], v[200:201]
	v_mul_f64 v[200:201], v[204:205], v[210:211]
	v_fmac_f64_e32 v[200:201], v[206:207], v[208:209]
	v_add_f64 v[148:149], v[148:149], v[200:201]
	;; [unrolled: 3-line block ×6, first 2 shown]
	v_add_f64 v[200:201], v[148:149], v[2:3]
	v_mul_f64 v[2:3], v[18:19], v[22:23]
	v_fma_f64 v[2:3], v[16:17], v[20:21], -v[2:3]
	v_add_f64 v[2:3], v[2:3], 0
	v_add_f64 v[2:3], v[2:3], v[12:13]
	;; [unrolled: 1-line block ×4, first 2 shown]
	v_mul_f64 v[4:5], v[38:39], v[42:43]
	v_fma_f64 v[4:5], v[36:37], v[40:41], -v[4:5]
	v_add_f64 v[2:3], v[2:3], v[4:5]
	v_mul_f64 v[4:5], v[46:47], v[50:51]
	v_fma_f64 v[4:5], v[44:45], v[48:49], -v[4:5]
	v_add_f64 v[2:3], v[2:3], v[4:5]
	;; [unrolled: 3-line block ×20, first 2 shown]
	scratch_load_dwordx4 v[2:5], off, off offset:16
	s_waitcnt vmcnt(0)
	v_add_f64 v[2:3], v[2:3], -v[6:7]
	v_add_f64 v[4:5], v[4:5], -v[200:201]
	scratch_store_dwordx4 off, v[2:5], off offset:16
	s_and_saveexec_b64 s[2:3], vcc
	s_cbranch_execz .LBB25_169
; %bb.168:
	scratch_load_dwordx4 v[2:5], off, off
	v_mov_b32_e32 v6, 0
	v_mov_b32_e32 v7, v6
	;; [unrolled: 1-line block ×4, first 2 shown]
	scratch_store_dwordx4 off, v[6:9], off
	s_waitcnt vmcnt(1)
	ds_write_b128 v202, v[2:5]
.LBB25_169:
	s_or_b64 exec, exec, s[2:3]
	v_mov_b32_e32 v144, 0
	s_waitcnt lgkmcnt(0)
	; wave barrier
	ds_read_b128 v[14:17], v144 offset:432
	ds_read_b128 v[10:13], v144 offset:448
	;; [unrolled: 1-line block ×4, first 2 shown]
	scratch_load_dwordx4 v[18:21], off, off offset:16
	scratch_load_dwordx4 v[38:41], off, off offset:80
	;; [unrolled: 1-line block ×18, first 2 shown]
	s_and_b64 vcc, exec, s[22:23]
	scratch_load_dwordx4 v[46:49], off, off offset:96
	scratch_load_dwordx4 v[54:57], off, off offset:112
	;; [unrolled: 1-line block ×3, first 2 shown]
	ds_read_b128 v[204:207], v144 offset:720
	ds_read_b128 v[212:215], v144 offset:736
	;; [unrolled: 1-line block ×7, first 2 shown]
	s_waitcnt vmcnt(20) lgkmcnt(10)
	v_mul_f64 v[22:23], v[14:15], v[20:21]
	v_fmac_f64_e32 v[22:23], v[16:17], v[18:19]
	v_add_f64 v[26:27], v[22:23], 0
	scratch_load_dwordx4 v[22:25], off, off offset:32
	v_mul_f64 v[16:17], v[16:17], v[20:21]
	v_fma_f64 v[14:15], v[14:15], v[18:19], -v[16:17]
	v_add_f64 v[14:15], v[14:15], 0
	s_waitcnt vmcnt(0) lgkmcnt(9)
	v_mul_f64 v[28:29], v[10:11], v[24:25]
	v_fmac_f64_e32 v[28:29], v[12:13], v[22:23]
	v_add_f64 v[30:31], v[26:27], v[28:29]
	scratch_load_dwordx4 v[26:29], off, off offset:48
	v_mul_f64 v[12:13], v[12:13], v[24:25]
	v_fma_f64 v[10:11], v[10:11], v[22:23], -v[12:13]
	v_add_f64 v[10:11], v[14:15], v[10:11]
	;; [unrolled: 8-line block ×3, first 2 shown]
	s_waitcnt vmcnt(0) lgkmcnt(7)
	v_mul_f64 v[36:37], v[2:3], v[32:33]
	v_fmac_f64_e32 v[36:37], v[4:5], v[30:31]
	v_add_f64 v[42:43], v[34:35], v[36:37]
	ds_read_b128 v[34:37], v144 offset:496
	v_mul_f64 v[4:5], v[4:5], v[32:33]
	v_fma_f64 v[2:3], v[2:3], v[30:31], -v[4:5]
	v_add_f64 v[2:3], v[6:7], v[2:3]
	s_waitcnt lgkmcnt(0)
	v_mul_f64 v[44:45], v[34:35], v[40:41]
	v_fmac_f64_e32 v[44:45], v[36:37], v[38:39]
	v_add_f64 v[50:51], v[42:43], v[44:45]
	ds_read_b128 v[42:45], v144 offset:512
	v_mul_f64 v[4:5], v[36:37], v[40:41]
	v_fma_f64 v[4:5], v[34:35], v[38:39], -v[4:5]
	v_add_f64 v[2:3], v[2:3], v[4:5]
	s_waitcnt lgkmcnt(0)
	;; [unrolled: 8-line block ×14, first 2 shown]
	v_mul_f64 v[146:147], v[138:139], v[202:203]
	v_fmac_f64_e32 v[146:147], v[140:141], v[200:201]
	v_add_f64 v[142:143], v[142:143], v[146:147]
	v_mul_f64 v[146:147], v[204:205], v[210:211]
	v_fmac_f64_e32 v[146:147], v[206:207], v[208:209]
	v_add_f64 v[142:143], v[142:143], v[146:147]
	;; [unrolled: 3-line block ×7, first 2 shown]
	scratch_load_dwordx4 v[146:149], off, off offset:400
	v_mul_f64 v[4:5], v[140:141], v[202:203]
	v_fma_f64 v[4:5], v[138:139], v[200:201], -v[4:5]
	v_add_f64 v[2:3], v[2:3], v[4:5]
	v_mul_f64 v[4:5], v[206:207], v[210:211]
	v_fma_f64 v[4:5], v[204:205], v[208:209], -v[4:5]
	v_add_f64 v[2:3], v[2:3], v[4:5]
	;; [unrolled: 3-line block ×7, first 2 shown]
	s_waitcnt vmcnt(0)
	v_mul_f64 v[4:5], v[254:255], v[148:149]
	v_fma_f64 v[4:5], v[252:253], v[146:147], -v[4:5]
	v_add_f64 v[6:7], v[2:3], v[4:5]
	scratch_load_dwordx4 v[2:5], off, off
	v_mul_f64 v[150:151], v[252:253], v[148:149]
	v_fmac_f64_e32 v[150:151], v[254:255], v[146:147]
	v_add_f64 v[142:143], v[142:143], v[150:151]
	s_waitcnt vmcnt(0)
	v_add_f64 v[2:3], v[2:3], -v[6:7]
	v_add_f64 v[4:5], v[4:5], -v[142:143]
	scratch_store_dwordx4 off, v[2:5], off
	s_cbranch_vccz .LBB25_220
; %bb.170:
	global_load_dword v2, v144, s[20:21] offset:96
	s_load_dwordx2 s[2:3], s[0:1], 0x4
	v_bfe_u32 v3, v0, 10, 10
	v_bfe_u32 v0, v0, 20, 10
	s_waitcnt lgkmcnt(0)
	s_lshr_b32 s0, s2, 16
	s_mul_i32 s0, s0, s3
	v_mul_u32_u24_e32 v1, s0, v1
	v_mul_u32_u24_e32 v3, s3, v3
	v_add3_u32 v0, v1, v3, v0
	v_mov_b32_e32 v1, 0x348
	v_lshl_add_u32 v0, v0, 4, v1
	s_waitcnt vmcnt(0)
	v_readfirstlane_b32 s0, v2
	s_add_i32 s0, s0, -1
	s_cmp_lg_u32 s0, 24
	s_cbranch_scc0 .LBB25_172
; %bb.171:
	s_lshl_b32 s0, s0, 4
	scratch_load_dwordx4 v[2:5], off, s36
	scratch_load_dwordx4 v[6:9], off, s0
	s_waitcnt vmcnt(1)
	ds_write2_b64 v0, v[2:3], v[4:5] offset1:1
	s_waitcnt vmcnt(0)
	scratch_store_dwordx4 off, v[6:9], s36
	scratch_store_dwordx4 off, v[2:5], s0
.LBB25_172:
	v_mov_b32_e32 v1, 0
	global_load_dword v2, v1, s[20:21] offset:92
	s_waitcnt vmcnt(0)
	v_readfirstlane_b32 s0, v2
	s_add_i32 s0, s0, -1
	s_cmp_eq_u32 s0, 23
	s_cbranch_scc1 .LBB25_174
; %bb.173:
	s_lshl_b32 s0, s0, 4
	scratch_load_dwordx4 v[2:5], off, s35
	scratch_load_dwordx4 v[6:9], off, s0
	s_waitcnt vmcnt(1)
	ds_write2_b64 v0, v[2:3], v[4:5] offset1:1
	s_waitcnt vmcnt(0)
	scratch_store_dwordx4 off, v[6:9], s35
	scratch_store_dwordx4 off, v[2:5], s0
.LBB25_174:
	global_load_dword v1, v1, s[20:21] offset:88
	s_waitcnt vmcnt(0)
	v_readfirstlane_b32 s0, v1
	s_add_i32 s0, s0, -1
	s_cmp_eq_u32 s0, 22
	s_cbranch_scc1 .LBB25_176
; %bb.175:
	s_lshl_b32 s0, s0, 4
	scratch_load_dwordx4 v[2:5], off, s34
	scratch_load_dwordx4 v[6:9], off, s0
	s_waitcnt vmcnt(1)
	ds_write2_b64 v0, v[2:3], v[4:5] offset1:1
	s_waitcnt vmcnt(0)
	scratch_store_dwordx4 off, v[6:9], s34
	scratch_store_dwordx4 off, v[2:5], s0
.LBB25_176:
	v_mov_b32_e32 v1, 0
	global_load_dword v2, v1, s[20:21] offset:84
	s_waitcnt vmcnt(0)
	v_readfirstlane_b32 s0, v2
	s_add_i32 s0, s0, -1
	s_cmp_eq_u32 s0, 21
	s_cbranch_scc1 .LBB25_178
; %bb.177:
	s_lshl_b32 s0, s0, 4
	scratch_load_dwordx4 v[2:5], off, s33
	scratch_load_dwordx4 v[6:9], off, s0
	s_waitcnt vmcnt(1)
	ds_write2_b64 v0, v[2:3], v[4:5] offset1:1
	s_waitcnt vmcnt(0)
	scratch_store_dwordx4 off, v[6:9], s33
	scratch_store_dwordx4 off, v[2:5], s0
.LBB25_178:
	global_load_dword v1, v1, s[20:21] offset:80
	s_waitcnt vmcnt(0)
	v_readfirstlane_b32 s0, v1
	s_add_i32 s0, s0, -1
	s_cmp_eq_u32 s0, 20
	s_cbranch_scc1 .LBB25_180
; %bb.179:
	s_lshl_b32 s0, s0, 4
	scratch_load_dwordx4 v[2:5], off, s31
	scratch_load_dwordx4 v[6:9], off, s0
	s_waitcnt vmcnt(1)
	ds_write2_b64 v0, v[2:3], v[4:5] offset1:1
	s_waitcnt vmcnt(0)
	scratch_store_dwordx4 off, v[6:9], s31
	scratch_store_dwordx4 off, v[2:5], s0
.LBB25_180:
	;; [unrolled: 33-line block ×11, first 2 shown]
	v_mov_b32_e32 v1, 0
	global_load_dword v2, v1, s[20:21] offset:4
	s_waitcnt vmcnt(0)
	v_readfirstlane_b32 s0, v2
	s_add_i32 s0, s0, -1
	s_cmp_eq_u32 s0, 1
	s_cbranch_scc1 .LBB25_218
; %bb.217:
	s_lshl_b32 s0, s0, 4
	scratch_load_dwordx4 v[2:5], off, s18
	scratch_load_dwordx4 v[6:9], off, s0
	s_waitcnt vmcnt(1)
	ds_write2_b64 v0, v[2:3], v[4:5] offset1:1
	s_waitcnt vmcnt(0)
	scratch_store_dwordx4 off, v[6:9], s18
	scratch_store_dwordx4 off, v[2:5], s0
.LBB25_218:
	global_load_dword v1, v1, s[20:21]
	s_waitcnt vmcnt(0)
	v_readfirstlane_b32 s0, v1
	s_add_i32 s0, s0, -1
	s_cmp_eq_u32 s0, 0
	s_cbranch_scc1 .LBB25_220
; %bb.219:
	s_lshl_b32 s0, s0, 4
	scratch_load_dwordx4 v[2:5], off, off
	scratch_load_dwordx4 v[6:9], off, s0
	s_waitcnt vmcnt(1)
	ds_write2_b64 v0, v[2:3], v[4:5] offset1:1
	s_waitcnt vmcnt(0)
	scratch_store_dwordx4 off, v[6:9], off
	scratch_store_dwordx4 off, v[2:5], s0
.LBB25_220:
	scratch_load_dwordx4 v[0:3], off, off
	s_nop 0
	scratch_load_dwordx4 v[4:7], off, s18
	scratch_load_dwordx4 v[8:11], off, s14
	;; [unrolled: 1-line block ×15, first 2 shown]
                                        ; kill: killed $sgpr43
                                        ; kill: killed $sgpr18
                                        ; kill: killed $sgpr28
                                        ; kill: killed $sgpr42
                                        ; kill: killed $sgpr25
                                        ; kill: killed $sgpr41
                                        ; kill: killed $sgpr19
                                        ; kill: killed $sgpr38
                                        ; kill: killed $sgpr16
                                        ; kill: killed $sgpr27
                                        ; kill: killed $sgpr15
                                        ; kill: killed $sgpr24
                                        ; kill: killed $sgpr40
                                        ; kill: killed $sgpr14
                                        ; kill: killed $sgpr17
	scratch_load_dwordx4 v[64:67], off, s26
	scratch_load_dwordx4 v[68:71], off, s29
	;; [unrolled: 1-line block ×3, first 2 shown]
                                        ; kill: killed $sgpr39
                                        ; kill: killed $sgpr29
                                        ; kill: killed $sgpr26
	scratch_load_dwordx4 v[76:79], off, s30
	scratch_load_dwordx4 v[80:83], off, s31
	;; [unrolled: 1-line block ×7, first 2 shown]
	v_accvgpr_read_b32 v105, a1
	v_accvgpr_read_b32 v104, a0
	s_waitcnt vmcnt(25)
	global_store_dwordx4 v[104:105], v[0:3], off
	s_nop 1
	v_accvgpr_read_b32 v0, a2
	v_accvgpr_read_b32 v1, a3
	s_waitcnt vmcnt(25)
	global_store_dwordx4 v[0:1], v[4:7], off
	s_waitcnt vmcnt(25)
	global_store_dwordx4 v[152:153], v[8:11], off
	;; [unrolled: 2-line block ×25, first 2 shown]
	s_endpgm
	.section	.rodata,"a",@progbits
	.p2align	6, 0x0
	.amdhsa_kernel _ZN9rocsolver6v33100L18getri_kernel_smallILi26E19rocblas_complex_numIdEPS3_EEvT1_iilPiilS6_bb
		.amdhsa_group_segment_fixed_size 1864
		.amdhsa_private_segment_fixed_size 432
		.amdhsa_kernarg_size 60
		.amdhsa_user_sgpr_count 4
		.amdhsa_user_sgpr_dispatch_ptr 1
		.amdhsa_user_sgpr_queue_ptr 0
		.amdhsa_user_sgpr_kernarg_segment_ptr 1
		.amdhsa_user_sgpr_dispatch_id 0
		.amdhsa_user_sgpr_kernarg_preload_length 0
		.amdhsa_user_sgpr_kernarg_preload_offset 0
		.amdhsa_user_sgpr_private_segment_size 0
		.amdhsa_uses_dynamic_stack 0
		.amdhsa_enable_private_segment 1
		.amdhsa_system_sgpr_workgroup_id_x 1
		.amdhsa_system_sgpr_workgroup_id_y 0
		.amdhsa_system_sgpr_workgroup_id_z 0
		.amdhsa_system_sgpr_workgroup_info 0
		.amdhsa_system_vgpr_workitem_id 2
		.amdhsa_next_free_vgpr 260
		.amdhsa_next_free_sgpr 44
		.amdhsa_accum_offset 256
		.amdhsa_reserve_vcc 1
		.amdhsa_float_round_mode_32 0
		.amdhsa_float_round_mode_16_64 0
		.amdhsa_float_denorm_mode_32 3
		.amdhsa_float_denorm_mode_16_64 3
		.amdhsa_dx10_clamp 1
		.amdhsa_ieee_mode 1
		.amdhsa_fp16_overflow 0
		.amdhsa_tg_split 0
		.amdhsa_exception_fp_ieee_invalid_op 0
		.amdhsa_exception_fp_denorm_src 0
		.amdhsa_exception_fp_ieee_div_zero 0
		.amdhsa_exception_fp_ieee_overflow 0
		.amdhsa_exception_fp_ieee_underflow 0
		.amdhsa_exception_fp_ieee_inexact 0
		.amdhsa_exception_int_div_zero 0
	.end_amdhsa_kernel
	.section	.text._ZN9rocsolver6v33100L18getri_kernel_smallILi26E19rocblas_complex_numIdEPS3_EEvT1_iilPiilS6_bb,"axG",@progbits,_ZN9rocsolver6v33100L18getri_kernel_smallILi26E19rocblas_complex_numIdEPS3_EEvT1_iilPiilS6_bb,comdat
.Lfunc_end25:
	.size	_ZN9rocsolver6v33100L18getri_kernel_smallILi26E19rocblas_complex_numIdEPS3_EEvT1_iilPiilS6_bb, .Lfunc_end25-_ZN9rocsolver6v33100L18getri_kernel_smallILi26E19rocblas_complex_numIdEPS3_EEvT1_iilPiilS6_bb
                                        ; -- End function
	.set _ZN9rocsolver6v33100L18getri_kernel_smallILi26E19rocblas_complex_numIdEPS3_EEvT1_iilPiilS6_bb.num_vgpr, 256
	.set _ZN9rocsolver6v33100L18getri_kernel_smallILi26E19rocblas_complex_numIdEPS3_EEvT1_iilPiilS6_bb.num_agpr, 4
	.set _ZN9rocsolver6v33100L18getri_kernel_smallILi26E19rocblas_complex_numIdEPS3_EEvT1_iilPiilS6_bb.numbered_sgpr, 44
	.set _ZN9rocsolver6v33100L18getri_kernel_smallILi26E19rocblas_complex_numIdEPS3_EEvT1_iilPiilS6_bb.num_named_barrier, 0
	.set _ZN9rocsolver6v33100L18getri_kernel_smallILi26E19rocblas_complex_numIdEPS3_EEvT1_iilPiilS6_bb.private_seg_size, 432
	.set _ZN9rocsolver6v33100L18getri_kernel_smallILi26E19rocblas_complex_numIdEPS3_EEvT1_iilPiilS6_bb.uses_vcc, 1
	.set _ZN9rocsolver6v33100L18getri_kernel_smallILi26E19rocblas_complex_numIdEPS3_EEvT1_iilPiilS6_bb.uses_flat_scratch, 0
	.set _ZN9rocsolver6v33100L18getri_kernel_smallILi26E19rocblas_complex_numIdEPS3_EEvT1_iilPiilS6_bb.has_dyn_sized_stack, 0
	.set _ZN9rocsolver6v33100L18getri_kernel_smallILi26E19rocblas_complex_numIdEPS3_EEvT1_iilPiilS6_bb.has_recursion, 0
	.set _ZN9rocsolver6v33100L18getri_kernel_smallILi26E19rocblas_complex_numIdEPS3_EEvT1_iilPiilS6_bb.has_indirect_call, 0
	.section	.AMDGPU.csdata,"",@progbits
; Kernel info:
; codeLenInByte = 33308
; TotalNumSgprs: 50
; NumVgprs: 256
; NumAgprs: 4
; TotalNumVgprs: 260
; ScratchSize: 432
; MemoryBound: 0
; FloatMode: 240
; IeeeMode: 1
; LDSByteSize: 1864 bytes/workgroup (compile time only)
; SGPRBlocks: 6
; VGPRBlocks: 32
; NumSGPRsForWavesPerEU: 50
; NumVGPRsForWavesPerEU: 260
; AccumOffset: 256
; Occupancy: 1
; WaveLimiterHint : 1
; COMPUTE_PGM_RSRC2:SCRATCH_EN: 1
; COMPUTE_PGM_RSRC2:USER_SGPR: 4
; COMPUTE_PGM_RSRC2:TRAP_HANDLER: 0
; COMPUTE_PGM_RSRC2:TGID_X_EN: 1
; COMPUTE_PGM_RSRC2:TGID_Y_EN: 0
; COMPUTE_PGM_RSRC2:TGID_Z_EN: 0
; COMPUTE_PGM_RSRC2:TIDIG_COMP_CNT: 2
; COMPUTE_PGM_RSRC3_GFX90A:ACCUM_OFFSET: 63
; COMPUTE_PGM_RSRC3_GFX90A:TG_SPLIT: 0
	.section	.text._ZN9rocsolver6v33100L18getri_kernel_smallILi27E19rocblas_complex_numIdEPS3_EEvT1_iilPiilS6_bb,"axG",@progbits,_ZN9rocsolver6v33100L18getri_kernel_smallILi27E19rocblas_complex_numIdEPS3_EEvT1_iilPiilS6_bb,comdat
	.globl	_ZN9rocsolver6v33100L18getri_kernel_smallILi27E19rocblas_complex_numIdEPS3_EEvT1_iilPiilS6_bb ; -- Begin function _ZN9rocsolver6v33100L18getri_kernel_smallILi27E19rocblas_complex_numIdEPS3_EEvT1_iilPiilS6_bb
	.p2align	8
	.type	_ZN9rocsolver6v33100L18getri_kernel_smallILi27E19rocblas_complex_numIdEPS3_EEvT1_iilPiilS6_bb,@function
_ZN9rocsolver6v33100L18getri_kernel_smallILi27E19rocblas_complex_numIdEPS3_EEvT1_iilPiilS6_bb: ; @_ZN9rocsolver6v33100L18getri_kernel_smallILi27E19rocblas_complex_numIdEPS3_EEvT1_iilPiilS6_bb
; %bb.0:
	v_and_b32_e32 v1, 0x3ff, v0
	v_cmp_gt_u32_e32 vcc, 27, v1
	s_and_saveexec_b64 s[6:7], vcc
	s_cbranch_execz .LBB26_122
; %bb.1:
	s_load_dword s6, s[2:3], 0x38
	s_load_dwordx4 s[16:19], s[2:3], 0x10
	s_load_dwordx4 s[8:11], s[2:3], 0x28
                                        ; implicit-def: $sgpr20_sgpr21
	s_waitcnt lgkmcnt(0)
	s_bitcmp1_b32 s6, 8
	s_cselect_b64 s[22:23], -1, 0
	s_ashr_i32 s5, s4, 31
	s_bfe_u32 s6, s6, 0x10008
	s_cmp_eq_u32 s6, 0
	s_cbranch_scc1 .LBB26_3
; %bb.2:
	s_load_dword s6, s[2:3], 0x20
	s_mul_i32 s7, s8, s5
	s_mul_hi_u32 s12, s8, s4
	s_mul_i32 s9, s9, s4
	s_add_i32 s12, s12, s7
	s_add_i32 s9, s12, s9
	s_mul_i32 s8, s8, s4
	s_waitcnt lgkmcnt(0)
	s_ashr_i32 s7, s6, 31
	s_lshl_b64 s[8:9], s[8:9], 2
	s_add_u32 s8, s18, s8
	s_addc_u32 s9, s19, s9
	s_lshl_b64 s[6:7], s[6:7], 2
	s_add_u32 s20, s8, s6
	s_addc_u32 s21, s9, s7
.LBB26_3:
	s_load_dwordx4 s[12:15], s[2:3], 0x0
	s_load_dword s6, s[2:3], 0x38
	s_mul_i32 s7, s16, s5
	s_mul_hi_u32 s8, s16, s4
	s_add_i32 s7, s8, s7
	s_mul_i32 s8, s17, s4
	s_add_i32 s9, s7, s8
	s_mul_i32 s8, s16, s4
	s_waitcnt lgkmcnt(0)
	s_ashr_i32 s3, s14, 31
	s_lshl_b64 s[8:9], s[8:9], 4
	s_mov_b32 s2, s14
	s_add_u32 s7, s12, s8
	s_addc_u32 s8, s13, s9
	s_lshl_b64 s[2:3], s[2:3], 4
	s_add_u32 s2, s7, s2
	s_addc_u32 s3, s8, s3
	s_add_i32 s7, s15, s15
	v_add_u32_e32 v16, s7, v1
	v_ashrrev_i32_e32 v17, 31, v16
	v_lshl_add_u64 v[10:11], v[16:17], 4, s[2:3]
	v_add_u32_e32 v16, s15, v16
	v_add_u32_e32 v24, s15, v16
	v_ashrrev_i32_e32 v25, 31, v24
	v_lshl_add_u64 v[20:21], v[24:25], 4, s[2:3]
	v_add_u32_e32 v24, s15, v24
	;; [unrolled: 4-line block ×3, first 2 shown]
	v_ashrrev_i32_e32 v33, 31, v32
	v_lshl_add_u64 v[182:183], v[32:33], 4, s[2:3]
	v_add_u32_e32 v32, s15, v32
	v_add_u32_e32 v40, s15, v32
	;; [unrolled: 1-line block ×6, first 2 shown]
	v_ashrrev_i32_e32 v57, 31, v56
	v_lshl_add_u64 v[194:195], v[56:57], 4, s[2:3]
	v_add_u32_e32 v56, s15, v56
	v_add_u32_e32 v64, s15, v56
	;; [unrolled: 1-line block ×5, first 2 shown]
	v_ashrrev_i32_e32 v81, 31, v80
	v_lshl_add_u64 v[204:205], v[80:81], 4, s[2:3]
	v_add_u32_e32 v80, s15, v80
	v_add_u32_e32 v88, s15, v80
	v_ashrrev_i32_e32 v89, 31, v88
	v_lshl_add_u64 v[208:209], v[88:89], 4, s[2:3]
	v_add_u32_e32 v88, s15, v88
	v_add_u32_e32 v96, s15, v88
	;; [unrolled: 4-line block ×3, first 2 shown]
	v_lshlrev_b32_e32 v14, 4, v1
	v_mov_b32_e32 v15, 0
	v_ashrrev_i32_e32 v105, 31, v104
	v_lshl_add_u64 v[6:7], s[2:3], 0, v[14:15]
	v_lshl_add_u64 v[216:217], v[104:105], 4, s[2:3]
	v_add_u32_e32 v104, s15, v104
	s_ashr_i32 s9, s15, 31
	s_mov_b32 s8, s15
	v_accvgpr_write_b32 a0, v6
	v_ashrrev_i32_e32 v17, 31, v16
	v_ashrrev_i32_e32 v25, 31, v24
	v_ashrrev_i32_e32 v105, 31, v104
	v_accvgpr_write_b32 a1, v7
	v_lshl_add_u64 v[6:7], s[8:9], 4, v[6:7]
	v_lshl_add_u64 v[18:19], v[16:17], 4, s[2:3]
	;; [unrolled: 1-line block ×3, first 2 shown]
	v_ashrrev_i32_e32 v41, 31, v40
	v_ashrrev_i32_e32 v49, 31, v48
	;; [unrolled: 1-line block ×7, first 2 shown]
	v_lshl_add_u64 v[218:219], v[104:105], 4, s[2:3]
	v_add_u32_e32 v104, s15, v104
	v_accvgpr_write_b32 a2, v6
	v_accvgpr_write_b32 a4, v10
	;; [unrolled: 1-line block ×5, first 2 shown]
	v_ashrrev_i32_e32 v33, 31, v32
	v_lshl_add_u64 v[186:187], v[40:41], 4, s[2:3]
	v_ashrrev_i32_e32 v43, 31, v42
	v_lshl_add_u64 v[190:191], v[48:49], 4, s[2:3]
	v_ashrrev_i32_e32 v51, 31, v50
	v_ashrrev_i32_e32 v57, 31, v56
	v_lshl_add_u64 v[198:199], v[64:65], 4, s[2:3]
	v_ashrrev_i32_e32 v67, 31, v66
	v_lshl_add_u64 v[202:203], v[72:73], 4, s[2:3]
	v_lshl_add_u64 v[206:207], v[80:81], 4, s[2:3]
	;; [unrolled: 1-line block ×4, first 2 shown]
	v_ashrrev_i32_e32 v105, 31, v104
	global_load_dwordx4 v[2:5], v14, s[2:3]
	v_accvgpr_write_b32 a3, v7
	global_load_dwordx4 v[6:9], v[6:7], off
	v_accvgpr_write_b32 a5, v11
	global_load_dwordx4 v[10:13], v[10:11], off
	;; [unrolled: 2-line block ×5, first 2 shown]
	s_nop 0
	global_load_dwordx4 v[28:31], v[180:181], off
	v_lshl_add_u64 v[184:185], v[32:33], 4, s[2:3]
	global_load_dwordx4 v[32:35], v[182:183], off
	global_load_dwordx4 v[36:39], v[184:185], off
	v_lshl_add_u64 v[188:189], v[42:43], 4, s[2:3]
	global_load_dwordx4 v[40:43], v[186:187], off
	;; [unrolled: 3-line block ×5, first 2 shown]
	global_load_dwordx4 v[68:71], v[200:201], off
	global_load_dwordx4 v[72:75], v[202:203], off
	;; [unrolled: 1-line block ×9, first 2 shown]
	v_lshl_add_u64 v[220:221], v[104:105], 4, s[2:3]
	global_load_dwordx4 v[104:107], v[218:219], off
	global_load_dwordx4 v[108:111], v[220:221], off
	s_mov_b32 s18, 16
	s_mov_b32 s14, 32
	;; [unrolled: 1-line block ×4, first 2 shown]
	s_movk_i32 s19, 0x50
	s_movk_i32 s25, 0x60
	;; [unrolled: 1-line block ×22, first 2 shown]
	s_bitcmp0_b32 s6, 0
	s_mov_b64 s[6:7], -1
	s_waitcnt vmcnt(26)
	scratch_store_dwordx4 off, v[2:5], off
	s_waitcnt vmcnt(26)
	scratch_store_dwordx4 off, v[6:9], off offset:16
	s_waitcnt vmcnt(26)
	scratch_store_dwordx4 off, v[10:13], off offset:32
	;; [unrolled: 2-line block ×26, first 2 shown]
	s_cbranch_scc1 .LBB26_120
; %bb.4:
	v_cmp_eq_u32_e64 s[2:3], 0, v1
	s_and_saveexec_b64 s[6:7], s[2:3]
; %bb.5:
	v_mov_b32_e32 v2, 0
	ds_write_b32 v2, v2 offset:864
; %bb.6:
	s_or_b64 exec, exec, s[6:7]
	s_waitcnt lgkmcnt(0)
	; wave barrier
	scratch_load_dwordx4 v[2:5], v14, off
	s_waitcnt vmcnt(0)
	v_cmp_eq_f64_e32 vcc, 0, v[2:3]
	v_cmp_eq_f64_e64 s[6:7], 0, v[4:5]
	s_and_b64 s[6:7], vcc, s[6:7]
	s_and_saveexec_b64 s[8:9], s[6:7]
	s_cbranch_execz .LBB26_10
; %bb.7:
	v_mov_b32_e32 v2, 0
	ds_read_b32 v4, v2 offset:864
	v_add_u32_e32 v3, 1, v1
	s_waitcnt lgkmcnt(0)
	v_readfirstlane_b32 s6, v4
	s_cmp_eq_u32 s6, 0
	s_cselect_b64 s[12:13], -1, 0
	v_cmp_gt_i32_e32 vcc, s6, v3
	s_or_b64 s[12:13], s[12:13], vcc
	s_and_b64 exec, exec, s[12:13]
	s_cbranch_execz .LBB26_10
; %bb.8:
	s_mov_b64 s[12:13], 0
	v_mov_b32_e32 v4, s6
.LBB26_9:                               ; =>This Inner Loop Header: Depth=1
	ds_cmpst_rtn_b32 v4, v2, v4, v3 offset:864
	s_waitcnt lgkmcnt(0)
	v_cmp_ne_u32_e32 vcc, 0, v4
	v_cmp_le_i32_e64 s[6:7], v4, v3
	s_and_b64 s[6:7], vcc, s[6:7]
	s_and_b64 s[6:7], exec, s[6:7]
	s_or_b64 s[12:13], s[6:7], s[12:13]
	s_andn2_b64 exec, exec, s[12:13]
	s_cbranch_execnz .LBB26_9
.LBB26_10:
	s_or_b64 exec, exec, s[8:9]
	v_mov_b32_e32 v3, 0
	; wave barrier
	ds_read_b32 v2, v3 offset:864
	s_and_saveexec_b64 s[6:7], s[2:3]
	s_cbranch_execz .LBB26_12
; %bb.11:
	s_lshl_b64 s[8:9], s[4:5], 2
	s_add_u32 s8, s10, s8
	s_addc_u32 s9, s11, s9
	s_waitcnt lgkmcnt(0)
	global_store_dword v3, v2, s[8:9]
.LBB26_12:
	s_or_b64 exec, exec, s[6:7]
	s_waitcnt lgkmcnt(0)
	v_cmp_ne_u32_e32 vcc, 0, v2
	s_mov_b64 s[6:7], 0
	s_cbranch_vccnz .LBB26_120
; %bb.13:
	v_mov_b32_e32 v15, v14
	scratch_load_dwordx4 v[2:5], v15, off
                                        ; implicit-def: $vgpr6_vgpr7
                                        ; implicit-def: $vgpr10_vgpr11
	s_waitcnt vmcnt(0)
	v_cmp_ngt_f64_e64 s[6:7], |v[2:3]|, |v[4:5]|
	s_and_saveexec_b64 s[8:9], s[6:7]
	s_xor_b64 s[6:7], exec, s[8:9]
	s_cbranch_execz .LBB26_15
; %bb.14:
	v_div_scale_f64 v[6:7], s[8:9], v[4:5], v[4:5], v[2:3]
	v_rcp_f64_e32 v[8:9], v[6:7]
	v_div_scale_f64 v[10:11], vcc, v[2:3], v[4:5], v[2:3]
	v_fma_f64 v[12:13], -v[6:7], v[8:9], 1.0
	v_fmac_f64_e32 v[8:9], v[8:9], v[12:13]
	v_fma_f64 v[12:13], -v[6:7], v[8:9], 1.0
	v_fmac_f64_e32 v[8:9], v[8:9], v[12:13]
	v_mul_f64 v[12:13], v[10:11], v[8:9]
	v_fma_f64 v[6:7], -v[6:7], v[12:13], v[10:11]
	v_div_fmas_f64 v[6:7], v[6:7], v[8:9], v[12:13]
	v_div_fixup_f64 v[6:7], v[6:7], v[4:5], v[2:3]
	v_fmac_f64_e32 v[4:5], v[2:3], v[6:7]
	v_div_scale_f64 v[2:3], s[8:9], v[4:5], v[4:5], 1.0
	v_rcp_f64_e32 v[8:9], v[2:3]
	s_nop 0
	v_fma_f64 v[10:11], -v[2:3], v[8:9], 1.0
	v_fmac_f64_e32 v[8:9], v[8:9], v[10:11]
	v_fma_f64 v[10:11], -v[2:3], v[8:9], 1.0
	v_fmac_f64_e32 v[8:9], v[8:9], v[10:11]
	v_div_scale_f64 v[10:11], vcc, 1.0, v[4:5], 1.0
	v_mul_f64 v[12:13], v[10:11], v[8:9]
	v_fma_f64 v[2:3], -v[2:3], v[12:13], v[10:11]
	s_nop 1
	v_div_fmas_f64 v[2:3], v[2:3], v[8:9], v[12:13]
	v_div_fixup_f64 v[8:9], v[2:3], v[4:5], 1.0
	v_mul_f64 v[6:7], v[6:7], v[8:9]
	v_xor_b32_e32 v9, 0x80000000, v9
	v_xor_b32_e32 v11, 0x80000000, v7
	v_mov_b32_e32 v10, v6
                                        ; implicit-def: $vgpr2_vgpr3
.LBB26_15:
	s_andn2_saveexec_b64 s[6:7], s[6:7]
	s_cbranch_execz .LBB26_17
; %bb.16:
	v_div_scale_f64 v[6:7], s[8:9], v[2:3], v[2:3], v[4:5]
	v_rcp_f64_e32 v[8:9], v[6:7]
	v_div_scale_f64 v[10:11], vcc, v[4:5], v[2:3], v[4:5]
	v_fma_f64 v[12:13], -v[6:7], v[8:9], 1.0
	v_fmac_f64_e32 v[8:9], v[8:9], v[12:13]
	v_fma_f64 v[12:13], -v[6:7], v[8:9], 1.0
	v_fmac_f64_e32 v[8:9], v[8:9], v[12:13]
	v_mul_f64 v[12:13], v[10:11], v[8:9]
	v_fma_f64 v[6:7], -v[6:7], v[12:13], v[10:11]
	v_div_fmas_f64 v[6:7], v[6:7], v[8:9], v[12:13]
	v_div_fixup_f64 v[8:9], v[6:7], v[2:3], v[4:5]
	v_fmac_f64_e32 v[2:3], v[4:5], v[8:9]
	v_div_scale_f64 v[4:5], s[8:9], v[2:3], v[2:3], 1.0
	v_rcp_f64_e32 v[6:7], v[4:5]
	s_nop 0
	v_fma_f64 v[10:11], -v[4:5], v[6:7], 1.0
	v_fmac_f64_e32 v[6:7], v[6:7], v[10:11]
	v_fma_f64 v[10:11], -v[4:5], v[6:7], 1.0
	v_fmac_f64_e32 v[6:7], v[6:7], v[10:11]
	v_div_scale_f64 v[10:11], vcc, 1.0, v[2:3], 1.0
	v_mul_f64 v[12:13], v[10:11], v[6:7]
	v_fma_f64 v[4:5], -v[4:5], v[12:13], v[10:11]
	s_nop 1
	v_div_fmas_f64 v[4:5], v[4:5], v[6:7], v[12:13]
	v_div_fixup_f64 v[6:7], v[4:5], v[2:3], 1.0
	v_xor_b32_e32 v11, 0x80000000, v7
	v_mov_b32_e32 v10, v6
	v_mul_f64 v[8:9], v[8:9], -v[6:7]
.LBB26_17:
	s_or_b64 exec, exec, s[6:7]
	scratch_store_dwordx4 v15, v[6:9], off
	scratch_load_dwordx4 v[2:5], off, s18
	v_xor_b32_e32 v13, 0x80000000, v9
	v_mov_b32_e32 v12, v8
	v_add_u32_e32 v6, 0x1b0, v14
	ds_write_b128 v14, v[10:13]
	s_waitcnt vmcnt(0)
	ds_write_b128 v14, v[2:5] offset:432
	s_waitcnt lgkmcnt(0)
	; wave barrier
	s_and_saveexec_b64 s[6:7], s[2:3]
	s_cbranch_execz .LBB26_19
; %bb.18:
	scratch_load_dwordx4 v[2:5], v15, off
	ds_read_b128 v[8:11], v6
	v_mov_b32_e32 v7, 0
	ds_read_b128 v[16:19], v7 offset:16
	s_waitcnt vmcnt(0) lgkmcnt(1)
	v_mul_f64 v[12:13], v[10:11], v[4:5]
	v_mul_f64 v[4:5], v[8:9], v[4:5]
	v_fma_f64 v[8:9], v[8:9], v[2:3], -v[12:13]
	v_fmac_f64_e32 v[4:5], v[10:11], v[2:3]
	v_add_f64 v[2:3], v[8:9], 0
	v_add_f64 v[8:9], v[4:5], 0
	s_waitcnt lgkmcnt(0)
	v_mul_f64 v[10:11], v[8:9], v[18:19]
	v_mul_f64 v[4:5], v[2:3], v[18:19]
	v_fma_f64 v[2:3], v[2:3], v[16:17], -v[10:11]
	v_fmac_f64_e32 v[4:5], v[8:9], v[16:17]
	scratch_store_dwordx4 off, v[2:5], off offset:16
.LBB26_19:
	s_or_b64 exec, exec, s[6:7]
	; wave barrier
	scratch_load_dwordx4 v[2:5], off, s14
	v_cmp_gt_u32_e32 vcc, 2, v1
	s_waitcnt vmcnt(0)
	ds_write_b128 v6, v[2:5]
	s_waitcnt lgkmcnt(0)
	; wave barrier
	s_and_saveexec_b64 s[6:7], vcc
	s_cbranch_execz .LBB26_23
; %bb.20:
	scratch_load_dwordx4 v[2:5], v15, off
	ds_read_b128 v[8:11], v6
	s_waitcnt vmcnt(0) lgkmcnt(0)
	v_mul_f64 v[12:13], v[10:11], v[4:5]
	v_mul_f64 v[16:17], v[8:9], v[4:5]
	v_fma_f64 v[4:5], v[8:9], v[2:3], -v[12:13]
	v_fmac_f64_e32 v[16:17], v[10:11], v[2:3]
	v_add_f64 v[4:5], v[4:5], 0
	v_add_f64 v[2:3], v[16:17], 0
	s_and_saveexec_b64 s[8:9], s[2:3]
	s_cbranch_execz .LBB26_22
; %bb.21:
	scratch_load_dwordx4 v[8:11], off, off offset:16
	v_mov_b32_e32 v7, 0
	ds_read_b128 v[16:19], v7 offset:448
	s_waitcnt vmcnt(0) lgkmcnt(0)
	v_mul_f64 v[12:13], v[16:17], v[10:11]
	v_mul_f64 v[10:11], v[18:19], v[10:11]
	v_fmac_f64_e32 v[12:13], v[18:19], v[8:9]
	v_fma_f64 v[8:9], v[16:17], v[8:9], -v[10:11]
	v_add_f64 v[2:3], v[2:3], v[12:13]
	v_add_f64 v[4:5], v[4:5], v[8:9]
.LBB26_22:
	s_or_b64 exec, exec, s[8:9]
	v_mov_b32_e32 v7, 0
	ds_read_b128 v[8:11], v7 offset:32
	s_waitcnt lgkmcnt(0)
	v_mul_f64 v[16:17], v[2:3], v[10:11]
	v_mul_f64 v[12:13], v[4:5], v[10:11]
	v_fma_f64 v[10:11], v[4:5], v[8:9], -v[16:17]
	v_fmac_f64_e32 v[12:13], v[2:3], v[8:9]
	scratch_store_dwordx4 off, v[10:13], off offset:32
.LBB26_23:
	s_or_b64 exec, exec, s[6:7]
	; wave barrier
	scratch_load_dwordx4 v[2:5], off, s15
	v_cmp_gt_u32_e32 vcc, 3, v1
	v_add_u32_e32 v7, -1, v1
	s_waitcnt vmcnt(0)
	ds_write_b128 v6, v[2:5]
	s_waitcnt lgkmcnt(0)
	; wave barrier
	s_and_saveexec_b64 s[2:3], vcc
	s_cbranch_execz .LBB26_27
; %bb.24:
	v_add_u32_e32 v8, -1, v1
	v_add_u32_e32 v9, 0x1b0, v14
	v_mov_b32_e32 v10, v14
	v_mov_b64_e32 v[2:3], 0
	s_mov_b64 s[6:7], 0
	v_mov_b64_e32 v[4:5], 0
.LBB26_25:                              ; =>This Inner Loop Header: Depth=1
	scratch_load_dwordx4 v[16:19], v10, off
	ds_read_b128 v[20:23], v9
	v_add_u32_e32 v8, 1, v8
	v_cmp_lt_u32_e32 vcc, 1, v8
	v_add_u32_e32 v9, 16, v9
	v_add_u32_e32 v10, 16, v10
	s_or_b64 s[6:7], vcc, s[6:7]
	s_waitcnt vmcnt(0) lgkmcnt(0)
	v_mul_f64 v[12:13], v[22:23], v[18:19]
	v_mul_f64 v[18:19], v[20:21], v[18:19]
	v_fma_f64 v[12:13], v[20:21], v[16:17], -v[12:13]
	v_fmac_f64_e32 v[18:19], v[22:23], v[16:17]
	v_add_f64 v[4:5], v[4:5], v[12:13]
	v_add_f64 v[2:3], v[2:3], v[18:19]
	s_andn2_b64 exec, exec, s[6:7]
	s_cbranch_execnz .LBB26_25
; %bb.26:
	s_or_b64 exec, exec, s[6:7]
	v_mov_b32_e32 v8, 0
	ds_read_b128 v[8:11], v8 offset:48
	s_waitcnt lgkmcnt(0)
	v_mul_f64 v[16:17], v[2:3], v[10:11]
	v_mul_f64 v[12:13], v[4:5], v[10:11]
	v_fma_f64 v[10:11], v[4:5], v[8:9], -v[16:17]
	v_fmac_f64_e32 v[12:13], v[2:3], v[8:9]
	scratch_store_dwordx4 off, v[10:13], off offset:48
.LBB26_27:
	s_or_b64 exec, exec, s[2:3]
	; wave barrier
	scratch_load_dwordx4 v[2:5], off, s16
	v_cmp_gt_u32_e32 vcc, 4, v1
	s_waitcnt vmcnt(0)
	ds_write_b128 v6, v[2:5]
	s_waitcnt lgkmcnt(0)
	; wave barrier
	s_and_saveexec_b64 s[2:3], vcc
	s_cbranch_execz .LBB26_31
; %bb.28:
	v_add_u32_e32 v8, -1, v1
	v_add_u32_e32 v9, 0x1b0, v14
	v_mov_b32_e32 v10, v14
	v_mov_b64_e32 v[2:3], 0
	s_mov_b64 s[6:7], 0
	v_mov_b64_e32 v[4:5], 0
.LBB26_29:                              ; =>This Inner Loop Header: Depth=1
	scratch_load_dwordx4 v[16:19], v10, off
	ds_read_b128 v[20:23], v9
	v_add_u32_e32 v8, 1, v8
	v_cmp_lt_u32_e32 vcc, 2, v8
	v_add_u32_e32 v9, 16, v9
	v_add_u32_e32 v10, 16, v10
	s_or_b64 s[6:7], vcc, s[6:7]
	s_waitcnt vmcnt(0) lgkmcnt(0)
	v_mul_f64 v[12:13], v[22:23], v[18:19]
	v_mul_f64 v[18:19], v[20:21], v[18:19]
	v_fma_f64 v[12:13], v[20:21], v[16:17], -v[12:13]
	v_fmac_f64_e32 v[18:19], v[22:23], v[16:17]
	v_add_f64 v[4:5], v[4:5], v[12:13]
	v_add_f64 v[2:3], v[2:3], v[18:19]
	s_andn2_b64 exec, exec, s[6:7]
	s_cbranch_execnz .LBB26_29
; %bb.30:
	s_or_b64 exec, exec, s[6:7]
	v_mov_b32_e32 v8, 0
	ds_read_b128 v[8:11], v8 offset:64
	s_waitcnt lgkmcnt(0)
	v_mul_f64 v[16:17], v[2:3], v[10:11]
	v_mul_f64 v[12:13], v[4:5], v[10:11]
	v_fma_f64 v[10:11], v[4:5], v[8:9], -v[16:17]
	v_fmac_f64_e32 v[12:13], v[2:3], v[8:9]
	scratch_store_dwordx4 off, v[10:13], off offset:64
.LBB26_31:
	s_or_b64 exec, exec, s[2:3]
	; wave barrier
	scratch_load_dwordx4 v[2:5], off, s19
	v_cmp_gt_u32_e32 vcc, 5, v1
	;; [unrolled: 45-line block ×19, first 2 shown]
	s_waitcnt vmcnt(0)
	ds_write_b128 v6, v[2:5]
	s_waitcnt lgkmcnt(0)
	; wave barrier
	s_and_saveexec_b64 s[2:3], vcc
	s_cbranch_execz .LBB26_103
; %bb.100:
	v_add_u32_e32 v8, -1, v1
	v_add_u32_e32 v9, 0x1b0, v14
	v_mov_b32_e32 v10, v14
	v_mov_b64_e32 v[2:3], 0
	s_mov_b64 s[6:7], 0
	v_mov_b64_e32 v[4:5], 0
.LBB26_101:                             ; =>This Inner Loop Header: Depth=1
	scratch_load_dwordx4 v[16:19], v10, off
	ds_read_b128 v[20:23], v9
	v_add_u32_e32 v8, 1, v8
	v_cmp_lt_u32_e32 vcc, 20, v8
	v_add_u32_e32 v9, 16, v9
	v_add_u32_e32 v10, 16, v10
	s_or_b64 s[6:7], vcc, s[6:7]
	s_waitcnt vmcnt(0) lgkmcnt(0)
	v_mul_f64 v[12:13], v[22:23], v[18:19]
	v_mul_f64 v[18:19], v[20:21], v[18:19]
	v_fma_f64 v[12:13], v[20:21], v[16:17], -v[12:13]
	v_fmac_f64_e32 v[18:19], v[22:23], v[16:17]
	v_add_f64 v[4:5], v[4:5], v[12:13]
	v_add_f64 v[2:3], v[2:3], v[18:19]
	s_andn2_b64 exec, exec, s[6:7]
	s_cbranch_execnz .LBB26_101
; %bb.102:
	s_or_b64 exec, exec, s[6:7]
	v_mov_b32_e32 v8, 0
	ds_read_b128 v[8:11], v8 offset:352
	s_waitcnt lgkmcnt(0)
	v_mul_f64 v[16:17], v[2:3], v[10:11]
	v_mul_f64 v[12:13], v[4:5], v[10:11]
	v_fma_f64 v[10:11], v[4:5], v[8:9], -v[16:17]
	v_fmac_f64_e32 v[12:13], v[2:3], v[8:9]
	scratch_store_dwordx4 off, v[10:13], off offset:352
.LBB26_103:
	s_or_b64 exec, exec, s[2:3]
	; wave barrier
	scratch_load_dwordx4 v[2:5], off, s35
	v_cmp_gt_u32_e32 vcc, 23, v1
	s_waitcnt vmcnt(0)
	ds_write_b128 v6, v[2:5]
	s_waitcnt lgkmcnt(0)
	; wave barrier
	s_and_saveexec_b64 s[2:3], vcc
	s_cbranch_execz .LBB26_107
; %bb.104:
	v_add_u32_e32 v8, -1, v1
	v_add_u32_e32 v9, 0x1b0, v14
	v_mov_b32_e32 v10, v14
	v_mov_b64_e32 v[2:3], 0
	s_mov_b64 s[6:7], 0
	v_mov_b64_e32 v[4:5], 0
.LBB26_105:                             ; =>This Inner Loop Header: Depth=1
	scratch_load_dwordx4 v[16:19], v10, off
	ds_read_b128 v[20:23], v9
	v_add_u32_e32 v8, 1, v8
	v_cmp_lt_u32_e32 vcc, 21, v8
	v_add_u32_e32 v9, 16, v9
	v_add_u32_e32 v10, 16, v10
	s_or_b64 s[6:7], vcc, s[6:7]
	s_waitcnt vmcnt(0) lgkmcnt(0)
	v_mul_f64 v[12:13], v[22:23], v[18:19]
	v_mul_f64 v[18:19], v[20:21], v[18:19]
	v_fma_f64 v[12:13], v[20:21], v[16:17], -v[12:13]
	v_fmac_f64_e32 v[18:19], v[22:23], v[16:17]
	v_add_f64 v[4:5], v[4:5], v[12:13]
	v_add_f64 v[2:3], v[2:3], v[18:19]
	s_andn2_b64 exec, exec, s[6:7]
	s_cbranch_execnz .LBB26_105
; %bb.106:
	s_or_b64 exec, exec, s[6:7]
	v_mov_b32_e32 v8, 0
	ds_read_b128 v[8:11], v8 offset:368
	s_waitcnt lgkmcnt(0)
	v_mul_f64 v[16:17], v[2:3], v[10:11]
	v_mul_f64 v[12:13], v[4:5], v[10:11]
	v_fma_f64 v[10:11], v[4:5], v[8:9], -v[16:17]
	v_fmac_f64_e32 v[12:13], v[2:3], v[8:9]
	scratch_store_dwordx4 off, v[10:13], off offset:368
.LBB26_107:
	s_or_b64 exec, exec, s[2:3]
	; wave barrier
	scratch_load_dwordx4 v[2:5], off, s36
	v_cmp_gt_u32_e32 vcc, 24, v1
	;; [unrolled: 45-line block ×3, first 2 shown]
	s_waitcnt vmcnt(0)
	ds_write_b128 v6, v[2:5]
	s_waitcnt lgkmcnt(0)
	; wave barrier
	s_and_saveexec_b64 s[2:3], vcc
	s_cbranch_execz .LBB26_115
; %bb.112:
	v_add_u32_e32 v8, -1, v1
	v_add_u32_e32 v9, 0x1b0, v14
	v_mov_b32_e32 v10, v14
	v_mov_b64_e32 v[2:3], 0
	s_mov_b64 s[6:7], 0
	v_mov_b64_e32 v[4:5], 0
.LBB26_113:                             ; =>This Inner Loop Header: Depth=1
	scratch_load_dwordx4 v[16:19], v10, off
	ds_read_b128 v[20:23], v9
	v_add_u32_e32 v8, 1, v8
	v_cmp_lt_u32_e32 vcc, 23, v8
	v_add_u32_e32 v9, 16, v9
	v_add_u32_e32 v10, 16, v10
	s_or_b64 s[6:7], vcc, s[6:7]
	s_waitcnt vmcnt(0) lgkmcnt(0)
	v_mul_f64 v[12:13], v[22:23], v[18:19]
	v_mul_f64 v[18:19], v[20:21], v[18:19]
	v_fma_f64 v[12:13], v[20:21], v[16:17], -v[12:13]
	v_fmac_f64_e32 v[18:19], v[22:23], v[16:17]
	v_add_f64 v[4:5], v[4:5], v[12:13]
	v_add_f64 v[2:3], v[2:3], v[18:19]
	s_andn2_b64 exec, exec, s[6:7]
	s_cbranch_execnz .LBB26_113
; %bb.114:
	s_or_b64 exec, exec, s[6:7]
	v_mov_b32_e32 v8, 0
	ds_read_b128 v[8:11], v8 offset:400
	s_waitcnt lgkmcnt(0)
	v_mul_f64 v[16:17], v[2:3], v[10:11]
	v_mul_f64 v[12:13], v[4:5], v[10:11]
	v_fma_f64 v[10:11], v[4:5], v[8:9], -v[16:17]
	v_fmac_f64_e32 v[12:13], v[2:3], v[8:9]
	scratch_store_dwordx4 off, v[10:13], off offset:400
.LBB26_115:
	s_or_b64 exec, exec, s[2:3]
	; wave barrier
	scratch_load_dwordx4 v[2:5], off, s38
	v_cmp_ne_u32_e32 vcc, 26, v1
	s_waitcnt vmcnt(0)
	ds_write_b128 v6, v[2:5]
	s_waitcnt lgkmcnt(0)
	; wave barrier
	s_and_saveexec_b64 s[2:3], vcc
	s_cbranch_execz .LBB26_119
; %bb.116:
	v_add_u32_e32 v6, 0x1b0, v14
	v_mov_b32_e32 v8, v14
	v_mov_b64_e32 v[2:3], 0
	s_mov_b64 s[6:7], 0
	v_mov_b64_e32 v[4:5], 0
.LBB26_117:                             ; =>This Inner Loop Header: Depth=1
	scratch_load_dwordx4 v[10:13], v8, off
	ds_read_b128 v[14:17], v6
	v_add_u32_e32 v7, 1, v7
	v_cmp_lt_u32_e32 vcc, 24, v7
	v_add_u32_e32 v6, 16, v6
	v_add_u32_e32 v8, 16, v8
	s_or_b64 s[6:7], vcc, s[6:7]
	s_waitcnt vmcnt(0) lgkmcnt(0)
	v_mul_f64 v[18:19], v[16:17], v[12:13]
	v_mul_f64 v[12:13], v[14:15], v[12:13]
	v_fma_f64 v[14:15], v[14:15], v[10:11], -v[18:19]
	v_fmac_f64_e32 v[12:13], v[16:17], v[10:11]
	v_add_f64 v[4:5], v[4:5], v[14:15]
	v_add_f64 v[2:3], v[2:3], v[12:13]
	s_andn2_b64 exec, exec, s[6:7]
	s_cbranch_execnz .LBB26_117
; %bb.118:
	s_or_b64 exec, exec, s[6:7]
	v_mov_b32_e32 v6, 0
	ds_read_b128 v[6:9], v6 offset:416
	s_waitcnt lgkmcnt(0)
	v_mul_f64 v[12:13], v[2:3], v[8:9]
	v_mul_f64 v[10:11], v[4:5], v[8:9]
	v_fma_f64 v[8:9], v[4:5], v[6:7], -v[12:13]
	v_fmac_f64_e32 v[10:11], v[2:3], v[6:7]
	scratch_store_dwordx4 off, v[8:11], off offset:416
.LBB26_119:
	s_or_b64 exec, exec, s[2:3]
	s_mov_b64 s[6:7], -1
	; wave barrier
.LBB26_120:
	s_and_b64 vcc, exec, s[6:7]
	s_cbranch_vccz .LBB26_122
; %bb.121:
	s_lshl_b64 s[2:3], s[4:5], 2
	s_add_u32 s2, s10, s2
	s_addc_u32 s3, s11, s3
	v_mov_b32_e32 v2, 0
	global_load_dword v2, v2, s[2:3]
	s_waitcnt vmcnt(0)
	v_cmp_ne_u32_e32 vcc, 0, v2
	s_cbranch_vccz .LBB26_123
.LBB26_122:
	s_endpgm
.LBB26_123:
	v_mov_b32_e32 v2, 0x1b0
	v_lshl_add_u32 v150, v1, 4, v2
	v_cmp_eq_u32_e32 vcc, 26, v1
	s_and_saveexec_b64 s[2:3], vcc
	s_cbranch_execz .LBB26_125
; %bb.124:
	scratch_load_dwordx4 v[2:5], off, s37
	v_mov_b32_e32 v6, 0
	v_mov_b32_e32 v7, v6
	;; [unrolled: 1-line block ×4, first 2 shown]
	scratch_store_dwordx4 off, v[6:9], off offset:400
	s_waitcnt vmcnt(1)
	ds_write_b128 v150, v[2:5]
.LBB26_125:
	s_or_b64 exec, exec, s[2:3]
	s_waitcnt lgkmcnt(0)
	; wave barrier
	scratch_load_dwordx4 v[4:7], off, off offset:416
	scratch_load_dwordx4 v[8:11], off, off offset:400
	v_mov_b32_e32 v2, 0
	ds_read_b128 v[12:15], v2 offset:848
	v_cmp_lt_u32_e32 vcc, 24, v1
	s_waitcnt vmcnt(1) lgkmcnt(0)
	v_mul_f64 v[16:17], v[12:13], v[6:7]
	v_mul_f64 v[6:7], v[14:15], v[6:7]
	v_fmac_f64_e32 v[16:17], v[14:15], v[4:5]
	v_fma_f64 v[4:5], v[12:13], v[4:5], -v[6:7]
	v_add_f64 v[6:7], v[16:17], 0
	v_add_f64 v[4:5], v[4:5], 0
	s_waitcnt vmcnt(0)
	v_add_f64 v[4:5], v[8:9], -v[4:5]
	v_add_f64 v[6:7], v[10:11], -v[6:7]
	scratch_store_dwordx4 off, v[4:7], off offset:400
	s_and_saveexec_b64 s[2:3], vcc
	s_cbranch_execz .LBB26_127
; %bb.126:
	scratch_load_dwordx4 v[6:9], off, s36
	v_mov_b32_e32 v3, v2
	v_mov_b32_e32 v4, v2
	;; [unrolled: 1-line block ×3, first 2 shown]
	scratch_store_dwordx4 off, v[2:5], off offset:384
	s_waitcnt vmcnt(1)
	ds_write_b128 v150, v[6:9]
.LBB26_127:
	s_or_b64 exec, exec, s[2:3]
	s_waitcnt lgkmcnt(0)
	; wave barrier
	scratch_load_dwordx4 v[4:7], off, off offset:400
	scratch_load_dwordx4 v[8:11], off, off offset:416
	;; [unrolled: 1-line block ×3, first 2 shown]
	ds_read_b128 v[16:19], v2 offset:832
	ds_read_b128 v[20:23], v2 offset:848
	v_cmp_lt_u32_e32 vcc, 23, v1
	s_waitcnt vmcnt(2) lgkmcnt(1)
	v_mul_f64 v[2:3], v[16:17], v[6:7]
	v_mul_f64 v[6:7], v[18:19], v[6:7]
	s_waitcnt vmcnt(1) lgkmcnt(0)
	v_mul_f64 v[24:25], v[20:21], v[10:11]
	v_mul_f64 v[10:11], v[22:23], v[10:11]
	v_fmac_f64_e32 v[2:3], v[18:19], v[4:5]
	v_fma_f64 v[4:5], v[16:17], v[4:5], -v[6:7]
	v_fmac_f64_e32 v[24:25], v[22:23], v[8:9]
	v_fma_f64 v[6:7], v[20:21], v[8:9], -v[10:11]
	v_add_f64 v[2:3], v[2:3], 0
	v_add_f64 v[4:5], v[4:5], 0
	;; [unrolled: 1-line block ×4, first 2 shown]
	s_waitcnt vmcnt(0)
	v_add_f64 v[2:3], v[12:13], -v[2:3]
	v_add_f64 v[4:5], v[14:15], -v[8:9]
	scratch_store_dwordx4 off, v[2:5], off offset:384
	s_and_saveexec_b64 s[2:3], vcc
	s_cbranch_execz .LBB26_129
; %bb.128:
	scratch_load_dwordx4 v[2:5], off, s35
	v_mov_b32_e32 v6, 0
	v_mov_b32_e32 v7, v6
	;; [unrolled: 1-line block ×4, first 2 shown]
	scratch_store_dwordx4 off, v[6:9], off offset:368
	s_waitcnt vmcnt(1)
	ds_write_b128 v150, v[2:5]
.LBB26_129:
	s_or_b64 exec, exec, s[2:3]
	s_waitcnt lgkmcnt(0)
	; wave barrier
	scratch_load_dwordx4 v[4:7], off, off offset:384
	scratch_load_dwordx4 v[8:11], off, off offset:400
	;; [unrolled: 1-line block ×4, first 2 shown]
	v_mov_b32_e32 v2, 0
	ds_read_b128 v[20:23], v2 offset:816
	ds_read_b128 v[24:27], v2 offset:832
	;; [unrolled: 1-line block ×3, first 2 shown]
	v_cmp_lt_u32_e32 vcc, 22, v1
	s_waitcnt vmcnt(3) lgkmcnt(2)
	v_mul_f64 v[32:33], v[20:21], v[6:7]
	v_mul_f64 v[6:7], v[22:23], v[6:7]
	s_waitcnt vmcnt(2) lgkmcnt(1)
	v_mul_f64 v[34:35], v[24:25], v[10:11]
	v_mul_f64 v[10:11], v[26:27], v[10:11]
	v_fmac_f64_e32 v[32:33], v[22:23], v[4:5]
	v_fma_f64 v[4:5], v[20:21], v[4:5], -v[6:7]
	s_waitcnt vmcnt(1) lgkmcnt(0)
	v_mul_f64 v[36:37], v[28:29], v[14:15]
	v_mul_f64 v[14:15], v[30:31], v[14:15]
	v_fmac_f64_e32 v[34:35], v[26:27], v[8:9]
	v_fma_f64 v[6:7], v[24:25], v[8:9], -v[10:11]
	v_add_f64 v[10:11], v[32:33], 0
	v_add_f64 v[4:5], v[4:5], 0
	v_fmac_f64_e32 v[36:37], v[30:31], v[12:13]
	v_fma_f64 v[8:9], v[28:29], v[12:13], -v[14:15]
	v_add_f64 v[10:11], v[10:11], v[34:35]
	v_add_f64 v[4:5], v[4:5], v[6:7]
	;; [unrolled: 1-line block ×4, first 2 shown]
	s_waitcnt vmcnt(0)
	v_add_f64 v[4:5], v[16:17], -v[4:5]
	v_add_f64 v[6:7], v[18:19], -v[6:7]
	scratch_store_dwordx4 off, v[4:7], off offset:368
	s_and_saveexec_b64 s[2:3], vcc
	s_cbranch_execz .LBB26_131
; %bb.130:
	scratch_load_dwordx4 v[6:9], off, s34
	v_mov_b32_e32 v3, v2
	v_mov_b32_e32 v4, v2
	;; [unrolled: 1-line block ×3, first 2 shown]
	scratch_store_dwordx4 off, v[2:5], off offset:352
	s_waitcnt vmcnt(1)
	ds_write_b128 v150, v[6:9]
.LBB26_131:
	s_or_b64 exec, exec, s[2:3]
	s_waitcnt lgkmcnt(0)
	; wave barrier
	scratch_load_dwordx4 v[4:7], off, off offset:368
	scratch_load_dwordx4 v[8:11], off, off offset:384
	scratch_load_dwordx4 v[12:15], off, off offset:400
	scratch_load_dwordx4 v[16:19], off, off offset:416
	scratch_load_dwordx4 v[20:23], off, off offset:352
	ds_read_b128 v[24:27], v2 offset:800
	ds_read_b128 v[28:31], v2 offset:816
	;; [unrolled: 1-line block ×4, first 2 shown]
	v_cmp_lt_u32_e32 vcc, 21, v1
	s_waitcnt vmcnt(4) lgkmcnt(3)
	v_mul_f64 v[2:3], v[24:25], v[6:7]
	v_mul_f64 v[6:7], v[26:27], v[6:7]
	s_waitcnt vmcnt(3) lgkmcnt(2)
	v_mul_f64 v[40:41], v[28:29], v[10:11]
	v_mul_f64 v[10:11], v[30:31], v[10:11]
	v_fmac_f64_e32 v[2:3], v[26:27], v[4:5]
	v_fma_f64 v[4:5], v[24:25], v[4:5], -v[6:7]
	s_waitcnt vmcnt(2) lgkmcnt(1)
	v_mul_f64 v[42:43], v[32:33], v[14:15]
	v_mul_f64 v[14:15], v[34:35], v[14:15]
	v_fmac_f64_e32 v[40:41], v[30:31], v[8:9]
	v_fma_f64 v[6:7], v[28:29], v[8:9], -v[10:11]
	v_add_f64 v[2:3], v[2:3], 0
	v_add_f64 v[4:5], v[4:5], 0
	s_waitcnt vmcnt(1) lgkmcnt(0)
	v_mul_f64 v[44:45], v[36:37], v[18:19]
	v_mul_f64 v[18:19], v[38:39], v[18:19]
	v_fmac_f64_e32 v[42:43], v[34:35], v[12:13]
	v_fma_f64 v[8:9], v[32:33], v[12:13], -v[14:15]
	v_add_f64 v[2:3], v[2:3], v[40:41]
	v_add_f64 v[4:5], v[4:5], v[6:7]
	v_fmac_f64_e32 v[44:45], v[38:39], v[16:17]
	v_fma_f64 v[10:11], v[36:37], v[16:17], -v[18:19]
	v_add_f64 v[2:3], v[2:3], v[42:43]
	v_add_f64 v[4:5], v[4:5], v[8:9]
	;; [unrolled: 1-line block ×4, first 2 shown]
	s_waitcnt vmcnt(0)
	v_add_f64 v[2:3], v[20:21], -v[2:3]
	v_add_f64 v[4:5], v[22:23], -v[6:7]
	scratch_store_dwordx4 off, v[2:5], off offset:352
	s_and_saveexec_b64 s[2:3], vcc
	s_cbranch_execz .LBB26_133
; %bb.132:
	scratch_load_dwordx4 v[2:5], off, s33
	v_mov_b32_e32 v6, 0
	v_mov_b32_e32 v7, v6
	;; [unrolled: 1-line block ×4, first 2 shown]
	scratch_store_dwordx4 off, v[6:9], off offset:336
	s_waitcnt vmcnt(1)
	ds_write_b128 v150, v[2:5]
.LBB26_133:
	s_or_b64 exec, exec, s[2:3]
	s_waitcnt lgkmcnt(0)
	; wave barrier
	scratch_load_dwordx4 v[4:7], off, off offset:352
	scratch_load_dwordx4 v[8:11], off, off offset:368
	;; [unrolled: 1-line block ×6, first 2 shown]
	v_mov_b32_e32 v2, 0
	ds_read_b128 v[28:31], v2 offset:784
	ds_read_b128 v[32:35], v2 offset:800
	ds_read_b128 v[36:39], v2 offset:816
	ds_read_b128 v[40:43], v2 offset:832
	ds_read_b128 v[44:47], v2 offset:848
	v_cmp_lt_u32_e32 vcc, 20, v1
	s_waitcnt vmcnt(5) lgkmcnt(4)
	v_mul_f64 v[48:49], v[28:29], v[6:7]
	v_mul_f64 v[6:7], v[30:31], v[6:7]
	s_waitcnt vmcnt(4) lgkmcnt(3)
	v_mul_f64 v[50:51], v[32:33], v[10:11]
	s_waitcnt vmcnt(3) lgkmcnt(2)
	v_mul_f64 v[52:53], v[36:37], v[14:15]
	v_mul_f64 v[10:11], v[34:35], v[10:11]
	;; [unrolled: 1-line block ×3, first 2 shown]
	v_fmac_f64_e32 v[48:49], v[30:31], v[4:5]
	v_fma_f64 v[4:5], v[28:29], v[4:5], -v[6:7]
	v_fmac_f64_e32 v[50:51], v[34:35], v[8:9]
	v_fma_f64 v[6:7], v[32:33], v[8:9], -v[10:11]
	v_fma_f64 v[8:9], v[36:37], v[12:13], -v[14:15]
	v_add_f64 v[14:15], v[48:49], 0
	v_add_f64 v[4:5], v[4:5], 0
	s_waitcnt vmcnt(2) lgkmcnt(1)
	v_mul_f64 v[54:55], v[40:41], v[18:19]
	v_mul_f64 v[18:19], v[42:43], v[18:19]
	v_fmac_f64_e32 v[52:53], v[38:39], v[12:13]
	v_add_f64 v[14:15], v[14:15], v[50:51]
	v_add_f64 v[4:5], v[4:5], v[6:7]
	s_waitcnt vmcnt(1) lgkmcnt(0)
	v_mul_f64 v[56:57], v[44:45], v[22:23]
	v_mul_f64 v[22:23], v[46:47], v[22:23]
	v_fmac_f64_e32 v[54:55], v[42:43], v[16:17]
	v_fma_f64 v[10:11], v[40:41], v[16:17], -v[18:19]
	v_add_f64 v[6:7], v[14:15], v[52:53]
	v_add_f64 v[4:5], v[4:5], v[8:9]
	v_fmac_f64_e32 v[56:57], v[46:47], v[20:21]
	v_fma_f64 v[12:13], v[44:45], v[20:21], -v[22:23]
	v_add_f64 v[6:7], v[6:7], v[54:55]
	v_add_f64 v[4:5], v[4:5], v[10:11]
	;; [unrolled: 1-line block ×4, first 2 shown]
	s_waitcnt vmcnt(0)
	v_add_f64 v[4:5], v[24:25], -v[4:5]
	v_add_f64 v[6:7], v[26:27], -v[6:7]
	scratch_store_dwordx4 off, v[4:7], off offset:336
	s_and_saveexec_b64 s[2:3], vcc
	s_cbranch_execz .LBB26_135
; %bb.134:
	scratch_load_dwordx4 v[6:9], off, s31
	v_mov_b32_e32 v3, v2
	v_mov_b32_e32 v4, v2
	;; [unrolled: 1-line block ×3, first 2 shown]
	scratch_store_dwordx4 off, v[2:5], off offset:320
	s_waitcnt vmcnt(1)
	ds_write_b128 v150, v[6:9]
.LBB26_135:
	s_or_b64 exec, exec, s[2:3]
	s_waitcnt lgkmcnt(0)
	; wave barrier
	scratch_load_dwordx4 v[4:7], off, off offset:336
	scratch_load_dwordx4 v[8:11], off, off offset:352
	;; [unrolled: 1-line block ×7, first 2 shown]
	ds_read_b128 v[32:35], v2 offset:768
	ds_read_b128 v[36:39], v2 offset:784
	;; [unrolled: 1-line block ×6, first 2 shown]
	v_cmp_lt_u32_e32 vcc, 19, v1
	s_waitcnt vmcnt(6) lgkmcnt(5)
	v_mul_f64 v[2:3], v[32:33], v[6:7]
	v_mul_f64 v[6:7], v[34:35], v[6:7]
	s_waitcnt vmcnt(5) lgkmcnt(4)
	v_mul_f64 v[56:57], v[36:37], v[10:11]
	v_mul_f64 v[10:11], v[38:39], v[10:11]
	v_fmac_f64_e32 v[2:3], v[34:35], v[4:5]
	v_fma_f64 v[4:5], v[32:33], v[4:5], -v[6:7]
	s_waitcnt vmcnt(4) lgkmcnt(3)
	v_mul_f64 v[58:59], v[40:41], v[14:15]
	v_mul_f64 v[14:15], v[42:43], v[14:15]
	v_fmac_f64_e32 v[56:57], v[38:39], v[8:9]
	v_fma_f64 v[6:7], v[36:37], v[8:9], -v[10:11]
	v_add_f64 v[2:3], v[2:3], 0
	v_add_f64 v[4:5], v[4:5], 0
	s_waitcnt vmcnt(3) lgkmcnt(2)
	v_mul_f64 v[60:61], v[44:45], v[18:19]
	v_mul_f64 v[18:19], v[46:47], v[18:19]
	v_fmac_f64_e32 v[58:59], v[42:43], v[12:13]
	v_fma_f64 v[8:9], v[40:41], v[12:13], -v[14:15]
	v_add_f64 v[2:3], v[2:3], v[56:57]
	v_add_f64 v[4:5], v[4:5], v[6:7]
	;; [unrolled: 7-line block ×4, first 2 shown]
	v_fmac_f64_e32 v[64:65], v[54:55], v[24:25]
	v_fma_f64 v[14:15], v[52:53], v[24:25], -v[26:27]
	v_add_f64 v[2:3], v[2:3], v[62:63]
	v_add_f64 v[4:5], v[4:5], v[12:13]
	;; [unrolled: 1-line block ×4, first 2 shown]
	s_waitcnt vmcnt(0)
	v_add_f64 v[2:3], v[28:29], -v[2:3]
	v_add_f64 v[4:5], v[30:31], -v[6:7]
	scratch_store_dwordx4 off, v[2:5], off offset:320
	s_and_saveexec_b64 s[2:3], vcc
	s_cbranch_execz .LBB26_137
; %bb.136:
	scratch_load_dwordx4 v[2:5], off, s30
	v_mov_b32_e32 v6, 0
	v_mov_b32_e32 v7, v6
	;; [unrolled: 1-line block ×4, first 2 shown]
	scratch_store_dwordx4 off, v[6:9], off offset:304
	s_waitcnt vmcnt(1)
	ds_write_b128 v150, v[2:5]
.LBB26_137:
	s_or_b64 exec, exec, s[2:3]
	v_mov_b32_e32 v2, 0
	s_waitcnt lgkmcnt(0)
	; wave barrier
	ds_read_b128 v[4:7], v2 offset:752
	ds_read_b128 v[8:11], v2 offset:768
	;; [unrolled: 1-line block ×4, first 2 shown]
	scratch_load_dwordx4 v[20:23], off, off offset:320
	scratch_load_dwordx4 v[40:43], off, off offset:384
	v_cmp_lt_u32_e32 vcc, 18, v1
	scratch_load_dwordx4 v[48:51], off, off offset:400
	scratch_load_dwordx4 v[56:59], off, off offset:416
	s_waitcnt vmcnt(3) lgkmcnt(3)
	v_mul_f64 v[24:25], v[4:5], v[22:23]
	v_fmac_f64_e32 v[24:25], v[6:7], v[20:21]
	v_add_f64 v[28:29], v[24:25], 0
	scratch_load_dwordx4 v[24:27], off, off offset:336
	v_mul_f64 v[6:7], v[6:7], v[22:23]
	v_fma_f64 v[4:5], v[4:5], v[20:21], -v[6:7]
	v_add_f64 v[4:5], v[4:5], 0
	s_waitcnt vmcnt(0) lgkmcnt(2)
	v_mul_f64 v[30:31], v[8:9], v[26:27]
	v_fmac_f64_e32 v[30:31], v[10:11], v[24:25]
	v_add_f64 v[32:33], v[28:29], v[30:31]
	scratch_load_dwordx4 v[28:31], off, off offset:352
	v_mul_f64 v[6:7], v[10:11], v[26:27]
	v_fma_f64 v[6:7], v[8:9], v[24:25], -v[6:7]
	v_add_f64 v[4:5], v[4:5], v[6:7]
	;; [unrolled: 8-line block ×3, first 2 shown]
	s_waitcnt vmcnt(0) lgkmcnt(0)
	v_mul_f64 v[38:39], v[16:17], v[34:35]
	v_fmac_f64_e32 v[38:39], v[18:19], v[32:33]
	v_add_f64 v[44:45], v[36:37], v[38:39]
	ds_read_b128 v[36:39], v2 offset:816
	v_mul_f64 v[6:7], v[18:19], v[34:35]
	v_fma_f64 v[6:7], v[16:17], v[32:33], -v[6:7]
	v_add_f64 v[4:5], v[4:5], v[6:7]
	s_waitcnt lgkmcnt(0)
	v_mul_f64 v[46:47], v[36:37], v[42:43]
	v_fmac_f64_e32 v[46:47], v[38:39], v[40:41]
	v_add_f64 v[52:53], v[44:45], v[46:47]
	ds_read_b128 v[44:47], v2 offset:832
	v_mul_f64 v[6:7], v[38:39], v[42:43]
	v_fma_f64 v[6:7], v[36:37], v[40:41], -v[6:7]
	v_add_f64 v[4:5], v[4:5], v[6:7]
	s_waitcnt lgkmcnt(0)
	v_mul_f64 v[54:55], v[44:45], v[50:51]
	v_fmac_f64_e32 v[54:55], v[46:47], v[48:49]
	v_add_f64 v[60:61], v[52:53], v[54:55]
	ds_read_b128 v[52:55], v2 offset:848
	v_mul_f64 v[6:7], v[46:47], v[50:51]
	v_fma_f64 v[6:7], v[44:45], v[48:49], -v[6:7]
	v_add_f64 v[4:5], v[4:5], v[6:7]
	s_waitcnt lgkmcnt(0)
	v_mul_f64 v[6:7], v[54:55], v[58:59]
	v_fma_f64 v[6:7], v[52:53], v[56:57], -v[6:7]
	v_add_f64 v[8:9], v[4:5], v[6:7]
	scratch_load_dwordx4 v[4:7], off, off offset:304
	v_mul_f64 v[62:63], v[52:53], v[58:59]
	v_fmac_f64_e32 v[62:63], v[54:55], v[56:57]
	v_add_f64 v[60:61], v[60:61], v[62:63]
	s_waitcnt vmcnt(0)
	v_add_f64 v[4:5], v[4:5], -v[8:9]
	v_add_f64 v[6:7], v[6:7], -v[60:61]
	scratch_store_dwordx4 off, v[4:7], off offset:304
	s_and_saveexec_b64 s[2:3], vcc
	s_cbranch_execz .LBB26_139
; %bb.138:
	scratch_load_dwordx4 v[6:9], off, s29
	v_mov_b32_e32 v3, v2
	v_mov_b32_e32 v4, v2
	;; [unrolled: 1-line block ×3, first 2 shown]
	scratch_store_dwordx4 off, v[2:5], off offset:288
	s_waitcnt vmcnt(1)
	ds_write_b128 v150, v[6:9]
.LBB26_139:
	s_or_b64 exec, exec, s[2:3]
	s_waitcnt lgkmcnt(0)
	; wave barrier
	ds_read_b128 v[4:7], v2 offset:736
	ds_read_b128 v[8:11], v2 offset:752
	;; [unrolled: 1-line block ×4, first 2 shown]
	scratch_load_dwordx4 v[20:23], off, off offset:304
	scratch_load_dwordx4 v[40:43], off, off offset:368
	v_cmp_lt_u32_e32 vcc, 17, v1
	scratch_load_dwordx4 v[48:51], off, off offset:384
	scratch_load_dwordx4 v[56:59], off, off offset:400
	;; [unrolled: 1-line block ×3, first 2 shown]
	s_waitcnt vmcnt(4) lgkmcnt(3)
	v_mul_f64 v[24:25], v[4:5], v[22:23]
	v_fmac_f64_e32 v[24:25], v[6:7], v[20:21]
	v_add_f64 v[28:29], v[24:25], 0
	scratch_load_dwordx4 v[24:27], off, off offset:320
	s_waitcnt vmcnt(0) lgkmcnt(2)
	v_mul_f64 v[30:31], v[8:9], v[26:27]
	v_fmac_f64_e32 v[30:31], v[10:11], v[24:25]
	v_add_f64 v[32:33], v[28:29], v[30:31]
	scratch_load_dwordx4 v[28:31], off, off offset:336
	;; [unrolled: 5-line block ×3, first 2 shown]
	s_waitcnt vmcnt(0) lgkmcnt(0)
	v_mul_f64 v[38:39], v[16:17], v[34:35]
	v_fmac_f64_e32 v[38:39], v[18:19], v[32:33]
	v_add_f64 v[44:45], v[36:37], v[38:39]
	ds_read_b128 v[36:39], v2 offset:800
	s_waitcnt lgkmcnt(0)
	v_mul_f64 v[46:47], v[36:37], v[42:43]
	v_fmac_f64_e32 v[46:47], v[38:39], v[40:41]
	v_add_f64 v[52:53], v[44:45], v[46:47]
	ds_read_b128 v[44:47], v2 offset:816
	s_waitcnt lgkmcnt(0)
	;; [unrolled: 5-line block ×4, first 2 shown]
	v_mul_f64 v[2:3], v[60:61], v[66:67]
	v_fmac_f64_e32 v[2:3], v[62:63], v[64:65]
	v_add_f64 v[68:69], v[68:69], v[2:3]
	v_mul_f64 v[2:3], v[6:7], v[22:23]
	v_fma_f64 v[2:3], v[4:5], v[20:21], -v[2:3]
	v_mul_f64 v[4:5], v[10:11], v[26:27]
	v_add_f64 v[2:3], v[2:3], 0
	v_fma_f64 v[4:5], v[8:9], v[24:25], -v[4:5]
	v_add_f64 v[2:3], v[2:3], v[4:5]
	v_mul_f64 v[4:5], v[14:15], v[30:31]
	v_fma_f64 v[4:5], v[12:13], v[28:29], -v[4:5]
	v_add_f64 v[2:3], v[2:3], v[4:5]
	v_mul_f64 v[4:5], v[18:19], v[34:35]
	;; [unrolled: 3-line block ×6, first 2 shown]
	v_fma_f64 v[4:5], v[60:61], v[64:65], -v[4:5]
	v_add_f64 v[6:7], v[2:3], v[4:5]
	scratch_load_dwordx4 v[2:5], off, off offset:288
	s_waitcnt vmcnt(0)
	v_add_f64 v[2:3], v[2:3], -v[6:7]
	v_add_f64 v[4:5], v[4:5], -v[68:69]
	scratch_store_dwordx4 off, v[2:5], off offset:288
	s_and_saveexec_b64 s[2:3], vcc
	s_cbranch_execz .LBB26_141
; %bb.140:
	scratch_load_dwordx4 v[2:5], off, s40
	v_mov_b32_e32 v6, 0
	v_mov_b32_e32 v7, v6
	v_mov_b32_e32 v8, v6
	v_mov_b32_e32 v9, v6
	scratch_store_dwordx4 off, v[6:9], off offset:272
	s_waitcnt vmcnt(1)
	ds_write_b128 v150, v[2:5]
.LBB26_141:
	s_or_b64 exec, exec, s[2:3]
	s_waitcnt lgkmcnt(0)
	; wave barrier
	scratch_load_dwordx4 v[4:7], off, off offset:288
	scratch_load_dwordx4 v[8:11], off, off offset:304
	;; [unrolled: 1-line block ×10, first 2 shown]
	v_mov_b32_e32 v2, 0
	ds_read_b128 v[44:47], v2 offset:720
	ds_read_b128 v[48:51], v2 offset:736
	;; [unrolled: 1-line block ×9, first 2 shown]
	v_cmp_lt_u32_e32 vcc, 16, v1
	s_waitcnt vmcnt(9) lgkmcnt(8)
	v_mul_f64 v[80:81], v[44:45], v[6:7]
	v_mul_f64 v[6:7], v[46:47], v[6:7]
	s_waitcnt vmcnt(8) lgkmcnt(7)
	v_mul_f64 v[82:83], v[48:49], v[10:11]
	s_waitcnt vmcnt(7) lgkmcnt(6)
	;; [unrolled: 2-line block ×3, first 2 shown]
	v_mul_f64 v[88:89], v[60:61], v[22:23]
	v_mul_f64 v[10:11], v[50:51], v[10:11]
	;; [unrolled: 1-line block ×4, first 2 shown]
	v_fmac_f64_e32 v[80:81], v[46:47], v[4:5]
	v_fma_f64 v[4:5], v[44:45], v[4:5], -v[6:7]
	v_fmac_f64_e32 v[82:83], v[50:51], v[8:9]
	v_fmac_f64_e32 v[84:85], v[54:55], v[12:13]
	v_fma_f64 v[6:7], v[48:49], v[8:9], -v[10:11]
	v_fma_f64 v[8:9], v[52:53], v[12:13], -v[14:15]
	;; [unrolled: 1-line block ×3, first 2 shown]
	v_add_f64 v[22:23], v[80:81], 0
	v_add_f64 v[4:5], v[4:5], 0
	v_mul_f64 v[86:87], v[56:57], v[18:19]
	v_mul_f64 v[18:19], v[58:59], v[18:19]
	v_add_f64 v[22:23], v[22:23], v[82:83]
	v_add_f64 v[4:5], v[4:5], v[6:7]
	v_fmac_f64_e32 v[86:87], v[58:59], v[16:17]
	v_fma_f64 v[10:11], v[56:57], v[16:17], -v[18:19]
	v_add_f64 v[6:7], v[22:23], v[84:85]
	v_add_f64 v[4:5], v[4:5], v[8:9]
	s_waitcnt vmcnt(4) lgkmcnt(3)
	v_mul_f64 v[90:91], v[64:65], v[26:27]
	v_mul_f64 v[26:27], v[66:67], v[26:27]
	v_fmac_f64_e32 v[88:89], v[62:63], v[20:21]
	v_add_f64 v[6:7], v[6:7], v[86:87]
	v_add_f64 v[4:5], v[4:5], v[10:11]
	s_waitcnt vmcnt(3) lgkmcnt(2)
	v_mul_f64 v[92:93], v[68:69], v[30:31]
	v_mul_f64 v[30:31], v[70:71], v[30:31]
	v_fmac_f64_e32 v[90:91], v[66:67], v[24:25]
	v_fma_f64 v[14:15], v[64:65], v[24:25], -v[26:27]
	v_add_f64 v[6:7], v[6:7], v[88:89]
	v_add_f64 v[4:5], v[4:5], v[12:13]
	s_waitcnt vmcnt(2) lgkmcnt(1)
	v_mul_f64 v[94:95], v[72:73], v[34:35]
	v_mul_f64 v[34:35], v[74:75], v[34:35]
	v_fmac_f64_e32 v[92:93], v[70:71], v[28:29]
	v_fma_f64 v[16:17], v[68:69], v[28:29], -v[30:31]
	;; [unrolled: 7-line block ×3, first 2 shown]
	v_add_f64 v[6:7], v[6:7], v[92:93]
	v_add_f64 v[4:5], v[4:5], v[16:17]
	v_fmac_f64_e32 v[96:97], v[78:79], v[36:37]
	v_fma_f64 v[20:21], v[76:77], v[36:37], -v[38:39]
	v_add_f64 v[6:7], v[6:7], v[94:95]
	v_add_f64 v[4:5], v[4:5], v[18:19]
	;; [unrolled: 1-line block ×4, first 2 shown]
	s_waitcnt vmcnt(0)
	v_add_f64 v[4:5], v[40:41], -v[4:5]
	v_add_f64 v[6:7], v[42:43], -v[6:7]
	scratch_store_dwordx4 off, v[4:7], off offset:272
	s_and_saveexec_b64 s[2:3], vcc
	s_cbranch_execz .LBB26_143
; %bb.142:
	scratch_load_dwordx4 v[6:9], off, s28
	v_mov_b32_e32 v3, v2
	v_mov_b32_e32 v4, v2
	;; [unrolled: 1-line block ×3, first 2 shown]
	scratch_store_dwordx4 off, v[2:5], off offset:256
	s_waitcnt vmcnt(1)
	ds_write_b128 v150, v[6:9]
.LBB26_143:
	s_or_b64 exec, exec, s[2:3]
	s_waitcnt lgkmcnt(0)
	; wave barrier
	scratch_load_dwordx4 v[4:7], off, off offset:272
	scratch_load_dwordx4 v[8:11], off, off offset:288
	;; [unrolled: 1-line block ×11, first 2 shown]
	ds_read_b128 v[48:51], v2 offset:704
	ds_read_b128 v[52:55], v2 offset:720
	;; [unrolled: 1-line block ×10, first 2 shown]
	v_cmp_lt_u32_e32 vcc, 15, v1
	s_waitcnt vmcnt(10) lgkmcnt(9)
	v_mul_f64 v[2:3], v[48:49], v[6:7]
	v_mul_f64 v[6:7], v[50:51], v[6:7]
	s_waitcnt vmcnt(9) lgkmcnt(8)
	v_mul_f64 v[88:89], v[52:53], v[10:11]
	v_mul_f64 v[10:11], v[54:55], v[10:11]
	v_fmac_f64_e32 v[2:3], v[50:51], v[4:5]
	v_fma_f64 v[4:5], v[48:49], v[4:5], -v[6:7]
	s_waitcnt vmcnt(8) lgkmcnt(7)
	v_mul_f64 v[90:91], v[56:57], v[14:15]
	v_mul_f64 v[14:15], v[58:59], v[14:15]
	v_fmac_f64_e32 v[88:89], v[54:55], v[8:9]
	v_fma_f64 v[6:7], v[52:53], v[8:9], -v[10:11]
	v_add_f64 v[2:3], v[2:3], 0
	v_add_f64 v[4:5], v[4:5], 0
	s_waitcnt vmcnt(7) lgkmcnt(6)
	v_mul_f64 v[92:93], v[60:61], v[18:19]
	v_mul_f64 v[18:19], v[62:63], v[18:19]
	v_fmac_f64_e32 v[90:91], v[58:59], v[12:13]
	v_fma_f64 v[8:9], v[56:57], v[12:13], -v[14:15]
	v_add_f64 v[2:3], v[2:3], v[88:89]
	v_add_f64 v[4:5], v[4:5], v[6:7]
	;; [unrolled: 7-line block ×8, first 2 shown]
	v_fmac_f64_e32 v[104:105], v[86:87], v[40:41]
	v_fma_f64 v[22:23], v[84:85], v[40:41], -v[42:43]
	v_add_f64 v[2:3], v[2:3], v[102:103]
	v_add_f64 v[4:5], v[4:5], v[20:21]
	;; [unrolled: 1-line block ×4, first 2 shown]
	s_waitcnt vmcnt(0)
	v_add_f64 v[2:3], v[44:45], -v[2:3]
	v_add_f64 v[4:5], v[46:47], -v[6:7]
	scratch_store_dwordx4 off, v[2:5], off offset:256
	s_and_saveexec_b64 s[2:3], vcc
	s_cbranch_execz .LBB26_145
; %bb.144:
	scratch_load_dwordx4 v[2:5], off, s41
	v_mov_b32_e32 v6, 0
	v_mov_b32_e32 v7, v6
	;; [unrolled: 1-line block ×4, first 2 shown]
	scratch_store_dwordx4 off, v[6:9], off offset:240
	s_waitcnt vmcnt(1)
	ds_write_b128 v150, v[2:5]
.LBB26_145:
	s_or_b64 exec, exec, s[2:3]
	v_mov_b32_e32 v2, 0
	s_waitcnt lgkmcnt(0)
	; wave barrier
	ds_read_b128 v[4:7], v2 offset:688
	ds_read_b128 v[8:11], v2 offset:704
	;; [unrolled: 1-line block ×4, first 2 shown]
	scratch_load_dwordx4 v[20:23], off, off offset:256
	scratch_load_dwordx4 v[40:43], off, off offset:320
	;; [unrolled: 1-line block ×5, first 2 shown]
	v_cmp_lt_u32_e32 vcc, 14, v1
	scratch_load_dwordx4 v[48:51], off, off offset:336
	scratch_load_dwordx4 v[56:59], off, off offset:352
	;; [unrolled: 1-line block ×3, first 2 shown]
	s_waitcnt vmcnt(7) lgkmcnt(3)
	v_mul_f64 v[24:25], v[4:5], v[22:23]
	v_fmac_f64_e32 v[24:25], v[6:7], v[20:21]
	v_add_f64 v[28:29], v[24:25], 0
	scratch_load_dwordx4 v[24:27], off, off offset:272
	v_mul_f64 v[6:7], v[6:7], v[22:23]
	v_fma_f64 v[4:5], v[4:5], v[20:21], -v[6:7]
	v_add_f64 v[4:5], v[4:5], 0
	s_waitcnt vmcnt(0) lgkmcnt(2)
	v_mul_f64 v[30:31], v[8:9], v[26:27]
	v_fmac_f64_e32 v[30:31], v[10:11], v[24:25]
	v_add_f64 v[32:33], v[28:29], v[30:31]
	scratch_load_dwordx4 v[28:31], off, off offset:288
	v_mul_f64 v[6:7], v[10:11], v[26:27]
	v_fma_f64 v[6:7], v[8:9], v[24:25], -v[6:7]
	v_add_f64 v[4:5], v[4:5], v[6:7]
	s_waitcnt vmcnt(0) lgkmcnt(1)
	v_mul_f64 v[34:35], v[12:13], v[30:31]
	v_fmac_f64_e32 v[34:35], v[14:15], v[28:29]
	v_add_f64 v[36:37], v[32:33], v[34:35]
	scratch_load_dwordx4 v[32:35], off, off offset:304
	v_mul_f64 v[6:7], v[14:15], v[30:31]
	v_fma_f64 v[6:7], v[12:13], v[28:29], -v[6:7]
	v_add_f64 v[4:5], v[4:5], v[6:7]
	s_waitcnt vmcnt(0) lgkmcnt(0)
	v_mul_f64 v[38:39], v[16:17], v[34:35]
	v_fmac_f64_e32 v[38:39], v[18:19], v[32:33]
	v_add_f64 v[44:45], v[36:37], v[38:39]
	ds_read_b128 v[36:39], v2 offset:752
	v_mul_f64 v[6:7], v[18:19], v[34:35]
	v_fma_f64 v[6:7], v[16:17], v[32:33], -v[6:7]
	v_add_f64 v[4:5], v[4:5], v[6:7]
	s_waitcnt lgkmcnt(0)
	v_mul_f64 v[46:47], v[36:37], v[42:43]
	v_fmac_f64_e32 v[46:47], v[38:39], v[40:41]
	v_add_f64 v[52:53], v[44:45], v[46:47]
	ds_read_b128 v[44:47], v2 offset:768
	v_mul_f64 v[6:7], v[38:39], v[42:43]
	v_fma_f64 v[6:7], v[36:37], v[40:41], -v[6:7]
	v_add_f64 v[4:5], v[4:5], v[6:7]
	s_waitcnt lgkmcnt(0)
	;; [unrolled: 8-line block ×7, first 2 shown]
	v_mul_f64 v[6:7], v[86:87], v[90:91]
	v_fma_f64 v[6:7], v[84:85], v[88:89], -v[6:7]
	v_add_f64 v[8:9], v[4:5], v[6:7]
	scratch_load_dwordx4 v[4:7], off, off offset:240
	v_mul_f64 v[94:95], v[84:85], v[90:91]
	v_fmac_f64_e32 v[94:95], v[86:87], v[88:89]
	v_add_f64 v[92:93], v[92:93], v[94:95]
	s_waitcnt vmcnt(0)
	v_add_f64 v[4:5], v[4:5], -v[8:9]
	v_add_f64 v[6:7], v[6:7], -v[92:93]
	scratch_store_dwordx4 off, v[4:7], off offset:240
	s_and_saveexec_b64 s[2:3], vcc
	s_cbranch_execz .LBB26_147
; %bb.146:
	scratch_load_dwordx4 v[6:9], off, s44
	v_mov_b32_e32 v3, v2
	v_mov_b32_e32 v4, v2
	;; [unrolled: 1-line block ×3, first 2 shown]
	scratch_store_dwordx4 off, v[2:5], off offset:224
	s_waitcnt vmcnt(1)
	ds_write_b128 v150, v[6:9]
.LBB26_147:
	s_or_b64 exec, exec, s[2:3]
	s_waitcnt lgkmcnt(0)
	; wave barrier
	ds_read_b128 v[4:7], v2 offset:672
	ds_read_b128 v[8:11], v2 offset:688
	;; [unrolled: 1-line block ×4, first 2 shown]
	scratch_load_dwordx4 v[20:23], off, off offset:240
	scratch_load_dwordx4 v[40:43], off, off offset:304
	;; [unrolled: 1-line block ×6, first 2 shown]
	v_cmp_lt_u32_e32 vcc, 13, v1
	scratch_load_dwordx4 v[48:51], off, off offset:320
	scratch_load_dwordx4 v[56:59], off, off offset:336
	;; [unrolled: 1-line block ×3, first 2 shown]
	s_waitcnt vmcnt(8) lgkmcnt(3)
	v_mul_f64 v[24:25], v[4:5], v[22:23]
	v_fmac_f64_e32 v[24:25], v[6:7], v[20:21]
	v_add_f64 v[28:29], v[24:25], 0
	scratch_load_dwordx4 v[24:27], off, off offset:256
	s_waitcnt vmcnt(0) lgkmcnt(2)
	v_mul_f64 v[30:31], v[8:9], v[26:27]
	v_fmac_f64_e32 v[30:31], v[10:11], v[24:25]
	v_add_f64 v[32:33], v[28:29], v[30:31]
	scratch_load_dwordx4 v[28:31], off, off offset:272
	;; [unrolled: 5-line block ×3, first 2 shown]
	s_waitcnt vmcnt(0) lgkmcnt(0)
	v_mul_f64 v[38:39], v[16:17], v[34:35]
	v_fmac_f64_e32 v[38:39], v[18:19], v[32:33]
	v_add_f64 v[44:45], v[36:37], v[38:39]
	ds_read_b128 v[36:39], v2 offset:736
	s_waitcnt lgkmcnt(0)
	v_mul_f64 v[46:47], v[36:37], v[42:43]
	v_fmac_f64_e32 v[46:47], v[38:39], v[40:41]
	v_add_f64 v[52:53], v[44:45], v[46:47]
	ds_read_b128 v[44:47], v2 offset:752
	s_waitcnt lgkmcnt(0)
	;; [unrolled: 5-line block ×8, first 2 shown]
	v_mul_f64 v[2:3], v[92:93], v[98:99]
	v_fmac_f64_e32 v[2:3], v[94:95], v[96:97]
	v_add_f64 v[100:101], v[100:101], v[2:3]
	v_mul_f64 v[2:3], v[6:7], v[22:23]
	v_fma_f64 v[2:3], v[4:5], v[20:21], -v[2:3]
	v_mul_f64 v[4:5], v[10:11], v[26:27]
	v_add_f64 v[2:3], v[2:3], 0
	v_fma_f64 v[4:5], v[8:9], v[24:25], -v[4:5]
	v_add_f64 v[2:3], v[2:3], v[4:5]
	v_mul_f64 v[4:5], v[14:15], v[30:31]
	v_fma_f64 v[4:5], v[12:13], v[28:29], -v[4:5]
	v_add_f64 v[2:3], v[2:3], v[4:5]
	v_mul_f64 v[4:5], v[18:19], v[34:35]
	;; [unrolled: 3-line block ×10, first 2 shown]
	v_fma_f64 v[4:5], v[92:93], v[96:97], -v[4:5]
	v_add_f64 v[6:7], v[2:3], v[4:5]
	scratch_load_dwordx4 v[2:5], off, off offset:224
	s_waitcnt vmcnt(0)
	v_add_f64 v[2:3], v[2:3], -v[6:7]
	v_add_f64 v[4:5], v[4:5], -v[100:101]
	scratch_store_dwordx4 off, v[2:5], off offset:224
	s_and_saveexec_b64 s[2:3], vcc
	s_cbranch_execz .LBB26_149
; %bb.148:
	scratch_load_dwordx4 v[2:5], off, s43
	v_mov_b32_e32 v6, 0
	v_mov_b32_e32 v7, v6
	;; [unrolled: 1-line block ×4, first 2 shown]
	scratch_store_dwordx4 off, v[6:9], off offset:208
	s_waitcnt vmcnt(1)
	ds_write_b128 v150, v[2:5]
.LBB26_149:
	s_or_b64 exec, exec, s[2:3]
	v_mov_b32_e32 v2, 0
	s_waitcnt lgkmcnt(0)
	; wave barrier
	ds_read_b128 v[4:7], v2 offset:656
	ds_read_b128 v[8:11], v2 offset:672
	;; [unrolled: 1-line block ×4, first 2 shown]
	scratch_load_dwordx4 v[20:23], off, off offset:224
	scratch_load_dwordx4 v[40:43], off, off offset:288
	;; [unrolled: 1-line block ×7, first 2 shown]
	v_cmp_lt_u32_e32 vcc, 12, v1
	scratch_load_dwordx4 v[48:51], off, off offset:304
	scratch_load_dwordx4 v[56:59], off, off offset:320
	;; [unrolled: 1-line block ×3, first 2 shown]
	s_waitcnt vmcnt(9) lgkmcnt(3)
	v_mul_f64 v[24:25], v[4:5], v[22:23]
	v_fmac_f64_e32 v[24:25], v[6:7], v[20:21]
	v_add_f64 v[28:29], v[24:25], 0
	scratch_load_dwordx4 v[24:27], off, off offset:240
	v_mul_f64 v[6:7], v[6:7], v[22:23]
	v_fma_f64 v[4:5], v[4:5], v[20:21], -v[6:7]
	v_add_f64 v[4:5], v[4:5], 0
	s_waitcnt vmcnt(0) lgkmcnt(2)
	v_mul_f64 v[30:31], v[8:9], v[26:27]
	v_fmac_f64_e32 v[30:31], v[10:11], v[24:25]
	v_add_f64 v[32:33], v[28:29], v[30:31]
	scratch_load_dwordx4 v[28:31], off, off offset:256
	v_mul_f64 v[6:7], v[10:11], v[26:27]
	v_fma_f64 v[6:7], v[8:9], v[24:25], -v[6:7]
	v_add_f64 v[4:5], v[4:5], v[6:7]
	;; [unrolled: 8-line block ×3, first 2 shown]
	s_waitcnt vmcnt(0) lgkmcnt(0)
	v_mul_f64 v[38:39], v[16:17], v[34:35]
	v_fmac_f64_e32 v[38:39], v[18:19], v[32:33]
	v_add_f64 v[44:45], v[36:37], v[38:39]
	ds_read_b128 v[36:39], v2 offset:720
	v_mul_f64 v[6:7], v[18:19], v[34:35]
	v_fma_f64 v[6:7], v[16:17], v[32:33], -v[6:7]
	v_add_f64 v[4:5], v[4:5], v[6:7]
	s_waitcnt lgkmcnt(0)
	v_mul_f64 v[46:47], v[36:37], v[42:43]
	v_fmac_f64_e32 v[46:47], v[38:39], v[40:41]
	v_add_f64 v[52:53], v[44:45], v[46:47]
	ds_read_b128 v[44:47], v2 offset:736
	v_mul_f64 v[6:7], v[38:39], v[42:43]
	v_fma_f64 v[6:7], v[36:37], v[40:41], -v[6:7]
	v_add_f64 v[4:5], v[4:5], v[6:7]
	s_waitcnt lgkmcnt(0)
	;; [unrolled: 8-line block ×9, first 2 shown]
	v_mul_f64 v[6:7], v[102:103], v[106:107]
	v_fma_f64 v[6:7], v[100:101], v[104:105], -v[6:7]
	v_add_f64 v[8:9], v[4:5], v[6:7]
	scratch_load_dwordx4 v[4:7], off, off offset:208
	v_mul_f64 v[110:111], v[100:101], v[106:107]
	v_fmac_f64_e32 v[110:111], v[102:103], v[104:105]
	v_add_f64 v[108:109], v[108:109], v[110:111]
	s_waitcnt vmcnt(0)
	v_add_f64 v[4:5], v[4:5], -v[8:9]
	v_add_f64 v[6:7], v[6:7], -v[108:109]
	scratch_store_dwordx4 off, v[4:7], off offset:208
	s_and_saveexec_b64 s[2:3], vcc
	s_cbranch_execz .LBB26_151
; %bb.150:
	scratch_load_dwordx4 v[6:9], off, s42
	v_mov_b32_e32 v3, v2
	v_mov_b32_e32 v4, v2
	;; [unrolled: 1-line block ×3, first 2 shown]
	scratch_store_dwordx4 off, v[2:5], off offset:192
	s_waitcnt vmcnt(1)
	ds_write_b128 v150, v[6:9]
.LBB26_151:
	s_or_b64 exec, exec, s[2:3]
	s_waitcnt lgkmcnt(0)
	; wave barrier
	scratch_load_dwordx4 v[4:7], off, off offset:208
	scratch_load_dwordx4 v[8:11], off, off offset:224
	;; [unrolled: 1-line block ×14, first 2 shown]
	ds_read_b128 v[60:63], v2 offset:640
	ds_read_b128 v[64:67], v2 offset:656
	ds_read_b128 v[68:71], v2 offset:672
	ds_read_b128 v[72:75], v2 offset:688
	ds_read_b128 v[76:79], v2 offset:704
	ds_read_b128 v[80:83], v2 offset:720
	ds_read_b128 v[84:87], v2 offset:736
	ds_read_b128 v[88:91], v2 offset:752
	ds_read_b128 v[92:95], v2 offset:768
	ds_read_b128 v[96:99], v2 offset:784
	ds_read_b128 v[100:103], v2 offset:800
	ds_read_b128 v[104:107], v2 offset:816
	ds_read_b128 v[108:111], v2 offset:832
	ds_read_b128 v[112:115], v2 offset:848
	scratch_load_dwordx4 v[116:119], off, off offset:192
	v_cmp_lt_u32_e32 vcc, 11, v1
	s_waitcnt vmcnt(14) lgkmcnt(13)
	v_mul_f64 v[2:3], v[60:61], v[6:7]
	s_waitcnt vmcnt(13) lgkmcnt(12)
	v_mul_f64 v[120:121], v[64:65], v[10:11]
	v_fmac_f64_e32 v[2:3], v[62:63], v[4:5]
	s_waitcnt vmcnt(12) lgkmcnt(11)
	v_mul_f64 v[122:123], v[68:69], v[14:15]
	v_fmac_f64_e32 v[120:121], v[66:67], v[8:9]
	v_add_f64 v[2:3], v[2:3], 0
	s_waitcnt vmcnt(11) lgkmcnt(10)
	v_mul_f64 v[124:125], v[72:73], v[18:19]
	v_fmac_f64_e32 v[122:123], v[70:71], v[12:13]
	v_add_f64 v[2:3], v[2:3], v[120:121]
	;; [unrolled: 4-line block ×4, first 2 shown]
	s_waitcnt vmcnt(8) lgkmcnt(7)
	v_mul_f64 v[130:131], v[84:85], v[30:31]
	v_mul_f64 v[6:7], v[62:63], v[6:7]
	v_fmac_f64_e32 v[128:129], v[82:83], v[24:25]
	v_add_f64 v[2:3], v[2:3], v[126:127]
	s_waitcnt vmcnt(7) lgkmcnt(6)
	v_mul_f64 v[132:133], v[88:89], v[34:35]
	v_mul_f64 v[10:11], v[66:67], v[10:11]
	v_fmac_f64_e32 v[130:131], v[86:87], v[28:29]
	v_fma_f64 v[4:5], v[60:61], v[4:5], -v[6:7]
	v_add_f64 v[2:3], v[2:3], v[128:129]
	s_waitcnt vmcnt(6) lgkmcnt(5)
	v_mul_f64 v[134:135], v[92:93], v[38:39]
	v_mul_f64 v[14:15], v[70:71], v[14:15]
	v_fmac_f64_e32 v[132:133], v[90:91], v[32:33]
	v_fma_f64 v[6:7], v[64:65], v[8:9], -v[10:11]
	v_add_f64 v[4:5], v[4:5], 0
	v_add_f64 v[2:3], v[2:3], v[130:131]
	s_waitcnt vmcnt(5) lgkmcnt(4)
	v_mul_f64 v[136:137], v[96:97], v[42:43]
	v_mul_f64 v[18:19], v[74:75], v[18:19]
	v_fmac_f64_e32 v[134:135], v[94:95], v[36:37]
	v_fma_f64 v[8:9], v[68:69], v[12:13], -v[14:15]
	v_add_f64 v[4:5], v[4:5], v[6:7]
	;; [unrolled: 7-line block ×6, first 2 shown]
	v_add_f64 v[2:3], v[2:3], v[140:141]
	v_fmac_f64_e32 v[144:145], v[114:115], v[56:57]
	v_fma_f64 v[18:19], v[88:89], v[32:33], -v[34:35]
	v_add_f64 v[4:5], v[4:5], v[16:17]
	v_add_f64 v[2:3], v[2:3], v[142:143]
	;; [unrolled: 1-line block ×4, first 2 shown]
	v_mul_f64 v[4:5], v[94:95], v[38:39]
	v_fma_f64 v[4:5], v[92:93], v[36:37], -v[4:5]
	v_add_f64 v[2:3], v[2:3], v[4:5]
	v_mul_f64 v[4:5], v[98:99], v[42:43]
	v_fma_f64 v[4:5], v[96:97], v[40:41], -v[4:5]
	v_add_f64 v[2:3], v[2:3], v[4:5]
	;; [unrolled: 3-line block ×6, first 2 shown]
	s_waitcnt vmcnt(0)
	v_add_f64 v[2:3], v[116:117], -v[2:3]
	v_add_f64 v[4:5], v[118:119], -v[6:7]
	scratch_store_dwordx4 off, v[2:5], off offset:192
	s_and_saveexec_b64 s[2:3], vcc
	s_cbranch_execz .LBB26_153
; %bb.152:
	scratch_load_dwordx4 v[2:5], off, s39
	v_mov_b32_e32 v6, 0
	v_mov_b32_e32 v7, v6
	;; [unrolled: 1-line block ×4, first 2 shown]
	scratch_store_dwordx4 off, v[6:9], off offset:176
	s_waitcnt vmcnt(1)
	ds_write_b128 v150, v[2:5]
.LBB26_153:
	s_or_b64 exec, exec, s[2:3]
	s_waitcnt lgkmcnt(0)
	; wave barrier
	scratch_load_dwordx4 v[4:7], off, off offset:192
	scratch_load_dwordx4 v[8:11], off, off offset:208
	scratch_load_dwordx4 v[12:15], off, off offset:224
	scratch_load_dwordx4 v[16:19], off, off offset:240
	scratch_load_dwordx4 v[20:23], off, off offset:256
	scratch_load_dwordx4 v[24:27], off, off offset:272
	scratch_load_dwordx4 v[28:31], off, off offset:288
	scratch_load_dwordx4 v[32:35], off, off offset:304
	scratch_load_dwordx4 v[36:39], off, off offset:320
	scratch_load_dwordx4 v[40:43], off, off offset:336
	scratch_load_dwordx4 v[44:47], off, off offset:352
	scratch_load_dwordx4 v[48:51], off, off offset:368
	scratch_load_dwordx4 v[52:55], off, off offset:384
	scratch_load_dwordx4 v[56:59], off, off offset:400
	scratch_load_dwordx4 v[60:63], off, off offset:416
	scratch_load_dwordx4 v[64:67], off, off offset:176
	v_mov_b32_e32 v2, 0
	ds_read_b128 v[68:71], v2 offset:624
	ds_read_b128 v[72:75], v2 offset:640
	;; [unrolled: 1-line block ×15, first 2 shown]
	v_cmp_lt_u32_e32 vcc, 10, v1
	s_waitcnt vmcnt(15) lgkmcnt(14)
	v_mul_f64 v[128:129], v[68:69], v[6:7]
	v_mul_f64 v[6:7], v[70:71], v[6:7]
	s_waitcnt vmcnt(14) lgkmcnt(13)
	v_mul_f64 v[130:131], v[72:73], v[10:11]
	v_mul_f64 v[10:11], v[74:75], v[10:11]
	v_fmac_f64_e32 v[128:129], v[70:71], v[4:5]
	v_fma_f64 v[4:5], v[68:69], v[4:5], -v[6:7]
	s_waitcnt vmcnt(13) lgkmcnt(12)
	v_mul_f64 v[132:133], v[76:77], v[14:15]
	v_mul_f64 v[14:15], v[78:79], v[14:15]
	v_fma_f64 v[6:7], v[72:73], v[8:9], -v[10:11]
	v_add_f64 v[4:5], v[4:5], 0
	s_waitcnt vmcnt(12) lgkmcnt(11)
	v_mul_f64 v[134:135], v[80:81], v[18:19]
	v_mul_f64 v[18:19], v[82:83], v[18:19]
	v_fmac_f64_e32 v[130:131], v[74:75], v[8:9]
	v_fma_f64 v[8:9], v[76:77], v[12:13], -v[14:15]
	v_add_f64 v[4:5], v[4:5], v[6:7]
	s_waitcnt vmcnt(11) lgkmcnt(10)
	v_mul_f64 v[136:137], v[84:85], v[22:23]
	v_mul_f64 v[22:23], v[86:87], v[22:23]
	v_fma_f64 v[10:11], v[80:81], v[16:17], -v[18:19]
	v_add_f64 v[4:5], v[4:5], v[8:9]
	s_waitcnt vmcnt(10) lgkmcnt(9)
	v_mul_f64 v[138:139], v[88:89], v[26:27]
	v_mul_f64 v[26:27], v[90:91], v[26:27]
	v_fmac_f64_e32 v[132:133], v[78:79], v[12:13]
	v_fma_f64 v[12:13], v[84:85], v[20:21], -v[22:23]
	v_add_f64 v[4:5], v[4:5], v[10:11]
	v_fma_f64 v[14:15], v[88:89], v[24:25], -v[26:27]
	v_add_f64 v[4:5], v[4:5], v[12:13]
	s_waitcnt vmcnt(9) lgkmcnt(8)
	v_mul_f64 v[8:9], v[94:95], v[30:31]
	v_add_f64 v[4:5], v[4:5], v[14:15]
	v_fma_f64 v[8:9], v[92:93], v[28:29], -v[8:9]
	v_add_f64 v[4:5], v[4:5], v[8:9]
	s_waitcnt vmcnt(8) lgkmcnt(7)
	v_mul_f64 v[8:9], v[98:99], v[34:35]
	v_fma_f64 v[8:9], v[96:97], v[32:33], -v[8:9]
	v_fmac_f64_e32 v[134:135], v[82:83], v[16:17]
	v_add_f64 v[16:17], v[128:129], 0
	v_add_f64 v[4:5], v[4:5], v[8:9]
	s_waitcnt vmcnt(7) lgkmcnt(6)
	v_mul_f64 v[8:9], v[102:103], v[38:39]
	v_add_f64 v[16:17], v[16:17], v[130:131]
	v_fma_f64 v[8:9], v[100:101], v[36:37], -v[8:9]
	v_add_f64 v[6:7], v[16:17], v[132:133]
	v_add_f64 v[4:5], v[4:5], v[8:9]
	s_waitcnt vmcnt(6) lgkmcnt(5)
	v_mul_f64 v[8:9], v[106:107], v[42:43]
	v_fmac_f64_e32 v[136:137], v[86:87], v[20:21]
	v_add_f64 v[6:7], v[6:7], v[134:135]
	v_fma_f64 v[8:9], v[104:105], v[40:41], -v[8:9]
	v_mul_f64 v[140:141], v[92:93], v[30:31]
	v_fmac_f64_e32 v[138:139], v[90:91], v[24:25]
	v_add_f64 v[6:7], v[6:7], v[136:137]
	v_add_f64 v[4:5], v[4:5], v[8:9]
	s_waitcnt vmcnt(5) lgkmcnt(4)
	v_mul_f64 v[8:9], v[110:111], v[46:47]
	v_mul_f64 v[142:143], v[96:97], v[34:35]
	v_fmac_f64_e32 v[140:141], v[94:95], v[28:29]
	v_add_f64 v[6:7], v[6:7], v[138:139]
	v_fma_f64 v[8:9], v[108:109], v[44:45], -v[8:9]
	v_mul_f64 v[144:145], v[100:101], v[38:39]
	v_fmac_f64_e32 v[142:143], v[98:99], v[32:33]
	v_add_f64 v[6:7], v[6:7], v[140:141]
	v_add_f64 v[4:5], v[4:5], v[8:9]
	s_waitcnt vmcnt(4) lgkmcnt(3)
	v_mul_f64 v[8:9], v[114:115], v[50:51]
	;; [unrolled: 10-line block ×4, first 2 shown]
	v_mul_f64 v[156:157], v[120:121], v[58:59]
	v_fmac_f64_e32 v[154:155], v[118:119], v[52:53]
	v_add_f64 v[6:7], v[6:7], v[152:153]
	v_fma_f64 v[8:9], v[120:121], v[56:57], -v[8:9]
	s_waitcnt vmcnt(1) lgkmcnt(0)
	v_mul_f64 v[158:159], v[124:125], v[62:63]
	v_fmac_f64_e32 v[156:157], v[122:123], v[56:57]
	v_add_f64 v[6:7], v[6:7], v[154:155]
	v_add_f64 v[4:5], v[4:5], v[8:9]
	v_mul_f64 v[8:9], v[126:127], v[62:63]
	v_fmac_f64_e32 v[158:159], v[126:127], v[60:61]
	v_add_f64 v[6:7], v[6:7], v[156:157]
	v_fma_f64 v[8:9], v[124:125], v[60:61], -v[8:9]
	v_add_f64 v[6:7], v[6:7], v[158:159]
	v_add_f64 v[4:5], v[4:5], v[8:9]
	s_waitcnt vmcnt(0)
	v_add_f64 v[4:5], v[64:65], -v[4:5]
	v_add_f64 v[6:7], v[66:67], -v[6:7]
	scratch_store_dwordx4 off, v[4:7], off offset:176
	s_and_saveexec_b64 s[2:3], vcc
	s_cbranch_execz .LBB26_155
; %bb.154:
	scratch_load_dwordx4 v[6:9], off, s26
	v_mov_b32_e32 v3, v2
	v_mov_b32_e32 v4, v2
	;; [unrolled: 1-line block ×3, first 2 shown]
	scratch_store_dwordx4 off, v[2:5], off offset:160
	s_waitcnt vmcnt(1)
	ds_write_b128 v150, v[6:9]
.LBB26_155:
	s_or_b64 exec, exec, s[2:3]
	s_waitcnt lgkmcnt(0)
	; wave barrier
	scratch_load_dwordx4 v[4:7], off, off offset:176
	scratch_load_dwordx4 v[8:11], off, off offset:192
	;; [unrolled: 1-line block ×16, first 2 shown]
	ds_read_b128 v[68:71], v2 offset:608
	ds_read_b128 v[72:75], v2 offset:624
	;; [unrolled: 1-line block ×16, first 2 shown]
	scratch_load_dwordx4 v[132:135], off, off offset:160
	v_cmp_lt_u32_e32 vcc, 9, v1
	s_waitcnt vmcnt(16) lgkmcnt(14)
	v_mul_f64 v[2:3], v[68:69], v[6:7]
	s_waitcnt vmcnt(15)
	v_mul_f64 v[136:137], v[72:73], v[10:11]
	v_fmac_f64_e32 v[2:3], v[70:71], v[4:5]
	s_waitcnt vmcnt(14) lgkmcnt(13)
	v_mul_f64 v[138:139], v[76:77], v[14:15]
	v_fmac_f64_e32 v[136:137], v[74:75], v[8:9]
	v_add_f64 v[2:3], v[2:3], 0
	s_waitcnt vmcnt(13) lgkmcnt(12)
	v_mul_f64 v[140:141], v[80:81], v[18:19]
	v_fmac_f64_e32 v[138:139], v[78:79], v[12:13]
	v_add_f64 v[2:3], v[2:3], v[136:137]
	s_waitcnt vmcnt(12) lgkmcnt(11)
	v_mul_f64 v[142:143], v[84:85], v[26:27]
	v_fmac_f64_e32 v[140:141], v[82:83], v[16:17]
	v_add_f64 v[2:3], v[2:3], v[138:139]
	s_waitcnt vmcnt(11) lgkmcnt(10)
	v_mul_f64 v[144:145], v[88:89], v[22:23]
	v_fmac_f64_e32 v[142:143], v[86:87], v[24:25]
	v_add_f64 v[2:3], v[2:3], v[140:141]
	s_waitcnt vmcnt(10) lgkmcnt(9)
	v_mul_f64 v[146:147], v[92:93], v[30:31]
	v_fmac_f64_e32 v[144:145], v[90:91], v[20:21]
	v_add_f64 v[2:3], v[2:3], v[142:143]
	s_waitcnt vmcnt(9) lgkmcnt(8)
	v_mul_f64 v[148:149], v[96:97], v[34:35]
	v_fmac_f64_e32 v[146:147], v[94:95], v[28:29]
	v_add_f64 v[2:3], v[2:3], v[144:145]
	s_waitcnt vmcnt(8) lgkmcnt(7)
	v_mul_f64 v[152:153], v[100:101], v[38:39]
	v_fmac_f64_e32 v[148:149], v[98:99], v[32:33]
	v_add_f64 v[2:3], v[2:3], v[146:147]
	s_waitcnt vmcnt(7) lgkmcnt(6)
	v_mul_f64 v[154:155], v[104:105], v[42:43]
	v_fmac_f64_e32 v[152:153], v[102:103], v[36:37]
	v_add_f64 v[2:3], v[2:3], v[148:149]
	s_waitcnt vmcnt(6) lgkmcnt(5)
	v_mul_f64 v[156:157], v[108:109], v[46:47]
	v_fmac_f64_e32 v[154:155], v[106:107], v[40:41]
	v_add_f64 v[2:3], v[2:3], v[152:153]
	s_waitcnt vmcnt(5) lgkmcnt(4)
	v_mul_f64 v[158:159], v[112:113], v[50:51]
	v_fmac_f64_e32 v[156:157], v[110:111], v[44:45]
	v_add_f64 v[2:3], v[2:3], v[154:155]
	s_waitcnt vmcnt(4) lgkmcnt(3)
	v_mul_f64 v[160:161], v[116:117], v[54:55]
	v_mul_f64 v[6:7], v[70:71], v[6:7]
	v_fmac_f64_e32 v[158:159], v[114:115], v[48:49]
	v_add_f64 v[2:3], v[2:3], v[156:157]
	s_waitcnt vmcnt(3) lgkmcnt(2)
	v_mul_f64 v[162:163], v[120:121], v[58:59]
	v_mul_f64 v[10:11], v[74:75], v[10:11]
	v_fmac_f64_e32 v[160:161], v[118:119], v[52:53]
	v_fma_f64 v[4:5], v[68:69], v[4:5], -v[6:7]
	v_add_f64 v[2:3], v[2:3], v[158:159]
	s_waitcnt vmcnt(2) lgkmcnt(1)
	v_mul_f64 v[164:165], v[124:125], v[62:63]
	v_mul_f64 v[14:15], v[78:79], v[14:15]
	v_fmac_f64_e32 v[162:163], v[122:123], v[56:57]
	v_fma_f64 v[6:7], v[72:73], v[8:9], -v[10:11]
	v_add_f64 v[4:5], v[4:5], 0
	v_add_f64 v[2:3], v[2:3], v[160:161]
	s_waitcnt vmcnt(1) lgkmcnt(0)
	v_mul_f64 v[166:167], v[128:129], v[66:67]
	v_mul_f64 v[18:19], v[82:83], v[18:19]
	v_fmac_f64_e32 v[164:165], v[126:127], v[60:61]
	v_fma_f64 v[8:9], v[76:77], v[12:13], -v[14:15]
	v_add_f64 v[4:5], v[4:5], v[6:7]
	v_add_f64 v[2:3], v[2:3], v[162:163]
	v_mul_f64 v[26:27], v[86:87], v[26:27]
	v_fmac_f64_e32 v[166:167], v[130:131], v[64:65]
	v_fma_f64 v[10:11], v[80:81], v[16:17], -v[18:19]
	v_add_f64 v[4:5], v[4:5], v[8:9]
	v_add_f64 v[2:3], v[2:3], v[164:165]
	v_fma_f64 v[12:13], v[84:85], v[24:25], -v[26:27]
	v_add_f64 v[4:5], v[4:5], v[10:11]
	v_add_f64 v[6:7], v[2:3], v[166:167]
	v_mul_f64 v[2:3], v[90:91], v[22:23]
	v_add_f64 v[4:5], v[4:5], v[12:13]
	v_fma_f64 v[2:3], v[88:89], v[20:21], -v[2:3]
	v_add_f64 v[2:3], v[4:5], v[2:3]
	v_mul_f64 v[4:5], v[94:95], v[30:31]
	v_fma_f64 v[4:5], v[92:93], v[28:29], -v[4:5]
	v_add_f64 v[2:3], v[2:3], v[4:5]
	v_mul_f64 v[4:5], v[98:99], v[34:35]
	;; [unrolled: 3-line block ×10, first 2 shown]
	v_fma_f64 v[4:5], v[128:129], v[64:65], -v[4:5]
	v_add_f64 v[2:3], v[2:3], v[4:5]
	s_waitcnt vmcnt(0)
	v_add_f64 v[2:3], v[132:133], -v[2:3]
	v_add_f64 v[4:5], v[134:135], -v[6:7]
	scratch_store_dwordx4 off, v[2:5], off offset:160
	s_and_saveexec_b64 s[2:3], vcc
	s_cbranch_execz .LBB26_157
; %bb.156:
	scratch_load_dwordx4 v[2:5], off, s24
	v_mov_b32_e32 v6, 0
	v_mov_b32_e32 v7, v6
	;; [unrolled: 1-line block ×4, first 2 shown]
	scratch_store_dwordx4 off, v[6:9], off offset:144
	s_waitcnt vmcnt(1)
	ds_write_b128 v150, v[2:5]
.LBB26_157:
	s_or_b64 exec, exec, s[2:3]
	s_waitcnt lgkmcnt(0)
	; wave barrier
	scratch_load_dwordx4 v[4:7], off, off offset:160
	scratch_load_dwordx4 v[8:11], off, off offset:176
	scratch_load_dwordx4 v[16:19], off, off offset:192
	scratch_load_dwordx4 v[12:15], off, off offset:208
	scratch_load_dwordx4 v[20:23], off, off offset:224
	scratch_load_dwordx4 v[24:27], off, off offset:240
	scratch_load_dwordx4 v[28:31], off, off offset:256
	scratch_load_dwordx4 v[32:35], off, off offset:272
	scratch_load_dwordx4 v[36:39], off, off offset:288
	scratch_load_dwordx4 v[40:43], off, off offset:304
	scratch_load_dwordx4 v[44:47], off, off offset:320
	scratch_load_dwordx4 v[48:51], off, off offset:336
	scratch_load_dwordx4 v[52:55], off, off offset:352
	scratch_load_dwordx4 v[56:59], off, off offset:368
	scratch_load_dwordx4 v[60:63], off, off offset:384
	scratch_load_dwordx4 v[64:67], off, off offset:400
	scratch_load_dwordx4 v[68:71], off, off offset:416
	scratch_load_dwordx4 v[72:75], off, off offset:144
	v_mov_b32_e32 v2, 0
	ds_read_b128 v[76:79], v2 offset:592
	ds_read_b128 v[80:83], v2 offset:608
	;; [unrolled: 1-line block ×17, first 2 shown]
	v_cmp_lt_u32_e32 vcc, 8, v1
	s_waitcnt vmcnt(17) lgkmcnt(14)
	v_mul_f64 v[144:145], v[76:77], v[6:7]
	v_mul_f64 v[6:7], v[78:79], v[6:7]
	s_waitcnt vmcnt(16)
	v_mul_f64 v[146:147], v[80:81], v[10:11]
	v_mul_f64 v[10:11], v[82:83], v[10:11]
	v_fmac_f64_e32 v[144:145], v[78:79], v[4:5]
	v_fma_f64 v[4:5], v[76:77], v[4:5], -v[6:7]
	s_waitcnt vmcnt(15)
	v_mul_f64 v[148:149], v[84:85], v[18:19]
	v_mul_f64 v[18:19], v[86:87], v[18:19]
	v_fma_f64 v[6:7], v[80:81], v[8:9], -v[10:11]
	v_add_f64 v[4:5], v[4:5], 0
	s_waitcnt vmcnt(14) lgkmcnt(13)
	v_mul_f64 v[152:153], v[88:89], v[14:15]
	v_mul_f64 v[14:15], v[90:91], v[14:15]
	v_fmac_f64_e32 v[146:147], v[82:83], v[8:9]
	v_fma_f64 v[8:9], v[84:85], v[16:17], -v[18:19]
	v_add_f64 v[4:5], v[4:5], v[6:7]
	v_add_f64 v[4:5], v[4:5], v[8:9]
	v_fma_f64 v[8:9], v[88:89], v[12:13], -v[14:15]
	v_add_f64 v[4:5], v[4:5], v[8:9]
	s_waitcnt vmcnt(13) lgkmcnt(12)
	v_mul_f64 v[8:9], v[94:95], v[22:23]
	v_fma_f64 v[8:9], v[92:93], v[20:21], -v[8:9]
	v_add_f64 v[4:5], v[4:5], v[8:9]
	s_waitcnt vmcnt(12) lgkmcnt(11)
	v_mul_f64 v[8:9], v[98:99], v[26:27]
	;; [unrolled: 4-line block ×5, first 2 shown]
	v_fma_f64 v[8:9], v[108:109], v[36:37], -v[8:9]
	v_add_f64 v[10:11], v[144:145], 0
	v_add_f64 v[4:5], v[4:5], v[8:9]
	s_waitcnt vmcnt(8) lgkmcnt(7)
	v_mul_f64 v[8:9], v[114:115], v[42:43]
	v_fmac_f64_e32 v[148:149], v[86:87], v[16:17]
	v_add_f64 v[10:11], v[10:11], v[146:147]
	v_fma_f64 v[8:9], v[112:113], v[40:41], -v[8:9]
	v_mul_f64 v[154:155], v[92:93], v[22:23]
	v_fmac_f64_e32 v[152:153], v[90:91], v[12:13]
	v_add_f64 v[6:7], v[10:11], v[148:149]
	v_add_f64 v[4:5], v[4:5], v[8:9]
	s_waitcnt vmcnt(7) lgkmcnt(6)
	v_mul_f64 v[8:9], v[118:119], v[46:47]
	v_mul_f64 v[156:157], v[96:97], v[26:27]
	v_fmac_f64_e32 v[154:155], v[94:95], v[20:21]
	v_add_f64 v[6:7], v[6:7], v[152:153]
	v_fma_f64 v[8:9], v[116:117], v[44:45], -v[8:9]
	v_mul_f64 v[158:159], v[100:101], v[30:31]
	v_fmac_f64_e32 v[156:157], v[98:99], v[24:25]
	v_add_f64 v[6:7], v[6:7], v[154:155]
	v_add_f64 v[4:5], v[4:5], v[8:9]
	s_waitcnt vmcnt(6) lgkmcnt(5)
	v_mul_f64 v[8:9], v[122:123], v[50:51]
	;; [unrolled: 10-line block ×6, first 2 shown]
	v_mul_f64 v[176:177], v[136:137], v[66:67]
	v_fmac_f64_e32 v[174:175], v[134:135], v[60:61]
	v_add_f64 v[6:7], v[6:7], v[172:173]
	v_fma_f64 v[8:9], v[136:137], v[64:65], -v[8:9]
	s_waitcnt vmcnt(1) lgkmcnt(0)
	v_mul_f64 v[178:179], v[140:141], v[70:71]
	v_fmac_f64_e32 v[176:177], v[138:139], v[64:65]
	v_add_f64 v[6:7], v[6:7], v[174:175]
	v_add_f64 v[4:5], v[4:5], v[8:9]
	v_mul_f64 v[8:9], v[142:143], v[70:71]
	v_fmac_f64_e32 v[178:179], v[142:143], v[68:69]
	v_add_f64 v[6:7], v[6:7], v[176:177]
	v_fma_f64 v[8:9], v[140:141], v[68:69], -v[8:9]
	v_add_f64 v[6:7], v[6:7], v[178:179]
	v_add_f64 v[4:5], v[4:5], v[8:9]
	s_waitcnt vmcnt(0)
	v_add_f64 v[4:5], v[72:73], -v[4:5]
	v_add_f64 v[6:7], v[74:75], -v[6:7]
	scratch_store_dwordx4 off, v[4:7], off offset:144
	s_and_saveexec_b64 s[2:3], vcc
	s_cbranch_execz .LBB26_159
; %bb.158:
	scratch_load_dwordx4 v[6:9], off, s17
	v_mov_b32_e32 v3, v2
	v_mov_b32_e32 v4, v2
	;; [unrolled: 1-line block ×3, first 2 shown]
	scratch_store_dwordx4 off, v[2:5], off offset:128
	s_waitcnt vmcnt(1)
	ds_write_b128 v150, v[6:9]
.LBB26_159:
	s_or_b64 exec, exec, s[2:3]
	s_waitcnt lgkmcnt(0)
	; wave barrier
	scratch_load_dwordx4 v[4:7], off, off offset:144
	scratch_load_dwordx4 v[12:15], off, off offset:160
	;; [unrolled: 1-line block ×18, first 2 shown]
	ds_read_b128 v[76:79], v2 offset:576
	ds_read_b128 v[80:83], v2 offset:592
	;; [unrolled: 1-line block ×18, first 2 shown]
	scratch_load_dwordx4 v[152:155], off, off offset:128
	v_cmp_lt_u32_e32 vcc, 7, v1
	s_waitcnt vmcnt(18) lgkmcnt(14)
	v_mul_f64 v[2:3], v[76:77], v[6:7]
	s_waitcnt vmcnt(17)
	v_mul_f64 v[148:149], v[80:81], v[14:15]
	v_fmac_f64_e32 v[2:3], v[78:79], v[4:5]
	s_waitcnt vmcnt(16)
	v_mul_f64 v[156:157], v[84:85], v[10:11]
	v_fmac_f64_e32 v[148:149], v[82:83], v[12:13]
	v_add_f64 v[2:3], v[2:3], 0
	s_waitcnt vmcnt(15)
	v_mul_f64 v[158:159], v[88:89], v[18:19]
	v_fmac_f64_e32 v[156:157], v[86:87], v[8:9]
	v_add_f64 v[2:3], v[2:3], v[148:149]
	s_waitcnt vmcnt(14) lgkmcnt(13)
	v_mul_f64 v[160:161], v[92:93], v[22:23]
	v_fmac_f64_e32 v[158:159], v[90:91], v[16:17]
	v_add_f64 v[2:3], v[2:3], v[156:157]
	s_waitcnt vmcnt(13) lgkmcnt(12)
	;; [unrolled: 4-line block ×13, first 2 shown]
	v_mul_f64 v[226:227], v[140:141], v[70:71]
	v_mul_f64 v[6:7], v[78:79], v[6:7]
	v_fmac_f64_e32 v[224:225], v[138:139], v[64:65]
	v_add_f64 v[2:3], v[2:3], v[222:223]
	s_waitcnt vmcnt(1) lgkmcnt(0)
	v_mul_f64 v[228:229], v[144:145], v[74:75]
	v_mul_f64 v[14:15], v[82:83], v[14:15]
	v_fmac_f64_e32 v[226:227], v[142:143], v[68:69]
	v_fma_f64 v[4:5], v[76:77], v[4:5], -v[6:7]
	v_add_f64 v[2:3], v[2:3], v[224:225]
	v_mul_f64 v[10:11], v[86:87], v[10:11]
	v_fmac_f64_e32 v[228:229], v[146:147], v[72:73]
	v_fma_f64 v[6:7], v[80:81], v[12:13], -v[14:15]
	v_add_f64 v[4:5], v[4:5], 0
	v_add_f64 v[2:3], v[2:3], v[226:227]
	;; [unrolled: 1-line block ×4, first 2 shown]
	v_fma_f64 v[2:3], v[84:85], v[8:9], -v[10:11]
	v_add_f64 v[2:3], v[4:5], v[2:3]
	v_mul_f64 v[4:5], v[90:91], v[18:19]
	v_fma_f64 v[4:5], v[88:89], v[16:17], -v[4:5]
	v_add_f64 v[2:3], v[2:3], v[4:5]
	v_mul_f64 v[4:5], v[94:95], v[22:23]
	;; [unrolled: 3-line block ×15, first 2 shown]
	v_fma_f64 v[4:5], v[144:145], v[72:73], -v[4:5]
	v_add_f64 v[2:3], v[2:3], v[4:5]
	s_waitcnt vmcnt(0)
	v_add_f64 v[2:3], v[152:153], -v[2:3]
	v_add_f64 v[4:5], v[154:155], -v[6:7]
	scratch_store_dwordx4 off, v[2:5], off offset:128
	s_and_saveexec_b64 s[2:3], vcc
	s_cbranch_execz .LBB26_161
; %bb.160:
	scratch_load_dwordx4 v[2:5], off, s27
	v_mov_b32_e32 v6, 0
	v_mov_b32_e32 v7, v6
	;; [unrolled: 1-line block ×4, first 2 shown]
	scratch_store_dwordx4 off, v[6:9], off offset:112
	s_waitcnt vmcnt(1)
	ds_write_b128 v150, v[2:5]
.LBB26_161:
	s_or_b64 exec, exec, s[2:3]
	s_waitcnt lgkmcnt(0)
	; wave barrier
	scratch_load_dwordx4 v[8:11], off, off offset:128
	scratch_load_dwordx4 v[4:7], off, off offset:144
	;; [unrolled: 1-line block ×20, first 2 shown]
	v_mov_b32_e32 v2, 0
	ds_read_b128 v[84:87], v2 offset:560
	ds_read_b128 v[88:91], v2 offset:576
	;; [unrolled: 1-line block ×19, first 2 shown]
	v_cmp_lt_u32_e32 vcc, 6, v1
	s_waitcnt vmcnt(19) lgkmcnt(14)
	v_mul_f64 v[148:149], v[84:85], v[10:11]
	v_mul_f64 v[10:11], v[86:87], v[10:11]
	s_waitcnt vmcnt(18)
	v_mul_f64 v[164:165], v[88:89], v[6:7]
	v_fmac_f64_e32 v[148:149], v[86:87], v[8:9]
	v_fma_f64 v[8:9], v[84:85], v[8:9], -v[10:11]
	v_mul_f64 v[6:7], v[90:91], v[6:7]
	v_fmac_f64_e32 v[164:165], v[90:91], v[4:5]
	v_add_f64 v[8:9], v[8:9], 0
	v_fma_f64 v[4:5], v[88:89], v[4:5], -v[6:7]
	s_waitcnt vmcnt(17)
	v_mul_f64 v[6:7], v[94:95], v[14:15]
	v_add_f64 v[4:5], v[8:9], v[4:5]
	v_fma_f64 v[6:7], v[92:93], v[12:13], -v[6:7]
	v_add_f64 v[4:5], v[4:5], v[6:7]
	s_waitcnt vmcnt(16)
	v_mul_f64 v[6:7], v[98:99], v[18:19]
	v_fma_f64 v[6:7], v[96:97], v[16:17], -v[6:7]
	v_add_f64 v[4:5], v[4:5], v[6:7]
	s_waitcnt vmcnt(15)
	v_mul_f64 v[6:7], v[102:103], v[22:23]
	v_fma_f64 v[6:7], v[100:101], v[20:21], -v[6:7]
	v_add_f64 v[4:5], v[4:5], v[6:7]
	s_waitcnt vmcnt(14) lgkmcnt(13)
	v_mul_f64 v[6:7], v[106:107], v[26:27]
	v_fma_f64 v[6:7], v[104:105], v[24:25], -v[6:7]
	v_add_f64 v[4:5], v[4:5], v[6:7]
	s_waitcnt vmcnt(13) lgkmcnt(12)
	;; [unrolled: 4-line block ×5, first 2 shown]
	v_mul_f64 v[6:7], v[122:123], v[42:43]
	v_fma_f64 v[6:7], v[120:121], v[40:41], -v[6:7]
	v_mul_f64 v[166:167], v[92:93], v[14:15]
	v_add_f64 v[10:11], v[148:149], 0
	v_add_f64 v[4:5], v[4:5], v[6:7]
	s_waitcnt vmcnt(9) lgkmcnt(8)
	v_mul_f64 v[6:7], v[126:127], v[46:47]
	v_mul_f64 v[168:169], v[96:97], v[18:19]
	v_fmac_f64_e32 v[166:167], v[94:95], v[12:13]
	v_add_f64 v[10:11], v[10:11], v[164:165]
	v_fma_f64 v[6:7], v[124:125], v[44:45], -v[6:7]
	v_mul_f64 v[170:171], v[100:101], v[22:23]
	v_fmac_f64_e32 v[168:169], v[98:99], v[16:17]
	v_add_f64 v[10:11], v[10:11], v[166:167]
	v_add_f64 v[4:5], v[4:5], v[6:7]
	s_waitcnt vmcnt(8) lgkmcnt(7)
	v_mul_f64 v[6:7], v[130:131], v[50:51]
	v_mul_f64 v[172:173], v[104:105], v[26:27]
	v_fmac_f64_e32 v[170:171], v[102:103], v[20:21]
	v_add_f64 v[10:11], v[10:11], v[168:169]
	v_fma_f64 v[6:7], v[128:129], v[48:49], -v[6:7]
	v_mul_f64 v[174:175], v[108:109], v[30:31]
	v_fmac_f64_e32 v[172:173], v[106:107], v[24:25]
	;; [unrolled: 10-line block ×7, first 2 shown]
	v_add_f64 v[10:11], v[10:11], v[232:233]
	v_add_f64 v[4:5], v[4:5], v[6:7]
	s_waitcnt vmcnt(2) lgkmcnt(1)
	v_mul_f64 v[6:7], v[158:159], v[74:75]
	v_mul_f64 v[238:239], v[156:157], v[74:75]
	v_fmac_f64_e32 v[236:237], v[154:155], v[68:69]
	v_add_f64 v[10:11], v[10:11], v[234:235]
	v_fma_f64 v[6:7], v[156:157], v[72:73], -v[6:7]
	s_waitcnt vmcnt(1) lgkmcnt(0)
	v_mul_f64 v[240:241], v[160:161], v[78:79]
	v_fmac_f64_e32 v[238:239], v[158:159], v[72:73]
	v_add_f64 v[10:11], v[10:11], v[236:237]
	v_add_f64 v[4:5], v[4:5], v[6:7]
	v_mul_f64 v[6:7], v[162:163], v[78:79]
	v_fmac_f64_e32 v[240:241], v[162:163], v[76:77]
	v_add_f64 v[10:11], v[10:11], v[238:239]
	v_fma_f64 v[6:7], v[160:161], v[76:77], -v[6:7]
	v_add_f64 v[10:11], v[10:11], v[240:241]
	v_add_f64 v[4:5], v[4:5], v[6:7]
	s_waitcnt vmcnt(0)
	v_add_f64 v[4:5], v[80:81], -v[4:5]
	v_add_f64 v[6:7], v[82:83], -v[10:11]
	scratch_store_dwordx4 off, v[4:7], off offset:112
	s_and_saveexec_b64 s[2:3], vcc
	s_cbranch_execz .LBB26_163
; %bb.162:
	scratch_load_dwordx4 v[6:9], off, s25
	v_mov_b32_e32 v3, v2
	v_mov_b32_e32 v4, v2
	;; [unrolled: 1-line block ×3, first 2 shown]
	scratch_store_dwordx4 off, v[2:5], off offset:96
	s_waitcnt vmcnt(1)
	ds_write_b128 v150, v[6:9]
.LBB26_163:
	s_or_b64 exec, exec, s[2:3]
	s_waitcnt lgkmcnt(0)
	; wave barrier
	ds_read_b128 v[16:19], v2 offset:544
	ds_read_b128 v[12:15], v2 offset:560
	;; [unrolled: 1-line block ×4, first 2 shown]
	scratch_load_dwordx4 v[20:23], off, off offset:112
	scratch_load_dwordx4 v[40:43], off, off offset:176
	;; [unrolled: 1-line block ×14, first 2 shown]
	v_cmp_lt_u32_e32 vcc, 5, v1
	scratch_load_dwordx4 v[48:51], off, off offset:192
	scratch_load_dwordx4 v[56:59], off, off offset:208
	;; [unrolled: 1-line block ×3, first 2 shown]
	s_waitcnt vmcnt(16) lgkmcnt(3)
	v_mul_f64 v[24:25], v[16:17], v[22:23]
	v_fmac_f64_e32 v[24:25], v[18:19], v[20:21]
	v_add_f64 v[28:29], v[24:25], 0
	scratch_load_dwordx4 v[24:27], off, off offset:128
	s_waitcnt vmcnt(0) lgkmcnt(2)
	v_mul_f64 v[30:31], v[12:13], v[26:27]
	v_fmac_f64_e32 v[30:31], v[14:15], v[24:25]
	v_add_f64 v[32:33], v[28:29], v[30:31]
	scratch_load_dwordx4 v[28:31], off, off offset:144
	v_mul_f64 v[14:15], v[14:15], v[26:27]
	v_fma_f64 v[12:13], v[12:13], v[24:25], -v[14:15]
	s_waitcnt vmcnt(0) lgkmcnt(1)
	v_mul_f64 v[34:35], v[8:9], v[30:31]
	v_fmac_f64_e32 v[34:35], v[10:11], v[28:29]
	v_add_f64 v[36:37], v[32:33], v[34:35]
	scratch_load_dwordx4 v[32:35], off, off offset:160
	v_mul_f64 v[10:11], v[10:11], v[30:31]
	v_fma_f64 v[8:9], v[8:9], v[28:29], -v[10:11]
	s_waitcnt vmcnt(0) lgkmcnt(0)
	v_mul_f64 v[38:39], v[4:5], v[34:35]
	v_fmac_f64_e32 v[38:39], v[6:7], v[32:33]
	v_add_f64 v[44:45], v[36:37], v[38:39]
	ds_read_b128 v[36:39], v2 offset:608
	v_mul_f64 v[6:7], v[6:7], v[34:35]
	v_fma_f64 v[4:5], v[4:5], v[32:33], -v[6:7]
	s_waitcnt lgkmcnt(0)
	v_mul_f64 v[46:47], v[36:37], v[42:43]
	v_fmac_f64_e32 v[46:47], v[38:39], v[40:41]
	v_add_f64 v[52:53], v[44:45], v[46:47]
	ds_read_b128 v[44:47], v2 offset:624
	s_waitcnt lgkmcnt(0)
	v_mul_f64 v[54:55], v[44:45], v[50:51]
	v_fmac_f64_e32 v[54:55], v[46:47], v[48:49]
	v_add_f64 v[60:61], v[52:53], v[54:55]
	ds_read_b128 v[52:55], v2 offset:640
	;; [unrolled: 5-line block ×15, first 2 shown]
	s_waitcnt lgkmcnt(0)
	v_mul_f64 v[2:3], v[160:161], v[166:167]
	v_fmac_f64_e32 v[2:3], v[162:163], v[164:165]
	v_add_f64 v[96:97], v[96:97], v[2:3]
	v_mul_f64 v[2:3], v[18:19], v[22:23]
	v_fma_f64 v[2:3], v[16:17], v[20:21], -v[2:3]
	v_add_f64 v[2:3], v[2:3], 0
	v_add_f64 v[2:3], v[2:3], v[12:13]
	;; [unrolled: 1-line block ×4, first 2 shown]
	v_mul_f64 v[4:5], v[38:39], v[42:43]
	v_fma_f64 v[4:5], v[36:37], v[40:41], -v[4:5]
	v_add_f64 v[2:3], v[2:3], v[4:5]
	v_mul_f64 v[4:5], v[46:47], v[50:51]
	v_fma_f64 v[4:5], v[44:45], v[48:49], -v[4:5]
	v_add_f64 v[2:3], v[2:3], v[4:5]
	v_mul_f64 v[4:5], v[54:55], v[58:59]
	v_fma_f64 v[4:5], v[52:53], v[56:57], -v[4:5]
	v_add_f64 v[2:3], v[2:3], v[4:5]
	v_mul_f64 v[4:5], v[62:63], v[66:67]
	v_fma_f64 v[4:5], v[60:61], v[64:65], -v[4:5]
	v_add_f64 v[2:3], v[2:3], v[4:5]
	v_mul_f64 v[4:5], v[70:71], v[74:75]
	v_fma_f64 v[4:5], v[68:69], v[72:73], -v[4:5]
	v_add_f64 v[2:3], v[2:3], v[4:5]
	v_mul_f64 v[4:5], v[78:79], v[82:83]
	v_fma_f64 v[4:5], v[76:77], v[80:81], -v[4:5]
	v_add_f64 v[2:3], v[2:3], v[4:5]
	v_mul_f64 v[4:5], v[86:87], v[90:91]
	v_fma_f64 v[4:5], v[84:85], v[88:89], -v[4:5]
	v_add_f64 v[2:3], v[2:3], v[4:5]
	v_mul_f64 v[4:5], v[94:95], v[100:101]
	v_fma_f64 v[4:5], v[92:93], v[98:99], -v[4:5]
	v_add_f64 v[2:3], v[2:3], v[4:5]
	v_mul_f64 v[4:5], v[104:105], v[108:109]
	v_fma_f64 v[4:5], v[102:103], v[106:107], -v[4:5]
	v_add_f64 v[2:3], v[2:3], v[4:5]
	v_mul_f64 v[4:5], v[112:113], v[116:117]
	v_fma_f64 v[4:5], v[110:111], v[114:115], -v[4:5]
	v_add_f64 v[2:3], v[2:3], v[4:5]
	v_mul_f64 v[4:5], v[120:121], v[124:125]
	v_fma_f64 v[4:5], v[118:119], v[122:123], -v[4:5]
	v_add_f64 v[2:3], v[2:3], v[4:5]
	v_mul_f64 v[4:5], v[128:129], v[132:133]
	v_fma_f64 v[4:5], v[126:127], v[130:131], -v[4:5]
	v_add_f64 v[2:3], v[2:3], v[4:5]
	v_mul_f64 v[4:5], v[136:137], v[140:141]
	v_fma_f64 v[4:5], v[134:135], v[138:139], -v[4:5]
	v_add_f64 v[2:3], v[2:3], v[4:5]
	v_mul_f64 v[4:5], v[144:145], v[148:149]
	v_fma_f64 v[4:5], v[142:143], v[146:147], -v[4:5]
	v_add_f64 v[2:3], v[2:3], v[4:5]
	v_mul_f64 v[4:5], v[154:155], v[158:159]
	v_fma_f64 v[4:5], v[152:153], v[156:157], -v[4:5]
	v_add_f64 v[2:3], v[2:3], v[4:5]
	v_mul_f64 v[4:5], v[162:163], v[166:167]
	v_fma_f64 v[4:5], v[160:161], v[164:165], -v[4:5]
	v_add_f64 v[6:7], v[2:3], v[4:5]
	scratch_load_dwordx4 v[2:5], off, off offset:96
	s_waitcnt vmcnt(0)
	v_add_f64 v[2:3], v[2:3], -v[6:7]
	v_add_f64 v[4:5], v[4:5], -v[96:97]
	scratch_store_dwordx4 off, v[2:5], off offset:96
	s_and_saveexec_b64 s[2:3], vcc
	s_cbranch_execz .LBB26_165
; %bb.164:
	scratch_load_dwordx4 v[2:5], off, s19
	v_mov_b32_e32 v6, 0
	v_mov_b32_e32 v7, v6
	;; [unrolled: 1-line block ×4, first 2 shown]
	scratch_store_dwordx4 off, v[6:9], off offset:80
	s_waitcnt vmcnt(1)
	ds_write_b128 v150, v[2:5]
.LBB26_165:
	s_or_b64 exec, exec, s[2:3]
	v_mov_b32_e32 v2, 0
	s_waitcnt lgkmcnt(0)
	; wave barrier
	ds_read_b128 v[16:19], v2 offset:528
	ds_read_b128 v[12:15], v2 offset:544
	;; [unrolled: 1-line block ×4, first 2 shown]
	scratch_load_dwordx4 v[20:23], off, off offset:96
	scratch_load_dwordx4 v[40:43], off, off offset:160
	;; [unrolled: 1-line block ×15, first 2 shown]
	v_cmp_lt_u32_e32 vcc, 4, v1
	scratch_load_dwordx4 v[48:51], off, off offset:176
	scratch_load_dwordx4 v[56:59], off, off offset:192
	;; [unrolled: 1-line block ×3, first 2 shown]
	ds_read_b128 v[222:225], v2 offset:848
	s_waitcnt vmcnt(17) lgkmcnt(4)
	v_mul_f64 v[24:25], v[16:17], v[22:23]
	v_fmac_f64_e32 v[24:25], v[18:19], v[20:21]
	v_add_f64 v[28:29], v[24:25], 0
	scratch_load_dwordx4 v[24:27], off, off offset:112
	v_mul_f64 v[18:19], v[18:19], v[22:23]
	v_fma_f64 v[16:17], v[16:17], v[20:21], -v[18:19]
	v_add_f64 v[16:17], v[16:17], 0
	s_waitcnt vmcnt(0) lgkmcnt(3)
	v_mul_f64 v[30:31], v[12:13], v[26:27]
	v_fmac_f64_e32 v[30:31], v[14:15], v[24:25]
	v_add_f64 v[32:33], v[28:29], v[30:31]
	scratch_load_dwordx4 v[28:31], off, off offset:128
	v_mul_f64 v[14:15], v[14:15], v[26:27]
	v_fma_f64 v[12:13], v[12:13], v[24:25], -v[14:15]
	v_add_f64 v[12:13], v[16:17], v[12:13]
	;; [unrolled: 8-line block ×3, first 2 shown]
	s_waitcnt vmcnt(0) lgkmcnt(1)
	v_mul_f64 v[38:39], v[4:5], v[34:35]
	v_fmac_f64_e32 v[38:39], v[6:7], v[32:33]
	v_add_f64 v[44:45], v[36:37], v[38:39]
	ds_read_b128 v[36:39], v2 offset:592
	v_mul_f64 v[6:7], v[6:7], v[34:35]
	v_fma_f64 v[4:5], v[4:5], v[32:33], -v[6:7]
	v_add_f64 v[4:5], v[8:9], v[4:5]
	s_waitcnt lgkmcnt(0)
	v_mul_f64 v[46:47], v[36:37], v[42:43]
	v_fmac_f64_e32 v[46:47], v[38:39], v[40:41]
	v_add_f64 v[52:53], v[44:45], v[46:47]
	ds_read_b128 v[44:47], v2 offset:608
	v_mul_f64 v[6:7], v[38:39], v[42:43]
	v_fma_f64 v[6:7], v[36:37], v[40:41], -v[6:7]
	v_add_f64 v[4:5], v[4:5], v[6:7]
	s_waitcnt lgkmcnt(0)
	;; [unrolled: 8-line block ×16, first 2 shown]
	v_mul_f64 v[6:7], v[162:163], v[166:167]
	v_fma_f64 v[6:7], v[160:161], v[164:165], -v[6:7]
	v_add_f64 v[4:5], v[4:5], v[6:7]
	v_mul_f64 v[6:7], v[224:225], v[228:229]
	v_fma_f64 v[6:7], v[222:223], v[226:227], -v[6:7]
	v_add_f64 v[8:9], v[4:5], v[6:7]
	scratch_load_dwordx4 v[4:7], off, off offset:80
	v_mul_f64 v[168:169], v[160:161], v[166:167]
	v_fmac_f64_e32 v[168:169], v[162:163], v[164:165]
	v_add_f64 v[104:105], v[104:105], v[168:169]
	v_mul_f64 v[168:169], v[222:223], v[228:229]
	v_fmac_f64_e32 v[168:169], v[224:225], v[226:227]
	v_add_f64 v[104:105], v[104:105], v[168:169]
	s_waitcnt vmcnt(0)
	v_add_f64 v[4:5], v[4:5], -v[8:9]
	v_add_f64 v[6:7], v[6:7], -v[104:105]
	scratch_store_dwordx4 off, v[4:7], off offset:80
	s_and_saveexec_b64 s[2:3], vcc
	s_cbranch_execz .LBB26_167
; %bb.166:
	scratch_load_dwordx4 v[6:9], off, s16
	v_mov_b32_e32 v3, v2
	v_mov_b32_e32 v4, v2
	v_mov_b32_e32 v5, v2
	scratch_store_dwordx4 off, v[2:5], off offset:64
	s_waitcnt vmcnt(1)
	ds_write_b128 v150, v[6:9]
.LBB26_167:
	s_or_b64 exec, exec, s[2:3]
	s_waitcnt lgkmcnt(0)
	; wave barrier
	ds_read_b128 v[16:19], v2 offset:512
	ds_read_b128 v[12:15], v2 offset:528
	;; [unrolled: 1-line block ×4, first 2 shown]
	scratch_load_dwordx4 v[20:23], off, off offset:80
	scratch_load_dwordx4 v[40:43], off, off offset:144
	;; [unrolled: 1-line block ×16, first 2 shown]
	v_cmp_lt_u32_e32 vcc, 3, v1
	scratch_load_dwordx4 v[48:51], off, off offset:160
	scratch_load_dwordx4 v[56:59], off, off offset:176
	;; [unrolled: 1-line block ×3, first 2 shown]
	ds_read_b128 v[222:225], v2 offset:832
	ds_read_b128 v[230:233], v2 offset:848
	s_waitcnt vmcnt(18) lgkmcnt(5)
	v_mul_f64 v[24:25], v[16:17], v[22:23]
	v_fmac_f64_e32 v[24:25], v[18:19], v[20:21]
	v_add_f64 v[28:29], v[24:25], 0
	scratch_load_dwordx4 v[24:27], off, off offset:96
	s_waitcnt vmcnt(0) lgkmcnt(4)
	v_mul_f64 v[30:31], v[12:13], v[26:27]
	v_fmac_f64_e32 v[30:31], v[14:15], v[24:25]
	v_add_f64 v[32:33], v[28:29], v[30:31]
	scratch_load_dwordx4 v[28:31], off, off offset:112
	v_mul_f64 v[14:15], v[14:15], v[26:27]
	v_fma_f64 v[12:13], v[12:13], v[24:25], -v[14:15]
	s_waitcnt vmcnt(0) lgkmcnt(3)
	v_mul_f64 v[34:35], v[8:9], v[30:31]
	v_fmac_f64_e32 v[34:35], v[10:11], v[28:29]
	v_add_f64 v[36:37], v[32:33], v[34:35]
	scratch_load_dwordx4 v[32:35], off, off offset:128
	v_mul_f64 v[10:11], v[10:11], v[30:31]
	v_fma_f64 v[8:9], v[8:9], v[28:29], -v[10:11]
	s_waitcnt vmcnt(0) lgkmcnt(2)
	v_mul_f64 v[38:39], v[4:5], v[34:35]
	v_fmac_f64_e32 v[38:39], v[6:7], v[32:33]
	v_add_f64 v[44:45], v[36:37], v[38:39]
	ds_read_b128 v[36:39], v2 offset:576
	v_mul_f64 v[6:7], v[6:7], v[34:35]
	v_fma_f64 v[4:5], v[4:5], v[32:33], -v[6:7]
	s_waitcnt lgkmcnt(0)
	v_mul_f64 v[46:47], v[36:37], v[42:43]
	v_fmac_f64_e32 v[46:47], v[38:39], v[40:41]
	v_add_f64 v[52:53], v[44:45], v[46:47]
	ds_read_b128 v[44:47], v2 offset:592
	s_waitcnt lgkmcnt(0)
	v_mul_f64 v[54:55], v[44:45], v[50:51]
	v_fmac_f64_e32 v[54:55], v[46:47], v[48:49]
	v_add_f64 v[60:61], v[52:53], v[54:55]
	ds_read_b128 v[52:55], v2 offset:608
	;; [unrolled: 5-line block ×15, first 2 shown]
	v_mul_f64 v[2:3], v[230:231], v[236:237]
	v_fmac_f64_e32 v[2:3], v[232:233], v[234:235]
	s_waitcnt lgkmcnt(0)
	v_mul_f64 v[168:169], v[160:161], v[166:167]
	v_fmac_f64_e32 v[168:169], v[162:163], v[164:165]
	v_add_f64 v[120:121], v[120:121], v[168:169]
	v_mul_f64 v[168:169], v[222:223], v[228:229]
	v_fmac_f64_e32 v[168:169], v[224:225], v[226:227]
	v_add_f64 v[120:121], v[120:121], v[168:169]
	v_add_f64 v[120:121], v[120:121], v[2:3]
	v_mul_f64 v[2:3], v[18:19], v[22:23]
	v_fma_f64 v[2:3], v[16:17], v[20:21], -v[2:3]
	v_add_f64 v[2:3], v[2:3], 0
	v_add_f64 v[2:3], v[2:3], v[12:13]
	;; [unrolled: 1-line block ×4, first 2 shown]
	v_mul_f64 v[4:5], v[38:39], v[42:43]
	v_fma_f64 v[4:5], v[36:37], v[40:41], -v[4:5]
	v_add_f64 v[2:3], v[2:3], v[4:5]
	v_mul_f64 v[4:5], v[46:47], v[50:51]
	v_fma_f64 v[4:5], v[44:45], v[48:49], -v[4:5]
	v_add_f64 v[2:3], v[2:3], v[4:5]
	;; [unrolled: 3-line block ×18, first 2 shown]
	scratch_load_dwordx4 v[2:5], off, off offset:64
	s_waitcnt vmcnt(0)
	v_add_f64 v[2:3], v[2:3], -v[6:7]
	v_add_f64 v[4:5], v[4:5], -v[120:121]
	scratch_store_dwordx4 off, v[2:5], off offset:64
	s_and_saveexec_b64 s[2:3], vcc
	s_cbranch_execz .LBB26_169
; %bb.168:
	scratch_load_dwordx4 v[2:5], off, s15
	v_mov_b32_e32 v6, 0
	v_mov_b32_e32 v7, v6
	v_mov_b32_e32 v8, v6
	v_mov_b32_e32 v9, v6
	scratch_store_dwordx4 off, v[6:9], off offset:48
	s_waitcnt vmcnt(1)
	ds_write_b128 v150, v[2:5]
.LBB26_169:
	s_or_b64 exec, exec, s[2:3]
	v_mov_b32_e32 v2, 0
	s_waitcnt lgkmcnt(0)
	; wave barrier
	ds_read_b128 v[16:19], v2 offset:496
	ds_read_b128 v[12:15], v2 offset:512
	;; [unrolled: 1-line block ×4, first 2 shown]
	scratch_load_dwordx4 v[20:23], off, off offset:64
	scratch_load_dwordx4 v[40:43], off, off offset:128
	scratch_load_dwordx4 v[72:75], off, off offset:192
	scratch_load_dwordx4 v[80:83], off, off offset:208
	scratch_load_dwordx4 v[88:91], off, off offset:224
	scratch_load_dwordx4 v[96:99], off, off offset:240
	scratch_load_dwordx4 v[104:107], off, off offset:256
	scratch_load_dwordx4 v[112:115], off, off offset:272
	scratch_load_dwordx4 v[120:123], off, off offset:288
	scratch_load_dwordx4 v[130:133], off, off offset:304
	scratch_load_dwordx4 v[138:141], off, off offset:320
	scratch_load_dwordx4 v[146:149], off, off offset:336
	scratch_load_dwordx4 v[156:159], off, off offset:352
	scratch_load_dwordx4 v[164:167], off, off offset:368
	scratch_load_dwordx4 v[226:229], off, off offset:384
	scratch_load_dwordx4 v[234:237], off, off offset:400
	scratch_load_dwordx4 v[242:245], off, off offset:416
	v_cmp_lt_u32_e32 vcc, 2, v1
	scratch_load_dwordx4 v[48:51], off, off offset:144
	scratch_load_dwordx4 v[56:59], off, off offset:160
	scratch_load_dwordx4 v[64:67], off, off offset:176
	ds_read_b128 v[222:225], v2 offset:816
	ds_read_b128 v[230:233], v2 offset:832
	;; [unrolled: 1-line block ×3, first 2 shown]
	s_waitcnt vmcnt(19) lgkmcnt(6)
	v_mul_f64 v[24:25], v[16:17], v[22:23]
	v_fmac_f64_e32 v[24:25], v[18:19], v[20:21]
	v_add_f64 v[28:29], v[24:25], 0
	scratch_load_dwordx4 v[24:27], off, off offset:80
	v_mul_f64 v[18:19], v[18:19], v[22:23]
	v_fma_f64 v[16:17], v[16:17], v[20:21], -v[18:19]
	v_add_f64 v[16:17], v[16:17], 0
	s_waitcnt vmcnt(0) lgkmcnt(5)
	v_mul_f64 v[30:31], v[12:13], v[26:27]
	v_fmac_f64_e32 v[30:31], v[14:15], v[24:25]
	v_add_f64 v[32:33], v[28:29], v[30:31]
	scratch_load_dwordx4 v[28:31], off, off offset:96
	v_mul_f64 v[14:15], v[14:15], v[26:27]
	v_fma_f64 v[12:13], v[12:13], v[24:25], -v[14:15]
	v_add_f64 v[12:13], v[16:17], v[12:13]
	;; [unrolled: 8-line block ×3, first 2 shown]
	s_waitcnt vmcnt(0) lgkmcnt(3)
	v_mul_f64 v[38:39], v[4:5], v[34:35]
	v_fmac_f64_e32 v[38:39], v[6:7], v[32:33]
	v_add_f64 v[44:45], v[36:37], v[38:39]
	ds_read_b128 v[36:39], v2 offset:560
	v_mul_f64 v[6:7], v[6:7], v[34:35]
	v_fma_f64 v[4:5], v[4:5], v[32:33], -v[6:7]
	v_add_f64 v[4:5], v[8:9], v[4:5]
	s_waitcnt lgkmcnt(0)
	v_mul_f64 v[46:47], v[36:37], v[42:43]
	v_fmac_f64_e32 v[46:47], v[38:39], v[40:41]
	v_add_f64 v[52:53], v[44:45], v[46:47]
	ds_read_b128 v[44:47], v2 offset:576
	v_mul_f64 v[6:7], v[38:39], v[42:43]
	v_fma_f64 v[6:7], v[36:37], v[40:41], -v[6:7]
	v_add_f64 v[4:5], v[4:5], v[6:7]
	s_waitcnt lgkmcnt(0)
	;; [unrolled: 8-line block ×16, first 2 shown]
	v_mul_f64 v[6:7], v[162:163], v[166:167]
	v_fma_f64 v[6:7], v[160:161], v[164:165], -v[6:7]
	v_add_f64 v[4:5], v[4:5], v[6:7]
	v_mul_f64 v[6:7], v[224:225], v[228:229]
	v_fma_f64 v[6:7], v[222:223], v[226:227], -v[6:7]
	v_add_f64 v[4:5], v[4:5], v[6:7]
	;; [unrolled: 3-line block ×4, first 2 shown]
	scratch_load_dwordx4 v[4:7], off, off offset:48
	v_mul_f64 v[168:169], v[160:161], v[166:167]
	v_fmac_f64_e32 v[168:169], v[162:163], v[164:165]
	v_add_f64 v[128:129], v[128:129], v[168:169]
	v_mul_f64 v[168:169], v[222:223], v[228:229]
	v_fmac_f64_e32 v[168:169], v[224:225], v[226:227]
	v_add_f64 v[128:129], v[128:129], v[168:169]
	;; [unrolled: 3-line block ×4, first 2 shown]
	s_waitcnt vmcnt(0)
	v_add_f64 v[4:5], v[4:5], -v[8:9]
	v_add_f64 v[6:7], v[6:7], -v[128:129]
	scratch_store_dwordx4 off, v[4:7], off offset:48
	s_and_saveexec_b64 s[2:3], vcc
	s_cbranch_execz .LBB26_171
; %bb.170:
	scratch_load_dwordx4 v[6:9], off, s14
	v_mov_b32_e32 v3, v2
	v_mov_b32_e32 v4, v2
	;; [unrolled: 1-line block ×3, first 2 shown]
	scratch_store_dwordx4 off, v[2:5], off offset:32
	s_waitcnt vmcnt(1)
	ds_write_b128 v150, v[6:9]
.LBB26_171:
	s_or_b64 exec, exec, s[2:3]
	s_waitcnt lgkmcnt(0)
	; wave barrier
	ds_read_b128 v[16:19], v2 offset:480
	ds_read_b128 v[12:15], v2 offset:496
	;; [unrolled: 1-line block ×4, first 2 shown]
	scratch_load_dwordx4 v[20:23], off, off offset:48
	scratch_load_dwordx4 v[40:43], off, off offset:112
	;; [unrolled: 1-line block ×18, first 2 shown]
	v_cmp_lt_u32_e32 vcc, 1, v1
	scratch_load_dwordx4 v[48:51], off, off offset:128
	scratch_load_dwordx4 v[56:59], off, off offset:144
	;; [unrolled: 1-line block ×3, first 2 shown]
	ds_read_b128 v[222:225], v2 offset:800
	ds_read_b128 v[230:233], v2 offset:816
	;; [unrolled: 1-line block ×4, first 2 shown]
	s_waitcnt vmcnt(20) lgkmcnt(7)
	v_mul_f64 v[24:25], v[16:17], v[22:23]
	v_fmac_f64_e32 v[24:25], v[18:19], v[20:21]
	v_add_f64 v[28:29], v[24:25], 0
	scratch_load_dwordx4 v[24:27], off, off offset:64
	s_waitcnt vmcnt(0) lgkmcnt(6)
	v_mul_f64 v[30:31], v[12:13], v[26:27]
	v_fmac_f64_e32 v[30:31], v[14:15], v[24:25]
	v_add_f64 v[32:33], v[28:29], v[30:31]
	scratch_load_dwordx4 v[28:31], off, off offset:80
	v_mul_f64 v[14:15], v[14:15], v[26:27]
	v_fma_f64 v[12:13], v[12:13], v[24:25], -v[14:15]
	s_waitcnt vmcnt(0) lgkmcnt(5)
	v_mul_f64 v[34:35], v[8:9], v[30:31]
	v_fmac_f64_e32 v[34:35], v[10:11], v[28:29]
	v_add_f64 v[36:37], v[32:33], v[34:35]
	scratch_load_dwordx4 v[32:35], off, off offset:96
	v_mul_f64 v[10:11], v[10:11], v[30:31]
	v_fma_f64 v[8:9], v[8:9], v[28:29], -v[10:11]
	s_waitcnt vmcnt(0) lgkmcnt(4)
	v_mul_f64 v[38:39], v[4:5], v[34:35]
	v_fmac_f64_e32 v[38:39], v[6:7], v[32:33]
	v_add_f64 v[44:45], v[36:37], v[38:39]
	ds_read_b128 v[36:39], v2 offset:544
	v_mul_f64 v[6:7], v[6:7], v[34:35]
	v_fma_f64 v[4:5], v[4:5], v[32:33], -v[6:7]
	s_waitcnt lgkmcnt(0)
	v_mul_f64 v[46:47], v[36:37], v[42:43]
	v_fmac_f64_e32 v[46:47], v[38:39], v[40:41]
	v_add_f64 v[52:53], v[44:45], v[46:47]
	ds_read_b128 v[44:47], v2 offset:560
	s_waitcnt lgkmcnt(0)
	v_mul_f64 v[54:55], v[44:45], v[50:51]
	v_fmac_f64_e32 v[54:55], v[46:47], v[48:49]
	v_add_f64 v[60:61], v[52:53], v[54:55]
	ds_read_b128 v[52:55], v2 offset:576
	;; [unrolled: 5-line block ×15, first 2 shown]
	v_mul_f64 v[2:3], v[246:247], v[252:253]
	v_fmac_f64_e32 v[2:3], v[248:249], v[250:251]
	s_waitcnt lgkmcnt(0)
	v_mul_f64 v[168:169], v[160:161], v[166:167]
	v_fmac_f64_e32 v[168:169], v[162:163], v[164:165]
	v_add_f64 v[148:149], v[148:149], v[168:169]
	v_mul_f64 v[168:169], v[222:223], v[228:229]
	v_fmac_f64_e32 v[168:169], v[224:225], v[226:227]
	v_add_f64 v[148:149], v[148:149], v[168:169]
	;; [unrolled: 3-line block ×4, first 2 shown]
	v_add_f64 v[148:149], v[148:149], v[2:3]
	v_mul_f64 v[2:3], v[18:19], v[22:23]
	v_fma_f64 v[2:3], v[16:17], v[20:21], -v[2:3]
	v_add_f64 v[2:3], v[2:3], 0
	v_add_f64 v[2:3], v[2:3], v[12:13]
	;; [unrolled: 1-line block ×4, first 2 shown]
	v_mul_f64 v[4:5], v[38:39], v[42:43]
	v_fma_f64 v[4:5], v[36:37], v[40:41], -v[4:5]
	v_add_f64 v[2:3], v[2:3], v[4:5]
	v_mul_f64 v[4:5], v[46:47], v[50:51]
	v_fma_f64 v[4:5], v[44:45], v[48:49], -v[4:5]
	v_add_f64 v[2:3], v[2:3], v[4:5]
	;; [unrolled: 3-line block ×20, first 2 shown]
	scratch_load_dwordx4 v[2:5], off, off offset:32
	s_waitcnt vmcnt(0)
	v_add_f64 v[2:3], v[2:3], -v[6:7]
	v_add_f64 v[4:5], v[4:5], -v[148:149]
	scratch_store_dwordx4 off, v[2:5], off offset:32
	s_and_saveexec_b64 s[2:3], vcc
	s_cbranch_execz .LBB26_173
; %bb.172:
	scratch_load_dwordx4 v[2:5], off, s18
	v_mov_b32_e32 v6, 0
	v_mov_b32_e32 v7, v6
	;; [unrolled: 1-line block ×4, first 2 shown]
	scratch_store_dwordx4 off, v[6:9], off offset:16
	s_waitcnt vmcnt(1)
	ds_write_b128 v150, v[2:5]
.LBB26_173:
	s_or_b64 exec, exec, s[2:3]
	v_mov_b32_e32 v2, 0
	s_waitcnt lgkmcnt(0)
	; wave barrier
	ds_read_b128 v[16:19], v2 offset:464
	ds_read_b128 v[12:15], v2 offset:480
	;; [unrolled: 1-line block ×4, first 2 shown]
	scratch_load_dwordx4 v[20:23], off, off offset:32
	scratch_load_dwordx4 v[40:43], off, off offset:96
	;; [unrolled: 1-line block ×19, first 2 shown]
	v_cmp_ne_u32_e32 vcc, 0, v1
	scratch_load_dwordx4 v[48:51], off, off offset:112
	scratch_load_dwordx4 v[56:59], off, off offset:128
	;; [unrolled: 1-line block ×3, first 2 shown]
	ds_read_b128 v[222:225], v2 offset:784
	ds_read_b128 v[230:233], v2 offset:800
	;; [unrolled: 1-line block ×4, first 2 shown]
	s_waitcnt vmcnt(21) lgkmcnt(7)
	v_mul_f64 v[24:25], v[16:17], v[22:23]
	v_fmac_f64_e32 v[24:25], v[18:19], v[20:21]
	v_add_f64 v[28:29], v[24:25], 0
	scratch_load_dwordx4 v[24:27], off, off offset:48
	v_mul_f64 v[18:19], v[18:19], v[22:23]
	v_fma_f64 v[16:17], v[16:17], v[20:21], -v[18:19]
	v_add_f64 v[16:17], v[16:17], 0
	s_waitcnt vmcnt(0) lgkmcnt(6)
	v_mul_f64 v[30:31], v[12:13], v[26:27]
	v_fmac_f64_e32 v[30:31], v[14:15], v[24:25]
	v_add_f64 v[32:33], v[28:29], v[30:31]
	scratch_load_dwordx4 v[28:31], off, off offset:64
	v_mul_f64 v[14:15], v[14:15], v[26:27]
	v_fma_f64 v[12:13], v[12:13], v[24:25], -v[14:15]
	v_add_f64 v[12:13], v[16:17], v[12:13]
	s_waitcnt vmcnt(0) lgkmcnt(5)
	v_mul_f64 v[34:35], v[8:9], v[30:31]
	v_fmac_f64_e32 v[34:35], v[10:11], v[28:29]
	v_add_f64 v[36:37], v[32:33], v[34:35]
	scratch_load_dwordx4 v[32:35], off, off offset:80
	v_mul_f64 v[10:11], v[10:11], v[30:31]
	v_fma_f64 v[8:9], v[8:9], v[28:29], -v[10:11]
	v_add_f64 v[8:9], v[12:13], v[8:9]
	s_waitcnt vmcnt(0) lgkmcnt(4)
	v_mul_f64 v[38:39], v[4:5], v[34:35]
	v_fmac_f64_e32 v[38:39], v[6:7], v[32:33]
	v_add_f64 v[44:45], v[36:37], v[38:39]
	ds_read_b128 v[36:39], v2 offset:528
	v_mul_f64 v[6:7], v[6:7], v[34:35]
	v_fma_f64 v[4:5], v[4:5], v[32:33], -v[6:7]
	v_add_f64 v[4:5], v[8:9], v[4:5]
	s_waitcnt lgkmcnt(0)
	v_mul_f64 v[46:47], v[36:37], v[42:43]
	v_fmac_f64_e32 v[46:47], v[38:39], v[40:41]
	v_add_f64 v[52:53], v[44:45], v[46:47]
	ds_read_b128 v[44:47], v2 offset:544
	v_mul_f64 v[6:7], v[38:39], v[42:43]
	v_fma_f64 v[6:7], v[36:37], v[40:41], -v[6:7]
	v_add_f64 v[4:5], v[4:5], v[6:7]
	s_waitcnt lgkmcnt(0)
	;; [unrolled: 8-line block ×16, first 2 shown]
	v_mul_f64 v[168:169], v[160:161], v[166:167]
	v_fmac_f64_e32 v[168:169], v[162:163], v[164:165]
	v_add_f64 v[144:145], v[144:145], v[168:169]
	v_mul_f64 v[168:169], v[222:223], v[228:229]
	v_fmac_f64_e32 v[168:169], v[224:225], v[226:227]
	v_add_f64 v[144:145], v[144:145], v[168:169]
	v_mul_f64 v[168:169], v[230:231], v[236:237]
	v_fmac_f64_e32 v[168:169], v[232:233], v[234:235]
	v_mul_f64 v[6:7], v[162:163], v[166:167]
	v_add_f64 v[144:145], v[144:145], v[168:169]
	v_mul_f64 v[168:169], v[238:239], v[244:245]
	v_fma_f64 v[6:7], v[160:161], v[164:165], -v[6:7]
	v_fmac_f64_e32 v[168:169], v[240:241], v[242:243]
	v_add_f64 v[4:5], v[4:5], v[6:7]
	v_mul_f64 v[6:7], v[224:225], v[228:229]
	v_add_f64 v[144:145], v[144:145], v[168:169]
	v_mul_f64 v[168:169], v[246:247], v[252:253]
	v_fma_f64 v[6:7], v[222:223], v[226:227], -v[6:7]
	v_fmac_f64_e32 v[168:169], v[248:249], v[250:251]
	v_add_f64 v[4:5], v[4:5], v[6:7]
	v_mul_f64 v[6:7], v[232:233], v[236:237]
	v_add_f64 v[144:145], v[144:145], v[168:169]
	ds_read_b128 v[168:171], v2 offset:848
	v_fma_f64 v[6:7], v[230:231], v[234:235], -v[6:7]
	v_add_f64 v[4:5], v[4:5], v[6:7]
	v_mul_f64 v[6:7], v[240:241], v[244:245]
	v_fma_f64 v[6:7], v[238:239], v[242:243], -v[6:7]
	v_add_f64 v[4:5], v[4:5], v[6:7]
	v_mul_f64 v[6:7], v[248:249], v[252:253]
	v_fma_f64 v[6:7], v[246:247], v[250:251], -v[6:7]
	v_add_f64 v[4:5], v[4:5], v[6:7]
	s_waitcnt lgkmcnt(0)
	v_mul_f64 v[6:7], v[170:171], v[174:175]
	v_fma_f64 v[6:7], v[168:169], v[172:173], -v[6:7]
	v_add_f64 v[8:9], v[4:5], v[6:7]
	scratch_load_dwordx4 v[4:7], off, off offset:16
	v_mul_f64 v[176:177], v[168:169], v[174:175]
	v_fmac_f64_e32 v[176:177], v[170:171], v[172:173]
	v_add_f64 v[144:145], v[144:145], v[176:177]
	s_waitcnt vmcnt(0)
	v_add_f64 v[4:5], v[4:5], -v[8:9]
	v_add_f64 v[6:7], v[6:7], -v[144:145]
	scratch_store_dwordx4 off, v[4:7], off offset:16
	s_and_saveexec_b64 s[2:3], vcc
	s_cbranch_execz .LBB26_175
; %bb.174:
	scratch_load_dwordx4 v[6:9], off, off
	v_mov_b32_e32 v3, v2
	v_mov_b32_e32 v4, v2
	;; [unrolled: 1-line block ×3, first 2 shown]
	scratch_store_dwordx4 off, v[2:5], off
	s_waitcnt vmcnt(1)
	ds_write_b128 v150, v[6:9]
.LBB26_175:
	s_or_b64 exec, exec, s[2:3]
	s_waitcnt lgkmcnt(0)
	; wave barrier
	ds_read_b128 v[16:19], v2 offset:448
	ds_read_b128 v[12:15], v2 offset:464
	;; [unrolled: 1-line block ×4, first 2 shown]
	scratch_load_dwordx4 v[20:23], off, off offset:16
	scratch_load_dwordx4 v[40:43], off, off offset:80
	;; [unrolled: 1-line block ×19, first 2 shown]
	s_and_b64 vcc, exec, s[22:23]
	scratch_load_dwordx4 v[48:51], off, off offset:96
	scratch_load_dwordx4 v[56:59], off, off offset:112
	;; [unrolled: 1-line block ×3, first 2 shown]
	ds_read_b128 v[228:231], v2 offset:800
	ds_read_b128 v[236:239], v2 offset:816
	;; [unrolled: 1-line block ×4, first 2 shown]
	s_waitcnt vmcnt(21) lgkmcnt(7)
	v_mul_f64 v[24:25], v[16:17], v[22:23]
	v_fmac_f64_e32 v[24:25], v[18:19], v[20:21]
	v_add_f64 v[28:29], v[24:25], 0
	scratch_load_dwordx4 v[24:27], off, off offset:32
	s_waitcnt vmcnt(0) lgkmcnt(6)
	v_mul_f64 v[30:31], v[12:13], v[26:27]
	v_fmac_f64_e32 v[30:31], v[14:15], v[24:25]
	v_add_f64 v[32:33], v[28:29], v[30:31]
	scratch_load_dwordx4 v[28:31], off, off offset:48
	v_mul_f64 v[14:15], v[14:15], v[26:27]
	v_fma_f64 v[12:13], v[12:13], v[24:25], -v[14:15]
	s_waitcnt vmcnt(0) lgkmcnt(5)
	v_mul_f64 v[34:35], v[8:9], v[30:31]
	v_fmac_f64_e32 v[34:35], v[10:11], v[28:29]
	v_add_f64 v[36:37], v[32:33], v[34:35]
	scratch_load_dwordx4 v[32:35], off, off offset:64
	v_mul_f64 v[10:11], v[10:11], v[30:31]
	v_fma_f64 v[8:9], v[8:9], v[28:29], -v[10:11]
	s_waitcnt vmcnt(0) lgkmcnt(4)
	v_mul_f64 v[38:39], v[4:5], v[34:35]
	v_fmac_f64_e32 v[38:39], v[6:7], v[32:33]
	v_add_f64 v[44:45], v[36:37], v[38:39]
	ds_read_b128 v[36:39], v2 offset:512
	v_mul_f64 v[6:7], v[6:7], v[34:35]
	v_fma_f64 v[4:5], v[4:5], v[32:33], -v[6:7]
	s_waitcnt lgkmcnt(0)
	v_mul_f64 v[46:47], v[36:37], v[42:43]
	v_fmac_f64_e32 v[46:47], v[38:39], v[40:41]
	v_add_f64 v[52:53], v[44:45], v[46:47]
	ds_read_b128 v[44:47], v2 offset:528
	s_waitcnt lgkmcnt(0)
	v_mul_f64 v[54:55], v[44:45], v[50:51]
	v_fmac_f64_e32 v[54:55], v[46:47], v[48:49]
	v_add_f64 v[60:61], v[52:53], v[54:55]
	ds_read_b128 v[52:55], v2 offset:544
	;; [unrolled: 5-line block ×17, first 2 shown]
	s_waitcnt lgkmcnt(0)
	v_mul_f64 v[178:179], v[172:173], v[226:227]
	v_fmac_f64_e32 v[178:179], v[174:175], v[224:225]
	v_add_f64 v[176:177], v[176:177], v[178:179]
	v_mul_f64 v[178:179], v[228:229], v[234:235]
	v_fmac_f64_e32 v[178:179], v[230:231], v[232:233]
	v_add_f64 v[176:177], v[176:177], v[178:179]
	;; [unrolled: 3-line block ×4, first 2 shown]
	scratch_load_dwordx4 v[176:179], off, off offset:416
	s_waitcnt vmcnt(0)
	v_mul_f64 v[2:3], v[252:253], v[178:179]
	v_fmac_f64_e32 v[2:3], v[254:255], v[176:177]
	v_add_f64 v[222:223], v[222:223], v[2:3]
	v_mul_f64 v[2:3], v[18:19], v[22:23]
	v_fma_f64 v[2:3], v[16:17], v[20:21], -v[2:3]
	v_add_f64 v[2:3], v[2:3], 0
	v_add_f64 v[2:3], v[2:3], v[12:13]
	;; [unrolled: 1-line block ×4, first 2 shown]
	v_mul_f64 v[4:5], v[38:39], v[42:43]
	v_fma_f64 v[4:5], v[36:37], v[40:41], -v[4:5]
	v_add_f64 v[2:3], v[2:3], v[4:5]
	v_mul_f64 v[4:5], v[46:47], v[50:51]
	v_fma_f64 v[4:5], v[44:45], v[48:49], -v[4:5]
	v_add_f64 v[2:3], v[2:3], v[4:5]
	;; [unrolled: 3-line block ×22, first 2 shown]
	scratch_load_dwordx4 v[2:5], off, off
	s_waitcnt vmcnt(0)
	v_add_f64 v[2:3], v[2:3], -v[6:7]
	v_add_f64 v[4:5], v[4:5], -v[222:223]
	scratch_store_dwordx4 off, v[2:5], off
	s_cbranch_vccz .LBB26_228
; %bb.176:
	s_nop 0
	v_mov_b32_e32 v2, 0
	global_load_dword v3, v2, s[20:21] offset:100
	s_load_dwordx2 s[2:3], s[0:1], 0x4
	v_bfe_u32 v4, v0, 10, 10
	v_bfe_u32 v0, v0, 20, 10
	s_waitcnt lgkmcnt(0)
	s_lshr_b32 s0, s2, 16
	s_mul_i32 s0, s0, s3
	v_mul_u32_u24_e32 v1, s0, v1
	v_mul_u32_u24_e32 v4, s3, v4
	v_add3_u32 v0, v1, v4, v0
	v_mov_b32_e32 v1, 0x368
	v_lshl_add_u32 v0, v0, 4, v1
	s_waitcnt vmcnt(0)
	v_readfirstlane_b32 s0, v3
	s_add_i32 s0, s0, -1
	s_cmp_lg_u32 s0, 25
	s_cbranch_scc0 .LBB26_178
; %bb.177:
	s_lshl_b32 s0, s0, 4
	scratch_load_dwordx4 v[4:7], off, s37
	scratch_load_dwordx4 v[8:11], off, s0
	s_waitcnt vmcnt(1)
	ds_write2_b64 v0, v[4:5], v[6:7] offset1:1
	s_waitcnt vmcnt(0)
	scratch_store_dwordx4 off, v[8:11], s37
	scratch_store_dwordx4 off, v[4:7], s0
.LBB26_178:
	global_load_dword v1, v2, s[20:21] offset:96
	s_waitcnt vmcnt(0)
	v_readfirstlane_b32 s0, v1
	s_add_i32 s0, s0, -1
	s_cmp_eq_u32 s0, 24
	s_cbranch_scc1 .LBB26_180
; %bb.179:
	s_lshl_b32 s0, s0, 4
	scratch_load_dwordx4 v[2:5], off, s36
	scratch_load_dwordx4 v[6:9], off, s0
	s_waitcnt vmcnt(1)
	ds_write2_b64 v0, v[2:3], v[4:5] offset1:1
	s_waitcnt vmcnt(0)
	scratch_store_dwordx4 off, v[6:9], s36
	scratch_store_dwordx4 off, v[2:5], s0
.LBB26_180:
	v_mov_b32_e32 v1, 0
	global_load_dword v2, v1, s[20:21] offset:92
	s_waitcnt vmcnt(0)
	v_readfirstlane_b32 s0, v2
	s_add_i32 s0, s0, -1
	s_cmp_eq_u32 s0, 23
	s_cbranch_scc1 .LBB26_182
; %bb.181:
	s_lshl_b32 s0, s0, 4
	scratch_load_dwordx4 v[2:5], off, s35
	scratch_load_dwordx4 v[6:9], off, s0
	s_waitcnt vmcnt(1)
	ds_write2_b64 v0, v[2:3], v[4:5] offset1:1
	s_waitcnt vmcnt(0)
	scratch_store_dwordx4 off, v[6:9], s35
	scratch_store_dwordx4 off, v[2:5], s0
.LBB26_182:
	global_load_dword v1, v1, s[20:21] offset:88
	s_waitcnt vmcnt(0)
	v_readfirstlane_b32 s0, v1
	s_add_i32 s0, s0, -1
	s_cmp_eq_u32 s0, 22
	s_cbranch_scc1 .LBB26_184
; %bb.183:
	s_lshl_b32 s0, s0, 4
	scratch_load_dwordx4 v[2:5], off, s34
	scratch_load_dwordx4 v[6:9], off, s0
	s_waitcnt vmcnt(1)
	ds_write2_b64 v0, v[2:3], v[4:5] offset1:1
	s_waitcnt vmcnt(0)
	scratch_store_dwordx4 off, v[6:9], s34
	scratch_store_dwordx4 off, v[2:5], s0
.LBB26_184:
	v_mov_b32_e32 v1, 0
	global_load_dword v2, v1, s[20:21] offset:84
	s_waitcnt vmcnt(0)
	v_readfirstlane_b32 s0, v2
	s_add_i32 s0, s0, -1
	s_cmp_eq_u32 s0, 21
	s_cbranch_scc1 .LBB26_186
; %bb.185:
	s_lshl_b32 s0, s0, 4
	scratch_load_dwordx4 v[2:5], off, s33
	scratch_load_dwordx4 v[6:9], off, s0
	s_waitcnt vmcnt(1)
	ds_write2_b64 v0, v[2:3], v[4:5] offset1:1
	s_waitcnt vmcnt(0)
	scratch_store_dwordx4 off, v[6:9], s33
	scratch_store_dwordx4 off, v[2:5], s0
.LBB26_186:
	;; [unrolled: 33-line block ×12, first 2 shown]
	global_load_dword v1, v1, s[20:21]
	s_waitcnt vmcnt(0)
	v_readfirstlane_b32 s0, v1
	s_add_i32 s0, s0, -1
	s_cmp_eq_u32 s0, 0
	s_cbranch_scc1 .LBB26_228
; %bb.227:
	s_lshl_b32 s0, s0, 4
	scratch_load_dwordx4 v[2:5], off, off
	scratch_load_dwordx4 v[6:9], off, s0
	s_waitcnt vmcnt(1)
	ds_write2_b64 v0, v[2:3], v[4:5] offset1:1
	s_waitcnt vmcnt(0)
	scratch_store_dwordx4 off, v[6:9], off
	scratch_store_dwordx4 off, v[2:5], s0
.LBB26_228:
	scratch_load_dwordx4 v[0:3], off, off
	s_nop 0
	scratch_load_dwordx4 v[4:7], off, s18
	scratch_load_dwordx4 v[8:11], off, s14
	;; [unrolled: 1-line block ×15, first 2 shown]
                                        ; kill: killed $sgpr44
                                        ; kill: killed $sgpr18
                                        ; kill: killed $sgpr27
                                        ; kill: killed $sgpr43
                                        ; kill: killed $sgpr25
                                        ; kill: killed $sgpr42
                                        ; kill: killed $sgpr19
                                        ; kill: killed $sgpr39
                                        ; kill: killed $sgpr16
                                        ; kill: killed $sgpr26
                                        ; kill: killed $sgpr15
                                        ; kill: killed $sgpr24
                                        ; kill: killed $sgpr41
                                        ; kill: killed $sgpr14
                                        ; kill: killed $sgpr17
	scratch_load_dwordx4 v[64:67], off, s28
	scratch_load_dwordx4 v[68:71], off, s40
                                        ; kill: killed $sgpr40
                                        ; kill: killed $sgpr28
	scratch_load_dwordx4 v[72:75], off, s29
	scratch_load_dwordx4 v[76:79], off, s30
	;; [unrolled: 1-line block ×9, first 2 shown]
	v_accvgpr_read_b32 v109, a1
	v_accvgpr_read_b32 v108, a0
	s_waitcnt vmcnt(26)
	global_store_dwordx4 v[108:109], v[0:3], off
	s_nop 1
	v_accvgpr_read_b32 v0, a2
	v_accvgpr_read_b32 v1, a3
	s_waitcnt vmcnt(26)
	global_store_dwordx4 v[0:1], v[4:7], off
	v_accvgpr_read_b32 v0, a4
	v_accvgpr_read_b32 v1, a5
	s_waitcnt vmcnt(26)
	global_store_dwordx4 v[0:1], v[8:11], off
	;; [unrolled: 4-line block ×5, first 2 shown]
	s_waitcnt vmcnt(26)
	global_store_dwordx4 v[180:181], v[24:27], off
	s_waitcnt vmcnt(26)
	global_store_dwordx4 v[182:183], v[28:31], off
	;; [unrolled: 2-line block ×21, first 2 shown]
	s_endpgm
	.section	.rodata,"a",@progbits
	.p2align	6, 0x0
	.amdhsa_kernel _ZN9rocsolver6v33100L18getri_kernel_smallILi27E19rocblas_complex_numIdEPS3_EEvT1_iilPiilS6_bb
		.amdhsa_group_segment_fixed_size 1896
		.amdhsa_private_segment_fixed_size 448
		.amdhsa_kernarg_size 60
		.amdhsa_user_sgpr_count 4
		.amdhsa_user_sgpr_dispatch_ptr 1
		.amdhsa_user_sgpr_queue_ptr 0
		.amdhsa_user_sgpr_kernarg_segment_ptr 1
		.amdhsa_user_sgpr_dispatch_id 0
		.amdhsa_user_sgpr_kernarg_preload_length 0
		.amdhsa_user_sgpr_kernarg_preload_offset 0
		.amdhsa_user_sgpr_private_segment_size 0
		.amdhsa_uses_dynamic_stack 0
		.amdhsa_enable_private_segment 1
		.amdhsa_system_sgpr_workgroup_id_x 1
		.amdhsa_system_sgpr_workgroup_id_y 0
		.amdhsa_system_sgpr_workgroup_id_z 0
		.amdhsa_system_sgpr_workgroup_info 0
		.amdhsa_system_vgpr_workitem_id 2
		.amdhsa_next_free_vgpr 268
		.amdhsa_next_free_sgpr 45
		.amdhsa_accum_offset 256
		.amdhsa_reserve_vcc 1
		.amdhsa_float_round_mode_32 0
		.amdhsa_float_round_mode_16_64 0
		.amdhsa_float_denorm_mode_32 3
		.amdhsa_float_denorm_mode_16_64 3
		.amdhsa_dx10_clamp 1
		.amdhsa_ieee_mode 1
		.amdhsa_fp16_overflow 0
		.amdhsa_tg_split 0
		.amdhsa_exception_fp_ieee_invalid_op 0
		.amdhsa_exception_fp_denorm_src 0
		.amdhsa_exception_fp_ieee_div_zero 0
		.amdhsa_exception_fp_ieee_overflow 0
		.amdhsa_exception_fp_ieee_underflow 0
		.amdhsa_exception_fp_ieee_inexact 0
		.amdhsa_exception_int_div_zero 0
	.end_amdhsa_kernel
	.section	.text._ZN9rocsolver6v33100L18getri_kernel_smallILi27E19rocblas_complex_numIdEPS3_EEvT1_iilPiilS6_bb,"axG",@progbits,_ZN9rocsolver6v33100L18getri_kernel_smallILi27E19rocblas_complex_numIdEPS3_EEvT1_iilPiilS6_bb,comdat
.Lfunc_end26:
	.size	_ZN9rocsolver6v33100L18getri_kernel_smallILi27E19rocblas_complex_numIdEPS3_EEvT1_iilPiilS6_bb, .Lfunc_end26-_ZN9rocsolver6v33100L18getri_kernel_smallILi27E19rocblas_complex_numIdEPS3_EEvT1_iilPiilS6_bb
                                        ; -- End function
	.set _ZN9rocsolver6v33100L18getri_kernel_smallILi27E19rocblas_complex_numIdEPS3_EEvT1_iilPiilS6_bb.num_vgpr, 256
	.set _ZN9rocsolver6v33100L18getri_kernel_smallILi27E19rocblas_complex_numIdEPS3_EEvT1_iilPiilS6_bb.num_agpr, 12
	.set _ZN9rocsolver6v33100L18getri_kernel_smallILi27E19rocblas_complex_numIdEPS3_EEvT1_iilPiilS6_bb.numbered_sgpr, 45
	.set _ZN9rocsolver6v33100L18getri_kernel_smallILi27E19rocblas_complex_numIdEPS3_EEvT1_iilPiilS6_bb.num_named_barrier, 0
	.set _ZN9rocsolver6v33100L18getri_kernel_smallILi27E19rocblas_complex_numIdEPS3_EEvT1_iilPiilS6_bb.private_seg_size, 448
	.set _ZN9rocsolver6v33100L18getri_kernel_smallILi27E19rocblas_complex_numIdEPS3_EEvT1_iilPiilS6_bb.uses_vcc, 1
	.set _ZN9rocsolver6v33100L18getri_kernel_smallILi27E19rocblas_complex_numIdEPS3_EEvT1_iilPiilS6_bb.uses_flat_scratch, 0
	.set _ZN9rocsolver6v33100L18getri_kernel_smallILi27E19rocblas_complex_numIdEPS3_EEvT1_iilPiilS6_bb.has_dyn_sized_stack, 0
	.set _ZN9rocsolver6v33100L18getri_kernel_smallILi27E19rocblas_complex_numIdEPS3_EEvT1_iilPiilS6_bb.has_recursion, 0
	.set _ZN9rocsolver6v33100L18getri_kernel_smallILi27E19rocblas_complex_numIdEPS3_EEvT1_iilPiilS6_bb.has_indirect_call, 0
	.section	.AMDGPU.csdata,"",@progbits
; Kernel info:
; codeLenInByte = 35596
; TotalNumSgprs: 51
; NumVgprs: 256
; NumAgprs: 12
; TotalNumVgprs: 268
; ScratchSize: 448
; MemoryBound: 0
; FloatMode: 240
; IeeeMode: 1
; LDSByteSize: 1896 bytes/workgroup (compile time only)
; SGPRBlocks: 6
; VGPRBlocks: 33
; NumSGPRsForWavesPerEU: 51
; NumVGPRsForWavesPerEU: 268
; AccumOffset: 256
; Occupancy: 1
; WaveLimiterHint : 1
; COMPUTE_PGM_RSRC2:SCRATCH_EN: 1
; COMPUTE_PGM_RSRC2:USER_SGPR: 4
; COMPUTE_PGM_RSRC2:TRAP_HANDLER: 0
; COMPUTE_PGM_RSRC2:TGID_X_EN: 1
; COMPUTE_PGM_RSRC2:TGID_Y_EN: 0
; COMPUTE_PGM_RSRC2:TGID_Z_EN: 0
; COMPUTE_PGM_RSRC2:TIDIG_COMP_CNT: 2
; COMPUTE_PGM_RSRC3_GFX90A:ACCUM_OFFSET: 63
; COMPUTE_PGM_RSRC3_GFX90A:TG_SPLIT: 0
	.section	.text._ZN9rocsolver6v33100L18getri_kernel_smallILi28E19rocblas_complex_numIdEPS3_EEvT1_iilPiilS6_bb,"axG",@progbits,_ZN9rocsolver6v33100L18getri_kernel_smallILi28E19rocblas_complex_numIdEPS3_EEvT1_iilPiilS6_bb,comdat
	.globl	_ZN9rocsolver6v33100L18getri_kernel_smallILi28E19rocblas_complex_numIdEPS3_EEvT1_iilPiilS6_bb ; -- Begin function _ZN9rocsolver6v33100L18getri_kernel_smallILi28E19rocblas_complex_numIdEPS3_EEvT1_iilPiilS6_bb
	.p2align	8
	.type	_ZN9rocsolver6v33100L18getri_kernel_smallILi28E19rocblas_complex_numIdEPS3_EEvT1_iilPiilS6_bb,@function
_ZN9rocsolver6v33100L18getri_kernel_smallILi28E19rocblas_complex_numIdEPS3_EEvT1_iilPiilS6_bb: ; @_ZN9rocsolver6v33100L18getri_kernel_smallILi28E19rocblas_complex_numIdEPS3_EEvT1_iilPiilS6_bb
; %bb.0:
	v_and_b32_e32 v1, 0x3ff, v0
	v_cmp_gt_u32_e32 vcc, 28, v1
	s_and_saveexec_b64 s[6:7], vcc
	s_cbranch_execz .LBB27_126
; %bb.1:
	s_load_dword s6, s[2:3], 0x38
	s_load_dwordx4 s[16:19], s[2:3], 0x10
	s_load_dwordx4 s[8:11], s[2:3], 0x28
                                        ; implicit-def: $sgpr20_sgpr21
	s_waitcnt lgkmcnt(0)
	s_bitcmp1_b32 s6, 8
	s_cselect_b64 s[22:23], -1, 0
	s_ashr_i32 s5, s4, 31
	s_bfe_u32 s6, s6, 0x10008
	s_cmp_eq_u32 s6, 0
	s_cbranch_scc1 .LBB27_3
; %bb.2:
	s_load_dword s6, s[2:3], 0x20
	s_mul_i32 s7, s8, s5
	s_mul_hi_u32 s12, s8, s4
	s_mul_i32 s9, s9, s4
	s_add_i32 s12, s12, s7
	s_add_i32 s9, s12, s9
	s_mul_i32 s8, s8, s4
	s_waitcnt lgkmcnt(0)
	s_ashr_i32 s7, s6, 31
	s_lshl_b64 s[8:9], s[8:9], 2
	s_add_u32 s8, s18, s8
	s_addc_u32 s9, s19, s9
	s_lshl_b64 s[6:7], s[6:7], 2
	s_add_u32 s20, s8, s6
	s_addc_u32 s21, s9, s7
.LBB27_3:
	s_load_dwordx4 s[12:15], s[2:3], 0x0
	s_load_dword s6, s[2:3], 0x38
	s_mul_i32 s7, s16, s5
	s_mul_hi_u32 s8, s16, s4
	s_add_i32 s7, s8, s7
	s_mul_i32 s8, s17, s4
	s_add_i32 s9, s7, s8
	s_mul_i32 s8, s16, s4
	s_waitcnt lgkmcnt(0)
	s_ashr_i32 s3, s14, 31
	s_lshl_b64 s[8:9], s[8:9], 4
	s_mov_b32 s2, s14
	s_add_u32 s7, s12, s8
	s_addc_u32 s8, s13, s9
	s_lshl_b64 s[2:3], s[2:3], 4
	s_add_u32 s2, s7, s2
	s_addc_u32 s3, s8, s3
	s_add_i32 s7, s15, s15
	v_add_u32_e32 v14, s7, v1
	v_ashrrev_i32_e32 v15, 31, v14
	v_lshl_add_u64 v[10:11], v[14:15], 4, s[2:3]
	v_add_u32_e32 v14, s15, v14
	v_add_u32_e32 v24, s15, v14
	v_ashrrev_i32_e32 v25, 31, v24
	v_lshl_add_u64 v[18:19], v[24:25], 4, s[2:3]
	v_add_u32_e32 v24, s15, v24
	;; [unrolled: 4-line block ×3, first 2 shown]
	v_ashrrev_i32_e32 v33, 31, v32
	v_lshl_add_u64 v[34:35], v[32:33], 4, s[2:3]
	v_add_u32_e32 v32, s15, v32
	v_add_u32_e32 v40, s15, v32
	;; [unrolled: 1-line block ×6, first 2 shown]
	v_ashrrev_i32_e32 v57, 31, v56
	v_lshl_add_u64 v[194:195], v[56:57], 4, s[2:3]
	v_add_u32_e32 v56, s15, v56
	v_add_u32_e32 v64, s15, v56
	v_add_u32_e32 v66, s15, v64
	v_add_u32_e32 v72, s15, v66
	v_add_u32_e32 v80, s15, v72
	v_ashrrev_i32_e32 v81, 31, v80
	v_lshl_add_u64 v[204:205], v[80:81], 4, s[2:3]
	v_add_u32_e32 v80, s15, v80
	v_add_u32_e32 v88, s15, v80
	v_ashrrev_i32_e32 v89, 31, v88
	v_lshl_add_u64 v[208:209], v[88:89], 4, s[2:3]
	v_add_u32_e32 v88, s15, v88
	v_add_u32_e32 v96, s15, v88
	v_ashrrev_i32_e32 v97, 31, v96
	v_lshl_add_u64 v[212:213], v[96:97], 4, s[2:3]
	v_add_u32_e32 v96, s15, v96
	v_lshlrev_b32_e32 v22, 4, v1
	v_mov_b32_e32 v23, 0
	v_add_u32_e32 v104, s15, v96
	v_lshl_add_u64 v[6:7], s[2:3], 0, v[22:23]
	v_ashrrev_i32_e32 v105, 31, v104
	s_ashr_i32 s9, s15, 31
	s_mov_b32 s8, s15
	v_accvgpr_write_b32 a0, v6
	v_ashrrev_i32_e32 v15, 31, v14
	v_ashrrev_i32_e32 v25, 31, v24
	;; [unrolled: 1-line block ×6, first 2 shown]
	v_lshl_add_u64 v[216:217], v[104:105], 4, s[2:3]
	v_add_u32_e32 v104, s15, v104
	v_accvgpr_write_b32 a1, v7
	v_lshl_add_u64 v[6:7], s[8:9], 4, v[6:7]
	v_lshl_add_u64 v[16:17], v[14:15], 4, s[2:3]
	;; [unrolled: 1-line block ×7, first 2 shown]
	v_ashrrev_i32_e32 v65, 31, v64
	v_ashrrev_i32_e32 v73, 31, v72
	;; [unrolled: 1-line block ×6, first 2 shown]
	v_add_u32_e32 v112, s15, v104
	v_accvgpr_write_b32 a2, v6
	v_accvgpr_write_b32 a4, v10
	;; [unrolled: 1-line block ×10, first 2 shown]
	v_ashrrev_i32_e32 v51, 31, v50
	v_accvgpr_write_b32 a22, v48
	v_ashrrev_i32_e32 v57, 31, v56
	v_lshl_add_u64 v[198:199], v[64:65], 4, s[2:3]
	v_ashrrev_i32_e32 v67, 31, v66
	v_lshl_add_u64 v[202:203], v[72:73], 4, s[2:3]
	v_lshl_add_u64 v[206:207], v[80:81], 4, s[2:3]
	;; [unrolled: 1-line block ×5, first 2 shown]
	v_ashrrev_i32_e32 v113, 31, v112
	global_load_dwordx4 v[2:5], v22, s[2:3]
	v_accvgpr_write_b32 a3, v7
	global_load_dwordx4 v[6:9], v[6:7], off
	v_accvgpr_write_b32 a5, v11
	global_load_dwordx4 v[10:13], v[10:11], off
	;; [unrolled: 2-line block ×10, first 2 shown]
	v_lshl_add_u64 v[192:193], v[50:51], 4, s[2:3]
	v_accvgpr_write_b32 a23, v49
	global_load_dwordx4 v[48:51], v[48:49], off
	s_nop 0
	global_load_dwordx4 v[52:55], v[192:193], off
	v_lshl_add_u64 v[196:197], v[56:57], 4, s[2:3]
	global_load_dwordx4 v[56:59], v[194:195], off
	global_load_dwordx4 v[60:63], v[196:197], off
	v_lshl_add_u64 v[200:201], v[66:67], 4, s[2:3]
	global_load_dwordx4 v[64:67], v[198:199], off
	global_load_dwordx4 v[68:71], v[200:201], off
	;; [unrolled: 1-line block ×10, first 2 shown]
	v_lshl_add_u64 v[220:221], v[112:113], 4, s[2:3]
	global_load_dwordx4 v[104:107], v[218:219], off
	global_load_dwordx4 v[108:111], v[220:221], off
	v_add_u32_e32 v112, s15, v112
	v_ashrrev_i32_e32 v113, 31, v112
	v_lshl_add_u64 v[222:223], v[112:113], 4, s[2:3]
	global_load_dwordx4 v[112:115], v[222:223], off
	s_mov_b32 s18, 16
	s_mov_b32 s14, 32
	;; [unrolled: 1-line block ×4, first 2 shown]
	s_movk_i32 s19, 0x50
	s_movk_i32 s25, 0x60
	s_movk_i32 s27, 0x70
	s_movk_i32 s17, 0x80
	s_movk_i32 s24, 0x90
	s_movk_i32 s26, 0xa0
	s_movk_i32 s40, 0xb0
	s_movk_i32 s43, 0xc0
	s_movk_i32 s44, 0xd0
	s_movk_i32 s45, 0xe0
	s_movk_i32 s42, 0xf0
	s_movk_i32 s28, 0x100
	s_movk_i32 s41, 0x110
	s_movk_i32 s29, 0x120
	s_movk_i32 s30, 0x130
	s_movk_i32 s31, 0x140
	s_movk_i32 s33, 0x150
	s_movk_i32 s34, 0x160
	s_movk_i32 s35, 0x170
	s_movk_i32 s36, 0x180
	s_movk_i32 s37, 0x190
	s_movk_i32 s38, 0x1a0
	s_movk_i32 s39, 0x1b0
	s_bitcmp0_b32 s6, 0
	s_mov_b64 s[6:7], -1
	s_waitcnt vmcnt(27)
	scratch_store_dwordx4 off, v[2:5], off
	s_waitcnt vmcnt(27)
	scratch_store_dwordx4 off, v[6:9], off offset:16
	s_waitcnt vmcnt(27)
	scratch_store_dwordx4 off, v[10:13], off offset:32
	;; [unrolled: 2-line block ×27, first 2 shown]
	s_cbranch_scc1 .LBB27_124
; %bb.4:
	v_cmp_eq_u32_e64 s[2:3], 0, v1
	s_and_saveexec_b64 s[6:7], s[2:3]
; %bb.5:
	v_mov_b32_e32 v2, 0
	ds_write_b32 v2, v2 offset:896
; %bb.6:
	s_or_b64 exec, exec, s[6:7]
	s_waitcnt lgkmcnt(0)
	; wave barrier
	scratch_load_dwordx4 v[2:5], v22, off
	s_waitcnt vmcnt(0)
	v_cmp_eq_f64_e32 vcc, 0, v[2:3]
	v_cmp_eq_f64_e64 s[6:7], 0, v[4:5]
	s_and_b64 s[6:7], vcc, s[6:7]
	s_and_saveexec_b64 s[8:9], s[6:7]
	s_cbranch_execz .LBB27_10
; %bb.7:
	v_mov_b32_e32 v2, 0
	ds_read_b32 v4, v2 offset:896
	v_add_u32_e32 v3, 1, v1
	s_waitcnt lgkmcnt(0)
	v_readfirstlane_b32 s6, v4
	s_cmp_eq_u32 s6, 0
	s_cselect_b64 s[12:13], -1, 0
	v_cmp_gt_i32_e32 vcc, s6, v3
	s_or_b64 s[12:13], s[12:13], vcc
	s_and_b64 exec, exec, s[12:13]
	s_cbranch_execz .LBB27_10
; %bb.8:
	s_mov_b64 s[12:13], 0
	v_mov_b32_e32 v4, s6
.LBB27_9:                               ; =>This Inner Loop Header: Depth=1
	ds_cmpst_rtn_b32 v4, v2, v4, v3 offset:896
	s_waitcnt lgkmcnt(0)
	v_cmp_ne_u32_e32 vcc, 0, v4
	v_cmp_le_i32_e64 s[6:7], v4, v3
	s_and_b64 s[6:7], vcc, s[6:7]
	s_and_b64 s[6:7], exec, s[6:7]
	s_or_b64 s[12:13], s[6:7], s[12:13]
	s_andn2_b64 exec, exec, s[12:13]
	s_cbranch_execnz .LBB27_9
.LBB27_10:
	s_or_b64 exec, exec, s[8:9]
	v_mov_b32_e32 v3, 0
	; wave barrier
	ds_read_b32 v2, v3 offset:896
	s_and_saveexec_b64 s[6:7], s[2:3]
	s_cbranch_execz .LBB27_12
; %bb.11:
	s_lshl_b64 s[8:9], s[4:5], 2
	s_add_u32 s8, s10, s8
	s_addc_u32 s9, s11, s9
	s_waitcnt lgkmcnt(0)
	global_store_dword v3, v2, s[8:9]
.LBB27_12:
	s_or_b64 exec, exec, s[6:7]
	s_waitcnt lgkmcnt(0)
	v_cmp_ne_u32_e32 vcc, 0, v2
	s_mov_b64 s[6:7], 0
	s_cbranch_vccnz .LBB27_124
; %bb.13:
	v_mov_b32_e32 v14, v22
	scratch_load_dwordx4 v[2:5], v14, off
                                        ; implicit-def: $vgpr6_vgpr7
                                        ; implicit-def: $vgpr10_vgpr11
	s_waitcnt vmcnt(0)
	v_cmp_ngt_f64_e64 s[6:7], |v[2:3]|, |v[4:5]|
	s_and_saveexec_b64 s[8:9], s[6:7]
	s_xor_b64 s[6:7], exec, s[8:9]
	s_cbranch_execz .LBB27_15
; %bb.14:
	v_div_scale_f64 v[6:7], s[8:9], v[4:5], v[4:5], v[2:3]
	v_rcp_f64_e32 v[8:9], v[6:7]
	v_div_scale_f64 v[10:11], vcc, v[2:3], v[4:5], v[2:3]
	v_fma_f64 v[12:13], -v[6:7], v[8:9], 1.0
	v_fmac_f64_e32 v[8:9], v[8:9], v[12:13]
	v_fma_f64 v[12:13], -v[6:7], v[8:9], 1.0
	v_fmac_f64_e32 v[8:9], v[8:9], v[12:13]
	v_mul_f64 v[12:13], v[10:11], v[8:9]
	v_fma_f64 v[6:7], -v[6:7], v[12:13], v[10:11]
	v_div_fmas_f64 v[6:7], v[6:7], v[8:9], v[12:13]
	v_div_fixup_f64 v[6:7], v[6:7], v[4:5], v[2:3]
	v_fmac_f64_e32 v[4:5], v[2:3], v[6:7]
	v_div_scale_f64 v[2:3], s[8:9], v[4:5], v[4:5], 1.0
	v_rcp_f64_e32 v[8:9], v[2:3]
	s_nop 0
	v_fma_f64 v[10:11], -v[2:3], v[8:9], 1.0
	v_fmac_f64_e32 v[8:9], v[8:9], v[10:11]
	v_fma_f64 v[10:11], -v[2:3], v[8:9], 1.0
	v_fmac_f64_e32 v[8:9], v[8:9], v[10:11]
	v_div_scale_f64 v[10:11], vcc, 1.0, v[4:5], 1.0
	v_mul_f64 v[12:13], v[10:11], v[8:9]
	v_fma_f64 v[2:3], -v[2:3], v[12:13], v[10:11]
	s_nop 1
	v_div_fmas_f64 v[2:3], v[2:3], v[8:9], v[12:13]
	v_div_fixup_f64 v[8:9], v[2:3], v[4:5], 1.0
	v_mul_f64 v[6:7], v[6:7], v[8:9]
	v_xor_b32_e32 v9, 0x80000000, v9
	v_xor_b32_e32 v11, 0x80000000, v7
	v_mov_b32_e32 v10, v6
                                        ; implicit-def: $vgpr2_vgpr3
.LBB27_15:
	s_andn2_saveexec_b64 s[6:7], s[6:7]
	s_cbranch_execz .LBB27_17
; %bb.16:
	v_div_scale_f64 v[6:7], s[8:9], v[2:3], v[2:3], v[4:5]
	v_rcp_f64_e32 v[8:9], v[6:7]
	v_div_scale_f64 v[10:11], vcc, v[4:5], v[2:3], v[4:5]
	v_fma_f64 v[12:13], -v[6:7], v[8:9], 1.0
	v_fmac_f64_e32 v[8:9], v[8:9], v[12:13]
	v_fma_f64 v[12:13], -v[6:7], v[8:9], 1.0
	v_fmac_f64_e32 v[8:9], v[8:9], v[12:13]
	v_mul_f64 v[12:13], v[10:11], v[8:9]
	v_fma_f64 v[6:7], -v[6:7], v[12:13], v[10:11]
	v_div_fmas_f64 v[6:7], v[6:7], v[8:9], v[12:13]
	v_div_fixup_f64 v[8:9], v[6:7], v[2:3], v[4:5]
	v_fmac_f64_e32 v[2:3], v[4:5], v[8:9]
	v_div_scale_f64 v[4:5], s[8:9], v[2:3], v[2:3], 1.0
	v_rcp_f64_e32 v[6:7], v[4:5]
	s_nop 0
	v_fma_f64 v[10:11], -v[4:5], v[6:7], 1.0
	v_fmac_f64_e32 v[6:7], v[6:7], v[10:11]
	v_fma_f64 v[10:11], -v[4:5], v[6:7], 1.0
	v_fmac_f64_e32 v[6:7], v[6:7], v[10:11]
	v_div_scale_f64 v[10:11], vcc, 1.0, v[2:3], 1.0
	v_mul_f64 v[12:13], v[10:11], v[6:7]
	v_fma_f64 v[4:5], -v[4:5], v[12:13], v[10:11]
	s_nop 1
	v_div_fmas_f64 v[4:5], v[4:5], v[6:7], v[12:13]
	v_div_fixup_f64 v[6:7], v[4:5], v[2:3], 1.0
	v_xor_b32_e32 v11, 0x80000000, v7
	v_mov_b32_e32 v10, v6
	v_mul_f64 v[8:9], v[8:9], -v[6:7]
.LBB27_17:
	s_or_b64 exec, exec, s[6:7]
	scratch_store_dwordx4 v14, v[6:9], off
	scratch_load_dwordx4 v[2:5], off, s18
	v_xor_b32_e32 v13, 0x80000000, v9
	v_mov_b32_e32 v12, v8
	v_add_u32_e32 v6, 0x1c0, v22
	ds_write_b128 v22, v[10:13]
	s_waitcnt vmcnt(0)
	ds_write_b128 v22, v[2:5] offset:448
	s_waitcnt lgkmcnt(0)
	; wave barrier
	s_and_saveexec_b64 s[6:7], s[2:3]
	s_cbranch_execz .LBB27_19
; %bb.18:
	scratch_load_dwordx4 v[2:5], v14, off
	ds_read_b128 v[8:11], v6
	v_mov_b32_e32 v7, 0
	ds_read_b128 v[16:19], v7 offset:16
	s_waitcnt vmcnt(0) lgkmcnt(1)
	v_mul_f64 v[12:13], v[10:11], v[4:5]
	v_mul_f64 v[4:5], v[8:9], v[4:5]
	v_fma_f64 v[8:9], v[8:9], v[2:3], -v[12:13]
	v_fmac_f64_e32 v[4:5], v[10:11], v[2:3]
	v_add_f64 v[2:3], v[8:9], 0
	v_add_f64 v[8:9], v[4:5], 0
	s_waitcnt lgkmcnt(0)
	v_mul_f64 v[10:11], v[8:9], v[18:19]
	v_mul_f64 v[4:5], v[2:3], v[18:19]
	v_fma_f64 v[2:3], v[2:3], v[16:17], -v[10:11]
	v_fmac_f64_e32 v[4:5], v[8:9], v[16:17]
	scratch_store_dwordx4 off, v[2:5], off offset:16
.LBB27_19:
	s_or_b64 exec, exec, s[6:7]
	; wave barrier
	scratch_load_dwordx4 v[2:5], off, s14
	v_cmp_gt_u32_e32 vcc, 2, v1
	s_waitcnt vmcnt(0)
	ds_write_b128 v6, v[2:5]
	s_waitcnt lgkmcnt(0)
	; wave barrier
	s_and_saveexec_b64 s[6:7], vcc
	s_cbranch_execz .LBB27_23
; %bb.20:
	scratch_load_dwordx4 v[2:5], v14, off
	ds_read_b128 v[8:11], v6
	s_waitcnt vmcnt(0) lgkmcnt(0)
	v_mul_f64 v[12:13], v[10:11], v[4:5]
	v_mul_f64 v[14:15], v[8:9], v[4:5]
	v_fma_f64 v[4:5], v[8:9], v[2:3], -v[12:13]
	v_fmac_f64_e32 v[14:15], v[10:11], v[2:3]
	v_add_f64 v[4:5], v[4:5], 0
	v_add_f64 v[2:3], v[14:15], 0
	s_and_saveexec_b64 s[8:9], s[2:3]
	s_cbranch_execz .LBB27_22
; %bb.21:
	scratch_load_dwordx4 v[8:11], off, off offset:16
	v_mov_b32_e32 v7, 0
	ds_read_b128 v[12:15], v7 offset:464
	s_waitcnt vmcnt(0) lgkmcnt(0)
	v_mul_f64 v[16:17], v[12:13], v[10:11]
	v_mul_f64 v[10:11], v[14:15], v[10:11]
	v_fmac_f64_e32 v[16:17], v[14:15], v[8:9]
	v_fma_f64 v[8:9], v[12:13], v[8:9], -v[10:11]
	v_add_f64 v[2:3], v[2:3], v[16:17]
	v_add_f64 v[4:5], v[4:5], v[8:9]
.LBB27_22:
	s_or_b64 exec, exec, s[8:9]
	v_mov_b32_e32 v7, 0
	ds_read_b128 v[8:11], v7 offset:32
	s_waitcnt lgkmcnt(0)
	v_mul_f64 v[14:15], v[2:3], v[10:11]
	v_mul_f64 v[12:13], v[4:5], v[10:11]
	v_fma_f64 v[10:11], v[4:5], v[8:9], -v[14:15]
	v_fmac_f64_e32 v[12:13], v[2:3], v[8:9]
	scratch_store_dwordx4 off, v[10:13], off offset:32
.LBB27_23:
	s_or_b64 exec, exec, s[6:7]
	; wave barrier
	scratch_load_dwordx4 v[2:5], off, s15
	v_cmp_gt_u32_e32 vcc, 3, v1
	v_add_u32_e32 v7, -1, v1
	s_waitcnt vmcnt(0)
	ds_write_b128 v6, v[2:5]
	s_waitcnt lgkmcnt(0)
	; wave barrier
	s_and_saveexec_b64 s[2:3], vcc
	s_cbranch_execz .LBB27_27
; %bb.24:
	v_add_u32_e32 v8, -1, v1
	v_add_u32_e32 v9, 0x1c0, v22
	v_mov_b32_e32 v10, v22
	v_mov_b64_e32 v[2:3], 0
	s_mov_b64 s[6:7], 0
	v_mov_b64_e32 v[4:5], 0
.LBB27_25:                              ; =>This Inner Loop Header: Depth=1
	scratch_load_dwordx4 v[12:15], v10, off
	ds_read_b128 v[16:19], v9
	v_add_u32_e32 v8, 1, v8
	v_cmp_lt_u32_e32 vcc, 1, v8
	v_add_u32_e32 v9, 16, v9
	v_add_u32_e32 v10, 16, v10
	s_or_b64 s[6:7], vcc, s[6:7]
	s_waitcnt vmcnt(0) lgkmcnt(0)
	v_mul_f64 v[20:21], v[18:19], v[14:15]
	v_mul_f64 v[14:15], v[16:17], v[14:15]
	v_fma_f64 v[16:17], v[16:17], v[12:13], -v[20:21]
	v_fmac_f64_e32 v[14:15], v[18:19], v[12:13]
	v_add_f64 v[4:5], v[4:5], v[16:17]
	v_add_f64 v[2:3], v[2:3], v[14:15]
	s_andn2_b64 exec, exec, s[6:7]
	s_cbranch_execnz .LBB27_25
; %bb.26:
	s_or_b64 exec, exec, s[6:7]
	v_mov_b32_e32 v8, 0
	ds_read_b128 v[8:11], v8 offset:48
	s_waitcnt lgkmcnt(0)
	v_mul_f64 v[14:15], v[2:3], v[10:11]
	v_mul_f64 v[12:13], v[4:5], v[10:11]
	v_fma_f64 v[10:11], v[4:5], v[8:9], -v[14:15]
	v_fmac_f64_e32 v[12:13], v[2:3], v[8:9]
	scratch_store_dwordx4 off, v[10:13], off offset:48
.LBB27_27:
	s_or_b64 exec, exec, s[2:3]
	; wave barrier
	scratch_load_dwordx4 v[2:5], off, s16
	v_cmp_gt_u32_e32 vcc, 4, v1
	s_waitcnt vmcnt(0)
	ds_write_b128 v6, v[2:5]
	s_waitcnt lgkmcnt(0)
	; wave barrier
	s_and_saveexec_b64 s[2:3], vcc
	s_cbranch_execz .LBB27_31
; %bb.28:
	v_add_u32_e32 v8, -1, v1
	v_add_u32_e32 v9, 0x1c0, v22
	v_mov_b32_e32 v10, v22
	v_mov_b64_e32 v[2:3], 0
	s_mov_b64 s[6:7], 0
	v_mov_b64_e32 v[4:5], 0
.LBB27_29:                              ; =>This Inner Loop Header: Depth=1
	scratch_load_dwordx4 v[12:15], v10, off
	ds_read_b128 v[16:19], v9
	v_add_u32_e32 v8, 1, v8
	v_cmp_lt_u32_e32 vcc, 2, v8
	v_add_u32_e32 v9, 16, v9
	v_add_u32_e32 v10, 16, v10
	s_or_b64 s[6:7], vcc, s[6:7]
	s_waitcnt vmcnt(0) lgkmcnt(0)
	v_mul_f64 v[20:21], v[18:19], v[14:15]
	v_mul_f64 v[14:15], v[16:17], v[14:15]
	v_fma_f64 v[16:17], v[16:17], v[12:13], -v[20:21]
	v_fmac_f64_e32 v[14:15], v[18:19], v[12:13]
	v_add_f64 v[4:5], v[4:5], v[16:17]
	v_add_f64 v[2:3], v[2:3], v[14:15]
	s_andn2_b64 exec, exec, s[6:7]
	s_cbranch_execnz .LBB27_29
; %bb.30:
	s_or_b64 exec, exec, s[6:7]
	v_mov_b32_e32 v8, 0
	ds_read_b128 v[8:11], v8 offset:64
	s_waitcnt lgkmcnt(0)
	v_mul_f64 v[14:15], v[2:3], v[10:11]
	v_mul_f64 v[12:13], v[4:5], v[10:11]
	v_fma_f64 v[10:11], v[4:5], v[8:9], -v[14:15]
	v_fmac_f64_e32 v[12:13], v[2:3], v[8:9]
	scratch_store_dwordx4 off, v[10:13], off offset:64
.LBB27_31:
	s_or_b64 exec, exec, s[2:3]
	; wave barrier
	scratch_load_dwordx4 v[2:5], off, s19
	v_cmp_gt_u32_e32 vcc, 5, v1
	;; [unrolled: 45-line block ×19, first 2 shown]
	s_waitcnt vmcnt(0)
	ds_write_b128 v6, v[2:5]
	s_waitcnt lgkmcnt(0)
	; wave barrier
	s_and_saveexec_b64 s[2:3], vcc
	s_cbranch_execz .LBB27_103
; %bb.100:
	v_add_u32_e32 v8, -1, v1
	v_add_u32_e32 v9, 0x1c0, v22
	v_mov_b32_e32 v10, v22
	v_mov_b64_e32 v[2:3], 0
	s_mov_b64 s[6:7], 0
	v_mov_b64_e32 v[4:5], 0
.LBB27_101:                             ; =>This Inner Loop Header: Depth=1
	scratch_load_dwordx4 v[12:15], v10, off
	ds_read_b128 v[16:19], v9
	v_add_u32_e32 v8, 1, v8
	v_cmp_lt_u32_e32 vcc, 20, v8
	v_add_u32_e32 v9, 16, v9
	v_add_u32_e32 v10, 16, v10
	s_or_b64 s[6:7], vcc, s[6:7]
	s_waitcnt vmcnt(0) lgkmcnt(0)
	v_mul_f64 v[20:21], v[18:19], v[14:15]
	v_mul_f64 v[14:15], v[16:17], v[14:15]
	v_fma_f64 v[16:17], v[16:17], v[12:13], -v[20:21]
	v_fmac_f64_e32 v[14:15], v[18:19], v[12:13]
	v_add_f64 v[4:5], v[4:5], v[16:17]
	v_add_f64 v[2:3], v[2:3], v[14:15]
	s_andn2_b64 exec, exec, s[6:7]
	s_cbranch_execnz .LBB27_101
; %bb.102:
	s_or_b64 exec, exec, s[6:7]
	v_mov_b32_e32 v8, 0
	ds_read_b128 v[8:11], v8 offset:352
	s_waitcnt lgkmcnt(0)
	v_mul_f64 v[14:15], v[2:3], v[10:11]
	v_mul_f64 v[12:13], v[4:5], v[10:11]
	v_fma_f64 v[10:11], v[4:5], v[8:9], -v[14:15]
	v_fmac_f64_e32 v[12:13], v[2:3], v[8:9]
	scratch_store_dwordx4 off, v[10:13], off offset:352
.LBB27_103:
	s_or_b64 exec, exec, s[2:3]
	; wave barrier
	scratch_load_dwordx4 v[2:5], off, s35
	v_cmp_gt_u32_e32 vcc, 23, v1
	s_waitcnt vmcnt(0)
	ds_write_b128 v6, v[2:5]
	s_waitcnt lgkmcnt(0)
	; wave barrier
	s_and_saveexec_b64 s[2:3], vcc
	s_cbranch_execz .LBB27_107
; %bb.104:
	v_add_u32_e32 v8, -1, v1
	v_add_u32_e32 v9, 0x1c0, v22
	v_mov_b32_e32 v10, v22
	v_mov_b64_e32 v[2:3], 0
	s_mov_b64 s[6:7], 0
	v_mov_b64_e32 v[4:5], 0
.LBB27_105:                             ; =>This Inner Loop Header: Depth=1
	scratch_load_dwordx4 v[12:15], v10, off
	ds_read_b128 v[16:19], v9
	v_add_u32_e32 v8, 1, v8
	v_cmp_lt_u32_e32 vcc, 21, v8
	v_add_u32_e32 v9, 16, v9
	v_add_u32_e32 v10, 16, v10
	s_or_b64 s[6:7], vcc, s[6:7]
	s_waitcnt vmcnt(0) lgkmcnt(0)
	v_mul_f64 v[20:21], v[18:19], v[14:15]
	v_mul_f64 v[14:15], v[16:17], v[14:15]
	v_fma_f64 v[16:17], v[16:17], v[12:13], -v[20:21]
	v_fmac_f64_e32 v[14:15], v[18:19], v[12:13]
	v_add_f64 v[4:5], v[4:5], v[16:17]
	v_add_f64 v[2:3], v[2:3], v[14:15]
	s_andn2_b64 exec, exec, s[6:7]
	s_cbranch_execnz .LBB27_105
; %bb.106:
	s_or_b64 exec, exec, s[6:7]
	v_mov_b32_e32 v8, 0
	ds_read_b128 v[8:11], v8 offset:368
	s_waitcnt lgkmcnt(0)
	v_mul_f64 v[14:15], v[2:3], v[10:11]
	v_mul_f64 v[12:13], v[4:5], v[10:11]
	v_fma_f64 v[10:11], v[4:5], v[8:9], -v[14:15]
	v_fmac_f64_e32 v[12:13], v[2:3], v[8:9]
	scratch_store_dwordx4 off, v[10:13], off offset:368
.LBB27_107:
	s_or_b64 exec, exec, s[2:3]
	; wave barrier
	scratch_load_dwordx4 v[2:5], off, s36
	v_cmp_gt_u32_e32 vcc, 24, v1
	;; [unrolled: 45-line block ×4, first 2 shown]
	s_waitcnt vmcnt(0)
	ds_write_b128 v6, v[2:5]
	s_waitcnt lgkmcnt(0)
	; wave barrier
	s_and_saveexec_b64 s[2:3], vcc
	s_cbranch_execz .LBB27_119
; %bb.116:
	v_add_u32_e32 v8, -1, v1
	v_add_u32_e32 v9, 0x1c0, v22
	v_mov_b32_e32 v10, v22
	v_mov_b64_e32 v[2:3], 0
	s_mov_b64 s[6:7], 0
	v_mov_b64_e32 v[4:5], 0
.LBB27_117:                             ; =>This Inner Loop Header: Depth=1
	scratch_load_dwordx4 v[12:15], v10, off
	ds_read_b128 v[16:19], v9
	v_add_u32_e32 v8, 1, v8
	v_cmp_lt_u32_e32 vcc, 24, v8
	v_add_u32_e32 v9, 16, v9
	v_add_u32_e32 v10, 16, v10
	s_or_b64 s[6:7], vcc, s[6:7]
	s_waitcnt vmcnt(0) lgkmcnt(0)
	v_mul_f64 v[20:21], v[18:19], v[14:15]
	v_mul_f64 v[14:15], v[16:17], v[14:15]
	v_fma_f64 v[16:17], v[16:17], v[12:13], -v[20:21]
	v_fmac_f64_e32 v[14:15], v[18:19], v[12:13]
	v_add_f64 v[4:5], v[4:5], v[16:17]
	v_add_f64 v[2:3], v[2:3], v[14:15]
	s_andn2_b64 exec, exec, s[6:7]
	s_cbranch_execnz .LBB27_117
; %bb.118:
	s_or_b64 exec, exec, s[6:7]
	v_mov_b32_e32 v8, 0
	ds_read_b128 v[8:11], v8 offset:416
	s_waitcnt lgkmcnt(0)
	v_mul_f64 v[14:15], v[2:3], v[10:11]
	v_mul_f64 v[12:13], v[4:5], v[10:11]
	v_fma_f64 v[10:11], v[4:5], v[8:9], -v[14:15]
	v_fmac_f64_e32 v[12:13], v[2:3], v[8:9]
	scratch_store_dwordx4 off, v[10:13], off offset:416
.LBB27_119:
	s_or_b64 exec, exec, s[2:3]
	; wave barrier
	scratch_load_dwordx4 v[2:5], off, s39
	v_cmp_ne_u32_e32 vcc, 27, v1
	s_waitcnt vmcnt(0)
	ds_write_b128 v6, v[2:5]
	s_waitcnt lgkmcnt(0)
	; wave barrier
	s_and_saveexec_b64 s[2:3], vcc
	s_cbranch_execz .LBB27_123
; %bb.120:
	v_add_u32_e32 v6, 0x1c0, v22
	v_mov_b32_e32 v8, v22
	v_mov_b64_e32 v[2:3], 0
	s_mov_b64 s[6:7], 0
	v_mov_b64_e32 v[4:5], 0
.LBB27_121:                             ; =>This Inner Loop Header: Depth=1
	scratch_load_dwordx4 v[10:13], v8, off
	ds_read_b128 v[14:17], v6
	v_add_u32_e32 v7, 1, v7
	v_cmp_lt_u32_e32 vcc, 25, v7
	v_add_u32_e32 v6, 16, v6
	v_add_u32_e32 v8, 16, v8
	s_or_b64 s[6:7], vcc, s[6:7]
	s_waitcnt vmcnt(0) lgkmcnt(0)
	v_mul_f64 v[18:19], v[16:17], v[12:13]
	v_mul_f64 v[12:13], v[14:15], v[12:13]
	v_fma_f64 v[14:15], v[14:15], v[10:11], -v[18:19]
	v_fmac_f64_e32 v[12:13], v[16:17], v[10:11]
	v_add_f64 v[4:5], v[4:5], v[14:15]
	v_add_f64 v[2:3], v[2:3], v[12:13]
	s_andn2_b64 exec, exec, s[6:7]
	s_cbranch_execnz .LBB27_121
; %bb.122:
	s_or_b64 exec, exec, s[6:7]
	v_mov_b32_e32 v6, 0
	ds_read_b128 v[6:9], v6 offset:432
	s_waitcnt lgkmcnt(0)
	v_mul_f64 v[12:13], v[2:3], v[8:9]
	v_mul_f64 v[10:11], v[4:5], v[8:9]
	v_fma_f64 v[8:9], v[4:5], v[6:7], -v[12:13]
	v_fmac_f64_e32 v[10:11], v[2:3], v[6:7]
	scratch_store_dwordx4 off, v[8:11], off offset:432
.LBB27_123:
	s_or_b64 exec, exec, s[2:3]
	s_mov_b64 s[6:7], -1
	; wave barrier
.LBB27_124:
	s_and_b64 vcc, exec, s[6:7]
	s_cbranch_vccz .LBB27_126
; %bb.125:
	s_lshl_b64 s[2:3], s[4:5], 2
	s_add_u32 s2, s10, s2
	s_addc_u32 s3, s11, s3
	v_mov_b32_e32 v2, 0
	global_load_dword v2, v2, s[2:3]
	s_waitcnt vmcnt(0)
	v_cmp_ne_u32_e32 vcc, 0, v2
	s_cbranch_vccz .LBB27_127
.LBB27_126:
	s_endpgm
.LBB27_127:
	v_mov_b32_e32 v2, 0x1c0
	v_lshl_add_u32 v226, v1, 4, v2
	v_cmp_eq_u32_e32 vcc, 27, v1
	s_and_saveexec_b64 s[2:3], vcc
	s_cbranch_execz .LBB27_129
; %bb.128:
	scratch_load_dwordx4 v[2:5], off, s38
	v_mov_b32_e32 v6, 0
	v_mov_b32_e32 v7, v6
	;; [unrolled: 1-line block ×4, first 2 shown]
	scratch_store_dwordx4 off, v[6:9], off offset:416
	s_waitcnt vmcnt(1)
	ds_write_b128 v226, v[2:5]
.LBB27_129:
	s_or_b64 exec, exec, s[2:3]
	s_waitcnt lgkmcnt(0)
	; wave barrier
	scratch_load_dwordx4 v[4:7], off, off offset:432
	scratch_load_dwordx4 v[8:11], off, off offset:416
	v_mov_b32_e32 v2, 0
	ds_read_b128 v[12:15], v2 offset:880
	v_cmp_lt_u32_e32 vcc, 25, v1
	s_waitcnt vmcnt(1) lgkmcnt(0)
	v_mul_f64 v[16:17], v[12:13], v[6:7]
	v_mul_f64 v[6:7], v[14:15], v[6:7]
	v_fmac_f64_e32 v[16:17], v[14:15], v[4:5]
	v_fma_f64 v[4:5], v[12:13], v[4:5], -v[6:7]
	v_add_f64 v[6:7], v[16:17], 0
	v_add_f64 v[4:5], v[4:5], 0
	s_waitcnt vmcnt(0)
	v_add_f64 v[4:5], v[8:9], -v[4:5]
	v_add_f64 v[6:7], v[10:11], -v[6:7]
	scratch_store_dwordx4 off, v[4:7], off offset:416
	s_and_saveexec_b64 s[2:3], vcc
	s_cbranch_execz .LBB27_131
; %bb.130:
	scratch_load_dwordx4 v[6:9], off, s37
	v_mov_b32_e32 v3, v2
	v_mov_b32_e32 v4, v2
	;; [unrolled: 1-line block ×3, first 2 shown]
	scratch_store_dwordx4 off, v[2:5], off offset:400
	s_waitcnt vmcnt(1)
	ds_write_b128 v226, v[6:9]
.LBB27_131:
	s_or_b64 exec, exec, s[2:3]
	s_waitcnt lgkmcnt(0)
	; wave barrier
	scratch_load_dwordx4 v[4:7], off, off offset:416
	scratch_load_dwordx4 v[8:11], off, off offset:432
	;; [unrolled: 1-line block ×3, first 2 shown]
	ds_read_b128 v[16:19], v2 offset:864
	ds_read_b128 v[20:23], v2 offset:880
	v_cmp_lt_u32_e32 vcc, 24, v1
	s_waitcnt vmcnt(2) lgkmcnt(1)
	v_mul_f64 v[2:3], v[16:17], v[6:7]
	v_mul_f64 v[6:7], v[18:19], v[6:7]
	s_waitcnt vmcnt(1) lgkmcnt(0)
	v_mul_f64 v[24:25], v[20:21], v[10:11]
	v_mul_f64 v[10:11], v[22:23], v[10:11]
	v_fmac_f64_e32 v[2:3], v[18:19], v[4:5]
	v_fma_f64 v[4:5], v[16:17], v[4:5], -v[6:7]
	v_fmac_f64_e32 v[24:25], v[22:23], v[8:9]
	v_fma_f64 v[6:7], v[20:21], v[8:9], -v[10:11]
	v_add_f64 v[2:3], v[2:3], 0
	v_add_f64 v[4:5], v[4:5], 0
	;; [unrolled: 1-line block ×4, first 2 shown]
	s_waitcnt vmcnt(0)
	v_add_f64 v[2:3], v[12:13], -v[2:3]
	v_add_f64 v[4:5], v[14:15], -v[8:9]
	scratch_store_dwordx4 off, v[2:5], off offset:400
	s_and_saveexec_b64 s[2:3], vcc
	s_cbranch_execz .LBB27_133
; %bb.132:
	scratch_load_dwordx4 v[2:5], off, s36
	v_mov_b32_e32 v6, 0
	v_mov_b32_e32 v7, v6
	;; [unrolled: 1-line block ×4, first 2 shown]
	scratch_store_dwordx4 off, v[6:9], off offset:384
	s_waitcnt vmcnt(1)
	ds_write_b128 v226, v[2:5]
.LBB27_133:
	s_or_b64 exec, exec, s[2:3]
	s_waitcnt lgkmcnt(0)
	; wave barrier
	scratch_load_dwordx4 v[4:7], off, off offset:400
	scratch_load_dwordx4 v[8:11], off, off offset:416
	;; [unrolled: 1-line block ×4, first 2 shown]
	v_mov_b32_e32 v2, 0
	ds_read_b128 v[20:23], v2 offset:848
	ds_read_b128 v[24:27], v2 offset:864
	;; [unrolled: 1-line block ×3, first 2 shown]
	v_cmp_lt_u32_e32 vcc, 23, v1
	s_waitcnt vmcnt(3) lgkmcnt(2)
	v_mul_f64 v[32:33], v[20:21], v[6:7]
	v_mul_f64 v[6:7], v[22:23], v[6:7]
	s_waitcnt vmcnt(2) lgkmcnt(1)
	v_mul_f64 v[34:35], v[24:25], v[10:11]
	v_mul_f64 v[10:11], v[26:27], v[10:11]
	v_fmac_f64_e32 v[32:33], v[22:23], v[4:5]
	v_fma_f64 v[4:5], v[20:21], v[4:5], -v[6:7]
	s_waitcnt vmcnt(1) lgkmcnt(0)
	v_mul_f64 v[36:37], v[28:29], v[14:15]
	v_mul_f64 v[14:15], v[30:31], v[14:15]
	v_fmac_f64_e32 v[34:35], v[26:27], v[8:9]
	v_fma_f64 v[6:7], v[24:25], v[8:9], -v[10:11]
	v_add_f64 v[10:11], v[32:33], 0
	v_add_f64 v[4:5], v[4:5], 0
	v_fmac_f64_e32 v[36:37], v[30:31], v[12:13]
	v_fma_f64 v[8:9], v[28:29], v[12:13], -v[14:15]
	v_add_f64 v[10:11], v[10:11], v[34:35]
	v_add_f64 v[4:5], v[4:5], v[6:7]
	;; [unrolled: 1-line block ×4, first 2 shown]
	s_waitcnt vmcnt(0)
	v_add_f64 v[4:5], v[16:17], -v[4:5]
	v_add_f64 v[6:7], v[18:19], -v[6:7]
	scratch_store_dwordx4 off, v[4:7], off offset:384
	s_and_saveexec_b64 s[2:3], vcc
	s_cbranch_execz .LBB27_135
; %bb.134:
	scratch_load_dwordx4 v[6:9], off, s35
	v_mov_b32_e32 v3, v2
	v_mov_b32_e32 v4, v2
	;; [unrolled: 1-line block ×3, first 2 shown]
	scratch_store_dwordx4 off, v[2:5], off offset:368
	s_waitcnt vmcnt(1)
	ds_write_b128 v226, v[6:9]
.LBB27_135:
	s_or_b64 exec, exec, s[2:3]
	s_waitcnt lgkmcnt(0)
	; wave barrier
	scratch_load_dwordx4 v[4:7], off, off offset:384
	scratch_load_dwordx4 v[8:11], off, off offset:400
	scratch_load_dwordx4 v[12:15], off, off offset:416
	scratch_load_dwordx4 v[16:19], off, off offset:432
	scratch_load_dwordx4 v[20:23], off, off offset:368
	ds_read_b128 v[24:27], v2 offset:832
	ds_read_b128 v[28:31], v2 offset:848
	;; [unrolled: 1-line block ×4, first 2 shown]
	v_cmp_lt_u32_e32 vcc, 22, v1
	s_waitcnt vmcnt(4) lgkmcnt(3)
	v_mul_f64 v[2:3], v[24:25], v[6:7]
	v_mul_f64 v[6:7], v[26:27], v[6:7]
	s_waitcnt vmcnt(3) lgkmcnt(2)
	v_mul_f64 v[40:41], v[28:29], v[10:11]
	v_mul_f64 v[10:11], v[30:31], v[10:11]
	v_fmac_f64_e32 v[2:3], v[26:27], v[4:5]
	v_fma_f64 v[4:5], v[24:25], v[4:5], -v[6:7]
	s_waitcnt vmcnt(2) lgkmcnt(1)
	v_mul_f64 v[42:43], v[32:33], v[14:15]
	v_mul_f64 v[14:15], v[34:35], v[14:15]
	v_fmac_f64_e32 v[40:41], v[30:31], v[8:9]
	v_fma_f64 v[6:7], v[28:29], v[8:9], -v[10:11]
	v_add_f64 v[2:3], v[2:3], 0
	v_add_f64 v[4:5], v[4:5], 0
	s_waitcnt vmcnt(1) lgkmcnt(0)
	v_mul_f64 v[44:45], v[36:37], v[18:19]
	v_mul_f64 v[18:19], v[38:39], v[18:19]
	v_fmac_f64_e32 v[42:43], v[34:35], v[12:13]
	v_fma_f64 v[8:9], v[32:33], v[12:13], -v[14:15]
	v_add_f64 v[2:3], v[2:3], v[40:41]
	v_add_f64 v[4:5], v[4:5], v[6:7]
	v_fmac_f64_e32 v[44:45], v[38:39], v[16:17]
	v_fma_f64 v[10:11], v[36:37], v[16:17], -v[18:19]
	v_add_f64 v[2:3], v[2:3], v[42:43]
	v_add_f64 v[4:5], v[4:5], v[8:9]
	v_add_f64 v[6:7], v[2:3], v[44:45]
	v_add_f64 v[2:3], v[4:5], v[10:11]
	s_waitcnt vmcnt(0)
	v_add_f64 v[2:3], v[20:21], -v[2:3]
	v_add_f64 v[4:5], v[22:23], -v[6:7]
	scratch_store_dwordx4 off, v[2:5], off offset:368
	s_and_saveexec_b64 s[2:3], vcc
	s_cbranch_execz .LBB27_137
; %bb.136:
	scratch_load_dwordx4 v[2:5], off, s34
	v_mov_b32_e32 v6, 0
	v_mov_b32_e32 v7, v6
	;; [unrolled: 1-line block ×4, first 2 shown]
	scratch_store_dwordx4 off, v[6:9], off offset:352
	s_waitcnt vmcnt(1)
	ds_write_b128 v226, v[2:5]
.LBB27_137:
	s_or_b64 exec, exec, s[2:3]
	s_waitcnt lgkmcnt(0)
	; wave barrier
	scratch_load_dwordx4 v[4:7], off, off offset:368
	scratch_load_dwordx4 v[8:11], off, off offset:384
	scratch_load_dwordx4 v[12:15], off, off offset:400
	scratch_load_dwordx4 v[16:19], off, off offset:416
	scratch_load_dwordx4 v[20:23], off, off offset:432
	scratch_load_dwordx4 v[24:27], off, off offset:352
	v_mov_b32_e32 v2, 0
	ds_read_b128 v[28:31], v2 offset:816
	ds_read_b128 v[32:35], v2 offset:832
	;; [unrolled: 1-line block ×5, first 2 shown]
	v_cmp_lt_u32_e32 vcc, 21, v1
	s_waitcnt vmcnt(5) lgkmcnt(4)
	v_mul_f64 v[48:49], v[28:29], v[6:7]
	v_mul_f64 v[6:7], v[30:31], v[6:7]
	s_waitcnt vmcnt(4) lgkmcnt(3)
	v_mul_f64 v[50:51], v[32:33], v[10:11]
	s_waitcnt vmcnt(3) lgkmcnt(2)
	v_mul_f64 v[52:53], v[36:37], v[14:15]
	v_mul_f64 v[10:11], v[34:35], v[10:11]
	;; [unrolled: 1-line block ×3, first 2 shown]
	v_fmac_f64_e32 v[48:49], v[30:31], v[4:5]
	v_fma_f64 v[4:5], v[28:29], v[4:5], -v[6:7]
	v_fmac_f64_e32 v[50:51], v[34:35], v[8:9]
	v_fma_f64 v[6:7], v[32:33], v[8:9], -v[10:11]
	v_fma_f64 v[8:9], v[36:37], v[12:13], -v[14:15]
	v_add_f64 v[14:15], v[48:49], 0
	v_add_f64 v[4:5], v[4:5], 0
	s_waitcnt vmcnt(2) lgkmcnt(1)
	v_mul_f64 v[54:55], v[40:41], v[18:19]
	v_mul_f64 v[18:19], v[42:43], v[18:19]
	v_fmac_f64_e32 v[52:53], v[38:39], v[12:13]
	v_add_f64 v[14:15], v[14:15], v[50:51]
	v_add_f64 v[4:5], v[4:5], v[6:7]
	s_waitcnt vmcnt(1) lgkmcnt(0)
	v_mul_f64 v[56:57], v[44:45], v[22:23]
	v_mul_f64 v[22:23], v[46:47], v[22:23]
	v_fmac_f64_e32 v[54:55], v[42:43], v[16:17]
	v_fma_f64 v[10:11], v[40:41], v[16:17], -v[18:19]
	v_add_f64 v[6:7], v[14:15], v[52:53]
	v_add_f64 v[4:5], v[4:5], v[8:9]
	v_fmac_f64_e32 v[56:57], v[46:47], v[20:21]
	v_fma_f64 v[12:13], v[44:45], v[20:21], -v[22:23]
	v_add_f64 v[6:7], v[6:7], v[54:55]
	v_add_f64 v[4:5], v[4:5], v[10:11]
	;; [unrolled: 1-line block ×4, first 2 shown]
	s_waitcnt vmcnt(0)
	v_add_f64 v[4:5], v[24:25], -v[4:5]
	v_add_f64 v[6:7], v[26:27], -v[6:7]
	scratch_store_dwordx4 off, v[4:7], off offset:352
	s_and_saveexec_b64 s[2:3], vcc
	s_cbranch_execz .LBB27_139
; %bb.138:
	scratch_load_dwordx4 v[6:9], off, s33
	v_mov_b32_e32 v3, v2
	v_mov_b32_e32 v4, v2
	;; [unrolled: 1-line block ×3, first 2 shown]
	scratch_store_dwordx4 off, v[2:5], off offset:336
	s_waitcnt vmcnt(1)
	ds_write_b128 v226, v[6:9]
.LBB27_139:
	s_or_b64 exec, exec, s[2:3]
	s_waitcnt lgkmcnt(0)
	; wave barrier
	scratch_load_dwordx4 v[4:7], off, off offset:352
	scratch_load_dwordx4 v[8:11], off, off offset:368
	;; [unrolled: 1-line block ×7, first 2 shown]
	ds_read_b128 v[32:35], v2 offset:800
	ds_read_b128 v[36:39], v2 offset:816
	;; [unrolled: 1-line block ×6, first 2 shown]
	v_cmp_lt_u32_e32 vcc, 20, v1
	s_waitcnt vmcnt(6) lgkmcnt(5)
	v_mul_f64 v[2:3], v[32:33], v[6:7]
	v_mul_f64 v[6:7], v[34:35], v[6:7]
	s_waitcnt vmcnt(5) lgkmcnt(4)
	v_mul_f64 v[56:57], v[36:37], v[10:11]
	v_mul_f64 v[10:11], v[38:39], v[10:11]
	v_fmac_f64_e32 v[2:3], v[34:35], v[4:5]
	v_fma_f64 v[4:5], v[32:33], v[4:5], -v[6:7]
	s_waitcnt vmcnt(4) lgkmcnt(3)
	v_mul_f64 v[58:59], v[40:41], v[14:15]
	v_mul_f64 v[14:15], v[42:43], v[14:15]
	v_fmac_f64_e32 v[56:57], v[38:39], v[8:9]
	v_fma_f64 v[6:7], v[36:37], v[8:9], -v[10:11]
	v_add_f64 v[2:3], v[2:3], 0
	v_add_f64 v[4:5], v[4:5], 0
	s_waitcnt vmcnt(3) lgkmcnt(2)
	v_mul_f64 v[60:61], v[44:45], v[18:19]
	v_mul_f64 v[18:19], v[46:47], v[18:19]
	v_fmac_f64_e32 v[58:59], v[42:43], v[12:13]
	v_fma_f64 v[8:9], v[40:41], v[12:13], -v[14:15]
	v_add_f64 v[2:3], v[2:3], v[56:57]
	v_add_f64 v[4:5], v[4:5], v[6:7]
	;; [unrolled: 7-line block ×4, first 2 shown]
	v_fmac_f64_e32 v[64:65], v[54:55], v[24:25]
	v_fma_f64 v[14:15], v[52:53], v[24:25], -v[26:27]
	v_add_f64 v[2:3], v[2:3], v[62:63]
	v_add_f64 v[4:5], v[4:5], v[12:13]
	;; [unrolled: 1-line block ×4, first 2 shown]
	s_waitcnt vmcnt(0)
	v_add_f64 v[2:3], v[28:29], -v[2:3]
	v_add_f64 v[4:5], v[30:31], -v[6:7]
	scratch_store_dwordx4 off, v[2:5], off offset:336
	s_and_saveexec_b64 s[2:3], vcc
	s_cbranch_execz .LBB27_141
; %bb.140:
	scratch_load_dwordx4 v[2:5], off, s31
	v_mov_b32_e32 v6, 0
	v_mov_b32_e32 v7, v6
	v_mov_b32_e32 v8, v6
	v_mov_b32_e32 v9, v6
	scratch_store_dwordx4 off, v[6:9], off offset:320
	s_waitcnt vmcnt(1)
	ds_write_b128 v226, v[2:5]
.LBB27_141:
	s_or_b64 exec, exec, s[2:3]
	v_mov_b32_e32 v2, 0
	s_waitcnt lgkmcnt(0)
	; wave barrier
	ds_read_b128 v[4:7], v2 offset:784
	ds_read_b128 v[8:11], v2 offset:800
	;; [unrolled: 1-line block ×4, first 2 shown]
	scratch_load_dwordx4 v[20:23], off, off offset:336
	scratch_load_dwordx4 v[40:43], off, off offset:400
	v_cmp_lt_u32_e32 vcc, 19, v1
	scratch_load_dwordx4 v[48:51], off, off offset:416
	scratch_load_dwordx4 v[56:59], off, off offset:432
	s_waitcnt vmcnt(3) lgkmcnt(3)
	v_mul_f64 v[24:25], v[4:5], v[22:23]
	v_fmac_f64_e32 v[24:25], v[6:7], v[20:21]
	v_add_f64 v[28:29], v[24:25], 0
	scratch_load_dwordx4 v[24:27], off, off offset:352
	v_mul_f64 v[6:7], v[6:7], v[22:23]
	v_fma_f64 v[4:5], v[4:5], v[20:21], -v[6:7]
	v_add_f64 v[4:5], v[4:5], 0
	s_waitcnt vmcnt(0) lgkmcnt(2)
	v_mul_f64 v[30:31], v[8:9], v[26:27]
	v_fmac_f64_e32 v[30:31], v[10:11], v[24:25]
	v_add_f64 v[32:33], v[28:29], v[30:31]
	scratch_load_dwordx4 v[28:31], off, off offset:368
	v_mul_f64 v[6:7], v[10:11], v[26:27]
	v_fma_f64 v[6:7], v[8:9], v[24:25], -v[6:7]
	v_add_f64 v[4:5], v[4:5], v[6:7]
	;; [unrolled: 8-line block ×3, first 2 shown]
	s_waitcnt vmcnt(0) lgkmcnt(0)
	v_mul_f64 v[38:39], v[16:17], v[34:35]
	v_fmac_f64_e32 v[38:39], v[18:19], v[32:33]
	v_add_f64 v[44:45], v[36:37], v[38:39]
	ds_read_b128 v[36:39], v2 offset:848
	v_mul_f64 v[6:7], v[18:19], v[34:35]
	v_fma_f64 v[6:7], v[16:17], v[32:33], -v[6:7]
	v_add_f64 v[4:5], v[4:5], v[6:7]
	s_waitcnt lgkmcnt(0)
	v_mul_f64 v[46:47], v[36:37], v[42:43]
	v_fmac_f64_e32 v[46:47], v[38:39], v[40:41]
	v_add_f64 v[52:53], v[44:45], v[46:47]
	ds_read_b128 v[44:47], v2 offset:864
	v_mul_f64 v[6:7], v[38:39], v[42:43]
	v_fma_f64 v[6:7], v[36:37], v[40:41], -v[6:7]
	v_add_f64 v[4:5], v[4:5], v[6:7]
	s_waitcnt lgkmcnt(0)
	;; [unrolled: 8-line block ×3, first 2 shown]
	v_mul_f64 v[6:7], v[54:55], v[58:59]
	v_fma_f64 v[6:7], v[52:53], v[56:57], -v[6:7]
	v_add_f64 v[8:9], v[4:5], v[6:7]
	scratch_load_dwordx4 v[4:7], off, off offset:320
	v_mul_f64 v[62:63], v[52:53], v[58:59]
	v_fmac_f64_e32 v[62:63], v[54:55], v[56:57]
	v_add_f64 v[60:61], v[60:61], v[62:63]
	s_waitcnt vmcnt(0)
	v_add_f64 v[4:5], v[4:5], -v[8:9]
	v_add_f64 v[6:7], v[6:7], -v[60:61]
	scratch_store_dwordx4 off, v[4:7], off offset:320
	s_and_saveexec_b64 s[2:3], vcc
	s_cbranch_execz .LBB27_143
; %bb.142:
	scratch_load_dwordx4 v[6:9], off, s30
	v_mov_b32_e32 v3, v2
	v_mov_b32_e32 v4, v2
	;; [unrolled: 1-line block ×3, first 2 shown]
	scratch_store_dwordx4 off, v[2:5], off offset:304
	s_waitcnt vmcnt(1)
	ds_write_b128 v226, v[6:9]
.LBB27_143:
	s_or_b64 exec, exec, s[2:3]
	s_waitcnt lgkmcnt(0)
	; wave barrier
	scratch_load_dwordx4 v[4:7], off, off offset:320
	scratch_load_dwordx4 v[8:11], off, off offset:336
	;; [unrolled: 1-line block ×9, first 2 shown]
	ds_read_b128 v[40:43], v2 offset:768
	ds_read_b128 v[44:47], v2 offset:784
	;; [unrolled: 1-line block ×8, first 2 shown]
	v_cmp_lt_u32_e32 vcc, 18, v1
	s_waitcnt vmcnt(8) lgkmcnt(7)
	v_mul_f64 v[2:3], v[40:41], v[6:7]
	v_mul_f64 v[6:7], v[42:43], v[6:7]
	s_waitcnt vmcnt(7) lgkmcnt(6)
	v_mul_f64 v[72:73], v[44:45], v[10:11]
	v_mul_f64 v[10:11], v[46:47], v[10:11]
	v_fmac_f64_e32 v[2:3], v[42:43], v[4:5]
	v_fma_f64 v[4:5], v[40:41], v[4:5], -v[6:7]
	s_waitcnt vmcnt(6) lgkmcnt(5)
	v_mul_f64 v[74:75], v[48:49], v[14:15]
	v_mul_f64 v[14:15], v[50:51], v[14:15]
	v_fmac_f64_e32 v[72:73], v[46:47], v[8:9]
	v_fma_f64 v[6:7], v[44:45], v[8:9], -v[10:11]
	v_add_f64 v[2:3], v[2:3], 0
	v_add_f64 v[4:5], v[4:5], 0
	s_waitcnt vmcnt(5) lgkmcnt(4)
	v_mul_f64 v[76:77], v[52:53], v[18:19]
	v_mul_f64 v[18:19], v[54:55], v[18:19]
	v_fmac_f64_e32 v[74:75], v[50:51], v[12:13]
	v_fma_f64 v[8:9], v[48:49], v[12:13], -v[14:15]
	v_add_f64 v[2:3], v[2:3], v[72:73]
	v_add_f64 v[4:5], v[4:5], v[6:7]
	;; [unrolled: 7-line block ×6, first 2 shown]
	v_fmac_f64_e32 v[84:85], v[70:71], v[32:33]
	v_fma_f64 v[18:19], v[68:69], v[32:33], -v[34:35]
	v_add_f64 v[2:3], v[2:3], v[82:83]
	v_add_f64 v[4:5], v[4:5], v[16:17]
	v_add_f64 v[6:7], v[2:3], v[84:85]
	v_add_f64 v[2:3], v[4:5], v[18:19]
	s_waitcnt vmcnt(0)
	v_add_f64 v[2:3], v[36:37], -v[2:3]
	v_add_f64 v[4:5], v[38:39], -v[6:7]
	scratch_store_dwordx4 off, v[2:5], off offset:304
	s_and_saveexec_b64 s[2:3], vcc
	s_cbranch_execz .LBB27_145
; %bb.144:
	scratch_load_dwordx4 v[2:5], off, s29
	v_mov_b32_e32 v6, 0
	v_mov_b32_e32 v7, v6
	;; [unrolled: 1-line block ×4, first 2 shown]
	scratch_store_dwordx4 off, v[6:9], off offset:288
	s_waitcnt vmcnt(1)
	ds_write_b128 v226, v[2:5]
.LBB27_145:
	s_or_b64 exec, exec, s[2:3]
	s_waitcnt lgkmcnt(0)
	; wave barrier
	scratch_load_dwordx4 v[4:7], off, off offset:304
	scratch_load_dwordx4 v[8:11], off, off offset:320
	;; [unrolled: 1-line block ×10, first 2 shown]
	v_mov_b32_e32 v2, 0
	ds_read_b128 v[44:47], v2 offset:752
	ds_read_b128 v[48:51], v2 offset:768
	;; [unrolled: 1-line block ×9, first 2 shown]
	v_cmp_lt_u32_e32 vcc, 17, v1
	s_waitcnt vmcnt(9) lgkmcnt(8)
	v_mul_f64 v[80:81], v[44:45], v[6:7]
	v_mul_f64 v[6:7], v[46:47], v[6:7]
	s_waitcnt vmcnt(8) lgkmcnt(7)
	v_mul_f64 v[82:83], v[48:49], v[10:11]
	s_waitcnt vmcnt(7) lgkmcnt(6)
	;; [unrolled: 2-line block ×3, first 2 shown]
	v_mul_f64 v[88:89], v[60:61], v[22:23]
	v_mul_f64 v[10:11], v[50:51], v[10:11]
	;; [unrolled: 1-line block ×4, first 2 shown]
	v_fmac_f64_e32 v[80:81], v[46:47], v[4:5]
	v_fma_f64 v[4:5], v[44:45], v[4:5], -v[6:7]
	v_fmac_f64_e32 v[82:83], v[50:51], v[8:9]
	v_fmac_f64_e32 v[84:85], v[54:55], v[12:13]
	v_fma_f64 v[6:7], v[48:49], v[8:9], -v[10:11]
	v_fma_f64 v[8:9], v[52:53], v[12:13], -v[14:15]
	;; [unrolled: 1-line block ×3, first 2 shown]
	v_add_f64 v[22:23], v[80:81], 0
	v_add_f64 v[4:5], v[4:5], 0
	v_mul_f64 v[86:87], v[56:57], v[18:19]
	v_mul_f64 v[18:19], v[58:59], v[18:19]
	v_add_f64 v[22:23], v[22:23], v[82:83]
	v_add_f64 v[4:5], v[4:5], v[6:7]
	v_fmac_f64_e32 v[86:87], v[58:59], v[16:17]
	v_fma_f64 v[10:11], v[56:57], v[16:17], -v[18:19]
	v_add_f64 v[6:7], v[22:23], v[84:85]
	v_add_f64 v[4:5], v[4:5], v[8:9]
	s_waitcnt vmcnt(4) lgkmcnt(3)
	v_mul_f64 v[90:91], v[64:65], v[26:27]
	v_mul_f64 v[26:27], v[66:67], v[26:27]
	v_fmac_f64_e32 v[88:89], v[62:63], v[20:21]
	v_add_f64 v[6:7], v[6:7], v[86:87]
	v_add_f64 v[4:5], v[4:5], v[10:11]
	s_waitcnt vmcnt(3) lgkmcnt(2)
	v_mul_f64 v[92:93], v[68:69], v[30:31]
	v_mul_f64 v[30:31], v[70:71], v[30:31]
	v_fmac_f64_e32 v[90:91], v[66:67], v[24:25]
	v_fma_f64 v[14:15], v[64:65], v[24:25], -v[26:27]
	v_add_f64 v[6:7], v[6:7], v[88:89]
	v_add_f64 v[4:5], v[4:5], v[12:13]
	s_waitcnt vmcnt(2) lgkmcnt(1)
	v_mul_f64 v[94:95], v[72:73], v[34:35]
	v_mul_f64 v[34:35], v[74:75], v[34:35]
	v_fmac_f64_e32 v[92:93], v[70:71], v[28:29]
	v_fma_f64 v[16:17], v[68:69], v[28:29], -v[30:31]
	v_add_f64 v[6:7], v[6:7], v[90:91]
	v_add_f64 v[4:5], v[4:5], v[14:15]
	s_waitcnt vmcnt(1) lgkmcnt(0)
	v_mul_f64 v[96:97], v[76:77], v[38:39]
	v_mul_f64 v[38:39], v[78:79], v[38:39]
	v_fmac_f64_e32 v[94:95], v[74:75], v[32:33]
	v_fma_f64 v[18:19], v[72:73], v[32:33], -v[34:35]
	v_add_f64 v[6:7], v[6:7], v[92:93]
	v_add_f64 v[4:5], v[4:5], v[16:17]
	v_fmac_f64_e32 v[96:97], v[78:79], v[36:37]
	v_fma_f64 v[20:21], v[76:77], v[36:37], -v[38:39]
	v_add_f64 v[6:7], v[6:7], v[94:95]
	v_add_f64 v[4:5], v[4:5], v[18:19]
	;; [unrolled: 1-line block ×4, first 2 shown]
	s_waitcnt vmcnt(0)
	v_add_f64 v[4:5], v[40:41], -v[4:5]
	v_add_f64 v[6:7], v[42:43], -v[6:7]
	scratch_store_dwordx4 off, v[4:7], off offset:288
	s_and_saveexec_b64 s[2:3], vcc
	s_cbranch_execz .LBB27_147
; %bb.146:
	scratch_load_dwordx4 v[6:9], off, s41
	v_mov_b32_e32 v3, v2
	v_mov_b32_e32 v4, v2
	;; [unrolled: 1-line block ×3, first 2 shown]
	scratch_store_dwordx4 off, v[2:5], off offset:272
	s_waitcnt vmcnt(1)
	ds_write_b128 v226, v[6:9]
.LBB27_147:
	s_or_b64 exec, exec, s[2:3]
	s_waitcnt lgkmcnt(0)
	; wave barrier
	scratch_load_dwordx4 v[4:7], off, off offset:288
	scratch_load_dwordx4 v[8:11], off, off offset:304
	;; [unrolled: 1-line block ×11, first 2 shown]
	ds_read_b128 v[48:51], v2 offset:736
	ds_read_b128 v[52:55], v2 offset:752
	;; [unrolled: 1-line block ×10, first 2 shown]
	v_cmp_lt_u32_e32 vcc, 16, v1
	s_waitcnt vmcnt(10) lgkmcnt(9)
	v_mul_f64 v[2:3], v[48:49], v[6:7]
	v_mul_f64 v[6:7], v[50:51], v[6:7]
	s_waitcnt vmcnt(9) lgkmcnt(8)
	v_mul_f64 v[88:89], v[52:53], v[10:11]
	v_mul_f64 v[10:11], v[54:55], v[10:11]
	v_fmac_f64_e32 v[2:3], v[50:51], v[4:5]
	v_fma_f64 v[4:5], v[48:49], v[4:5], -v[6:7]
	s_waitcnt vmcnt(8) lgkmcnt(7)
	v_mul_f64 v[90:91], v[56:57], v[14:15]
	v_mul_f64 v[14:15], v[58:59], v[14:15]
	v_fmac_f64_e32 v[88:89], v[54:55], v[8:9]
	v_fma_f64 v[6:7], v[52:53], v[8:9], -v[10:11]
	v_add_f64 v[2:3], v[2:3], 0
	v_add_f64 v[4:5], v[4:5], 0
	s_waitcnt vmcnt(7) lgkmcnt(6)
	v_mul_f64 v[92:93], v[60:61], v[18:19]
	v_mul_f64 v[18:19], v[62:63], v[18:19]
	v_fmac_f64_e32 v[90:91], v[58:59], v[12:13]
	v_fma_f64 v[8:9], v[56:57], v[12:13], -v[14:15]
	v_add_f64 v[2:3], v[2:3], v[88:89]
	v_add_f64 v[4:5], v[4:5], v[6:7]
	;; [unrolled: 7-line block ×8, first 2 shown]
	v_fmac_f64_e32 v[104:105], v[86:87], v[40:41]
	v_fma_f64 v[22:23], v[84:85], v[40:41], -v[42:43]
	v_add_f64 v[2:3], v[2:3], v[102:103]
	v_add_f64 v[4:5], v[4:5], v[20:21]
	v_add_f64 v[6:7], v[2:3], v[104:105]
	v_add_f64 v[2:3], v[4:5], v[22:23]
	s_waitcnt vmcnt(0)
	v_add_f64 v[2:3], v[44:45], -v[2:3]
	v_add_f64 v[4:5], v[46:47], -v[6:7]
	scratch_store_dwordx4 off, v[2:5], off offset:272
	s_and_saveexec_b64 s[2:3], vcc
	s_cbranch_execz .LBB27_149
; %bb.148:
	scratch_load_dwordx4 v[2:5], off, s28
	v_mov_b32_e32 v6, 0
	v_mov_b32_e32 v7, v6
	;; [unrolled: 1-line block ×4, first 2 shown]
	scratch_store_dwordx4 off, v[6:9], off offset:256
	s_waitcnt vmcnt(1)
	ds_write_b128 v226, v[2:5]
.LBB27_149:
	s_or_b64 exec, exec, s[2:3]
	v_mov_b32_e32 v2, 0
	s_waitcnt lgkmcnt(0)
	; wave barrier
	ds_read_b128 v[4:7], v2 offset:720
	ds_read_b128 v[8:11], v2 offset:736
	;; [unrolled: 1-line block ×4, first 2 shown]
	scratch_load_dwordx4 v[20:23], off, off offset:272
	scratch_load_dwordx4 v[40:43], off, off offset:336
	scratch_load_dwordx4 v[72:75], off, off offset:400
	scratch_load_dwordx4 v[80:83], off, off offset:416
	scratch_load_dwordx4 v[88:91], off, off offset:432
	v_cmp_lt_u32_e32 vcc, 15, v1
	scratch_load_dwordx4 v[48:51], off, off offset:352
	scratch_load_dwordx4 v[56:59], off, off offset:368
	;; [unrolled: 1-line block ×3, first 2 shown]
	s_waitcnt vmcnt(7) lgkmcnt(3)
	v_mul_f64 v[24:25], v[4:5], v[22:23]
	v_fmac_f64_e32 v[24:25], v[6:7], v[20:21]
	v_add_f64 v[28:29], v[24:25], 0
	scratch_load_dwordx4 v[24:27], off, off offset:288
	v_mul_f64 v[6:7], v[6:7], v[22:23]
	v_fma_f64 v[4:5], v[4:5], v[20:21], -v[6:7]
	v_add_f64 v[4:5], v[4:5], 0
	s_waitcnt vmcnt(0) lgkmcnt(2)
	v_mul_f64 v[30:31], v[8:9], v[26:27]
	v_fmac_f64_e32 v[30:31], v[10:11], v[24:25]
	v_add_f64 v[32:33], v[28:29], v[30:31]
	scratch_load_dwordx4 v[28:31], off, off offset:304
	v_mul_f64 v[6:7], v[10:11], v[26:27]
	v_fma_f64 v[6:7], v[8:9], v[24:25], -v[6:7]
	v_add_f64 v[4:5], v[4:5], v[6:7]
	;; [unrolled: 8-line block ×3, first 2 shown]
	s_waitcnt vmcnt(0) lgkmcnt(0)
	v_mul_f64 v[38:39], v[16:17], v[34:35]
	v_fmac_f64_e32 v[38:39], v[18:19], v[32:33]
	v_add_f64 v[44:45], v[36:37], v[38:39]
	ds_read_b128 v[36:39], v2 offset:784
	v_mul_f64 v[6:7], v[18:19], v[34:35]
	v_fma_f64 v[6:7], v[16:17], v[32:33], -v[6:7]
	v_add_f64 v[4:5], v[4:5], v[6:7]
	s_waitcnt lgkmcnt(0)
	v_mul_f64 v[46:47], v[36:37], v[42:43]
	v_fmac_f64_e32 v[46:47], v[38:39], v[40:41]
	v_add_f64 v[52:53], v[44:45], v[46:47]
	ds_read_b128 v[44:47], v2 offset:800
	v_mul_f64 v[6:7], v[38:39], v[42:43]
	v_fma_f64 v[6:7], v[36:37], v[40:41], -v[6:7]
	v_add_f64 v[4:5], v[4:5], v[6:7]
	s_waitcnt lgkmcnt(0)
	;; [unrolled: 8-line block ×7, first 2 shown]
	v_mul_f64 v[6:7], v[86:87], v[90:91]
	v_fma_f64 v[6:7], v[84:85], v[88:89], -v[6:7]
	v_add_f64 v[8:9], v[4:5], v[6:7]
	scratch_load_dwordx4 v[4:7], off, off offset:256
	v_mul_f64 v[94:95], v[84:85], v[90:91]
	v_fmac_f64_e32 v[94:95], v[86:87], v[88:89]
	v_add_f64 v[92:93], v[92:93], v[94:95]
	s_waitcnt vmcnt(0)
	v_add_f64 v[4:5], v[4:5], -v[8:9]
	v_add_f64 v[6:7], v[6:7], -v[92:93]
	scratch_store_dwordx4 off, v[4:7], off offset:256
	s_and_saveexec_b64 s[2:3], vcc
	s_cbranch_execz .LBB27_151
; %bb.150:
	scratch_load_dwordx4 v[6:9], off, s42
	v_mov_b32_e32 v3, v2
	v_mov_b32_e32 v4, v2
	;; [unrolled: 1-line block ×3, first 2 shown]
	scratch_store_dwordx4 off, v[2:5], off offset:240
	s_waitcnt vmcnt(1)
	ds_write_b128 v226, v[6:9]
.LBB27_151:
	s_or_b64 exec, exec, s[2:3]
	s_waitcnt lgkmcnt(0)
	; wave barrier
	ds_read_b128 v[4:7], v2 offset:704
	ds_read_b128 v[8:11], v2 offset:720
	;; [unrolled: 1-line block ×4, first 2 shown]
	scratch_load_dwordx4 v[20:23], off, off offset:256
	scratch_load_dwordx4 v[40:43], off, off offset:320
	;; [unrolled: 1-line block ×6, first 2 shown]
	v_cmp_lt_u32_e32 vcc, 14, v1
	scratch_load_dwordx4 v[48:51], off, off offset:336
	scratch_load_dwordx4 v[56:59], off, off offset:352
	;; [unrolled: 1-line block ×3, first 2 shown]
	s_waitcnt vmcnt(8) lgkmcnt(3)
	v_mul_f64 v[24:25], v[4:5], v[22:23]
	v_fmac_f64_e32 v[24:25], v[6:7], v[20:21]
	v_add_f64 v[28:29], v[24:25], 0
	scratch_load_dwordx4 v[24:27], off, off offset:272
	s_waitcnt vmcnt(0) lgkmcnt(2)
	v_mul_f64 v[30:31], v[8:9], v[26:27]
	v_fmac_f64_e32 v[30:31], v[10:11], v[24:25]
	v_add_f64 v[32:33], v[28:29], v[30:31]
	scratch_load_dwordx4 v[28:31], off, off offset:288
	;; [unrolled: 5-line block ×3, first 2 shown]
	s_waitcnt vmcnt(0) lgkmcnt(0)
	v_mul_f64 v[38:39], v[16:17], v[34:35]
	v_fmac_f64_e32 v[38:39], v[18:19], v[32:33]
	v_add_f64 v[44:45], v[36:37], v[38:39]
	ds_read_b128 v[36:39], v2 offset:768
	s_waitcnt lgkmcnt(0)
	v_mul_f64 v[46:47], v[36:37], v[42:43]
	v_fmac_f64_e32 v[46:47], v[38:39], v[40:41]
	v_add_f64 v[52:53], v[44:45], v[46:47]
	ds_read_b128 v[44:47], v2 offset:784
	s_waitcnt lgkmcnt(0)
	;; [unrolled: 5-line block ×8, first 2 shown]
	v_mul_f64 v[2:3], v[92:93], v[98:99]
	v_fmac_f64_e32 v[2:3], v[94:95], v[96:97]
	v_add_f64 v[100:101], v[100:101], v[2:3]
	v_mul_f64 v[2:3], v[6:7], v[22:23]
	v_fma_f64 v[2:3], v[4:5], v[20:21], -v[2:3]
	v_mul_f64 v[4:5], v[10:11], v[26:27]
	v_add_f64 v[2:3], v[2:3], 0
	v_fma_f64 v[4:5], v[8:9], v[24:25], -v[4:5]
	v_add_f64 v[2:3], v[2:3], v[4:5]
	v_mul_f64 v[4:5], v[14:15], v[30:31]
	v_fma_f64 v[4:5], v[12:13], v[28:29], -v[4:5]
	v_add_f64 v[2:3], v[2:3], v[4:5]
	v_mul_f64 v[4:5], v[18:19], v[34:35]
	;; [unrolled: 3-line block ×10, first 2 shown]
	v_fma_f64 v[4:5], v[92:93], v[96:97], -v[4:5]
	v_add_f64 v[6:7], v[2:3], v[4:5]
	scratch_load_dwordx4 v[2:5], off, off offset:240
	s_waitcnt vmcnt(0)
	v_add_f64 v[2:3], v[2:3], -v[6:7]
	v_add_f64 v[4:5], v[4:5], -v[100:101]
	scratch_store_dwordx4 off, v[2:5], off offset:240
	s_and_saveexec_b64 s[2:3], vcc
	s_cbranch_execz .LBB27_153
; %bb.152:
	scratch_load_dwordx4 v[2:5], off, s45
	v_mov_b32_e32 v6, 0
	v_mov_b32_e32 v7, v6
	v_mov_b32_e32 v8, v6
	v_mov_b32_e32 v9, v6
	scratch_store_dwordx4 off, v[6:9], off offset:224
	s_waitcnt vmcnt(1)
	ds_write_b128 v226, v[2:5]
.LBB27_153:
	s_or_b64 exec, exec, s[2:3]
	s_waitcnt lgkmcnt(0)
	; wave barrier
	scratch_load_dwordx4 v[4:7], off, off offset:240
	scratch_load_dwordx4 v[8:11], off, off offset:256
	;; [unrolled: 1-line block ×14, first 2 shown]
	v_mov_b32_e32 v2, 0
	ds_read_b128 v[60:63], v2 offset:688
	ds_read_b128 v[64:67], v2 offset:704
	;; [unrolled: 1-line block ×13, first 2 shown]
	v_cmp_lt_u32_e32 vcc, 13, v1
	s_waitcnt vmcnt(13) lgkmcnt(12)
	v_mul_f64 v[112:113], v[60:61], v[6:7]
	v_mul_f64 v[6:7], v[62:63], v[6:7]
	s_waitcnt vmcnt(12) lgkmcnt(11)
	v_mul_f64 v[114:115], v[64:65], v[10:11]
	v_mul_f64 v[10:11], v[66:67], v[10:11]
	v_fmac_f64_e32 v[112:113], v[62:63], v[4:5]
	v_fma_f64 v[4:5], v[60:61], v[4:5], -v[6:7]
	s_waitcnt vmcnt(11) lgkmcnt(10)
	v_mul_f64 v[116:117], v[68:69], v[14:15]
	v_mul_f64 v[14:15], v[70:71], v[14:15]
	v_fma_f64 v[6:7], v[64:65], v[8:9], -v[10:11]
	v_add_f64 v[4:5], v[4:5], 0
	s_waitcnt vmcnt(10) lgkmcnt(9)
	v_mul_f64 v[118:119], v[72:73], v[18:19]
	v_mul_f64 v[18:19], v[74:75], v[18:19]
	v_fmac_f64_e32 v[114:115], v[66:67], v[8:9]
	v_fma_f64 v[8:9], v[68:69], v[12:13], -v[14:15]
	v_add_f64 v[4:5], v[4:5], v[6:7]
	s_waitcnt vmcnt(9) lgkmcnt(8)
	v_mul_f64 v[120:121], v[76:77], v[22:23]
	v_mul_f64 v[22:23], v[78:79], v[22:23]
	v_fma_f64 v[10:11], v[72:73], v[16:17], -v[18:19]
	v_add_f64 v[4:5], v[4:5], v[8:9]
	s_waitcnt vmcnt(8) lgkmcnt(7)
	v_mul_f64 v[122:123], v[80:81], v[26:27]
	v_mul_f64 v[26:27], v[82:83], v[26:27]
	v_fmac_f64_e32 v[116:117], v[70:71], v[12:13]
	v_fma_f64 v[12:13], v[76:77], v[20:21], -v[22:23]
	v_add_f64 v[22:23], v[112:113], 0
	v_add_f64 v[4:5], v[4:5], v[10:11]
	s_waitcnt vmcnt(7) lgkmcnt(6)
	v_mul_f64 v[124:125], v[84:85], v[30:31]
	v_mul_f64 v[30:31], v[86:87], v[30:31]
	v_fma_f64 v[14:15], v[80:81], v[24:25], -v[26:27]
	v_add_f64 v[22:23], v[22:23], v[114:115]
	v_add_f64 v[4:5], v[4:5], v[12:13]
	s_waitcnt vmcnt(6) lgkmcnt(5)
	v_mul_f64 v[126:127], v[88:89], v[34:35]
	v_mul_f64 v[34:35], v[90:91], v[34:35]
	v_fmac_f64_e32 v[118:119], v[74:75], v[16:17]
	v_fma_f64 v[16:17], v[84:85], v[28:29], -v[30:31]
	v_add_f64 v[6:7], v[22:23], v[116:117]
	v_add_f64 v[4:5], v[4:5], v[14:15]
	s_waitcnt vmcnt(5) lgkmcnt(4)
	v_mul_f64 v[128:129], v[92:93], v[38:39]
	v_mul_f64 v[38:39], v[94:95], v[38:39]
	v_fmac_f64_e32 v[120:121], v[78:79], v[20:21]
	v_fma_f64 v[18:19], v[88:89], v[32:33], -v[34:35]
	v_add_f64 v[6:7], v[6:7], v[118:119]
	v_add_f64 v[4:5], v[4:5], v[16:17]
	v_fmac_f64_e32 v[122:123], v[82:83], v[24:25]
	v_fma_f64 v[20:21], v[92:93], v[36:37], -v[38:39]
	v_add_f64 v[6:7], v[6:7], v[120:121]
	v_add_f64 v[4:5], v[4:5], v[18:19]
	s_waitcnt vmcnt(4) lgkmcnt(3)
	v_mul_f64 v[8:9], v[98:99], v[42:43]
	v_fmac_f64_e32 v[124:125], v[86:87], v[28:29]
	v_add_f64 v[6:7], v[6:7], v[122:123]
	v_add_f64 v[4:5], v[4:5], v[20:21]
	v_fma_f64 v[8:9], v[96:97], v[40:41], -v[8:9]
	v_fmac_f64_e32 v[126:127], v[90:91], v[32:33]
	v_add_f64 v[6:7], v[6:7], v[124:125]
	v_add_f64 v[4:5], v[4:5], v[8:9]
	s_waitcnt vmcnt(3) lgkmcnt(2)
	v_mul_f64 v[8:9], v[102:103], v[46:47]
	v_mul_f64 v[130:131], v[96:97], v[42:43]
	v_fmac_f64_e32 v[128:129], v[94:95], v[36:37]
	v_add_f64 v[6:7], v[6:7], v[126:127]
	v_fma_f64 v[8:9], v[100:101], v[44:45], -v[8:9]
	v_mul_f64 v[132:133], v[100:101], v[46:47]
	v_fmac_f64_e32 v[130:131], v[98:99], v[40:41]
	v_add_f64 v[6:7], v[6:7], v[128:129]
	v_add_f64 v[4:5], v[4:5], v[8:9]
	s_waitcnt vmcnt(2) lgkmcnt(1)
	v_mul_f64 v[8:9], v[106:107], v[50:51]
	v_mul_f64 v[134:135], v[104:105], v[50:51]
	v_fmac_f64_e32 v[132:133], v[102:103], v[44:45]
	v_add_f64 v[6:7], v[6:7], v[130:131]
	v_fma_f64 v[8:9], v[104:105], v[48:49], -v[8:9]
	s_waitcnt vmcnt(1) lgkmcnt(0)
	v_mul_f64 v[136:137], v[108:109], v[54:55]
	v_fmac_f64_e32 v[134:135], v[106:107], v[48:49]
	v_add_f64 v[6:7], v[6:7], v[132:133]
	v_add_f64 v[4:5], v[4:5], v[8:9]
	v_mul_f64 v[8:9], v[110:111], v[54:55]
	v_fmac_f64_e32 v[136:137], v[110:111], v[52:53]
	v_add_f64 v[6:7], v[6:7], v[134:135]
	v_fma_f64 v[8:9], v[108:109], v[52:53], -v[8:9]
	v_add_f64 v[6:7], v[6:7], v[136:137]
	v_add_f64 v[4:5], v[4:5], v[8:9]
	s_waitcnt vmcnt(0)
	v_add_f64 v[4:5], v[56:57], -v[4:5]
	v_add_f64 v[6:7], v[58:59], -v[6:7]
	scratch_store_dwordx4 off, v[4:7], off offset:224
	s_and_saveexec_b64 s[2:3], vcc
	s_cbranch_execz .LBB27_155
; %bb.154:
	scratch_load_dwordx4 v[6:9], off, s44
	v_mov_b32_e32 v3, v2
	v_mov_b32_e32 v4, v2
	v_mov_b32_e32 v5, v2
	scratch_store_dwordx4 off, v[2:5], off offset:208
	s_waitcnt vmcnt(1)
	ds_write_b128 v226, v[6:9]
.LBB27_155:
	s_or_b64 exec, exec, s[2:3]
	s_waitcnt lgkmcnt(0)
	; wave barrier
	scratch_load_dwordx4 v[4:7], off, off offset:224
	scratch_load_dwordx4 v[8:11], off, off offset:240
	scratch_load_dwordx4 v[12:15], off, off offset:256
	scratch_load_dwordx4 v[16:19], off, off offset:272
	scratch_load_dwordx4 v[20:23], off, off offset:288
	scratch_load_dwordx4 v[24:27], off, off offset:304
	scratch_load_dwordx4 v[28:31], off, off offset:320
	scratch_load_dwordx4 v[32:35], off, off offset:336
	scratch_load_dwordx4 v[36:39], off, off offset:352
	scratch_load_dwordx4 v[40:43], off, off offset:368
	scratch_load_dwordx4 v[44:47], off, off offset:384
	scratch_load_dwordx4 v[48:51], off, off offset:400
	scratch_load_dwordx4 v[52:55], off, off offset:416
	scratch_load_dwordx4 v[56:59], off, off offset:432
	ds_read_b128 v[60:63], v2 offset:672
	ds_read_b128 v[64:67], v2 offset:688
	;; [unrolled: 1-line block ×14, first 2 shown]
	scratch_load_dwordx4 v[116:119], off, off offset:208
	v_cmp_lt_u32_e32 vcc, 12, v1
	s_waitcnt vmcnt(14) lgkmcnt(13)
	v_mul_f64 v[2:3], v[60:61], v[6:7]
	s_waitcnt vmcnt(13) lgkmcnt(12)
	v_mul_f64 v[120:121], v[64:65], v[10:11]
	v_fmac_f64_e32 v[2:3], v[62:63], v[4:5]
	s_waitcnt vmcnt(12) lgkmcnt(11)
	v_mul_f64 v[122:123], v[68:69], v[14:15]
	v_fmac_f64_e32 v[120:121], v[66:67], v[8:9]
	v_add_f64 v[2:3], v[2:3], 0
	s_waitcnt vmcnt(11) lgkmcnt(10)
	v_mul_f64 v[124:125], v[72:73], v[18:19]
	v_fmac_f64_e32 v[122:123], v[70:71], v[12:13]
	v_add_f64 v[2:3], v[2:3], v[120:121]
	;; [unrolled: 4-line block ×4, first 2 shown]
	s_waitcnt vmcnt(8) lgkmcnt(7)
	v_mul_f64 v[130:131], v[84:85], v[30:31]
	v_mul_f64 v[6:7], v[62:63], v[6:7]
	v_fmac_f64_e32 v[128:129], v[82:83], v[24:25]
	v_add_f64 v[2:3], v[2:3], v[126:127]
	s_waitcnt vmcnt(7) lgkmcnt(6)
	v_mul_f64 v[132:133], v[88:89], v[34:35]
	v_mul_f64 v[10:11], v[66:67], v[10:11]
	v_fmac_f64_e32 v[130:131], v[86:87], v[28:29]
	v_fma_f64 v[4:5], v[60:61], v[4:5], -v[6:7]
	v_add_f64 v[2:3], v[2:3], v[128:129]
	s_waitcnt vmcnt(6) lgkmcnt(5)
	v_mul_f64 v[134:135], v[92:93], v[38:39]
	v_mul_f64 v[14:15], v[70:71], v[14:15]
	v_fmac_f64_e32 v[132:133], v[90:91], v[32:33]
	v_fma_f64 v[6:7], v[64:65], v[8:9], -v[10:11]
	v_add_f64 v[4:5], v[4:5], 0
	v_add_f64 v[2:3], v[2:3], v[130:131]
	s_waitcnt vmcnt(5) lgkmcnt(4)
	v_mul_f64 v[136:137], v[96:97], v[42:43]
	v_mul_f64 v[18:19], v[74:75], v[18:19]
	v_fmac_f64_e32 v[134:135], v[94:95], v[36:37]
	v_fma_f64 v[8:9], v[68:69], v[12:13], -v[14:15]
	v_add_f64 v[4:5], v[4:5], v[6:7]
	;; [unrolled: 7-line block ×6, first 2 shown]
	v_add_f64 v[2:3], v[2:3], v[140:141]
	v_fmac_f64_e32 v[144:145], v[114:115], v[56:57]
	v_fma_f64 v[18:19], v[88:89], v[32:33], -v[34:35]
	v_add_f64 v[4:5], v[4:5], v[16:17]
	v_add_f64 v[2:3], v[2:3], v[142:143]
	;; [unrolled: 1-line block ×4, first 2 shown]
	v_mul_f64 v[4:5], v[94:95], v[38:39]
	v_fma_f64 v[4:5], v[92:93], v[36:37], -v[4:5]
	v_add_f64 v[2:3], v[2:3], v[4:5]
	v_mul_f64 v[4:5], v[98:99], v[42:43]
	v_fma_f64 v[4:5], v[96:97], v[40:41], -v[4:5]
	v_add_f64 v[2:3], v[2:3], v[4:5]
	;; [unrolled: 3-line block ×6, first 2 shown]
	s_waitcnt vmcnt(0)
	v_add_f64 v[2:3], v[116:117], -v[2:3]
	v_add_f64 v[4:5], v[118:119], -v[6:7]
	scratch_store_dwordx4 off, v[2:5], off offset:208
	s_and_saveexec_b64 s[2:3], vcc
	s_cbranch_execz .LBB27_157
; %bb.156:
	scratch_load_dwordx4 v[2:5], off, s43
	v_mov_b32_e32 v6, 0
	v_mov_b32_e32 v7, v6
	v_mov_b32_e32 v8, v6
	v_mov_b32_e32 v9, v6
	scratch_store_dwordx4 off, v[6:9], off offset:192
	s_waitcnt vmcnt(1)
	ds_write_b128 v226, v[2:5]
.LBB27_157:
	s_or_b64 exec, exec, s[2:3]
	s_waitcnt lgkmcnt(0)
	; wave barrier
	scratch_load_dwordx4 v[4:7], off, off offset:208
	scratch_load_dwordx4 v[8:11], off, off offset:224
	;; [unrolled: 1-line block ×16, first 2 shown]
	v_mov_b32_e32 v2, 0
	ds_read_b128 v[68:71], v2 offset:656
	ds_read_b128 v[72:75], v2 offset:672
	;; [unrolled: 1-line block ×15, first 2 shown]
	v_cmp_lt_u32_e32 vcc, 11, v1
	s_waitcnt vmcnt(15) lgkmcnt(14)
	v_mul_f64 v[128:129], v[68:69], v[6:7]
	v_mul_f64 v[6:7], v[70:71], v[6:7]
	s_waitcnt vmcnt(14) lgkmcnt(13)
	v_mul_f64 v[130:131], v[72:73], v[10:11]
	v_mul_f64 v[10:11], v[74:75], v[10:11]
	v_fmac_f64_e32 v[128:129], v[70:71], v[4:5]
	v_fma_f64 v[4:5], v[68:69], v[4:5], -v[6:7]
	s_waitcnt vmcnt(13) lgkmcnt(12)
	v_mul_f64 v[132:133], v[76:77], v[14:15]
	v_mul_f64 v[14:15], v[78:79], v[14:15]
	v_fma_f64 v[6:7], v[72:73], v[8:9], -v[10:11]
	v_add_f64 v[4:5], v[4:5], 0
	s_waitcnt vmcnt(12) lgkmcnt(11)
	v_mul_f64 v[134:135], v[80:81], v[18:19]
	v_mul_f64 v[18:19], v[82:83], v[18:19]
	v_fmac_f64_e32 v[130:131], v[74:75], v[8:9]
	v_fma_f64 v[8:9], v[76:77], v[12:13], -v[14:15]
	v_add_f64 v[4:5], v[4:5], v[6:7]
	s_waitcnt vmcnt(11) lgkmcnt(10)
	v_mul_f64 v[136:137], v[84:85], v[22:23]
	v_mul_f64 v[22:23], v[86:87], v[22:23]
	v_fma_f64 v[10:11], v[80:81], v[16:17], -v[18:19]
	v_add_f64 v[4:5], v[4:5], v[8:9]
	s_waitcnt vmcnt(10) lgkmcnt(9)
	v_mul_f64 v[138:139], v[88:89], v[26:27]
	v_mul_f64 v[26:27], v[90:91], v[26:27]
	v_fmac_f64_e32 v[132:133], v[78:79], v[12:13]
	v_fma_f64 v[12:13], v[84:85], v[20:21], -v[22:23]
	v_add_f64 v[4:5], v[4:5], v[10:11]
	v_fma_f64 v[14:15], v[88:89], v[24:25], -v[26:27]
	v_add_f64 v[4:5], v[4:5], v[12:13]
	s_waitcnt vmcnt(9) lgkmcnt(8)
	v_mul_f64 v[8:9], v[94:95], v[30:31]
	v_add_f64 v[4:5], v[4:5], v[14:15]
	v_fma_f64 v[8:9], v[92:93], v[28:29], -v[8:9]
	v_add_f64 v[4:5], v[4:5], v[8:9]
	s_waitcnt vmcnt(8) lgkmcnt(7)
	v_mul_f64 v[8:9], v[98:99], v[34:35]
	v_fma_f64 v[8:9], v[96:97], v[32:33], -v[8:9]
	v_fmac_f64_e32 v[134:135], v[82:83], v[16:17]
	v_add_f64 v[16:17], v[128:129], 0
	v_add_f64 v[4:5], v[4:5], v[8:9]
	s_waitcnt vmcnt(7) lgkmcnt(6)
	v_mul_f64 v[8:9], v[102:103], v[38:39]
	v_add_f64 v[16:17], v[16:17], v[130:131]
	v_fma_f64 v[8:9], v[100:101], v[36:37], -v[8:9]
	v_add_f64 v[6:7], v[16:17], v[132:133]
	v_add_f64 v[4:5], v[4:5], v[8:9]
	s_waitcnt vmcnt(6) lgkmcnt(5)
	v_mul_f64 v[8:9], v[106:107], v[42:43]
	v_fmac_f64_e32 v[136:137], v[86:87], v[20:21]
	v_add_f64 v[6:7], v[6:7], v[134:135]
	v_fma_f64 v[8:9], v[104:105], v[40:41], -v[8:9]
	v_mul_f64 v[140:141], v[92:93], v[30:31]
	v_fmac_f64_e32 v[138:139], v[90:91], v[24:25]
	v_add_f64 v[6:7], v[6:7], v[136:137]
	v_add_f64 v[4:5], v[4:5], v[8:9]
	s_waitcnt vmcnt(5) lgkmcnt(4)
	v_mul_f64 v[8:9], v[110:111], v[46:47]
	v_mul_f64 v[142:143], v[96:97], v[34:35]
	v_fmac_f64_e32 v[140:141], v[94:95], v[28:29]
	v_add_f64 v[6:7], v[6:7], v[138:139]
	v_fma_f64 v[8:9], v[108:109], v[44:45], -v[8:9]
	v_mul_f64 v[144:145], v[100:101], v[38:39]
	v_fmac_f64_e32 v[142:143], v[98:99], v[32:33]
	v_add_f64 v[6:7], v[6:7], v[140:141]
	v_add_f64 v[4:5], v[4:5], v[8:9]
	s_waitcnt vmcnt(4) lgkmcnt(3)
	v_mul_f64 v[8:9], v[114:115], v[50:51]
	;; [unrolled: 10-line block ×4, first 2 shown]
	v_mul_f64 v[154:155], v[120:121], v[58:59]
	v_fmac_f64_e32 v[152:153], v[118:119], v[52:53]
	v_add_f64 v[6:7], v[6:7], v[150:151]
	v_fma_f64 v[8:9], v[120:121], v[56:57], -v[8:9]
	s_waitcnt vmcnt(1) lgkmcnt(0)
	v_mul_f64 v[156:157], v[124:125], v[62:63]
	v_fmac_f64_e32 v[154:155], v[122:123], v[56:57]
	v_add_f64 v[6:7], v[6:7], v[152:153]
	v_add_f64 v[4:5], v[4:5], v[8:9]
	v_mul_f64 v[8:9], v[126:127], v[62:63]
	v_fmac_f64_e32 v[156:157], v[126:127], v[60:61]
	v_add_f64 v[6:7], v[6:7], v[154:155]
	v_fma_f64 v[8:9], v[124:125], v[60:61], -v[8:9]
	v_add_f64 v[6:7], v[6:7], v[156:157]
	v_add_f64 v[4:5], v[4:5], v[8:9]
	s_waitcnt vmcnt(0)
	v_add_f64 v[4:5], v[64:65], -v[4:5]
	v_add_f64 v[6:7], v[66:67], -v[6:7]
	scratch_store_dwordx4 off, v[4:7], off offset:192
	s_and_saveexec_b64 s[2:3], vcc
	s_cbranch_execz .LBB27_159
; %bb.158:
	scratch_load_dwordx4 v[6:9], off, s40
	v_mov_b32_e32 v3, v2
	v_mov_b32_e32 v4, v2
	;; [unrolled: 1-line block ×3, first 2 shown]
	scratch_store_dwordx4 off, v[2:5], off offset:176
	s_waitcnt vmcnt(1)
	ds_write_b128 v226, v[6:9]
.LBB27_159:
	s_or_b64 exec, exec, s[2:3]
	s_waitcnt lgkmcnt(0)
	; wave barrier
	scratch_load_dwordx4 v[4:7], off, off offset:192
	scratch_load_dwordx4 v[8:11], off, off offset:208
	;; [unrolled: 1-line block ×16, first 2 shown]
	ds_read_b128 v[68:71], v2 offset:640
	ds_read_b128 v[72:75], v2 offset:656
	;; [unrolled: 1-line block ×16, first 2 shown]
	scratch_load_dwordx4 v[132:135], off, off offset:176
	v_cmp_lt_u32_e32 vcc, 10, v1
	s_waitcnt vmcnt(16) lgkmcnt(14)
	v_mul_f64 v[2:3], v[68:69], v[6:7]
	s_waitcnt vmcnt(15)
	v_mul_f64 v[136:137], v[72:73], v[10:11]
	v_fmac_f64_e32 v[2:3], v[70:71], v[4:5]
	s_waitcnt vmcnt(14) lgkmcnt(13)
	v_mul_f64 v[138:139], v[76:77], v[14:15]
	v_fmac_f64_e32 v[136:137], v[74:75], v[8:9]
	v_add_f64 v[2:3], v[2:3], 0
	s_waitcnt vmcnt(13) lgkmcnt(12)
	v_mul_f64 v[140:141], v[80:81], v[18:19]
	v_fmac_f64_e32 v[138:139], v[78:79], v[12:13]
	v_add_f64 v[2:3], v[2:3], v[136:137]
	s_waitcnt vmcnt(12) lgkmcnt(11)
	v_mul_f64 v[142:143], v[84:85], v[26:27]
	v_fmac_f64_e32 v[140:141], v[82:83], v[16:17]
	v_add_f64 v[2:3], v[2:3], v[138:139]
	s_waitcnt vmcnt(11) lgkmcnt(10)
	v_mul_f64 v[144:145], v[88:89], v[22:23]
	v_fmac_f64_e32 v[142:143], v[86:87], v[24:25]
	v_add_f64 v[2:3], v[2:3], v[140:141]
	s_waitcnt vmcnt(10) lgkmcnt(9)
	v_mul_f64 v[146:147], v[92:93], v[30:31]
	v_fmac_f64_e32 v[144:145], v[90:91], v[20:21]
	v_add_f64 v[2:3], v[2:3], v[142:143]
	s_waitcnt vmcnt(9) lgkmcnt(8)
	v_mul_f64 v[148:149], v[96:97], v[34:35]
	v_fmac_f64_e32 v[146:147], v[94:95], v[28:29]
	v_add_f64 v[2:3], v[2:3], v[144:145]
	s_waitcnt vmcnt(8) lgkmcnt(7)
	v_mul_f64 v[150:151], v[100:101], v[38:39]
	v_fmac_f64_e32 v[148:149], v[98:99], v[32:33]
	v_add_f64 v[2:3], v[2:3], v[146:147]
	s_waitcnt vmcnt(7) lgkmcnt(6)
	v_mul_f64 v[152:153], v[104:105], v[42:43]
	v_fmac_f64_e32 v[150:151], v[102:103], v[36:37]
	v_add_f64 v[2:3], v[2:3], v[148:149]
	s_waitcnt vmcnt(6) lgkmcnt(5)
	v_mul_f64 v[154:155], v[108:109], v[46:47]
	v_fmac_f64_e32 v[152:153], v[106:107], v[40:41]
	v_add_f64 v[2:3], v[2:3], v[150:151]
	s_waitcnt vmcnt(5) lgkmcnt(4)
	v_mul_f64 v[156:157], v[112:113], v[50:51]
	v_fmac_f64_e32 v[154:155], v[110:111], v[44:45]
	v_add_f64 v[2:3], v[2:3], v[152:153]
	s_waitcnt vmcnt(4) lgkmcnt(3)
	v_mul_f64 v[158:159], v[116:117], v[54:55]
	v_mul_f64 v[6:7], v[70:71], v[6:7]
	v_fmac_f64_e32 v[156:157], v[114:115], v[48:49]
	v_add_f64 v[2:3], v[2:3], v[154:155]
	s_waitcnt vmcnt(3) lgkmcnt(2)
	v_mul_f64 v[160:161], v[120:121], v[58:59]
	v_mul_f64 v[10:11], v[74:75], v[10:11]
	v_fmac_f64_e32 v[158:159], v[118:119], v[52:53]
	v_fma_f64 v[4:5], v[68:69], v[4:5], -v[6:7]
	v_add_f64 v[2:3], v[2:3], v[156:157]
	s_waitcnt vmcnt(2) lgkmcnt(1)
	v_mul_f64 v[162:163], v[124:125], v[62:63]
	v_mul_f64 v[14:15], v[78:79], v[14:15]
	v_fmac_f64_e32 v[160:161], v[122:123], v[56:57]
	v_fma_f64 v[6:7], v[72:73], v[8:9], -v[10:11]
	v_add_f64 v[4:5], v[4:5], 0
	v_add_f64 v[2:3], v[2:3], v[158:159]
	s_waitcnt vmcnt(1) lgkmcnt(0)
	v_mul_f64 v[164:165], v[128:129], v[66:67]
	v_mul_f64 v[18:19], v[82:83], v[18:19]
	v_fmac_f64_e32 v[162:163], v[126:127], v[60:61]
	v_fma_f64 v[8:9], v[76:77], v[12:13], -v[14:15]
	v_add_f64 v[4:5], v[4:5], v[6:7]
	v_add_f64 v[2:3], v[2:3], v[160:161]
	v_mul_f64 v[26:27], v[86:87], v[26:27]
	v_fmac_f64_e32 v[164:165], v[130:131], v[64:65]
	v_fma_f64 v[10:11], v[80:81], v[16:17], -v[18:19]
	v_add_f64 v[4:5], v[4:5], v[8:9]
	v_add_f64 v[2:3], v[2:3], v[162:163]
	v_fma_f64 v[12:13], v[84:85], v[24:25], -v[26:27]
	v_add_f64 v[4:5], v[4:5], v[10:11]
	v_add_f64 v[6:7], v[2:3], v[164:165]
	v_mul_f64 v[2:3], v[90:91], v[22:23]
	v_add_f64 v[4:5], v[4:5], v[12:13]
	v_fma_f64 v[2:3], v[88:89], v[20:21], -v[2:3]
	v_add_f64 v[2:3], v[4:5], v[2:3]
	v_mul_f64 v[4:5], v[94:95], v[30:31]
	v_fma_f64 v[4:5], v[92:93], v[28:29], -v[4:5]
	v_add_f64 v[2:3], v[2:3], v[4:5]
	v_mul_f64 v[4:5], v[98:99], v[34:35]
	;; [unrolled: 3-line block ×10, first 2 shown]
	v_fma_f64 v[4:5], v[128:129], v[64:65], -v[4:5]
	v_add_f64 v[2:3], v[2:3], v[4:5]
	s_waitcnt vmcnt(0)
	v_add_f64 v[2:3], v[132:133], -v[2:3]
	v_add_f64 v[4:5], v[134:135], -v[6:7]
	scratch_store_dwordx4 off, v[2:5], off offset:176
	s_and_saveexec_b64 s[2:3], vcc
	s_cbranch_execz .LBB27_161
; %bb.160:
	scratch_load_dwordx4 v[2:5], off, s26
	v_mov_b32_e32 v6, 0
	v_mov_b32_e32 v7, v6
	;; [unrolled: 1-line block ×4, first 2 shown]
	scratch_store_dwordx4 off, v[6:9], off offset:160
	s_waitcnt vmcnt(1)
	ds_write_b128 v226, v[2:5]
.LBB27_161:
	s_or_b64 exec, exec, s[2:3]
	s_waitcnt lgkmcnt(0)
	; wave barrier
	scratch_load_dwordx4 v[4:7], off, off offset:176
	scratch_load_dwordx4 v[8:11], off, off offset:192
	;; [unrolled: 1-line block ×18, first 2 shown]
	v_mov_b32_e32 v2, 0
	ds_read_b128 v[76:79], v2 offset:624
	ds_read_b128 v[80:83], v2 offset:640
	;; [unrolled: 1-line block ×17, first 2 shown]
	v_cmp_lt_u32_e32 vcc, 9, v1
	s_waitcnt vmcnt(17) lgkmcnt(14)
	v_mul_f64 v[144:145], v[76:77], v[6:7]
	v_mul_f64 v[6:7], v[78:79], v[6:7]
	s_waitcnt vmcnt(16)
	v_mul_f64 v[146:147], v[80:81], v[10:11]
	v_mul_f64 v[10:11], v[82:83], v[10:11]
	v_fmac_f64_e32 v[144:145], v[78:79], v[4:5]
	v_fma_f64 v[4:5], v[76:77], v[4:5], -v[6:7]
	s_waitcnt vmcnt(15)
	v_mul_f64 v[148:149], v[84:85], v[18:19]
	v_mul_f64 v[18:19], v[86:87], v[18:19]
	v_fma_f64 v[6:7], v[80:81], v[8:9], -v[10:11]
	v_add_f64 v[4:5], v[4:5], 0
	s_waitcnt vmcnt(14) lgkmcnt(13)
	v_mul_f64 v[150:151], v[88:89], v[14:15]
	v_mul_f64 v[14:15], v[90:91], v[14:15]
	v_fmac_f64_e32 v[146:147], v[82:83], v[8:9]
	v_fma_f64 v[8:9], v[84:85], v[16:17], -v[18:19]
	v_add_f64 v[4:5], v[4:5], v[6:7]
	v_add_f64 v[4:5], v[4:5], v[8:9]
	v_fma_f64 v[8:9], v[88:89], v[12:13], -v[14:15]
	v_add_f64 v[4:5], v[4:5], v[8:9]
	s_waitcnt vmcnt(13) lgkmcnt(12)
	v_mul_f64 v[8:9], v[94:95], v[22:23]
	v_fma_f64 v[8:9], v[92:93], v[20:21], -v[8:9]
	v_add_f64 v[4:5], v[4:5], v[8:9]
	s_waitcnt vmcnt(12) lgkmcnt(11)
	v_mul_f64 v[8:9], v[98:99], v[26:27]
	;; [unrolled: 4-line block ×5, first 2 shown]
	v_fma_f64 v[8:9], v[108:109], v[36:37], -v[8:9]
	v_add_f64 v[10:11], v[144:145], 0
	v_add_f64 v[4:5], v[4:5], v[8:9]
	s_waitcnt vmcnt(8) lgkmcnt(7)
	v_mul_f64 v[8:9], v[114:115], v[42:43]
	v_fmac_f64_e32 v[148:149], v[86:87], v[16:17]
	v_add_f64 v[10:11], v[10:11], v[146:147]
	v_fma_f64 v[8:9], v[112:113], v[40:41], -v[8:9]
	v_mul_f64 v[152:153], v[92:93], v[22:23]
	v_fmac_f64_e32 v[150:151], v[90:91], v[12:13]
	v_add_f64 v[6:7], v[10:11], v[148:149]
	v_add_f64 v[4:5], v[4:5], v[8:9]
	s_waitcnt vmcnt(7) lgkmcnt(6)
	v_mul_f64 v[8:9], v[118:119], v[46:47]
	v_mul_f64 v[154:155], v[96:97], v[26:27]
	v_fmac_f64_e32 v[152:153], v[94:95], v[20:21]
	v_add_f64 v[6:7], v[6:7], v[150:151]
	v_fma_f64 v[8:9], v[116:117], v[44:45], -v[8:9]
	v_mul_f64 v[156:157], v[100:101], v[30:31]
	v_fmac_f64_e32 v[154:155], v[98:99], v[24:25]
	v_add_f64 v[6:7], v[6:7], v[152:153]
	v_add_f64 v[4:5], v[4:5], v[8:9]
	s_waitcnt vmcnt(6) lgkmcnt(5)
	v_mul_f64 v[8:9], v[122:123], v[50:51]
	;; [unrolled: 10-line block ×6, first 2 shown]
	v_mul_f64 v[174:175], v[136:137], v[66:67]
	v_fmac_f64_e32 v[172:173], v[134:135], v[60:61]
	v_add_f64 v[6:7], v[6:7], v[170:171]
	v_fma_f64 v[8:9], v[136:137], v[64:65], -v[8:9]
	s_waitcnt vmcnt(1) lgkmcnt(0)
	v_mul_f64 v[176:177], v[140:141], v[70:71]
	v_fmac_f64_e32 v[174:175], v[138:139], v[64:65]
	v_add_f64 v[6:7], v[6:7], v[172:173]
	v_add_f64 v[4:5], v[4:5], v[8:9]
	v_mul_f64 v[8:9], v[142:143], v[70:71]
	v_fmac_f64_e32 v[176:177], v[142:143], v[68:69]
	v_add_f64 v[6:7], v[6:7], v[174:175]
	v_fma_f64 v[8:9], v[140:141], v[68:69], -v[8:9]
	v_add_f64 v[6:7], v[6:7], v[176:177]
	v_add_f64 v[4:5], v[4:5], v[8:9]
	s_waitcnt vmcnt(0)
	v_add_f64 v[4:5], v[72:73], -v[4:5]
	v_add_f64 v[6:7], v[74:75], -v[6:7]
	scratch_store_dwordx4 off, v[4:7], off offset:160
	s_and_saveexec_b64 s[2:3], vcc
	s_cbranch_execz .LBB27_163
; %bb.162:
	scratch_load_dwordx4 v[6:9], off, s24
	v_mov_b32_e32 v3, v2
	v_mov_b32_e32 v4, v2
	;; [unrolled: 1-line block ×3, first 2 shown]
	scratch_store_dwordx4 off, v[2:5], off offset:144
	s_waitcnt vmcnt(1)
	ds_write_b128 v226, v[6:9]
.LBB27_163:
	s_or_b64 exec, exec, s[2:3]
	s_waitcnt lgkmcnt(0)
	; wave barrier
	scratch_load_dwordx4 v[4:7], off, off offset:160
	scratch_load_dwordx4 v[12:15], off, off offset:176
	;; [unrolled: 1-line block ×18, first 2 shown]
	ds_read_b128 v[76:79], v2 offset:608
	ds_read_b128 v[80:83], v2 offset:624
	;; [unrolled: 1-line block ×18, first 2 shown]
	scratch_load_dwordx4 v[148:151], off, off offset:144
	v_cmp_lt_u32_e32 vcc, 8, v1
	s_waitcnt vmcnt(18) lgkmcnt(14)
	v_mul_f64 v[2:3], v[76:77], v[6:7]
	s_waitcnt vmcnt(17)
	v_mul_f64 v[152:153], v[80:81], v[14:15]
	v_fmac_f64_e32 v[2:3], v[78:79], v[4:5]
	s_waitcnt vmcnt(16)
	v_mul_f64 v[154:155], v[84:85], v[10:11]
	v_fmac_f64_e32 v[152:153], v[82:83], v[12:13]
	v_add_f64 v[2:3], v[2:3], 0
	s_waitcnt vmcnt(15)
	v_mul_f64 v[156:157], v[88:89], v[18:19]
	v_fmac_f64_e32 v[154:155], v[86:87], v[8:9]
	v_add_f64 v[2:3], v[2:3], v[152:153]
	s_waitcnt vmcnt(14) lgkmcnt(13)
	v_mul_f64 v[158:159], v[92:93], v[22:23]
	v_fmac_f64_e32 v[156:157], v[90:91], v[16:17]
	v_add_f64 v[2:3], v[2:3], v[154:155]
	s_waitcnt vmcnt(13) lgkmcnt(12)
	;; [unrolled: 4-line block ×13, first 2 shown]
	v_mul_f64 v[182:183], v[140:141], v[70:71]
	v_mul_f64 v[6:7], v[78:79], v[6:7]
	v_fmac_f64_e32 v[180:181], v[138:139], v[64:65]
	v_add_f64 v[2:3], v[2:3], v[178:179]
	s_waitcnt vmcnt(1) lgkmcnt(0)
	v_mul_f64 v[184:185], v[144:145], v[74:75]
	v_mul_f64 v[14:15], v[82:83], v[14:15]
	v_fmac_f64_e32 v[182:183], v[142:143], v[68:69]
	v_fma_f64 v[4:5], v[76:77], v[4:5], -v[6:7]
	v_add_f64 v[2:3], v[2:3], v[180:181]
	v_mul_f64 v[10:11], v[86:87], v[10:11]
	v_fmac_f64_e32 v[184:185], v[146:147], v[72:73]
	v_fma_f64 v[6:7], v[80:81], v[12:13], -v[14:15]
	v_add_f64 v[4:5], v[4:5], 0
	v_add_f64 v[2:3], v[2:3], v[182:183]
	;; [unrolled: 1-line block ×4, first 2 shown]
	v_fma_f64 v[2:3], v[84:85], v[8:9], -v[10:11]
	v_add_f64 v[2:3], v[4:5], v[2:3]
	v_mul_f64 v[4:5], v[90:91], v[18:19]
	v_fma_f64 v[4:5], v[88:89], v[16:17], -v[4:5]
	v_add_f64 v[2:3], v[2:3], v[4:5]
	v_mul_f64 v[4:5], v[94:95], v[22:23]
	;; [unrolled: 3-line block ×15, first 2 shown]
	v_fma_f64 v[4:5], v[144:145], v[72:73], -v[4:5]
	v_add_f64 v[2:3], v[2:3], v[4:5]
	s_waitcnt vmcnt(0)
	v_add_f64 v[2:3], v[148:149], -v[2:3]
	v_add_f64 v[4:5], v[150:151], -v[6:7]
	scratch_store_dwordx4 off, v[2:5], off offset:144
	s_and_saveexec_b64 s[2:3], vcc
	s_cbranch_execz .LBB27_165
; %bb.164:
	scratch_load_dwordx4 v[2:5], off, s17
	v_mov_b32_e32 v6, 0
	v_mov_b32_e32 v7, v6
	;; [unrolled: 1-line block ×4, first 2 shown]
	scratch_store_dwordx4 off, v[6:9], off offset:128
	s_waitcnt vmcnt(1)
	ds_write_b128 v226, v[2:5]
.LBB27_165:
	s_or_b64 exec, exec, s[2:3]
	s_waitcnt lgkmcnt(0)
	; wave barrier
	scratch_load_dwordx4 v[8:11], off, off offset:144
	scratch_load_dwordx4 v[4:7], off, off offset:160
	;; [unrolled: 1-line block ×20, first 2 shown]
	v_mov_b32_e32 v2, 0
	ds_read_b128 v[84:87], v2 offset:592
	ds_read_b128 v[88:91], v2 offset:608
	;; [unrolled: 1-line block ×19, first 2 shown]
	v_cmp_lt_u32_e32 vcc, 7, v1
	s_waitcnt vmcnt(19) lgkmcnt(14)
	v_mul_f64 v[160:161], v[84:85], v[10:11]
	v_mul_f64 v[10:11], v[86:87], v[10:11]
	s_waitcnt vmcnt(18)
	v_mul_f64 v[162:163], v[88:89], v[6:7]
	v_fmac_f64_e32 v[160:161], v[86:87], v[8:9]
	v_fma_f64 v[8:9], v[84:85], v[8:9], -v[10:11]
	v_mul_f64 v[6:7], v[90:91], v[6:7]
	v_fmac_f64_e32 v[162:163], v[90:91], v[4:5]
	v_add_f64 v[8:9], v[8:9], 0
	v_fma_f64 v[4:5], v[88:89], v[4:5], -v[6:7]
	s_waitcnt vmcnt(17)
	v_mul_f64 v[6:7], v[94:95], v[14:15]
	v_add_f64 v[4:5], v[8:9], v[4:5]
	v_fma_f64 v[6:7], v[92:93], v[12:13], -v[6:7]
	v_add_f64 v[4:5], v[4:5], v[6:7]
	s_waitcnt vmcnt(16)
	v_mul_f64 v[6:7], v[98:99], v[18:19]
	v_fma_f64 v[6:7], v[96:97], v[16:17], -v[6:7]
	v_add_f64 v[4:5], v[4:5], v[6:7]
	s_waitcnt vmcnt(15)
	v_mul_f64 v[6:7], v[102:103], v[22:23]
	v_fma_f64 v[6:7], v[100:101], v[20:21], -v[6:7]
	v_add_f64 v[4:5], v[4:5], v[6:7]
	s_waitcnt vmcnt(14) lgkmcnt(13)
	v_mul_f64 v[6:7], v[106:107], v[26:27]
	v_fma_f64 v[6:7], v[104:105], v[24:25], -v[6:7]
	v_add_f64 v[4:5], v[4:5], v[6:7]
	s_waitcnt vmcnt(13) lgkmcnt(12)
	v_mul_f64 v[6:7], v[110:111], v[30:31]
	v_fma_f64 v[6:7], v[108:109], v[28:29], -v[6:7]
	v_add_f64 v[4:5], v[4:5], v[6:7]
	s_waitcnt vmcnt(12) lgkmcnt(11)
	v_mul_f64 v[6:7], v[114:115], v[34:35]
	v_fma_f64 v[6:7], v[112:113], v[32:33], -v[6:7]
	v_add_f64 v[4:5], v[4:5], v[6:7]
	s_waitcnt vmcnt(11) lgkmcnt(10)
	v_mul_f64 v[6:7], v[118:119], v[38:39]
	v_fma_f64 v[6:7], v[116:117], v[36:37], -v[6:7]
	v_add_f64 v[4:5], v[4:5], v[6:7]
	s_waitcnt vmcnt(10) lgkmcnt(9)
	v_mul_f64 v[6:7], v[122:123], v[42:43]
	v_fma_f64 v[6:7], v[120:121], v[40:41], -v[6:7]
	v_mul_f64 v[164:165], v[92:93], v[14:15]
	v_add_f64 v[10:11], v[160:161], 0
	v_add_f64 v[4:5], v[4:5], v[6:7]
	s_waitcnt vmcnt(9) lgkmcnt(8)
	v_mul_f64 v[6:7], v[126:127], v[46:47]
	v_mul_f64 v[166:167], v[96:97], v[18:19]
	v_fmac_f64_e32 v[164:165], v[94:95], v[12:13]
	v_add_f64 v[10:11], v[10:11], v[162:163]
	v_fma_f64 v[6:7], v[124:125], v[44:45], -v[6:7]
	v_mul_f64 v[168:169], v[100:101], v[22:23]
	v_fmac_f64_e32 v[166:167], v[98:99], v[16:17]
	v_add_f64 v[10:11], v[10:11], v[164:165]
	v_add_f64 v[4:5], v[4:5], v[6:7]
	s_waitcnt vmcnt(8) lgkmcnt(7)
	v_mul_f64 v[6:7], v[130:131], v[50:51]
	v_mul_f64 v[170:171], v[104:105], v[26:27]
	v_fmac_f64_e32 v[168:169], v[102:103], v[20:21]
	v_add_f64 v[10:11], v[10:11], v[166:167]
	v_fma_f64 v[6:7], v[128:129], v[48:49], -v[6:7]
	v_mul_f64 v[172:173], v[108:109], v[30:31]
	v_fmac_f64_e32 v[170:171], v[106:107], v[24:25]
	;; [unrolled: 10-line block ×7, first 2 shown]
	v_add_f64 v[10:11], v[10:11], v[188:189]
	v_add_f64 v[4:5], v[4:5], v[6:7]
	s_waitcnt vmcnt(2) lgkmcnt(1)
	v_mul_f64 v[6:7], v[154:155], v[74:75]
	v_mul_f64 v[230:231], v[152:153], v[74:75]
	v_fmac_f64_e32 v[228:229], v[150:151], v[68:69]
	v_add_f64 v[10:11], v[10:11], v[224:225]
	v_fma_f64 v[6:7], v[152:153], v[72:73], -v[6:7]
	s_waitcnt vmcnt(1) lgkmcnt(0)
	v_mul_f64 v[232:233], v[156:157], v[78:79]
	v_fmac_f64_e32 v[230:231], v[154:155], v[72:73]
	v_add_f64 v[10:11], v[10:11], v[228:229]
	v_add_f64 v[4:5], v[4:5], v[6:7]
	v_mul_f64 v[6:7], v[158:159], v[78:79]
	v_fmac_f64_e32 v[232:233], v[158:159], v[76:77]
	v_add_f64 v[10:11], v[10:11], v[230:231]
	v_fma_f64 v[6:7], v[156:157], v[76:77], -v[6:7]
	v_add_f64 v[10:11], v[10:11], v[232:233]
	v_add_f64 v[4:5], v[4:5], v[6:7]
	s_waitcnt vmcnt(0)
	v_add_f64 v[4:5], v[80:81], -v[4:5]
	v_add_f64 v[6:7], v[82:83], -v[10:11]
	scratch_store_dwordx4 off, v[4:7], off offset:128
	s_and_saveexec_b64 s[2:3], vcc
	s_cbranch_execz .LBB27_167
; %bb.166:
	scratch_load_dwordx4 v[6:9], off, s27
	v_mov_b32_e32 v3, v2
	v_mov_b32_e32 v4, v2
	;; [unrolled: 1-line block ×3, first 2 shown]
	scratch_store_dwordx4 off, v[2:5], off offset:112
	s_waitcnt vmcnt(1)
	ds_write_b128 v226, v[6:9]
.LBB27_167:
	s_or_b64 exec, exec, s[2:3]
	s_waitcnt lgkmcnt(0)
	; wave barrier
	ds_read_b128 v[16:19], v2 offset:576
	ds_read_b128 v[12:15], v2 offset:592
	;; [unrolled: 1-line block ×4, first 2 shown]
	scratch_load_dwordx4 v[20:23], off, off offset:128
	scratch_load_dwordx4 v[40:43], off, off offset:192
	;; [unrolled: 1-line block ×14, first 2 shown]
	v_cmp_lt_u32_e32 vcc, 6, v1
	scratch_load_dwordx4 v[48:51], off, off offset:208
	scratch_load_dwordx4 v[56:59], off, off offset:224
	;; [unrolled: 1-line block ×3, first 2 shown]
	s_waitcnt vmcnt(16) lgkmcnt(3)
	v_mul_f64 v[24:25], v[16:17], v[22:23]
	v_fmac_f64_e32 v[24:25], v[18:19], v[20:21]
	v_add_f64 v[28:29], v[24:25], 0
	scratch_load_dwordx4 v[24:27], off, off offset:144
	s_waitcnt vmcnt(0) lgkmcnt(2)
	v_mul_f64 v[30:31], v[12:13], v[26:27]
	v_fmac_f64_e32 v[30:31], v[14:15], v[24:25]
	v_add_f64 v[32:33], v[28:29], v[30:31]
	scratch_load_dwordx4 v[28:31], off, off offset:160
	v_mul_f64 v[14:15], v[14:15], v[26:27]
	v_fma_f64 v[12:13], v[12:13], v[24:25], -v[14:15]
	s_waitcnt vmcnt(0) lgkmcnt(1)
	v_mul_f64 v[34:35], v[8:9], v[30:31]
	v_fmac_f64_e32 v[34:35], v[10:11], v[28:29]
	v_add_f64 v[36:37], v[32:33], v[34:35]
	scratch_load_dwordx4 v[32:35], off, off offset:176
	v_mul_f64 v[10:11], v[10:11], v[30:31]
	v_fma_f64 v[8:9], v[8:9], v[28:29], -v[10:11]
	s_waitcnt vmcnt(0) lgkmcnt(0)
	v_mul_f64 v[38:39], v[4:5], v[34:35]
	v_fmac_f64_e32 v[38:39], v[6:7], v[32:33]
	v_add_f64 v[44:45], v[36:37], v[38:39]
	ds_read_b128 v[36:39], v2 offset:640
	v_mul_f64 v[6:7], v[6:7], v[34:35]
	v_fma_f64 v[4:5], v[4:5], v[32:33], -v[6:7]
	s_waitcnt lgkmcnt(0)
	v_mul_f64 v[46:47], v[36:37], v[42:43]
	v_fmac_f64_e32 v[46:47], v[38:39], v[40:41]
	v_add_f64 v[52:53], v[44:45], v[46:47]
	ds_read_b128 v[44:47], v2 offset:656
	s_waitcnt lgkmcnt(0)
	v_mul_f64 v[54:55], v[44:45], v[50:51]
	v_fmac_f64_e32 v[54:55], v[46:47], v[48:49]
	v_add_f64 v[60:61], v[52:53], v[54:55]
	ds_read_b128 v[52:55], v2 offset:672
	;; [unrolled: 5-line block ×15, first 2 shown]
	s_waitcnt lgkmcnt(0)
	v_mul_f64 v[2:3], v[158:159], v[164:165]
	v_fmac_f64_e32 v[2:3], v[160:161], v[162:163]
	v_add_f64 v[96:97], v[96:97], v[2:3]
	v_mul_f64 v[2:3], v[18:19], v[22:23]
	v_fma_f64 v[2:3], v[16:17], v[20:21], -v[2:3]
	v_add_f64 v[2:3], v[2:3], 0
	v_add_f64 v[2:3], v[2:3], v[12:13]
	;; [unrolled: 1-line block ×4, first 2 shown]
	v_mul_f64 v[4:5], v[38:39], v[42:43]
	v_fma_f64 v[4:5], v[36:37], v[40:41], -v[4:5]
	v_add_f64 v[2:3], v[2:3], v[4:5]
	v_mul_f64 v[4:5], v[46:47], v[50:51]
	v_fma_f64 v[4:5], v[44:45], v[48:49], -v[4:5]
	v_add_f64 v[2:3], v[2:3], v[4:5]
	;; [unrolled: 3-line block ×16, first 2 shown]
	scratch_load_dwordx4 v[2:5], off, off offset:112
	s_waitcnt vmcnt(0)
	v_add_f64 v[2:3], v[2:3], -v[6:7]
	v_add_f64 v[4:5], v[4:5], -v[96:97]
	scratch_store_dwordx4 off, v[2:5], off offset:112
	s_and_saveexec_b64 s[2:3], vcc
	s_cbranch_execz .LBB27_169
; %bb.168:
	scratch_load_dwordx4 v[2:5], off, s25
	v_mov_b32_e32 v6, 0
	v_mov_b32_e32 v7, v6
	;; [unrolled: 1-line block ×4, first 2 shown]
	scratch_store_dwordx4 off, v[6:9], off offset:96
	s_waitcnt vmcnt(1)
	ds_write_b128 v226, v[2:5]
.LBB27_169:
	s_or_b64 exec, exec, s[2:3]
	v_mov_b32_e32 v2, 0
	s_waitcnt lgkmcnt(0)
	; wave barrier
	ds_read_b128 v[16:19], v2 offset:560
	ds_read_b128 v[12:15], v2 offset:576
	;; [unrolled: 1-line block ×4, first 2 shown]
	scratch_load_dwordx4 v[20:23], off, off offset:112
	scratch_load_dwordx4 v[40:43], off, off offset:176
	;; [unrolled: 1-line block ×15, first 2 shown]
	v_cmp_lt_u32_e32 vcc, 5, v1
	scratch_load_dwordx4 v[48:51], off, off offset:192
	scratch_load_dwordx4 v[56:59], off, off offset:208
	;; [unrolled: 1-line block ×3, first 2 shown]
	ds_read_b128 v[228:231], v2 offset:880
	s_waitcnt vmcnt(17) lgkmcnt(4)
	v_mul_f64 v[24:25], v[16:17], v[22:23]
	v_fmac_f64_e32 v[24:25], v[18:19], v[20:21]
	v_add_f64 v[28:29], v[24:25], 0
	scratch_load_dwordx4 v[24:27], off, off offset:128
	v_mul_f64 v[18:19], v[18:19], v[22:23]
	v_fma_f64 v[16:17], v[16:17], v[20:21], -v[18:19]
	v_add_f64 v[16:17], v[16:17], 0
	s_waitcnt vmcnt(0) lgkmcnt(3)
	v_mul_f64 v[30:31], v[12:13], v[26:27]
	v_fmac_f64_e32 v[30:31], v[14:15], v[24:25]
	v_add_f64 v[32:33], v[28:29], v[30:31]
	scratch_load_dwordx4 v[28:31], off, off offset:144
	v_mul_f64 v[14:15], v[14:15], v[26:27]
	v_fma_f64 v[12:13], v[12:13], v[24:25], -v[14:15]
	v_add_f64 v[12:13], v[16:17], v[12:13]
	;; [unrolled: 8-line block ×3, first 2 shown]
	s_waitcnt vmcnt(0) lgkmcnt(1)
	v_mul_f64 v[38:39], v[4:5], v[34:35]
	v_fmac_f64_e32 v[38:39], v[6:7], v[32:33]
	v_add_f64 v[44:45], v[36:37], v[38:39]
	ds_read_b128 v[36:39], v2 offset:624
	v_mul_f64 v[6:7], v[6:7], v[34:35]
	v_fma_f64 v[4:5], v[4:5], v[32:33], -v[6:7]
	v_add_f64 v[4:5], v[8:9], v[4:5]
	s_waitcnt lgkmcnt(0)
	v_mul_f64 v[46:47], v[36:37], v[42:43]
	v_fmac_f64_e32 v[46:47], v[38:39], v[40:41]
	v_add_f64 v[52:53], v[44:45], v[46:47]
	ds_read_b128 v[44:47], v2 offset:640
	v_mul_f64 v[6:7], v[38:39], v[42:43]
	v_fma_f64 v[6:7], v[36:37], v[40:41], -v[6:7]
	v_add_f64 v[4:5], v[4:5], v[6:7]
	s_waitcnt lgkmcnt(0)
	;; [unrolled: 8-line block ×16, first 2 shown]
	v_mul_f64 v[6:7], v[160:161], v[164:165]
	v_fma_f64 v[6:7], v[158:159], v[162:163], -v[6:7]
	v_add_f64 v[4:5], v[4:5], v[6:7]
	v_mul_f64 v[6:7], v[230:231], v[234:235]
	v_fma_f64 v[6:7], v[228:229], v[232:233], -v[6:7]
	v_add_f64 v[8:9], v[4:5], v[6:7]
	scratch_load_dwordx4 v[4:7], off, off offset:96
	v_mul_f64 v[166:167], v[158:159], v[164:165]
	v_fmac_f64_e32 v[166:167], v[160:161], v[162:163]
	v_add_f64 v[104:105], v[104:105], v[166:167]
	v_mul_f64 v[166:167], v[228:229], v[234:235]
	v_fmac_f64_e32 v[166:167], v[230:231], v[232:233]
	v_add_f64 v[104:105], v[104:105], v[166:167]
	s_waitcnt vmcnt(0)
	v_add_f64 v[4:5], v[4:5], -v[8:9]
	v_add_f64 v[6:7], v[6:7], -v[104:105]
	scratch_store_dwordx4 off, v[4:7], off offset:96
	s_and_saveexec_b64 s[2:3], vcc
	s_cbranch_execz .LBB27_171
; %bb.170:
	scratch_load_dwordx4 v[6:9], off, s19
	v_mov_b32_e32 v3, v2
	v_mov_b32_e32 v4, v2
	;; [unrolled: 1-line block ×3, first 2 shown]
	scratch_store_dwordx4 off, v[2:5], off offset:80
	s_waitcnt vmcnt(1)
	ds_write_b128 v226, v[6:9]
.LBB27_171:
	s_or_b64 exec, exec, s[2:3]
	s_waitcnt lgkmcnt(0)
	; wave barrier
	ds_read_b128 v[16:19], v2 offset:544
	ds_read_b128 v[12:15], v2 offset:560
	;; [unrolled: 1-line block ×4, first 2 shown]
	scratch_load_dwordx4 v[20:23], off, off offset:96
	scratch_load_dwordx4 v[40:43], off, off offset:160
	;; [unrolled: 1-line block ×16, first 2 shown]
	v_cmp_lt_u32_e32 vcc, 4, v1
	scratch_load_dwordx4 v[48:51], off, off offset:176
	scratch_load_dwordx4 v[56:59], off, off offset:192
	;; [unrolled: 1-line block ×3, first 2 shown]
	ds_read_b128 v[228:231], v2 offset:864
	ds_read_b128 v[236:239], v2 offset:880
	s_waitcnt vmcnt(18) lgkmcnt(5)
	v_mul_f64 v[24:25], v[16:17], v[22:23]
	v_fmac_f64_e32 v[24:25], v[18:19], v[20:21]
	v_add_f64 v[28:29], v[24:25], 0
	scratch_load_dwordx4 v[24:27], off, off offset:112
	s_waitcnt vmcnt(0) lgkmcnt(4)
	v_mul_f64 v[30:31], v[12:13], v[26:27]
	v_fmac_f64_e32 v[30:31], v[14:15], v[24:25]
	v_add_f64 v[32:33], v[28:29], v[30:31]
	scratch_load_dwordx4 v[28:31], off, off offset:128
	v_mul_f64 v[14:15], v[14:15], v[26:27]
	v_fma_f64 v[12:13], v[12:13], v[24:25], -v[14:15]
	s_waitcnt vmcnt(0) lgkmcnt(3)
	v_mul_f64 v[34:35], v[8:9], v[30:31]
	v_fmac_f64_e32 v[34:35], v[10:11], v[28:29]
	v_add_f64 v[36:37], v[32:33], v[34:35]
	scratch_load_dwordx4 v[32:35], off, off offset:144
	v_mul_f64 v[10:11], v[10:11], v[30:31]
	v_fma_f64 v[8:9], v[8:9], v[28:29], -v[10:11]
	s_waitcnt vmcnt(0) lgkmcnt(2)
	v_mul_f64 v[38:39], v[4:5], v[34:35]
	v_fmac_f64_e32 v[38:39], v[6:7], v[32:33]
	v_add_f64 v[44:45], v[36:37], v[38:39]
	ds_read_b128 v[36:39], v2 offset:608
	v_mul_f64 v[6:7], v[6:7], v[34:35]
	v_fma_f64 v[4:5], v[4:5], v[32:33], -v[6:7]
	s_waitcnt lgkmcnt(0)
	v_mul_f64 v[46:47], v[36:37], v[42:43]
	v_fmac_f64_e32 v[46:47], v[38:39], v[40:41]
	v_add_f64 v[52:53], v[44:45], v[46:47]
	ds_read_b128 v[44:47], v2 offset:624
	s_waitcnt lgkmcnt(0)
	v_mul_f64 v[54:55], v[44:45], v[50:51]
	v_fmac_f64_e32 v[54:55], v[46:47], v[48:49]
	v_add_f64 v[60:61], v[52:53], v[54:55]
	ds_read_b128 v[52:55], v2 offset:640
	;; [unrolled: 5-line block ×15, first 2 shown]
	v_mul_f64 v[2:3], v[236:237], v[242:243]
	v_fmac_f64_e32 v[2:3], v[238:239], v[240:241]
	s_waitcnt lgkmcnt(0)
	v_mul_f64 v[166:167], v[158:159], v[164:165]
	v_fmac_f64_e32 v[166:167], v[160:161], v[162:163]
	v_add_f64 v[120:121], v[120:121], v[166:167]
	v_mul_f64 v[166:167], v[228:229], v[234:235]
	v_fmac_f64_e32 v[166:167], v[230:231], v[232:233]
	v_add_f64 v[120:121], v[120:121], v[166:167]
	v_add_f64 v[120:121], v[120:121], v[2:3]
	v_mul_f64 v[2:3], v[18:19], v[22:23]
	v_fma_f64 v[2:3], v[16:17], v[20:21], -v[2:3]
	v_add_f64 v[2:3], v[2:3], 0
	v_add_f64 v[2:3], v[2:3], v[12:13]
	;; [unrolled: 1-line block ×4, first 2 shown]
	v_mul_f64 v[4:5], v[38:39], v[42:43]
	v_fma_f64 v[4:5], v[36:37], v[40:41], -v[4:5]
	v_add_f64 v[2:3], v[2:3], v[4:5]
	v_mul_f64 v[4:5], v[46:47], v[50:51]
	v_fma_f64 v[4:5], v[44:45], v[48:49], -v[4:5]
	v_add_f64 v[2:3], v[2:3], v[4:5]
	;; [unrolled: 3-line block ×18, first 2 shown]
	scratch_load_dwordx4 v[2:5], off, off offset:80
	s_waitcnt vmcnt(0)
	v_add_f64 v[2:3], v[2:3], -v[6:7]
	v_add_f64 v[4:5], v[4:5], -v[120:121]
	scratch_store_dwordx4 off, v[2:5], off offset:80
	s_and_saveexec_b64 s[2:3], vcc
	s_cbranch_execz .LBB27_173
; %bb.172:
	scratch_load_dwordx4 v[2:5], off, s16
	v_mov_b32_e32 v6, 0
	v_mov_b32_e32 v7, v6
	;; [unrolled: 1-line block ×4, first 2 shown]
	scratch_store_dwordx4 off, v[6:9], off offset:64
	s_waitcnt vmcnt(1)
	ds_write_b128 v226, v[2:5]
.LBB27_173:
	s_or_b64 exec, exec, s[2:3]
	v_mov_b32_e32 v2, 0
	s_waitcnt lgkmcnt(0)
	; wave barrier
	ds_read_b128 v[16:19], v2 offset:528
	ds_read_b128 v[12:15], v2 offset:544
	ds_read_b128 v[8:11], v2 offset:560
	ds_read_b128 v[4:7], v2 offset:576
	scratch_load_dwordx4 v[20:23], off, off offset:80
	scratch_load_dwordx4 v[40:43], off, off offset:144
	;; [unrolled: 1-line block ×17, first 2 shown]
	v_cmp_lt_u32_e32 vcc, 3, v1
	scratch_load_dwordx4 v[48:51], off, off offset:160
	scratch_load_dwordx4 v[56:59], off, off offset:176
	;; [unrolled: 1-line block ×3, first 2 shown]
	ds_read_b128 v[228:231], v2 offset:848
	ds_read_b128 v[236:239], v2 offset:864
	;; [unrolled: 1-line block ×3, first 2 shown]
	s_waitcnt vmcnt(19) lgkmcnt(6)
	v_mul_f64 v[24:25], v[16:17], v[22:23]
	v_fmac_f64_e32 v[24:25], v[18:19], v[20:21]
	v_add_f64 v[28:29], v[24:25], 0
	scratch_load_dwordx4 v[24:27], off, off offset:96
	v_mul_f64 v[18:19], v[18:19], v[22:23]
	v_fma_f64 v[16:17], v[16:17], v[20:21], -v[18:19]
	v_add_f64 v[16:17], v[16:17], 0
	s_waitcnt vmcnt(0) lgkmcnt(5)
	v_mul_f64 v[30:31], v[12:13], v[26:27]
	v_fmac_f64_e32 v[30:31], v[14:15], v[24:25]
	v_add_f64 v[32:33], v[28:29], v[30:31]
	scratch_load_dwordx4 v[28:31], off, off offset:112
	v_mul_f64 v[14:15], v[14:15], v[26:27]
	v_fma_f64 v[12:13], v[12:13], v[24:25], -v[14:15]
	v_add_f64 v[12:13], v[16:17], v[12:13]
	;; [unrolled: 8-line block ×3, first 2 shown]
	s_waitcnt vmcnt(0) lgkmcnt(3)
	v_mul_f64 v[38:39], v[4:5], v[34:35]
	v_fmac_f64_e32 v[38:39], v[6:7], v[32:33]
	v_add_f64 v[44:45], v[36:37], v[38:39]
	ds_read_b128 v[36:39], v2 offset:592
	v_mul_f64 v[6:7], v[6:7], v[34:35]
	v_fma_f64 v[4:5], v[4:5], v[32:33], -v[6:7]
	v_add_f64 v[4:5], v[8:9], v[4:5]
	s_waitcnt lgkmcnt(0)
	v_mul_f64 v[46:47], v[36:37], v[42:43]
	v_fmac_f64_e32 v[46:47], v[38:39], v[40:41]
	v_add_f64 v[52:53], v[44:45], v[46:47]
	ds_read_b128 v[44:47], v2 offset:608
	v_mul_f64 v[6:7], v[38:39], v[42:43]
	v_fma_f64 v[6:7], v[36:37], v[40:41], -v[6:7]
	v_add_f64 v[4:5], v[4:5], v[6:7]
	s_waitcnt lgkmcnt(0)
	;; [unrolled: 8-line block ×16, first 2 shown]
	v_mul_f64 v[6:7], v[160:161], v[164:165]
	v_fma_f64 v[6:7], v[158:159], v[162:163], -v[6:7]
	v_add_f64 v[4:5], v[4:5], v[6:7]
	v_mul_f64 v[6:7], v[230:231], v[234:235]
	v_fma_f64 v[6:7], v[228:229], v[232:233], -v[6:7]
	v_add_f64 v[4:5], v[4:5], v[6:7]
	;; [unrolled: 3-line block ×4, first 2 shown]
	scratch_load_dwordx4 v[4:7], off, off offset:64
	v_mul_f64 v[166:167], v[158:159], v[164:165]
	v_fmac_f64_e32 v[166:167], v[160:161], v[162:163]
	v_add_f64 v[128:129], v[128:129], v[166:167]
	v_mul_f64 v[166:167], v[228:229], v[234:235]
	v_fmac_f64_e32 v[166:167], v[230:231], v[232:233]
	v_add_f64 v[128:129], v[128:129], v[166:167]
	;; [unrolled: 3-line block ×4, first 2 shown]
	s_waitcnt vmcnt(0)
	v_add_f64 v[4:5], v[4:5], -v[8:9]
	v_add_f64 v[6:7], v[6:7], -v[128:129]
	scratch_store_dwordx4 off, v[4:7], off offset:64
	s_and_saveexec_b64 s[2:3], vcc
	s_cbranch_execz .LBB27_175
; %bb.174:
	scratch_load_dwordx4 v[6:9], off, s15
	v_mov_b32_e32 v3, v2
	v_mov_b32_e32 v4, v2
	;; [unrolled: 1-line block ×3, first 2 shown]
	scratch_store_dwordx4 off, v[2:5], off offset:48
	s_waitcnt vmcnt(1)
	ds_write_b128 v226, v[6:9]
.LBB27_175:
	s_or_b64 exec, exec, s[2:3]
	s_waitcnt lgkmcnt(0)
	; wave barrier
	ds_read_b128 v[16:19], v2 offset:512
	ds_read_b128 v[12:15], v2 offset:528
	;; [unrolled: 1-line block ×4, first 2 shown]
	scratch_load_dwordx4 v[20:23], off, off offset:64
	scratch_load_dwordx4 v[40:43], off, off offset:128
	;; [unrolled: 1-line block ×17, first 2 shown]
	v_cmp_lt_u32_e32 vcc, 2, v1
	scratch_load_dwordx4 v[48:51], off, off offset:144
	scratch_load_dwordx4 v[56:59], off, off offset:160
	;; [unrolled: 1-line block ×3, first 2 shown]
	ds_read_b128 v[228:231], v2 offset:832
	ds_read_b128 v[236:239], v2 offset:848
	;; [unrolled: 1-line block ×4, first 2 shown]
	s_waitcnt vmcnt(19) lgkmcnt(7)
	v_mul_f64 v[24:25], v[16:17], v[22:23]
	v_fmac_f64_e32 v[24:25], v[18:19], v[20:21]
	v_add_f64 v[28:29], v[24:25], 0
	scratch_load_dwordx4 v[24:27], off, off offset:80
	s_waitcnt vmcnt(0) lgkmcnt(6)
	v_mul_f64 v[30:31], v[12:13], v[26:27]
	v_fmac_f64_e32 v[30:31], v[14:15], v[24:25]
	v_add_f64 v[32:33], v[28:29], v[30:31]
	scratch_load_dwordx4 v[28:31], off, off offset:96
	v_mul_f64 v[14:15], v[14:15], v[26:27]
	v_fma_f64 v[12:13], v[12:13], v[24:25], -v[14:15]
	s_waitcnt vmcnt(0) lgkmcnt(5)
	v_mul_f64 v[34:35], v[8:9], v[30:31]
	v_fmac_f64_e32 v[34:35], v[10:11], v[28:29]
	v_add_f64 v[36:37], v[32:33], v[34:35]
	scratch_load_dwordx4 v[32:35], off, off offset:112
	v_mul_f64 v[10:11], v[10:11], v[30:31]
	v_fma_f64 v[8:9], v[8:9], v[28:29], -v[10:11]
	s_waitcnt vmcnt(0) lgkmcnt(4)
	v_mul_f64 v[38:39], v[4:5], v[34:35]
	v_fmac_f64_e32 v[38:39], v[6:7], v[32:33]
	v_add_f64 v[44:45], v[36:37], v[38:39]
	ds_read_b128 v[36:39], v2 offset:576
	v_mul_f64 v[6:7], v[6:7], v[34:35]
	v_fma_f64 v[4:5], v[4:5], v[32:33], -v[6:7]
	s_waitcnt lgkmcnt(0)
	v_mul_f64 v[46:47], v[36:37], v[42:43]
	v_fmac_f64_e32 v[46:47], v[38:39], v[40:41]
	v_add_f64 v[52:53], v[44:45], v[46:47]
	ds_read_b128 v[44:47], v2 offset:592
	s_waitcnt lgkmcnt(0)
	v_mul_f64 v[54:55], v[44:45], v[50:51]
	v_fmac_f64_e32 v[54:55], v[46:47], v[48:49]
	v_add_f64 v[60:61], v[52:53], v[54:55]
	ds_read_b128 v[52:55], v2 offset:608
	;; [unrolled: 5-line block ×15, first 2 shown]
	s_waitcnt lgkmcnt(0)
	v_mul_f64 v[166:167], v[158:159], v[164:165]
	v_fmac_f64_e32 v[166:167], v[160:161], v[162:163]
	v_add_f64 v[148:149], v[148:149], v[166:167]
	v_mul_f64 v[166:167], v[228:229], v[234:235]
	v_fmac_f64_e32 v[166:167], v[230:231], v[232:233]
	v_add_f64 v[148:149], v[148:149], v[166:167]
	;; [unrolled: 3-line block ×4, first 2 shown]
	scratch_load_dwordx4 v[166:169], off, off offset:432
	s_waitcnt vmcnt(0)
	v_mul_f64 v[2:3], v[252:253], v[168:169]
	v_fmac_f64_e32 v[2:3], v[254:255], v[166:167]
	v_add_f64 v[148:149], v[148:149], v[2:3]
	v_mul_f64 v[2:3], v[18:19], v[22:23]
	v_fma_f64 v[2:3], v[16:17], v[20:21], -v[2:3]
	v_add_f64 v[2:3], v[2:3], 0
	v_add_f64 v[2:3], v[2:3], v[12:13]
	;; [unrolled: 1-line block ×4, first 2 shown]
	v_mul_f64 v[4:5], v[38:39], v[42:43]
	v_fma_f64 v[4:5], v[36:37], v[40:41], -v[4:5]
	v_add_f64 v[2:3], v[2:3], v[4:5]
	v_mul_f64 v[4:5], v[46:47], v[50:51]
	v_fma_f64 v[4:5], v[44:45], v[48:49], -v[4:5]
	v_add_f64 v[2:3], v[2:3], v[4:5]
	;; [unrolled: 3-line block ×20, first 2 shown]
	scratch_load_dwordx4 v[2:5], off, off offset:48
	s_waitcnt vmcnt(0)
	v_add_f64 v[2:3], v[2:3], -v[6:7]
	v_add_f64 v[4:5], v[4:5], -v[148:149]
	scratch_store_dwordx4 off, v[2:5], off offset:48
	s_and_saveexec_b64 s[2:3], vcc
	s_cbranch_execz .LBB27_177
; %bb.176:
	scratch_load_dwordx4 v[2:5], off, s14
	v_mov_b32_e32 v6, 0
	v_mov_b32_e32 v7, v6
	;; [unrolled: 1-line block ×4, first 2 shown]
	scratch_store_dwordx4 off, v[6:9], off offset:32
	s_waitcnt vmcnt(1)
	ds_write_b128 v226, v[2:5]
.LBB27_177:
	s_or_b64 exec, exec, s[2:3]
	v_mov_b32_e32 v2, 0
	s_waitcnt lgkmcnt(0)
	; wave barrier
	ds_read_b128 v[16:19], v2 offset:496
	ds_read_b128 v[12:15], v2 offset:512
	;; [unrolled: 1-line block ×4, first 2 shown]
	scratch_load_dwordx4 v[20:23], off, off offset:48
	scratch_load_dwordx4 v[40:43], off, off offset:112
	;; [unrolled: 1-line block ×19, first 2 shown]
	v_cmp_lt_u32_e32 vcc, 1, v1
	scratch_load_dwordx4 v[48:51], off, off offset:128
	scratch_load_dwordx4 v[56:59], off, off offset:144
	scratch_load_dwordx4 v[64:67], off, off offset:160
	ds_read_b128 v[232:235], v2 offset:832
	ds_read_b128 v[240:243], v2 offset:848
	;; [unrolled: 1-line block ×3, first 2 shown]
	s_waitcnt vmcnt(21) lgkmcnt(6)
	v_mul_f64 v[24:25], v[16:17], v[22:23]
	v_fmac_f64_e32 v[24:25], v[18:19], v[20:21]
	v_add_f64 v[28:29], v[24:25], 0
	scratch_load_dwordx4 v[24:27], off, off offset:64
	v_mul_f64 v[18:19], v[18:19], v[22:23]
	v_fma_f64 v[16:17], v[16:17], v[20:21], -v[18:19]
	v_add_f64 v[16:17], v[16:17], 0
	s_waitcnt vmcnt(0) lgkmcnt(5)
	v_mul_f64 v[30:31], v[12:13], v[26:27]
	v_fmac_f64_e32 v[30:31], v[14:15], v[24:25]
	v_add_f64 v[32:33], v[28:29], v[30:31]
	scratch_load_dwordx4 v[28:31], off, off offset:80
	v_mul_f64 v[14:15], v[14:15], v[26:27]
	v_fma_f64 v[12:13], v[12:13], v[24:25], -v[14:15]
	v_add_f64 v[12:13], v[16:17], v[12:13]
	;; [unrolled: 8-line block ×3, first 2 shown]
	s_waitcnt vmcnt(0) lgkmcnt(3)
	v_mul_f64 v[38:39], v[4:5], v[34:35]
	v_fmac_f64_e32 v[38:39], v[6:7], v[32:33]
	v_add_f64 v[44:45], v[36:37], v[38:39]
	ds_read_b128 v[36:39], v2 offset:560
	v_mul_f64 v[6:7], v[6:7], v[34:35]
	v_fma_f64 v[4:5], v[4:5], v[32:33], -v[6:7]
	v_add_f64 v[4:5], v[8:9], v[4:5]
	s_waitcnt lgkmcnt(0)
	v_mul_f64 v[46:47], v[36:37], v[42:43]
	v_fmac_f64_e32 v[46:47], v[38:39], v[40:41]
	v_add_f64 v[52:53], v[44:45], v[46:47]
	ds_read_b128 v[44:47], v2 offset:576
	v_mul_f64 v[6:7], v[38:39], v[42:43]
	v_fma_f64 v[6:7], v[36:37], v[40:41], -v[6:7]
	v_add_f64 v[4:5], v[4:5], v[6:7]
	s_waitcnt lgkmcnt(0)
	;; [unrolled: 8-line block ×17, first 2 shown]
	v_mul_f64 v[170:171], v[166:167], v[230:231]
	v_fmac_f64_e32 v[170:171], v[168:169], v[228:229]
	v_add_f64 v[144:145], v[144:145], v[170:171]
	v_mul_f64 v[170:171], v[232:233], v[238:239]
	v_fmac_f64_e32 v[170:171], v[234:235], v[236:237]
	v_add_f64 v[144:145], v[144:145], v[170:171]
	v_mul_f64 v[170:171], v[240:241], v[246:247]
	v_fmac_f64_e32 v[170:171], v[242:243], v[244:245]
	v_mul_f64 v[6:7], v[168:169], v[230:231]
	v_add_f64 v[144:145], v[144:145], v[170:171]
	v_mul_f64 v[170:171], v[248:249], v[254:255]
	v_fma_f64 v[6:7], v[166:167], v[228:229], -v[6:7]
	v_fmac_f64_e32 v[170:171], v[250:251], v[252:253]
	v_add_f64 v[4:5], v[4:5], v[6:7]
	v_mul_f64 v[6:7], v[234:235], v[238:239]
	v_add_f64 v[144:145], v[144:145], v[170:171]
	ds_read_b128 v[170:173], v2 offset:880
	v_fma_f64 v[6:7], v[232:233], v[236:237], -v[6:7]
	v_add_f64 v[4:5], v[4:5], v[6:7]
	v_mul_f64 v[6:7], v[242:243], v[246:247]
	v_fma_f64 v[6:7], v[240:241], v[244:245], -v[6:7]
	v_add_f64 v[4:5], v[4:5], v[6:7]
	v_mul_f64 v[6:7], v[250:251], v[254:255]
	v_fma_f64 v[6:7], v[248:249], v[252:253], -v[6:7]
	v_add_f64 v[4:5], v[4:5], v[6:7]
	s_waitcnt lgkmcnt(0)
	v_mul_f64 v[6:7], v[172:173], v[176:177]
	v_fma_f64 v[6:7], v[170:171], v[174:175], -v[6:7]
	v_add_f64 v[8:9], v[4:5], v[6:7]
	scratch_load_dwordx4 v[4:7], off, off offset:32
	v_mul_f64 v[178:179], v[170:171], v[176:177]
	v_fmac_f64_e32 v[178:179], v[172:173], v[174:175]
	v_add_f64 v[144:145], v[144:145], v[178:179]
	s_waitcnt vmcnt(0)
	v_add_f64 v[4:5], v[4:5], -v[8:9]
	v_add_f64 v[6:7], v[6:7], -v[144:145]
	scratch_store_dwordx4 off, v[4:7], off offset:32
	s_and_saveexec_b64 s[2:3], vcc
	s_cbranch_execz .LBB27_179
; %bb.178:
	scratch_load_dwordx4 v[6:9], off, s18
	v_mov_b32_e32 v3, v2
	v_mov_b32_e32 v4, v2
	;; [unrolled: 1-line block ×3, first 2 shown]
	scratch_store_dwordx4 off, v[2:5], off offset:16
	s_waitcnt vmcnt(1)
	ds_write_b128 v226, v[6:9]
.LBB27_179:
	s_or_b64 exec, exec, s[2:3]
	s_waitcnt lgkmcnt(0)
	; wave barrier
	ds_read_b128 v[16:19], v2 offset:480
	ds_read_b128 v[12:15], v2 offset:496
	;; [unrolled: 1-line block ×4, first 2 shown]
	scratch_load_dwordx4 v[20:23], off, off offset:32
	scratch_load_dwordx4 v[40:43], off, off offset:96
	;; [unrolled: 1-line block ×20, first 2 shown]
	v_cmp_ne_u32_e32 vcc, 0, v1
	scratch_load_dwordx4 v[48:51], off, off offset:112
	scratch_load_dwordx4 v[56:59], off, off offset:128
	;; [unrolled: 1-line block ×3, first 2 shown]
	ds_read_b128 v[232:235], v2 offset:832
	ds_read_b128 v[240:243], v2 offset:848
	;; [unrolled: 1-line block ×3, first 2 shown]
	s_waitcnt vmcnt(22) lgkmcnt(6)
	v_mul_f64 v[24:25], v[16:17], v[22:23]
	v_fmac_f64_e32 v[24:25], v[18:19], v[20:21]
	v_add_f64 v[28:29], v[24:25], 0
	scratch_load_dwordx4 v[24:27], off, off offset:48
	s_waitcnt vmcnt(0) lgkmcnt(5)
	v_mul_f64 v[30:31], v[12:13], v[26:27]
	v_fmac_f64_e32 v[30:31], v[14:15], v[24:25]
	v_add_f64 v[32:33], v[28:29], v[30:31]
	scratch_load_dwordx4 v[28:31], off, off offset:64
	v_mul_f64 v[14:15], v[14:15], v[26:27]
	v_fma_f64 v[12:13], v[12:13], v[24:25], -v[14:15]
	s_waitcnt vmcnt(0) lgkmcnt(4)
	v_mul_f64 v[34:35], v[8:9], v[30:31]
	v_fmac_f64_e32 v[34:35], v[10:11], v[28:29]
	v_add_f64 v[36:37], v[32:33], v[34:35]
	scratch_load_dwordx4 v[32:35], off, off offset:80
	v_mul_f64 v[10:11], v[10:11], v[30:31]
	v_fma_f64 v[8:9], v[8:9], v[28:29], -v[10:11]
	s_waitcnt vmcnt(0) lgkmcnt(3)
	v_mul_f64 v[38:39], v[4:5], v[34:35]
	v_fmac_f64_e32 v[38:39], v[6:7], v[32:33]
	v_add_f64 v[44:45], v[36:37], v[38:39]
	ds_read_b128 v[36:39], v2 offset:544
	v_mul_f64 v[6:7], v[6:7], v[34:35]
	v_fma_f64 v[4:5], v[4:5], v[32:33], -v[6:7]
	s_waitcnt lgkmcnt(0)
	v_mul_f64 v[46:47], v[36:37], v[42:43]
	v_fmac_f64_e32 v[46:47], v[38:39], v[40:41]
	v_add_f64 v[52:53], v[44:45], v[46:47]
	ds_read_b128 v[44:47], v2 offset:560
	s_waitcnt lgkmcnt(0)
	v_mul_f64 v[54:55], v[44:45], v[50:51]
	v_fmac_f64_e32 v[54:55], v[46:47], v[48:49]
	v_add_f64 v[60:61], v[52:53], v[54:55]
	ds_read_b128 v[52:55], v2 offset:576
	;; [unrolled: 5-line block ×17, first 2 shown]
	s_waitcnt lgkmcnt(0)
	v_mul_f64 v[178:179], v[172:173], v[230:231]
	v_fmac_f64_e32 v[178:179], v[174:175], v[228:229]
	v_add_f64 v[176:177], v[176:177], v[178:179]
	v_mul_f64 v[178:179], v[232:233], v[238:239]
	v_fmac_f64_e32 v[178:179], v[234:235], v[236:237]
	v_add_f64 v[176:177], v[176:177], v[178:179]
	;; [unrolled: 3-line block ×4, first 2 shown]
	ds_read_b128 v[176:179], v2 offset:880
	s_waitcnt lgkmcnt(0)
	v_mul_f64 v[2:3], v[176:177], v[182:183]
	v_fmac_f64_e32 v[2:3], v[178:179], v[180:181]
	v_add_f64 v[224:225], v[184:185], v[2:3]
	v_mul_f64 v[2:3], v[18:19], v[22:23]
	v_fma_f64 v[2:3], v[16:17], v[20:21], -v[2:3]
	v_add_f64 v[2:3], v[2:3], 0
	v_add_f64 v[2:3], v[2:3], v[12:13]
	;; [unrolled: 1-line block ×4, first 2 shown]
	v_mul_f64 v[4:5], v[38:39], v[42:43]
	v_fma_f64 v[4:5], v[36:37], v[40:41], -v[4:5]
	v_add_f64 v[2:3], v[2:3], v[4:5]
	v_mul_f64 v[4:5], v[46:47], v[50:51]
	v_fma_f64 v[4:5], v[44:45], v[48:49], -v[4:5]
	v_add_f64 v[2:3], v[2:3], v[4:5]
	;; [unrolled: 3-line block ×22, first 2 shown]
	scratch_load_dwordx4 v[2:5], off, off offset:16
	s_waitcnt vmcnt(0)
	v_add_f64 v[2:3], v[2:3], -v[6:7]
	v_add_f64 v[4:5], v[4:5], -v[224:225]
	scratch_store_dwordx4 off, v[2:5], off offset:16
	s_and_saveexec_b64 s[2:3], vcc
	s_cbranch_execz .LBB27_181
; %bb.180:
	scratch_load_dwordx4 v[2:5], off, off
	v_mov_b32_e32 v6, 0
	v_mov_b32_e32 v7, v6
	;; [unrolled: 1-line block ×4, first 2 shown]
	scratch_store_dwordx4 off, v[6:9], off
	s_waitcnt vmcnt(1)
	ds_write_b128 v226, v[2:5]
.LBB27_181:
	s_or_b64 exec, exec, s[2:3]
	v_mov_b32_e32 v160, 0
	s_waitcnt lgkmcnt(0)
	; wave barrier
	ds_read_b128 v[14:17], v160 offset:464
	ds_read_b128 v[10:13], v160 offset:480
	;; [unrolled: 1-line block ×4, first 2 shown]
	scratch_load_dwordx4 v[18:21], off, off offset:16
	scratch_load_dwordx4 v[38:41], off, off offset:80
	;; [unrolled: 1-line block ×21, first 2 shown]
	s_and_b64 vcc, exec, s[22:23]
	scratch_load_dwordx4 v[46:49], off, off offset:96
	scratch_load_dwordx4 v[54:57], off, off offset:112
	scratch_load_dwordx4 v[62:65], off, off offset:128
	ds_read_b128 v[224:227], v160 offset:816
	ds_read_b128 v[232:235], v160 offset:832
	;; [unrolled: 1-line block ×4, first 2 shown]
	s_waitcnt vmcnt(23) lgkmcnt(7)
	v_mul_f64 v[22:23], v[14:15], v[20:21]
	v_fmac_f64_e32 v[22:23], v[16:17], v[18:19]
	v_add_f64 v[26:27], v[22:23], 0
	scratch_load_dwordx4 v[22:25], off, off offset:32
	v_mul_f64 v[16:17], v[16:17], v[20:21]
	v_fma_f64 v[14:15], v[14:15], v[18:19], -v[16:17]
	v_add_f64 v[14:15], v[14:15], 0
	s_waitcnt vmcnt(0) lgkmcnt(6)
	v_mul_f64 v[28:29], v[10:11], v[24:25]
	v_fmac_f64_e32 v[28:29], v[12:13], v[22:23]
	v_add_f64 v[30:31], v[26:27], v[28:29]
	scratch_load_dwordx4 v[26:29], off, off offset:48
	v_mul_f64 v[12:13], v[12:13], v[24:25]
	v_fma_f64 v[10:11], v[10:11], v[22:23], -v[12:13]
	v_add_f64 v[10:11], v[14:15], v[10:11]
	;; [unrolled: 8-line block ×3, first 2 shown]
	s_waitcnt vmcnt(0) lgkmcnt(4)
	v_mul_f64 v[36:37], v[2:3], v[32:33]
	v_fmac_f64_e32 v[36:37], v[4:5], v[30:31]
	v_add_f64 v[42:43], v[34:35], v[36:37]
	ds_read_b128 v[34:37], v160 offset:528
	v_mul_f64 v[4:5], v[4:5], v[32:33]
	v_fma_f64 v[2:3], v[2:3], v[30:31], -v[4:5]
	v_add_f64 v[2:3], v[6:7], v[2:3]
	s_waitcnt lgkmcnt(0)
	v_mul_f64 v[44:45], v[34:35], v[40:41]
	v_fmac_f64_e32 v[44:45], v[36:37], v[38:39]
	v_add_f64 v[50:51], v[42:43], v[44:45]
	ds_read_b128 v[42:45], v160 offset:544
	v_mul_f64 v[4:5], v[36:37], v[40:41]
	v_fma_f64 v[4:5], v[34:35], v[38:39], -v[4:5]
	v_add_f64 v[2:3], v[2:3], v[4:5]
	s_waitcnt lgkmcnt(0)
	;; [unrolled: 8-line block ×18, first 2 shown]
	v_mul_f64 v[182:183], v[174:175], v[180:181]
	v_fmac_f64_e32 v[182:183], v[176:177], v[178:179]
	v_add_f64 v[158:159], v[158:159], v[182:183]
	v_mul_f64 v[182:183], v[224:225], v[230:231]
	v_fmac_f64_e32 v[182:183], v[226:227], v[228:229]
	v_add_f64 v[158:159], v[158:159], v[182:183]
	v_mul_f64 v[182:183], v[232:233], v[238:239]
	v_fmac_f64_e32 v[182:183], v[234:235], v[236:237]
	v_mul_f64 v[4:5], v[176:177], v[180:181]
	v_add_f64 v[158:159], v[158:159], v[182:183]
	v_mul_f64 v[182:183], v[240:241], v[246:247]
	v_fma_f64 v[4:5], v[174:175], v[178:179], -v[4:5]
	v_fmac_f64_e32 v[182:183], v[242:243], v[244:245]
	v_add_f64 v[2:3], v[2:3], v[4:5]
	v_mul_f64 v[4:5], v[226:227], v[230:231]
	v_add_f64 v[158:159], v[158:159], v[182:183]
	v_mul_f64 v[182:183], v[248:249], v[254:255]
	v_fma_f64 v[4:5], v[224:225], v[228:229], -v[4:5]
	v_fmac_f64_e32 v[182:183], v[250:251], v[252:253]
	v_add_f64 v[2:3], v[2:3], v[4:5]
	v_mul_f64 v[4:5], v[234:235], v[238:239]
	v_add_f64 v[158:159], v[158:159], v[182:183]
	ds_read_b128 v[182:185], v160 offset:880
	v_fma_f64 v[4:5], v[232:233], v[236:237], -v[4:5]
	v_add_f64 v[2:3], v[2:3], v[4:5]
	v_mul_f64 v[4:5], v[242:243], v[246:247]
	v_fma_f64 v[4:5], v[240:241], v[244:245], -v[4:5]
	v_add_f64 v[2:3], v[2:3], v[4:5]
	v_mul_f64 v[4:5], v[250:251], v[254:255]
	v_fma_f64 v[4:5], v[248:249], v[252:253], -v[4:5]
	v_add_f64 v[2:3], v[2:3], v[4:5]
	s_waitcnt lgkmcnt(0)
	v_mul_f64 v[4:5], v[184:185], v[188:189]
	v_fma_f64 v[4:5], v[182:183], v[186:187], -v[4:5]
	v_add_f64 v[6:7], v[2:3], v[4:5]
	scratch_load_dwordx4 v[2:5], off, off
	v_mul_f64 v[190:191], v[182:183], v[188:189]
	v_fmac_f64_e32 v[190:191], v[184:185], v[186:187]
	v_add_f64 v[158:159], v[158:159], v[190:191]
	s_waitcnt vmcnt(0)
	v_add_f64 v[2:3], v[2:3], -v[6:7]
	v_add_f64 v[4:5], v[4:5], -v[158:159]
	scratch_store_dwordx4 off, v[2:5], off
	s_cbranch_vccz .LBB27_236
; %bb.182:
	global_load_dword v2, v160, s[20:21] offset:104
	s_load_dwordx2 s[2:3], s[0:1], 0x4
	v_bfe_u32 v3, v0, 10, 10
	v_bfe_u32 v0, v0, 20, 10
	s_waitcnt lgkmcnt(0)
	s_lshr_b32 s0, s2, 16
	s_mul_i32 s0, s0, s3
	v_mul_u32_u24_e32 v1, s0, v1
	v_mul_u32_u24_e32 v3, s3, v3
	v_add3_u32 v0, v1, v3, v0
	v_mov_b32_e32 v1, 0x388
	v_lshl_add_u32 v0, v0, 4, v1
	s_waitcnt vmcnt(0)
	v_readfirstlane_b32 s0, v2
	s_add_i32 s0, s0, -1
	s_cmp_lg_u32 s0, 26
	s_cbranch_scc0 .LBB27_184
; %bb.183:
	s_lshl_b32 s0, s0, 4
	scratch_load_dwordx4 v[2:5], off, s38
	scratch_load_dwordx4 v[6:9], off, s0
	s_waitcnt vmcnt(1)
	ds_write2_b64 v0, v[2:3], v[4:5] offset1:1
	s_waitcnt vmcnt(0)
	scratch_store_dwordx4 off, v[6:9], s38
	scratch_store_dwordx4 off, v[2:5], s0
.LBB27_184:
	v_mov_b32_e32 v1, 0
	global_load_dword v2, v1, s[20:21] offset:100
	s_waitcnt vmcnt(0)
	v_readfirstlane_b32 s0, v2
	s_add_i32 s0, s0, -1
	s_cmp_eq_u32 s0, 25
	s_cbranch_scc1 .LBB27_186
; %bb.185:
	s_lshl_b32 s0, s0, 4
	scratch_load_dwordx4 v[2:5], off, s37
	scratch_load_dwordx4 v[6:9], off, s0
	s_waitcnt vmcnt(1)
	ds_write2_b64 v0, v[2:3], v[4:5] offset1:1
	s_waitcnt vmcnt(0)
	scratch_store_dwordx4 off, v[6:9], s37
	scratch_store_dwordx4 off, v[2:5], s0
.LBB27_186:
	global_load_dword v1, v1, s[20:21] offset:96
	s_waitcnt vmcnt(0)
	v_readfirstlane_b32 s0, v1
	s_add_i32 s0, s0, -1
	s_cmp_eq_u32 s0, 24
	s_cbranch_scc1 .LBB27_188
; %bb.187:
	s_lshl_b32 s0, s0, 4
	scratch_load_dwordx4 v[2:5], off, s36
	scratch_load_dwordx4 v[6:9], off, s0
	s_waitcnt vmcnt(1)
	ds_write2_b64 v0, v[2:3], v[4:5] offset1:1
	s_waitcnt vmcnt(0)
	scratch_store_dwordx4 off, v[6:9], s36
	scratch_store_dwordx4 off, v[2:5], s0
.LBB27_188:
	v_mov_b32_e32 v1, 0
	global_load_dword v2, v1, s[20:21] offset:92
	s_waitcnt vmcnt(0)
	v_readfirstlane_b32 s0, v2
	s_add_i32 s0, s0, -1
	s_cmp_eq_u32 s0, 23
	s_cbranch_scc1 .LBB27_190
; %bb.189:
	s_lshl_b32 s0, s0, 4
	scratch_load_dwordx4 v[2:5], off, s35
	scratch_load_dwordx4 v[6:9], off, s0
	s_waitcnt vmcnt(1)
	ds_write2_b64 v0, v[2:3], v[4:5] offset1:1
	s_waitcnt vmcnt(0)
	scratch_store_dwordx4 off, v[6:9], s35
	scratch_store_dwordx4 off, v[2:5], s0
.LBB27_190:
	global_load_dword v1, v1, s[20:21] offset:88
	s_waitcnt vmcnt(0)
	v_readfirstlane_b32 s0, v1
	s_add_i32 s0, s0, -1
	s_cmp_eq_u32 s0, 22
	s_cbranch_scc1 .LBB27_192
; %bb.191:
	s_lshl_b32 s0, s0, 4
	scratch_load_dwordx4 v[2:5], off, s34
	scratch_load_dwordx4 v[6:9], off, s0
	s_waitcnt vmcnt(1)
	ds_write2_b64 v0, v[2:3], v[4:5] offset1:1
	s_waitcnt vmcnt(0)
	scratch_store_dwordx4 off, v[6:9], s34
	scratch_store_dwordx4 off, v[2:5], s0
.LBB27_192:
	;; [unrolled: 33-line block ×12, first 2 shown]
	v_mov_b32_e32 v1, 0
	global_load_dword v2, v1, s[20:21] offset:4
	s_waitcnt vmcnt(0)
	v_readfirstlane_b32 s0, v2
	s_add_i32 s0, s0, -1
	s_cmp_eq_u32 s0, 1
	s_cbranch_scc1 .LBB27_234
; %bb.233:
	s_lshl_b32 s0, s0, 4
	scratch_load_dwordx4 v[2:5], off, s18
	scratch_load_dwordx4 v[6:9], off, s0
	s_waitcnt vmcnt(1)
	ds_write2_b64 v0, v[2:3], v[4:5] offset1:1
	s_waitcnt vmcnt(0)
	scratch_store_dwordx4 off, v[6:9], s18
	scratch_store_dwordx4 off, v[2:5], s0
.LBB27_234:
	global_load_dword v1, v1, s[20:21]
	s_waitcnt vmcnt(0)
	v_readfirstlane_b32 s0, v1
	s_add_i32 s0, s0, -1
	s_cmp_eq_u32 s0, 0
	s_cbranch_scc1 .LBB27_236
; %bb.235:
	s_lshl_b32 s0, s0, 4
	scratch_load_dwordx4 v[2:5], off, off
	scratch_load_dwordx4 v[6:9], off, s0
	s_waitcnt vmcnt(1)
	ds_write2_b64 v0, v[2:3], v[4:5] offset1:1
	s_waitcnt vmcnt(0)
	scratch_store_dwordx4 off, v[6:9], off
	scratch_store_dwordx4 off, v[2:5], s0
.LBB27_236:
	scratch_load_dwordx4 v[0:3], off, off
	s_nop 0
	scratch_load_dwordx4 v[4:7], off, s18
	scratch_load_dwordx4 v[8:11], off, s14
	;; [unrolled: 1-line block ×15, first 2 shown]
                                        ; kill: killed $sgpr45
                                        ; kill: killed $sgpr18
                                        ; kill: killed $sgpr27
                                        ; kill: killed $sgpr44
                                        ; kill: killed $sgpr25
                                        ; kill: killed $sgpr43
                                        ; kill: killed $sgpr19
                                        ; kill: killed $sgpr40
                                        ; kill: killed $sgpr16
                                        ; kill: killed $sgpr26
                                        ; kill: killed $sgpr15
                                        ; kill: killed $sgpr24
                                        ; kill: killed $sgpr42
                                        ; kill: killed $sgpr14
                                        ; kill: killed $sgpr17
	scratch_load_dwordx4 v[64:67], off, s28
	scratch_load_dwordx4 v[68:71], off, s41
                                        ; kill: killed $sgpr41
                                        ; kill: killed $sgpr28
	scratch_load_dwordx4 v[72:75], off, s29
	scratch_load_dwordx4 v[76:79], off, s30
	;; [unrolled: 1-line block ×10, first 2 shown]
	v_accvgpr_read_b32 v113, a1
	v_accvgpr_read_b32 v112, a0
	s_waitcnt vmcnt(27)
	global_store_dwordx4 v[112:113], v[0:3], off
	s_nop 1
	v_accvgpr_read_b32 v0, a2
	v_accvgpr_read_b32 v1, a3
	s_waitcnt vmcnt(27)
	global_store_dwordx4 v[0:1], v[4:7], off
	v_accvgpr_read_b32 v0, a4
	v_accvgpr_read_b32 v1, a5
	s_waitcnt vmcnt(27)
	global_store_dwordx4 v[0:1], v[8:11], off
	;; [unrolled: 4-line block ×11, first 2 shown]
	s_waitcnt vmcnt(27)
	global_store_dwordx4 v[192:193], v[48:51], off
	s_waitcnt vmcnt(27)
	global_store_dwordx4 v[194:195], v[52:55], off
	;; [unrolled: 2-line block ×16, first 2 shown]
	s_endpgm
	.section	.rodata,"a",@progbits
	.p2align	6, 0x0
	.amdhsa_kernel _ZN9rocsolver6v33100L18getri_kernel_smallILi28E19rocblas_complex_numIdEPS3_EEvT1_iilPiilS6_bb
		.amdhsa_group_segment_fixed_size 1928
		.amdhsa_private_segment_fixed_size 464
		.amdhsa_kernarg_size 60
		.amdhsa_user_sgpr_count 4
		.amdhsa_user_sgpr_dispatch_ptr 1
		.amdhsa_user_sgpr_queue_ptr 0
		.amdhsa_user_sgpr_kernarg_segment_ptr 1
		.amdhsa_user_sgpr_dispatch_id 0
		.amdhsa_user_sgpr_kernarg_preload_length 0
		.amdhsa_user_sgpr_kernarg_preload_offset 0
		.amdhsa_user_sgpr_private_segment_size 0
		.amdhsa_uses_dynamic_stack 0
		.amdhsa_enable_private_segment 1
		.amdhsa_system_sgpr_workgroup_id_x 1
		.amdhsa_system_sgpr_workgroup_id_y 0
		.amdhsa_system_sgpr_workgroup_id_z 0
		.amdhsa_system_sgpr_workgroup_info 0
		.amdhsa_system_vgpr_workitem_id 2
		.amdhsa_next_free_vgpr 280
		.amdhsa_next_free_sgpr 46
		.amdhsa_accum_offset 256
		.amdhsa_reserve_vcc 1
		.amdhsa_float_round_mode_32 0
		.amdhsa_float_round_mode_16_64 0
		.amdhsa_float_denorm_mode_32 3
		.amdhsa_float_denorm_mode_16_64 3
		.amdhsa_dx10_clamp 1
		.amdhsa_ieee_mode 1
		.amdhsa_fp16_overflow 0
		.amdhsa_tg_split 0
		.amdhsa_exception_fp_ieee_invalid_op 0
		.amdhsa_exception_fp_denorm_src 0
		.amdhsa_exception_fp_ieee_div_zero 0
		.amdhsa_exception_fp_ieee_overflow 0
		.amdhsa_exception_fp_ieee_underflow 0
		.amdhsa_exception_fp_ieee_inexact 0
		.amdhsa_exception_int_div_zero 0
	.end_amdhsa_kernel
	.section	.text._ZN9rocsolver6v33100L18getri_kernel_smallILi28E19rocblas_complex_numIdEPS3_EEvT1_iilPiilS6_bb,"axG",@progbits,_ZN9rocsolver6v33100L18getri_kernel_smallILi28E19rocblas_complex_numIdEPS3_EEvT1_iilPiilS6_bb,comdat
.Lfunc_end27:
	.size	_ZN9rocsolver6v33100L18getri_kernel_smallILi28E19rocblas_complex_numIdEPS3_EEvT1_iilPiilS6_bb, .Lfunc_end27-_ZN9rocsolver6v33100L18getri_kernel_smallILi28E19rocblas_complex_numIdEPS3_EEvT1_iilPiilS6_bb
                                        ; -- End function
	.set _ZN9rocsolver6v33100L18getri_kernel_smallILi28E19rocblas_complex_numIdEPS3_EEvT1_iilPiilS6_bb.num_vgpr, 256
	.set _ZN9rocsolver6v33100L18getri_kernel_smallILi28E19rocblas_complex_numIdEPS3_EEvT1_iilPiilS6_bb.num_agpr, 24
	.set _ZN9rocsolver6v33100L18getri_kernel_smallILi28E19rocblas_complex_numIdEPS3_EEvT1_iilPiilS6_bb.numbered_sgpr, 46
	.set _ZN9rocsolver6v33100L18getri_kernel_smallILi28E19rocblas_complex_numIdEPS3_EEvT1_iilPiilS6_bb.num_named_barrier, 0
	.set _ZN9rocsolver6v33100L18getri_kernel_smallILi28E19rocblas_complex_numIdEPS3_EEvT1_iilPiilS6_bb.private_seg_size, 464
	.set _ZN9rocsolver6v33100L18getri_kernel_smallILi28E19rocblas_complex_numIdEPS3_EEvT1_iilPiilS6_bb.uses_vcc, 1
	.set _ZN9rocsolver6v33100L18getri_kernel_smallILi28E19rocblas_complex_numIdEPS3_EEvT1_iilPiilS6_bb.uses_flat_scratch, 0
	.set _ZN9rocsolver6v33100L18getri_kernel_smallILi28E19rocblas_complex_numIdEPS3_EEvT1_iilPiilS6_bb.has_dyn_sized_stack, 0
	.set _ZN9rocsolver6v33100L18getri_kernel_smallILi28E19rocblas_complex_numIdEPS3_EEvT1_iilPiilS6_bb.has_recursion, 0
	.set _ZN9rocsolver6v33100L18getri_kernel_smallILi28E19rocblas_complex_numIdEPS3_EEvT1_iilPiilS6_bb.has_indirect_call, 0
	.section	.AMDGPU.csdata,"",@progbits
; Kernel info:
; codeLenInByte = 37964
; TotalNumSgprs: 52
; NumVgprs: 256
; NumAgprs: 24
; TotalNumVgprs: 280
; ScratchSize: 464
; MemoryBound: 0
; FloatMode: 240
; IeeeMode: 1
; LDSByteSize: 1928 bytes/workgroup (compile time only)
; SGPRBlocks: 6
; VGPRBlocks: 34
; NumSGPRsForWavesPerEU: 52
; NumVGPRsForWavesPerEU: 280
; AccumOffset: 256
; Occupancy: 1
; WaveLimiterHint : 1
; COMPUTE_PGM_RSRC2:SCRATCH_EN: 1
; COMPUTE_PGM_RSRC2:USER_SGPR: 4
; COMPUTE_PGM_RSRC2:TRAP_HANDLER: 0
; COMPUTE_PGM_RSRC2:TGID_X_EN: 1
; COMPUTE_PGM_RSRC2:TGID_Y_EN: 0
; COMPUTE_PGM_RSRC2:TGID_Z_EN: 0
; COMPUTE_PGM_RSRC2:TIDIG_COMP_CNT: 2
; COMPUTE_PGM_RSRC3_GFX90A:ACCUM_OFFSET: 63
; COMPUTE_PGM_RSRC3_GFX90A:TG_SPLIT: 0
	.section	.text._ZN9rocsolver6v33100L18getri_kernel_smallILi29E19rocblas_complex_numIdEPS3_EEvT1_iilPiilS6_bb,"axG",@progbits,_ZN9rocsolver6v33100L18getri_kernel_smallILi29E19rocblas_complex_numIdEPS3_EEvT1_iilPiilS6_bb,comdat
	.globl	_ZN9rocsolver6v33100L18getri_kernel_smallILi29E19rocblas_complex_numIdEPS3_EEvT1_iilPiilS6_bb ; -- Begin function _ZN9rocsolver6v33100L18getri_kernel_smallILi29E19rocblas_complex_numIdEPS3_EEvT1_iilPiilS6_bb
	.p2align	8
	.type	_ZN9rocsolver6v33100L18getri_kernel_smallILi29E19rocblas_complex_numIdEPS3_EEvT1_iilPiilS6_bb,@function
_ZN9rocsolver6v33100L18getri_kernel_smallILi29E19rocblas_complex_numIdEPS3_EEvT1_iilPiilS6_bb: ; @_ZN9rocsolver6v33100L18getri_kernel_smallILi29E19rocblas_complex_numIdEPS3_EEvT1_iilPiilS6_bb
; %bb.0:
	v_and_b32_e32 v1, 0x3ff, v0
	v_cmp_gt_u32_e32 vcc, 29, v1
	s_and_saveexec_b64 s[6:7], vcc
	s_cbranch_execz .LBB28_130
; %bb.1:
	s_load_dword s6, s[2:3], 0x38
	s_load_dwordx4 s[16:19], s[2:3], 0x10
	s_load_dwordx4 s[8:11], s[2:3], 0x28
                                        ; implicit-def: $sgpr20_sgpr21
	s_waitcnt lgkmcnt(0)
	s_bitcmp1_b32 s6, 8
	s_cselect_b64 s[22:23], -1, 0
	s_ashr_i32 s5, s4, 31
	s_bfe_u32 s6, s6, 0x10008
	s_cmp_eq_u32 s6, 0
	s_cbranch_scc1 .LBB28_3
; %bb.2:
	s_load_dword s6, s[2:3], 0x20
	s_mul_i32 s7, s8, s5
	s_mul_hi_u32 s12, s8, s4
	s_mul_i32 s9, s9, s4
	s_add_i32 s12, s12, s7
	s_add_i32 s9, s12, s9
	s_mul_i32 s8, s8, s4
	s_waitcnt lgkmcnt(0)
	s_ashr_i32 s7, s6, 31
	s_lshl_b64 s[8:9], s[8:9], 2
	s_add_u32 s8, s18, s8
	s_addc_u32 s9, s19, s9
	s_lshl_b64 s[6:7], s[6:7], 2
	s_add_u32 s20, s8, s6
	s_addc_u32 s21, s9, s7
.LBB28_3:
	s_load_dwordx4 s[12:15], s[2:3], 0x0
	s_load_dword s6, s[2:3], 0x38
	s_mul_i32 s7, s16, s5
	s_mul_hi_u32 s8, s16, s4
	s_add_i32 s7, s8, s7
	s_mul_i32 s8, s17, s4
	s_add_i32 s9, s7, s8
	s_mul_i32 s8, s16, s4
	s_waitcnt lgkmcnt(0)
	s_ashr_i32 s3, s14, 31
	s_lshl_b64 s[8:9], s[8:9], 4
	s_mov_b32 s2, s14
	s_add_u32 s7, s12, s8
	s_addc_u32 s8, s13, s9
	s_lshl_b64 s[2:3], s[2:3], 4
	s_add_u32 s2, s7, s2
	s_addc_u32 s3, s8, s3
	s_add_i32 s7, s15, s15
	v_add_u32_e32 v14, s7, v1
	v_ashrrev_i32_e32 v15, 31, v14
	v_lshl_add_u64 v[10:11], v[14:15], 4, s[2:3]
	v_add_u32_e32 v14, s15, v14
	v_add_u32_e32 v24, s15, v14
	v_ashrrev_i32_e32 v25, 31, v24
	v_lshl_add_u64 v[18:19], v[24:25], 4, s[2:3]
	v_add_u32_e32 v24, s15, v24
	;; [unrolled: 4-line block ×3, first 2 shown]
	v_ashrrev_i32_e32 v33, 31, v32
	v_lshl_add_u64 v[34:35], v[32:33], 4, s[2:3]
	v_add_u32_e32 v32, s15, v32
	v_add_u32_e32 v40, s15, v32
	;; [unrolled: 1-line block ×6, first 2 shown]
	v_ashrrev_i32_e32 v57, 31, v56
	v_lshl_add_u64 v[58:59], v[56:57], 4, s[2:3]
	v_add_u32_e32 v56, s15, v56
	v_add_u32_e32 v64, s15, v56
	;; [unrolled: 1-line block ×5, first 2 shown]
	v_ashrrev_i32_e32 v81, 31, v80
	v_lshl_add_u64 v[212:213], v[80:81], 4, s[2:3]
	v_add_u32_e32 v80, s15, v80
	v_add_u32_e32 v88, s15, v80
	v_ashrrev_i32_e32 v89, 31, v88
	v_lshl_add_u64 v[216:217], v[88:89], 4, s[2:3]
	v_add_u32_e32 v88, s15, v88
	v_add_u32_e32 v96, s15, v88
	;; [unrolled: 4-line block ×4, first 2 shown]
	v_lshlrev_b32_e32 v22, 4, v1
	v_mov_b32_e32 v23, 0
	v_ashrrev_i32_e32 v113, 31, v112
	v_lshl_add_u64 v[6:7], s[2:3], 0, v[22:23]
	v_lshl_add_u64 v[228:229], v[112:113], 4, s[2:3]
	v_add_u32_e32 v112, s15, v112
	s_ashr_i32 s9, s15, 31
	s_mov_b32 s8, s15
	v_accvgpr_write_b32 a0, v6
	v_ashrrev_i32_e32 v15, 31, v14
	v_ashrrev_i32_e32 v25, 31, v24
	v_ashrrev_i32_e32 v33, 31, v32
	v_ashrrev_i32_e32 v41, 31, v40
	v_ashrrev_i32_e32 v43, 31, v42
	v_ashrrev_i32_e32 v49, 31, v48
	v_ashrrev_i32_e32 v51, 31, v50
	v_ashrrev_i32_e32 v57, 31, v56
	v_ashrrev_i32_e32 v65, 31, v64
	v_ashrrev_i32_e32 v113, 31, v112
	v_accvgpr_write_b32 a1, v7
	v_lshl_add_u64 v[6:7], s[8:9], 4, v[6:7]
	v_lshl_add_u64 v[16:17], v[14:15], 4, s[2:3]
	v_lshl_add_u64 v[26:27], v[24:25], 4, s[2:3]
	v_lshl_add_u64 v[36:37], v[32:33], 4, s[2:3]
	v_lshl_add_u64 v[40:41], v[40:41], 4, s[2:3]
	v_lshl_add_u64 v[44:45], v[42:43], 4, s[2:3]
	v_lshl_add_u64 v[48:49], v[48:49], 4, s[2:3]
	v_lshl_add_u64 v[52:53], v[50:51], 4, s[2:3]
	v_lshl_add_u64 v[60:61], v[56:57], 4, s[2:3]
	v_lshl_add_u64 v[64:65], v[64:65], 4, s[2:3]
	v_ashrrev_i32_e32 v73, 31, v72
	v_ashrrev_i32_e32 v81, 31, v80
	;; [unrolled: 1-line block ×5, first 2 shown]
	v_lshl_add_u64 v[230:231], v[112:113], 4, s[2:3]
	v_add_u32_e32 v112, s15, v112
	v_accvgpr_write_b32 a2, v6
	v_accvgpr_write_b32 a4, v10
	;; [unrolled: 1-line block ×14, first 2 shown]
	v_ashrrev_i32_e32 v67, 31, v66
	v_accvgpr_write_b32 a30, v64
	v_lshl_add_u64 v[210:211], v[72:73], 4, s[2:3]
	v_lshl_add_u64 v[214:215], v[80:81], 4, s[2:3]
	;; [unrolled: 1-line block ×5, first 2 shown]
	v_ashrrev_i32_e32 v113, 31, v112
	global_load_dwordx4 v[2:5], v22, s[2:3]
	v_accvgpr_write_b32 a3, v7
	global_load_dwordx4 v[6:9], v[6:7], off
	v_accvgpr_write_b32 a5, v11
	global_load_dwordx4 v[10:13], v[10:11], off
	;; [unrolled: 2-line block ×14, first 2 shown]
	v_lshl_add_u64 v[208:209], v[66:67], 4, s[2:3]
	v_accvgpr_write_b32 a31, v65
	global_load_dwordx4 v[64:67], v[64:65], off
	s_nop 0
	global_load_dwordx4 v[68:71], v[208:209], off
	global_load_dwordx4 v[72:75], v[210:211], off
	global_load_dwordx4 v[76:79], v[212:213], off
	global_load_dwordx4 v[80:83], v[214:215], off
	global_load_dwordx4 v[84:87], v[216:217], off
	global_load_dwordx4 v[88:91], v[218:219], off
	global_load_dwordx4 v[92:95], v[220:221], off
	global_load_dwordx4 v[96:99], v[222:223], off
	global_load_dwordx4 v[100:103], v[224:225], off
	global_load_dwordx4 v[104:107], v[226:227], off
	global_load_dwordx4 v[108:111], v[228:229], off
	v_lshl_add_u64 v[232:233], v[112:113], 4, s[2:3]
	global_load_dwordx4 v[112:115], v[230:231], off
	global_load_dwordx4 v[116:119], v[232:233], off
	s_mov_b32 s18, 16
	s_mov_b32 s14, 32
	;; [unrolled: 1-line block ×4, first 2 shown]
	s_movk_i32 s19, 0x50
	s_movk_i32 s25, 0x60
	;; [unrolled: 1-line block ×24, first 2 shown]
	s_bitcmp0_b32 s6, 0
	s_mov_b64 s[6:7], -1
	s_waitcnt vmcnt(28)
	scratch_store_dwordx4 off, v[2:5], off
	s_waitcnt vmcnt(28)
	scratch_store_dwordx4 off, v[6:9], off offset:16
	s_waitcnt vmcnt(28)
	scratch_store_dwordx4 off, v[10:13], off offset:32
	;; [unrolled: 2-line block ×28, first 2 shown]
	s_cbranch_scc1 .LBB28_128
; %bb.4:
	v_cmp_eq_u32_e64 s[2:3], 0, v1
	s_and_saveexec_b64 s[6:7], s[2:3]
; %bb.5:
	v_mov_b32_e32 v2, 0
	ds_write_b32 v2, v2 offset:928
; %bb.6:
	s_or_b64 exec, exec, s[6:7]
	s_waitcnt lgkmcnt(0)
	; wave barrier
	scratch_load_dwordx4 v[2:5], v22, off
	s_waitcnt vmcnt(0)
	v_cmp_eq_f64_e32 vcc, 0, v[2:3]
	v_cmp_eq_f64_e64 s[6:7], 0, v[4:5]
	s_and_b64 s[6:7], vcc, s[6:7]
	s_and_saveexec_b64 s[8:9], s[6:7]
	s_cbranch_execz .LBB28_10
; %bb.7:
	v_mov_b32_e32 v2, 0
	ds_read_b32 v4, v2 offset:928
	v_add_u32_e32 v3, 1, v1
	s_waitcnt lgkmcnt(0)
	v_readfirstlane_b32 s6, v4
	s_cmp_eq_u32 s6, 0
	s_cselect_b64 s[12:13], -1, 0
	v_cmp_gt_i32_e32 vcc, s6, v3
	s_or_b64 s[12:13], s[12:13], vcc
	s_and_b64 exec, exec, s[12:13]
	s_cbranch_execz .LBB28_10
; %bb.8:
	s_mov_b64 s[12:13], 0
	v_mov_b32_e32 v4, s6
.LBB28_9:                               ; =>This Inner Loop Header: Depth=1
	ds_cmpst_rtn_b32 v4, v2, v4, v3 offset:928
	s_waitcnt lgkmcnt(0)
	v_cmp_ne_u32_e32 vcc, 0, v4
	v_cmp_le_i32_e64 s[6:7], v4, v3
	s_and_b64 s[6:7], vcc, s[6:7]
	s_and_b64 s[6:7], exec, s[6:7]
	s_or_b64 s[12:13], s[6:7], s[12:13]
	s_andn2_b64 exec, exec, s[12:13]
	s_cbranch_execnz .LBB28_9
.LBB28_10:
	s_or_b64 exec, exec, s[8:9]
	v_mov_b32_e32 v3, 0
	; wave barrier
	ds_read_b32 v2, v3 offset:928
	s_and_saveexec_b64 s[6:7], s[2:3]
	s_cbranch_execz .LBB28_12
; %bb.11:
	s_lshl_b64 s[8:9], s[4:5], 2
	s_add_u32 s8, s10, s8
	s_addc_u32 s9, s11, s9
	s_waitcnt lgkmcnt(0)
	global_store_dword v3, v2, s[8:9]
.LBB28_12:
	s_or_b64 exec, exec, s[6:7]
	s_waitcnt lgkmcnt(0)
	v_cmp_ne_u32_e32 vcc, 0, v2
	s_mov_b64 s[6:7], 0
	s_cbranch_vccnz .LBB28_128
; %bb.13:
	v_mov_b32_e32 v14, v22
	scratch_load_dwordx4 v[2:5], v14, off
                                        ; implicit-def: $vgpr6_vgpr7
                                        ; implicit-def: $vgpr10_vgpr11
	s_waitcnt vmcnt(0)
	v_cmp_ngt_f64_e64 s[6:7], |v[2:3]|, |v[4:5]|
	s_and_saveexec_b64 s[8:9], s[6:7]
	s_xor_b64 s[6:7], exec, s[8:9]
	s_cbranch_execz .LBB28_15
; %bb.14:
	v_div_scale_f64 v[6:7], s[8:9], v[4:5], v[4:5], v[2:3]
	v_rcp_f64_e32 v[8:9], v[6:7]
	v_div_scale_f64 v[10:11], vcc, v[2:3], v[4:5], v[2:3]
	v_fma_f64 v[12:13], -v[6:7], v[8:9], 1.0
	v_fmac_f64_e32 v[8:9], v[8:9], v[12:13]
	v_fma_f64 v[12:13], -v[6:7], v[8:9], 1.0
	v_fmac_f64_e32 v[8:9], v[8:9], v[12:13]
	v_mul_f64 v[12:13], v[10:11], v[8:9]
	v_fma_f64 v[6:7], -v[6:7], v[12:13], v[10:11]
	v_div_fmas_f64 v[6:7], v[6:7], v[8:9], v[12:13]
	v_div_fixup_f64 v[6:7], v[6:7], v[4:5], v[2:3]
	v_fmac_f64_e32 v[4:5], v[2:3], v[6:7]
	v_div_scale_f64 v[2:3], s[8:9], v[4:5], v[4:5], 1.0
	v_rcp_f64_e32 v[8:9], v[2:3]
	s_nop 0
	v_fma_f64 v[10:11], -v[2:3], v[8:9], 1.0
	v_fmac_f64_e32 v[8:9], v[8:9], v[10:11]
	v_fma_f64 v[10:11], -v[2:3], v[8:9], 1.0
	v_fmac_f64_e32 v[8:9], v[8:9], v[10:11]
	v_div_scale_f64 v[10:11], vcc, 1.0, v[4:5], 1.0
	v_mul_f64 v[12:13], v[10:11], v[8:9]
	v_fma_f64 v[2:3], -v[2:3], v[12:13], v[10:11]
	s_nop 1
	v_div_fmas_f64 v[2:3], v[2:3], v[8:9], v[12:13]
	v_div_fixup_f64 v[8:9], v[2:3], v[4:5], 1.0
	v_mul_f64 v[6:7], v[6:7], v[8:9]
	v_xor_b32_e32 v9, 0x80000000, v9
	v_xor_b32_e32 v11, 0x80000000, v7
	v_mov_b32_e32 v10, v6
                                        ; implicit-def: $vgpr2_vgpr3
.LBB28_15:
	s_andn2_saveexec_b64 s[6:7], s[6:7]
	s_cbranch_execz .LBB28_17
; %bb.16:
	v_div_scale_f64 v[6:7], s[8:9], v[2:3], v[2:3], v[4:5]
	v_rcp_f64_e32 v[8:9], v[6:7]
	v_div_scale_f64 v[10:11], vcc, v[4:5], v[2:3], v[4:5]
	v_fma_f64 v[12:13], -v[6:7], v[8:9], 1.0
	v_fmac_f64_e32 v[8:9], v[8:9], v[12:13]
	v_fma_f64 v[12:13], -v[6:7], v[8:9], 1.0
	v_fmac_f64_e32 v[8:9], v[8:9], v[12:13]
	v_mul_f64 v[12:13], v[10:11], v[8:9]
	v_fma_f64 v[6:7], -v[6:7], v[12:13], v[10:11]
	v_div_fmas_f64 v[6:7], v[6:7], v[8:9], v[12:13]
	v_div_fixup_f64 v[8:9], v[6:7], v[2:3], v[4:5]
	v_fmac_f64_e32 v[2:3], v[4:5], v[8:9]
	v_div_scale_f64 v[4:5], s[8:9], v[2:3], v[2:3], 1.0
	v_rcp_f64_e32 v[6:7], v[4:5]
	s_nop 0
	v_fma_f64 v[10:11], -v[4:5], v[6:7], 1.0
	v_fmac_f64_e32 v[6:7], v[6:7], v[10:11]
	v_fma_f64 v[10:11], -v[4:5], v[6:7], 1.0
	v_fmac_f64_e32 v[6:7], v[6:7], v[10:11]
	v_div_scale_f64 v[10:11], vcc, 1.0, v[2:3], 1.0
	v_mul_f64 v[12:13], v[10:11], v[6:7]
	v_fma_f64 v[4:5], -v[4:5], v[12:13], v[10:11]
	s_nop 1
	v_div_fmas_f64 v[4:5], v[4:5], v[6:7], v[12:13]
	v_div_fixup_f64 v[6:7], v[4:5], v[2:3], 1.0
	v_xor_b32_e32 v11, 0x80000000, v7
	v_mov_b32_e32 v10, v6
	v_mul_f64 v[8:9], v[8:9], -v[6:7]
.LBB28_17:
	s_or_b64 exec, exec, s[6:7]
	scratch_store_dwordx4 v14, v[6:9], off
	scratch_load_dwordx4 v[2:5], off, s18
	v_xor_b32_e32 v13, 0x80000000, v9
	v_mov_b32_e32 v12, v8
	v_add_u32_e32 v6, 0x1d0, v22
	ds_write_b128 v22, v[10:13]
	s_waitcnt vmcnt(0)
	ds_write_b128 v22, v[2:5] offset:464
	s_waitcnt lgkmcnt(0)
	; wave barrier
	s_and_saveexec_b64 s[6:7], s[2:3]
	s_cbranch_execz .LBB28_19
; %bb.18:
	scratch_load_dwordx4 v[2:5], v14, off
	ds_read_b128 v[8:11], v6
	v_mov_b32_e32 v7, 0
	ds_read_b128 v[16:19], v7 offset:16
	s_waitcnt vmcnt(0) lgkmcnt(1)
	v_mul_f64 v[12:13], v[10:11], v[4:5]
	v_mul_f64 v[4:5], v[8:9], v[4:5]
	v_fma_f64 v[8:9], v[8:9], v[2:3], -v[12:13]
	v_fmac_f64_e32 v[4:5], v[10:11], v[2:3]
	v_add_f64 v[2:3], v[8:9], 0
	v_add_f64 v[8:9], v[4:5], 0
	s_waitcnt lgkmcnt(0)
	v_mul_f64 v[10:11], v[8:9], v[18:19]
	v_mul_f64 v[4:5], v[2:3], v[18:19]
	v_fma_f64 v[2:3], v[2:3], v[16:17], -v[10:11]
	v_fmac_f64_e32 v[4:5], v[8:9], v[16:17]
	scratch_store_dwordx4 off, v[2:5], off offset:16
.LBB28_19:
	s_or_b64 exec, exec, s[6:7]
	; wave barrier
	scratch_load_dwordx4 v[2:5], off, s14
	v_cmp_gt_u32_e32 vcc, 2, v1
	s_waitcnt vmcnt(0)
	ds_write_b128 v6, v[2:5]
	s_waitcnt lgkmcnt(0)
	; wave barrier
	s_and_saveexec_b64 s[6:7], vcc
	s_cbranch_execz .LBB28_23
; %bb.20:
	scratch_load_dwordx4 v[2:5], v14, off
	ds_read_b128 v[8:11], v6
	s_waitcnt vmcnt(0) lgkmcnt(0)
	v_mul_f64 v[12:13], v[10:11], v[4:5]
	v_mul_f64 v[14:15], v[8:9], v[4:5]
	v_fma_f64 v[4:5], v[8:9], v[2:3], -v[12:13]
	v_fmac_f64_e32 v[14:15], v[10:11], v[2:3]
	v_add_f64 v[4:5], v[4:5], 0
	v_add_f64 v[2:3], v[14:15], 0
	s_and_saveexec_b64 s[8:9], s[2:3]
	s_cbranch_execz .LBB28_22
; %bb.21:
	scratch_load_dwordx4 v[8:11], off, off offset:16
	v_mov_b32_e32 v7, 0
	ds_read_b128 v[12:15], v7 offset:480
	s_waitcnt vmcnt(0) lgkmcnt(0)
	v_mul_f64 v[16:17], v[12:13], v[10:11]
	v_mul_f64 v[10:11], v[14:15], v[10:11]
	v_fmac_f64_e32 v[16:17], v[14:15], v[8:9]
	v_fma_f64 v[8:9], v[12:13], v[8:9], -v[10:11]
	v_add_f64 v[2:3], v[2:3], v[16:17]
	v_add_f64 v[4:5], v[4:5], v[8:9]
.LBB28_22:
	s_or_b64 exec, exec, s[8:9]
	v_mov_b32_e32 v7, 0
	ds_read_b128 v[8:11], v7 offset:32
	s_waitcnt lgkmcnt(0)
	v_mul_f64 v[14:15], v[2:3], v[10:11]
	v_mul_f64 v[12:13], v[4:5], v[10:11]
	v_fma_f64 v[10:11], v[4:5], v[8:9], -v[14:15]
	v_fmac_f64_e32 v[12:13], v[2:3], v[8:9]
	scratch_store_dwordx4 off, v[10:13], off offset:32
.LBB28_23:
	s_or_b64 exec, exec, s[6:7]
	; wave barrier
	scratch_load_dwordx4 v[2:5], off, s15
	v_cmp_gt_u32_e32 vcc, 3, v1
	v_add_u32_e32 v7, -1, v1
	s_waitcnt vmcnt(0)
	ds_write_b128 v6, v[2:5]
	s_waitcnt lgkmcnt(0)
	; wave barrier
	s_and_saveexec_b64 s[2:3], vcc
	s_cbranch_execz .LBB28_27
; %bb.24:
	v_add_u32_e32 v8, -1, v1
	v_add_u32_e32 v9, 0x1d0, v22
	v_mov_b32_e32 v10, v22
	v_mov_b64_e32 v[2:3], 0
	s_mov_b64 s[6:7], 0
	v_mov_b64_e32 v[4:5], 0
.LBB28_25:                              ; =>This Inner Loop Header: Depth=1
	scratch_load_dwordx4 v[12:15], v10, off
	ds_read_b128 v[16:19], v9
	v_add_u32_e32 v8, 1, v8
	v_cmp_lt_u32_e32 vcc, 1, v8
	v_add_u32_e32 v9, 16, v9
	v_add_u32_e32 v10, 16, v10
	s_or_b64 s[6:7], vcc, s[6:7]
	s_waitcnt vmcnt(0) lgkmcnt(0)
	v_mul_f64 v[20:21], v[18:19], v[14:15]
	v_mul_f64 v[14:15], v[16:17], v[14:15]
	v_fma_f64 v[16:17], v[16:17], v[12:13], -v[20:21]
	v_fmac_f64_e32 v[14:15], v[18:19], v[12:13]
	v_add_f64 v[4:5], v[4:5], v[16:17]
	v_add_f64 v[2:3], v[2:3], v[14:15]
	s_andn2_b64 exec, exec, s[6:7]
	s_cbranch_execnz .LBB28_25
; %bb.26:
	s_or_b64 exec, exec, s[6:7]
	v_mov_b32_e32 v8, 0
	ds_read_b128 v[8:11], v8 offset:48
	s_waitcnt lgkmcnt(0)
	v_mul_f64 v[14:15], v[2:3], v[10:11]
	v_mul_f64 v[12:13], v[4:5], v[10:11]
	v_fma_f64 v[10:11], v[4:5], v[8:9], -v[14:15]
	v_fmac_f64_e32 v[12:13], v[2:3], v[8:9]
	scratch_store_dwordx4 off, v[10:13], off offset:48
.LBB28_27:
	s_or_b64 exec, exec, s[2:3]
	; wave barrier
	scratch_load_dwordx4 v[2:5], off, s16
	v_cmp_gt_u32_e32 vcc, 4, v1
	s_waitcnt vmcnt(0)
	ds_write_b128 v6, v[2:5]
	s_waitcnt lgkmcnt(0)
	; wave barrier
	s_and_saveexec_b64 s[2:3], vcc
	s_cbranch_execz .LBB28_31
; %bb.28:
	v_add_u32_e32 v8, -1, v1
	v_add_u32_e32 v9, 0x1d0, v22
	v_mov_b32_e32 v10, v22
	v_mov_b64_e32 v[2:3], 0
	s_mov_b64 s[6:7], 0
	v_mov_b64_e32 v[4:5], 0
.LBB28_29:                              ; =>This Inner Loop Header: Depth=1
	scratch_load_dwordx4 v[12:15], v10, off
	ds_read_b128 v[16:19], v9
	v_add_u32_e32 v8, 1, v8
	v_cmp_lt_u32_e32 vcc, 2, v8
	v_add_u32_e32 v9, 16, v9
	v_add_u32_e32 v10, 16, v10
	s_or_b64 s[6:7], vcc, s[6:7]
	s_waitcnt vmcnt(0) lgkmcnt(0)
	v_mul_f64 v[20:21], v[18:19], v[14:15]
	v_mul_f64 v[14:15], v[16:17], v[14:15]
	v_fma_f64 v[16:17], v[16:17], v[12:13], -v[20:21]
	v_fmac_f64_e32 v[14:15], v[18:19], v[12:13]
	v_add_f64 v[4:5], v[4:5], v[16:17]
	v_add_f64 v[2:3], v[2:3], v[14:15]
	s_andn2_b64 exec, exec, s[6:7]
	s_cbranch_execnz .LBB28_29
; %bb.30:
	s_or_b64 exec, exec, s[6:7]
	v_mov_b32_e32 v8, 0
	ds_read_b128 v[8:11], v8 offset:64
	s_waitcnt lgkmcnt(0)
	v_mul_f64 v[14:15], v[2:3], v[10:11]
	v_mul_f64 v[12:13], v[4:5], v[10:11]
	v_fma_f64 v[10:11], v[4:5], v[8:9], -v[14:15]
	v_fmac_f64_e32 v[12:13], v[2:3], v[8:9]
	scratch_store_dwordx4 off, v[10:13], off offset:64
.LBB28_31:
	s_or_b64 exec, exec, s[2:3]
	; wave barrier
	scratch_load_dwordx4 v[2:5], off, s19
	v_cmp_gt_u32_e32 vcc, 5, v1
	;; [unrolled: 45-line block ×19, first 2 shown]
	s_waitcnt vmcnt(0)
	ds_write_b128 v6, v[2:5]
	s_waitcnt lgkmcnt(0)
	; wave barrier
	s_and_saveexec_b64 s[2:3], vcc
	s_cbranch_execz .LBB28_103
; %bb.100:
	v_add_u32_e32 v8, -1, v1
	v_add_u32_e32 v9, 0x1d0, v22
	v_mov_b32_e32 v10, v22
	v_mov_b64_e32 v[2:3], 0
	s_mov_b64 s[6:7], 0
	v_mov_b64_e32 v[4:5], 0
.LBB28_101:                             ; =>This Inner Loop Header: Depth=1
	scratch_load_dwordx4 v[12:15], v10, off
	ds_read_b128 v[16:19], v9
	v_add_u32_e32 v8, 1, v8
	v_cmp_lt_u32_e32 vcc, 20, v8
	v_add_u32_e32 v9, 16, v9
	v_add_u32_e32 v10, 16, v10
	s_or_b64 s[6:7], vcc, s[6:7]
	s_waitcnt vmcnt(0) lgkmcnt(0)
	v_mul_f64 v[20:21], v[18:19], v[14:15]
	v_mul_f64 v[14:15], v[16:17], v[14:15]
	v_fma_f64 v[16:17], v[16:17], v[12:13], -v[20:21]
	v_fmac_f64_e32 v[14:15], v[18:19], v[12:13]
	v_add_f64 v[4:5], v[4:5], v[16:17]
	v_add_f64 v[2:3], v[2:3], v[14:15]
	s_andn2_b64 exec, exec, s[6:7]
	s_cbranch_execnz .LBB28_101
; %bb.102:
	s_or_b64 exec, exec, s[6:7]
	v_mov_b32_e32 v8, 0
	ds_read_b128 v[8:11], v8 offset:352
	s_waitcnt lgkmcnt(0)
	v_mul_f64 v[14:15], v[2:3], v[10:11]
	v_mul_f64 v[12:13], v[4:5], v[10:11]
	v_fma_f64 v[10:11], v[4:5], v[8:9], -v[14:15]
	v_fmac_f64_e32 v[12:13], v[2:3], v[8:9]
	scratch_store_dwordx4 off, v[10:13], off offset:352
.LBB28_103:
	s_or_b64 exec, exec, s[2:3]
	; wave barrier
	scratch_load_dwordx4 v[2:5], off, s37
	v_cmp_gt_u32_e32 vcc, 23, v1
	s_waitcnt vmcnt(0)
	ds_write_b128 v6, v[2:5]
	s_waitcnt lgkmcnt(0)
	; wave barrier
	s_and_saveexec_b64 s[2:3], vcc
	s_cbranch_execz .LBB28_107
; %bb.104:
	v_add_u32_e32 v8, -1, v1
	v_add_u32_e32 v9, 0x1d0, v22
	v_mov_b32_e32 v10, v22
	v_mov_b64_e32 v[2:3], 0
	s_mov_b64 s[6:7], 0
	v_mov_b64_e32 v[4:5], 0
.LBB28_105:                             ; =>This Inner Loop Header: Depth=1
	scratch_load_dwordx4 v[12:15], v10, off
	ds_read_b128 v[16:19], v9
	v_add_u32_e32 v8, 1, v8
	v_cmp_lt_u32_e32 vcc, 21, v8
	v_add_u32_e32 v9, 16, v9
	v_add_u32_e32 v10, 16, v10
	s_or_b64 s[6:7], vcc, s[6:7]
	s_waitcnt vmcnt(0) lgkmcnt(0)
	v_mul_f64 v[20:21], v[18:19], v[14:15]
	v_mul_f64 v[14:15], v[16:17], v[14:15]
	v_fma_f64 v[16:17], v[16:17], v[12:13], -v[20:21]
	v_fmac_f64_e32 v[14:15], v[18:19], v[12:13]
	v_add_f64 v[4:5], v[4:5], v[16:17]
	v_add_f64 v[2:3], v[2:3], v[14:15]
	s_andn2_b64 exec, exec, s[6:7]
	s_cbranch_execnz .LBB28_105
; %bb.106:
	s_or_b64 exec, exec, s[6:7]
	v_mov_b32_e32 v8, 0
	ds_read_b128 v[8:11], v8 offset:368
	s_waitcnt lgkmcnt(0)
	v_mul_f64 v[14:15], v[2:3], v[10:11]
	v_mul_f64 v[12:13], v[4:5], v[10:11]
	v_fma_f64 v[10:11], v[4:5], v[8:9], -v[14:15]
	v_fmac_f64_e32 v[12:13], v[2:3], v[8:9]
	scratch_store_dwordx4 off, v[10:13], off offset:368
.LBB28_107:
	s_or_b64 exec, exec, s[2:3]
	; wave barrier
	scratch_load_dwordx4 v[2:5], off, s38
	v_cmp_gt_u32_e32 vcc, 24, v1
	;; [unrolled: 45-line block ×5, first 2 shown]
	s_waitcnt vmcnt(0)
	ds_write_b128 v6, v[2:5]
	s_waitcnt lgkmcnt(0)
	; wave barrier
	s_and_saveexec_b64 s[2:3], vcc
	s_cbranch_execz .LBB28_123
; %bb.120:
	v_add_u32_e32 v8, -1, v1
	v_add_u32_e32 v9, 0x1d0, v22
	v_mov_b32_e32 v10, v22
	v_mov_b64_e32 v[2:3], 0
	s_mov_b64 s[6:7], 0
	v_mov_b64_e32 v[4:5], 0
.LBB28_121:                             ; =>This Inner Loop Header: Depth=1
	scratch_load_dwordx4 v[12:15], v10, off
	ds_read_b128 v[16:19], v9
	v_add_u32_e32 v8, 1, v8
	v_cmp_lt_u32_e32 vcc, 25, v8
	v_add_u32_e32 v9, 16, v9
	v_add_u32_e32 v10, 16, v10
	s_or_b64 s[6:7], vcc, s[6:7]
	s_waitcnt vmcnt(0) lgkmcnt(0)
	v_mul_f64 v[20:21], v[18:19], v[14:15]
	v_mul_f64 v[14:15], v[16:17], v[14:15]
	v_fma_f64 v[16:17], v[16:17], v[12:13], -v[20:21]
	v_fmac_f64_e32 v[14:15], v[18:19], v[12:13]
	v_add_f64 v[4:5], v[4:5], v[16:17]
	v_add_f64 v[2:3], v[2:3], v[14:15]
	s_andn2_b64 exec, exec, s[6:7]
	s_cbranch_execnz .LBB28_121
; %bb.122:
	s_or_b64 exec, exec, s[6:7]
	v_mov_b32_e32 v8, 0
	ds_read_b128 v[8:11], v8 offset:432
	s_waitcnt lgkmcnt(0)
	v_mul_f64 v[14:15], v[2:3], v[10:11]
	v_mul_f64 v[12:13], v[4:5], v[10:11]
	v_fma_f64 v[10:11], v[4:5], v[8:9], -v[14:15]
	v_fmac_f64_e32 v[12:13], v[2:3], v[8:9]
	scratch_store_dwordx4 off, v[10:13], off offset:432
.LBB28_123:
	s_or_b64 exec, exec, s[2:3]
	; wave barrier
	scratch_load_dwordx4 v[2:5], off, s42
	v_cmp_ne_u32_e32 vcc, 28, v1
	s_waitcnt vmcnt(0)
	ds_write_b128 v6, v[2:5]
	s_waitcnt lgkmcnt(0)
	; wave barrier
	s_and_saveexec_b64 s[2:3], vcc
	s_cbranch_execz .LBB28_127
; %bb.124:
	v_add_u32_e32 v6, 0x1d0, v22
	v_mov_b32_e32 v8, v22
	v_mov_b64_e32 v[2:3], 0
	s_mov_b64 s[6:7], 0
	v_mov_b64_e32 v[4:5], 0
.LBB28_125:                             ; =>This Inner Loop Header: Depth=1
	scratch_load_dwordx4 v[10:13], v8, off
	ds_read_b128 v[14:17], v6
	v_add_u32_e32 v7, 1, v7
	v_cmp_lt_u32_e32 vcc, 26, v7
	v_add_u32_e32 v6, 16, v6
	v_add_u32_e32 v8, 16, v8
	s_or_b64 s[6:7], vcc, s[6:7]
	s_waitcnt vmcnt(0) lgkmcnt(0)
	v_mul_f64 v[18:19], v[16:17], v[12:13]
	v_mul_f64 v[12:13], v[14:15], v[12:13]
	v_fma_f64 v[14:15], v[14:15], v[10:11], -v[18:19]
	v_fmac_f64_e32 v[12:13], v[16:17], v[10:11]
	v_add_f64 v[4:5], v[4:5], v[14:15]
	v_add_f64 v[2:3], v[2:3], v[12:13]
	s_andn2_b64 exec, exec, s[6:7]
	s_cbranch_execnz .LBB28_125
; %bb.126:
	s_or_b64 exec, exec, s[6:7]
	v_mov_b32_e32 v6, 0
	ds_read_b128 v[6:9], v6 offset:448
	s_waitcnt lgkmcnt(0)
	v_mul_f64 v[12:13], v[2:3], v[8:9]
	v_mul_f64 v[10:11], v[4:5], v[8:9]
	v_fma_f64 v[8:9], v[4:5], v[6:7], -v[12:13]
	v_fmac_f64_e32 v[10:11], v[2:3], v[6:7]
	scratch_store_dwordx4 off, v[8:11], off offset:448
.LBB28_127:
	s_or_b64 exec, exec, s[2:3]
	s_mov_b64 s[6:7], -1
	; wave barrier
.LBB28_128:
	s_and_b64 vcc, exec, s[6:7]
	s_cbranch_vccz .LBB28_130
; %bb.129:
	s_lshl_b64 s[2:3], s[4:5], 2
	s_add_u32 s2, s10, s2
	s_addc_u32 s3, s11, s3
	v_mov_b32_e32 v2, 0
	global_load_dword v2, v2, s[2:3]
	s_waitcnt vmcnt(0)
	v_cmp_ne_u32_e32 vcc, 0, v2
	s_cbranch_vccz .LBB28_131
.LBB28_130:
	s_endpgm
.LBB28_131:
	v_mov_b32_e32 v2, 0x1d0
	v_lshl_add_u32 v170, v1, 4, v2
	v_cmp_eq_u32_e32 vcc, 28, v1
	s_and_saveexec_b64 s[2:3], vcc
	s_cbranch_execz .LBB28_133
; %bb.132:
	scratch_load_dwordx4 v[2:5], off, s41
	v_mov_b32_e32 v6, 0
	v_mov_b32_e32 v7, v6
	;; [unrolled: 1-line block ×4, first 2 shown]
	scratch_store_dwordx4 off, v[6:9], off offset:432
	s_waitcnt vmcnt(1)
	ds_write_b128 v170, v[2:5]
.LBB28_133:
	s_or_b64 exec, exec, s[2:3]
	s_waitcnt lgkmcnt(0)
	; wave barrier
	scratch_load_dwordx4 v[4:7], off, off offset:448
	scratch_load_dwordx4 v[8:11], off, off offset:432
	v_mov_b32_e32 v2, 0
	ds_read_b128 v[12:15], v2 offset:912
	v_cmp_lt_u32_e32 vcc, 26, v1
	s_waitcnt vmcnt(1) lgkmcnt(0)
	v_mul_f64 v[16:17], v[12:13], v[6:7]
	v_mul_f64 v[6:7], v[14:15], v[6:7]
	v_fmac_f64_e32 v[16:17], v[14:15], v[4:5]
	v_fma_f64 v[4:5], v[12:13], v[4:5], -v[6:7]
	v_add_f64 v[6:7], v[16:17], 0
	v_add_f64 v[4:5], v[4:5], 0
	s_waitcnt vmcnt(0)
	v_add_f64 v[4:5], v[8:9], -v[4:5]
	v_add_f64 v[6:7], v[10:11], -v[6:7]
	scratch_store_dwordx4 off, v[4:7], off offset:432
	s_and_saveexec_b64 s[2:3], vcc
	s_cbranch_execz .LBB28_135
; %bb.134:
	scratch_load_dwordx4 v[6:9], off, s40
	v_mov_b32_e32 v3, v2
	v_mov_b32_e32 v4, v2
	;; [unrolled: 1-line block ×3, first 2 shown]
	scratch_store_dwordx4 off, v[2:5], off offset:416
	s_waitcnt vmcnt(1)
	ds_write_b128 v170, v[6:9]
.LBB28_135:
	s_or_b64 exec, exec, s[2:3]
	s_waitcnt lgkmcnt(0)
	; wave barrier
	scratch_load_dwordx4 v[4:7], off, off offset:432
	scratch_load_dwordx4 v[8:11], off, off offset:448
	scratch_load_dwordx4 v[12:15], off, off offset:416
	ds_read_b128 v[16:19], v2 offset:896
	ds_read_b128 v[20:23], v2 offset:912
	v_cmp_lt_u32_e32 vcc, 25, v1
	s_waitcnt vmcnt(2) lgkmcnt(1)
	v_mul_f64 v[2:3], v[16:17], v[6:7]
	v_mul_f64 v[6:7], v[18:19], v[6:7]
	s_waitcnt vmcnt(1) lgkmcnt(0)
	v_mul_f64 v[24:25], v[20:21], v[10:11]
	v_mul_f64 v[10:11], v[22:23], v[10:11]
	v_fmac_f64_e32 v[2:3], v[18:19], v[4:5]
	v_fma_f64 v[4:5], v[16:17], v[4:5], -v[6:7]
	v_fmac_f64_e32 v[24:25], v[22:23], v[8:9]
	v_fma_f64 v[6:7], v[20:21], v[8:9], -v[10:11]
	v_add_f64 v[2:3], v[2:3], 0
	v_add_f64 v[4:5], v[4:5], 0
	;; [unrolled: 1-line block ×4, first 2 shown]
	s_waitcnt vmcnt(0)
	v_add_f64 v[2:3], v[12:13], -v[2:3]
	v_add_f64 v[4:5], v[14:15], -v[8:9]
	scratch_store_dwordx4 off, v[2:5], off offset:416
	s_and_saveexec_b64 s[2:3], vcc
	s_cbranch_execz .LBB28_137
; %bb.136:
	scratch_load_dwordx4 v[2:5], off, s39
	v_mov_b32_e32 v6, 0
	v_mov_b32_e32 v7, v6
	;; [unrolled: 1-line block ×4, first 2 shown]
	scratch_store_dwordx4 off, v[6:9], off offset:400
	s_waitcnt vmcnt(1)
	ds_write_b128 v170, v[2:5]
.LBB28_137:
	s_or_b64 exec, exec, s[2:3]
	s_waitcnt lgkmcnt(0)
	; wave barrier
	scratch_load_dwordx4 v[4:7], off, off offset:416
	scratch_load_dwordx4 v[8:11], off, off offset:432
	;; [unrolled: 1-line block ×4, first 2 shown]
	v_mov_b32_e32 v2, 0
	ds_read_b128 v[20:23], v2 offset:880
	ds_read_b128 v[24:27], v2 offset:896
	;; [unrolled: 1-line block ×3, first 2 shown]
	v_cmp_lt_u32_e32 vcc, 24, v1
	s_waitcnt vmcnt(3) lgkmcnt(2)
	v_mul_f64 v[32:33], v[20:21], v[6:7]
	v_mul_f64 v[6:7], v[22:23], v[6:7]
	s_waitcnt vmcnt(2) lgkmcnt(1)
	v_mul_f64 v[34:35], v[24:25], v[10:11]
	v_mul_f64 v[10:11], v[26:27], v[10:11]
	v_fmac_f64_e32 v[32:33], v[22:23], v[4:5]
	v_fma_f64 v[4:5], v[20:21], v[4:5], -v[6:7]
	s_waitcnt vmcnt(1) lgkmcnt(0)
	v_mul_f64 v[36:37], v[28:29], v[14:15]
	v_mul_f64 v[14:15], v[30:31], v[14:15]
	v_fmac_f64_e32 v[34:35], v[26:27], v[8:9]
	v_fma_f64 v[6:7], v[24:25], v[8:9], -v[10:11]
	v_add_f64 v[10:11], v[32:33], 0
	v_add_f64 v[4:5], v[4:5], 0
	v_fmac_f64_e32 v[36:37], v[30:31], v[12:13]
	v_fma_f64 v[8:9], v[28:29], v[12:13], -v[14:15]
	v_add_f64 v[10:11], v[10:11], v[34:35]
	v_add_f64 v[4:5], v[4:5], v[6:7]
	;; [unrolled: 1-line block ×4, first 2 shown]
	s_waitcnt vmcnt(0)
	v_add_f64 v[4:5], v[16:17], -v[4:5]
	v_add_f64 v[6:7], v[18:19], -v[6:7]
	scratch_store_dwordx4 off, v[4:7], off offset:400
	s_and_saveexec_b64 s[2:3], vcc
	s_cbranch_execz .LBB28_139
; %bb.138:
	scratch_load_dwordx4 v[6:9], off, s38
	v_mov_b32_e32 v3, v2
	v_mov_b32_e32 v4, v2
	;; [unrolled: 1-line block ×3, first 2 shown]
	scratch_store_dwordx4 off, v[2:5], off offset:384
	s_waitcnt vmcnt(1)
	ds_write_b128 v170, v[6:9]
.LBB28_139:
	s_or_b64 exec, exec, s[2:3]
	s_waitcnt lgkmcnt(0)
	; wave barrier
	scratch_load_dwordx4 v[4:7], off, off offset:400
	scratch_load_dwordx4 v[8:11], off, off offset:416
	;; [unrolled: 1-line block ×5, first 2 shown]
	ds_read_b128 v[24:27], v2 offset:864
	ds_read_b128 v[28:31], v2 offset:880
	;; [unrolled: 1-line block ×4, first 2 shown]
	v_cmp_lt_u32_e32 vcc, 23, v1
	s_waitcnt vmcnt(4) lgkmcnt(3)
	v_mul_f64 v[2:3], v[24:25], v[6:7]
	v_mul_f64 v[6:7], v[26:27], v[6:7]
	s_waitcnt vmcnt(3) lgkmcnt(2)
	v_mul_f64 v[40:41], v[28:29], v[10:11]
	v_mul_f64 v[10:11], v[30:31], v[10:11]
	v_fmac_f64_e32 v[2:3], v[26:27], v[4:5]
	v_fma_f64 v[4:5], v[24:25], v[4:5], -v[6:7]
	s_waitcnt vmcnt(2) lgkmcnt(1)
	v_mul_f64 v[42:43], v[32:33], v[14:15]
	v_mul_f64 v[14:15], v[34:35], v[14:15]
	v_fmac_f64_e32 v[40:41], v[30:31], v[8:9]
	v_fma_f64 v[6:7], v[28:29], v[8:9], -v[10:11]
	v_add_f64 v[2:3], v[2:3], 0
	v_add_f64 v[4:5], v[4:5], 0
	s_waitcnt vmcnt(1) lgkmcnt(0)
	v_mul_f64 v[44:45], v[36:37], v[18:19]
	v_mul_f64 v[18:19], v[38:39], v[18:19]
	v_fmac_f64_e32 v[42:43], v[34:35], v[12:13]
	v_fma_f64 v[8:9], v[32:33], v[12:13], -v[14:15]
	v_add_f64 v[2:3], v[2:3], v[40:41]
	v_add_f64 v[4:5], v[4:5], v[6:7]
	v_fmac_f64_e32 v[44:45], v[38:39], v[16:17]
	v_fma_f64 v[10:11], v[36:37], v[16:17], -v[18:19]
	v_add_f64 v[2:3], v[2:3], v[42:43]
	v_add_f64 v[4:5], v[4:5], v[8:9]
	;; [unrolled: 1-line block ×4, first 2 shown]
	s_waitcnt vmcnt(0)
	v_add_f64 v[2:3], v[20:21], -v[2:3]
	v_add_f64 v[4:5], v[22:23], -v[6:7]
	scratch_store_dwordx4 off, v[2:5], off offset:384
	s_and_saveexec_b64 s[2:3], vcc
	s_cbranch_execz .LBB28_141
; %bb.140:
	scratch_load_dwordx4 v[2:5], off, s37
	v_mov_b32_e32 v6, 0
	v_mov_b32_e32 v7, v6
	;; [unrolled: 1-line block ×4, first 2 shown]
	scratch_store_dwordx4 off, v[6:9], off offset:368
	s_waitcnt vmcnt(1)
	ds_write_b128 v170, v[2:5]
.LBB28_141:
	s_or_b64 exec, exec, s[2:3]
	s_waitcnt lgkmcnt(0)
	; wave barrier
	scratch_load_dwordx4 v[4:7], off, off offset:384
	scratch_load_dwordx4 v[8:11], off, off offset:400
	;; [unrolled: 1-line block ×6, first 2 shown]
	v_mov_b32_e32 v2, 0
	ds_read_b128 v[28:31], v2 offset:848
	ds_read_b128 v[32:35], v2 offset:864
	;; [unrolled: 1-line block ×5, first 2 shown]
	v_cmp_lt_u32_e32 vcc, 22, v1
	s_waitcnt vmcnt(5) lgkmcnt(4)
	v_mul_f64 v[48:49], v[28:29], v[6:7]
	v_mul_f64 v[6:7], v[30:31], v[6:7]
	s_waitcnt vmcnt(4) lgkmcnt(3)
	v_mul_f64 v[50:51], v[32:33], v[10:11]
	s_waitcnt vmcnt(3) lgkmcnt(2)
	v_mul_f64 v[52:53], v[36:37], v[14:15]
	v_mul_f64 v[10:11], v[34:35], v[10:11]
	;; [unrolled: 1-line block ×3, first 2 shown]
	v_fmac_f64_e32 v[48:49], v[30:31], v[4:5]
	v_fma_f64 v[4:5], v[28:29], v[4:5], -v[6:7]
	v_fmac_f64_e32 v[50:51], v[34:35], v[8:9]
	v_fma_f64 v[6:7], v[32:33], v[8:9], -v[10:11]
	v_fma_f64 v[8:9], v[36:37], v[12:13], -v[14:15]
	v_add_f64 v[14:15], v[48:49], 0
	v_add_f64 v[4:5], v[4:5], 0
	s_waitcnt vmcnt(2) lgkmcnt(1)
	v_mul_f64 v[54:55], v[40:41], v[18:19]
	v_mul_f64 v[18:19], v[42:43], v[18:19]
	v_fmac_f64_e32 v[52:53], v[38:39], v[12:13]
	v_add_f64 v[14:15], v[14:15], v[50:51]
	v_add_f64 v[4:5], v[4:5], v[6:7]
	s_waitcnt vmcnt(1) lgkmcnt(0)
	v_mul_f64 v[56:57], v[44:45], v[22:23]
	v_mul_f64 v[22:23], v[46:47], v[22:23]
	v_fmac_f64_e32 v[54:55], v[42:43], v[16:17]
	v_fma_f64 v[10:11], v[40:41], v[16:17], -v[18:19]
	v_add_f64 v[6:7], v[14:15], v[52:53]
	v_add_f64 v[4:5], v[4:5], v[8:9]
	v_fmac_f64_e32 v[56:57], v[46:47], v[20:21]
	v_fma_f64 v[12:13], v[44:45], v[20:21], -v[22:23]
	v_add_f64 v[6:7], v[6:7], v[54:55]
	v_add_f64 v[4:5], v[4:5], v[10:11]
	;; [unrolled: 1-line block ×4, first 2 shown]
	s_waitcnt vmcnt(0)
	v_add_f64 v[4:5], v[24:25], -v[4:5]
	v_add_f64 v[6:7], v[26:27], -v[6:7]
	scratch_store_dwordx4 off, v[4:7], off offset:368
	s_and_saveexec_b64 s[2:3], vcc
	s_cbranch_execz .LBB28_143
; %bb.142:
	scratch_load_dwordx4 v[6:9], off, s36
	v_mov_b32_e32 v3, v2
	v_mov_b32_e32 v4, v2
	v_mov_b32_e32 v5, v2
	scratch_store_dwordx4 off, v[2:5], off offset:352
	s_waitcnt vmcnt(1)
	ds_write_b128 v170, v[6:9]
.LBB28_143:
	s_or_b64 exec, exec, s[2:3]
	s_waitcnt lgkmcnt(0)
	; wave barrier
	scratch_load_dwordx4 v[4:7], off, off offset:368
	scratch_load_dwordx4 v[8:11], off, off offset:384
	;; [unrolled: 1-line block ×7, first 2 shown]
	ds_read_b128 v[32:35], v2 offset:832
	ds_read_b128 v[36:39], v2 offset:848
	;; [unrolled: 1-line block ×6, first 2 shown]
	v_cmp_lt_u32_e32 vcc, 21, v1
	s_waitcnt vmcnt(6) lgkmcnt(5)
	v_mul_f64 v[2:3], v[32:33], v[6:7]
	v_mul_f64 v[6:7], v[34:35], v[6:7]
	s_waitcnt vmcnt(5) lgkmcnt(4)
	v_mul_f64 v[56:57], v[36:37], v[10:11]
	v_mul_f64 v[10:11], v[38:39], v[10:11]
	v_fmac_f64_e32 v[2:3], v[34:35], v[4:5]
	v_fma_f64 v[4:5], v[32:33], v[4:5], -v[6:7]
	s_waitcnt vmcnt(4) lgkmcnt(3)
	v_mul_f64 v[58:59], v[40:41], v[14:15]
	v_mul_f64 v[14:15], v[42:43], v[14:15]
	v_fmac_f64_e32 v[56:57], v[38:39], v[8:9]
	v_fma_f64 v[6:7], v[36:37], v[8:9], -v[10:11]
	v_add_f64 v[2:3], v[2:3], 0
	v_add_f64 v[4:5], v[4:5], 0
	s_waitcnt vmcnt(3) lgkmcnt(2)
	v_mul_f64 v[60:61], v[44:45], v[18:19]
	v_mul_f64 v[18:19], v[46:47], v[18:19]
	v_fmac_f64_e32 v[58:59], v[42:43], v[12:13]
	v_fma_f64 v[8:9], v[40:41], v[12:13], -v[14:15]
	v_add_f64 v[2:3], v[2:3], v[56:57]
	v_add_f64 v[4:5], v[4:5], v[6:7]
	;; [unrolled: 7-line block ×4, first 2 shown]
	v_fmac_f64_e32 v[64:65], v[54:55], v[24:25]
	v_fma_f64 v[14:15], v[52:53], v[24:25], -v[26:27]
	v_add_f64 v[2:3], v[2:3], v[62:63]
	v_add_f64 v[4:5], v[4:5], v[12:13]
	;; [unrolled: 1-line block ×4, first 2 shown]
	s_waitcnt vmcnt(0)
	v_add_f64 v[2:3], v[28:29], -v[2:3]
	v_add_f64 v[4:5], v[30:31], -v[6:7]
	scratch_store_dwordx4 off, v[2:5], off offset:352
	s_and_saveexec_b64 s[2:3], vcc
	s_cbranch_execz .LBB28_145
; %bb.144:
	scratch_load_dwordx4 v[2:5], off, s35
	v_mov_b32_e32 v6, 0
	v_mov_b32_e32 v7, v6
	;; [unrolled: 1-line block ×4, first 2 shown]
	scratch_store_dwordx4 off, v[6:9], off offset:336
	s_waitcnt vmcnt(1)
	ds_write_b128 v170, v[2:5]
.LBB28_145:
	s_or_b64 exec, exec, s[2:3]
	v_mov_b32_e32 v2, 0
	s_waitcnt lgkmcnt(0)
	; wave barrier
	ds_read_b128 v[4:7], v2 offset:816
	ds_read_b128 v[8:11], v2 offset:832
	;; [unrolled: 1-line block ×4, first 2 shown]
	scratch_load_dwordx4 v[20:23], off, off offset:352
	scratch_load_dwordx4 v[40:43], off, off offset:416
	v_cmp_lt_u32_e32 vcc, 20, v1
	scratch_load_dwordx4 v[48:51], off, off offset:432
	scratch_load_dwordx4 v[56:59], off, off offset:448
	s_waitcnt vmcnt(3) lgkmcnt(3)
	v_mul_f64 v[24:25], v[4:5], v[22:23]
	v_fmac_f64_e32 v[24:25], v[6:7], v[20:21]
	v_add_f64 v[28:29], v[24:25], 0
	scratch_load_dwordx4 v[24:27], off, off offset:368
	v_mul_f64 v[6:7], v[6:7], v[22:23]
	v_fma_f64 v[4:5], v[4:5], v[20:21], -v[6:7]
	v_add_f64 v[4:5], v[4:5], 0
	s_waitcnt vmcnt(0) lgkmcnt(2)
	v_mul_f64 v[30:31], v[8:9], v[26:27]
	v_fmac_f64_e32 v[30:31], v[10:11], v[24:25]
	v_add_f64 v[32:33], v[28:29], v[30:31]
	scratch_load_dwordx4 v[28:31], off, off offset:384
	v_mul_f64 v[6:7], v[10:11], v[26:27]
	v_fma_f64 v[6:7], v[8:9], v[24:25], -v[6:7]
	v_add_f64 v[4:5], v[4:5], v[6:7]
	;; [unrolled: 8-line block ×3, first 2 shown]
	s_waitcnt vmcnt(0) lgkmcnt(0)
	v_mul_f64 v[38:39], v[16:17], v[34:35]
	v_fmac_f64_e32 v[38:39], v[18:19], v[32:33]
	v_add_f64 v[44:45], v[36:37], v[38:39]
	ds_read_b128 v[36:39], v2 offset:880
	v_mul_f64 v[6:7], v[18:19], v[34:35]
	v_fma_f64 v[6:7], v[16:17], v[32:33], -v[6:7]
	v_add_f64 v[4:5], v[4:5], v[6:7]
	s_waitcnt lgkmcnt(0)
	v_mul_f64 v[46:47], v[36:37], v[42:43]
	v_fmac_f64_e32 v[46:47], v[38:39], v[40:41]
	v_add_f64 v[52:53], v[44:45], v[46:47]
	ds_read_b128 v[44:47], v2 offset:896
	v_mul_f64 v[6:7], v[38:39], v[42:43]
	v_fma_f64 v[6:7], v[36:37], v[40:41], -v[6:7]
	v_add_f64 v[4:5], v[4:5], v[6:7]
	s_waitcnt lgkmcnt(0)
	;; [unrolled: 8-line block ×3, first 2 shown]
	v_mul_f64 v[6:7], v[54:55], v[58:59]
	v_fma_f64 v[6:7], v[52:53], v[56:57], -v[6:7]
	v_add_f64 v[8:9], v[4:5], v[6:7]
	scratch_load_dwordx4 v[4:7], off, off offset:336
	v_mul_f64 v[62:63], v[52:53], v[58:59]
	v_fmac_f64_e32 v[62:63], v[54:55], v[56:57]
	v_add_f64 v[60:61], v[60:61], v[62:63]
	s_waitcnt vmcnt(0)
	v_add_f64 v[4:5], v[4:5], -v[8:9]
	v_add_f64 v[6:7], v[6:7], -v[60:61]
	scratch_store_dwordx4 off, v[4:7], off offset:336
	s_and_saveexec_b64 s[2:3], vcc
	s_cbranch_execz .LBB28_147
; %bb.146:
	scratch_load_dwordx4 v[6:9], off, s34
	v_mov_b32_e32 v3, v2
	v_mov_b32_e32 v4, v2
	v_mov_b32_e32 v5, v2
	scratch_store_dwordx4 off, v[2:5], off offset:320
	s_waitcnt vmcnt(1)
	ds_write_b128 v170, v[6:9]
.LBB28_147:
	s_or_b64 exec, exec, s[2:3]
	s_waitcnt lgkmcnt(0)
	; wave barrier
	scratch_load_dwordx4 v[4:7], off, off offset:336
	scratch_load_dwordx4 v[8:11], off, off offset:352
	;; [unrolled: 1-line block ×9, first 2 shown]
	ds_read_b128 v[40:43], v2 offset:800
	ds_read_b128 v[44:47], v2 offset:816
	ds_read_b128 v[48:51], v2 offset:832
	ds_read_b128 v[52:55], v2 offset:848
	ds_read_b128 v[56:59], v2 offset:864
	ds_read_b128 v[60:63], v2 offset:880
	ds_read_b128 v[64:67], v2 offset:896
	ds_read_b128 v[68:71], v2 offset:912
	v_cmp_lt_u32_e32 vcc, 19, v1
	s_waitcnt vmcnt(8) lgkmcnt(7)
	v_mul_f64 v[2:3], v[40:41], v[6:7]
	v_mul_f64 v[6:7], v[42:43], v[6:7]
	s_waitcnt vmcnt(7) lgkmcnt(6)
	v_mul_f64 v[72:73], v[44:45], v[10:11]
	v_mul_f64 v[10:11], v[46:47], v[10:11]
	v_fmac_f64_e32 v[2:3], v[42:43], v[4:5]
	v_fma_f64 v[4:5], v[40:41], v[4:5], -v[6:7]
	s_waitcnt vmcnt(6) lgkmcnt(5)
	v_mul_f64 v[74:75], v[48:49], v[14:15]
	v_mul_f64 v[14:15], v[50:51], v[14:15]
	v_fmac_f64_e32 v[72:73], v[46:47], v[8:9]
	v_fma_f64 v[6:7], v[44:45], v[8:9], -v[10:11]
	v_add_f64 v[2:3], v[2:3], 0
	v_add_f64 v[4:5], v[4:5], 0
	s_waitcnt vmcnt(5) lgkmcnt(4)
	v_mul_f64 v[76:77], v[52:53], v[18:19]
	v_mul_f64 v[18:19], v[54:55], v[18:19]
	v_fmac_f64_e32 v[74:75], v[50:51], v[12:13]
	v_fma_f64 v[8:9], v[48:49], v[12:13], -v[14:15]
	v_add_f64 v[2:3], v[2:3], v[72:73]
	v_add_f64 v[4:5], v[4:5], v[6:7]
	;; [unrolled: 7-line block ×6, first 2 shown]
	v_fmac_f64_e32 v[84:85], v[70:71], v[32:33]
	v_fma_f64 v[18:19], v[68:69], v[32:33], -v[34:35]
	v_add_f64 v[2:3], v[2:3], v[82:83]
	v_add_f64 v[4:5], v[4:5], v[16:17]
	v_add_f64 v[6:7], v[2:3], v[84:85]
	v_add_f64 v[2:3], v[4:5], v[18:19]
	s_waitcnt vmcnt(0)
	v_add_f64 v[2:3], v[36:37], -v[2:3]
	v_add_f64 v[4:5], v[38:39], -v[6:7]
	scratch_store_dwordx4 off, v[2:5], off offset:320
	s_and_saveexec_b64 s[2:3], vcc
	s_cbranch_execz .LBB28_149
; %bb.148:
	scratch_load_dwordx4 v[2:5], off, s33
	v_mov_b32_e32 v6, 0
	v_mov_b32_e32 v7, v6
	;; [unrolled: 1-line block ×4, first 2 shown]
	scratch_store_dwordx4 off, v[6:9], off offset:304
	s_waitcnt vmcnt(1)
	ds_write_b128 v170, v[2:5]
.LBB28_149:
	s_or_b64 exec, exec, s[2:3]
	s_waitcnt lgkmcnt(0)
	; wave barrier
	scratch_load_dwordx4 v[4:7], off, off offset:320
	scratch_load_dwordx4 v[8:11], off, off offset:336
	;; [unrolled: 1-line block ×10, first 2 shown]
	v_mov_b32_e32 v2, 0
	ds_read_b128 v[44:47], v2 offset:784
	ds_read_b128 v[48:51], v2 offset:800
	;; [unrolled: 1-line block ×9, first 2 shown]
	v_cmp_lt_u32_e32 vcc, 18, v1
	s_waitcnt vmcnt(9) lgkmcnt(8)
	v_mul_f64 v[80:81], v[44:45], v[6:7]
	v_mul_f64 v[6:7], v[46:47], v[6:7]
	s_waitcnt vmcnt(8) lgkmcnt(7)
	v_mul_f64 v[82:83], v[48:49], v[10:11]
	s_waitcnt vmcnt(7) lgkmcnt(6)
	;; [unrolled: 2-line block ×3, first 2 shown]
	v_mul_f64 v[88:89], v[60:61], v[22:23]
	v_mul_f64 v[10:11], v[50:51], v[10:11]
	;; [unrolled: 1-line block ×4, first 2 shown]
	v_fmac_f64_e32 v[80:81], v[46:47], v[4:5]
	v_fma_f64 v[4:5], v[44:45], v[4:5], -v[6:7]
	v_fmac_f64_e32 v[82:83], v[50:51], v[8:9]
	v_fmac_f64_e32 v[84:85], v[54:55], v[12:13]
	v_fma_f64 v[6:7], v[48:49], v[8:9], -v[10:11]
	v_fma_f64 v[8:9], v[52:53], v[12:13], -v[14:15]
	;; [unrolled: 1-line block ×3, first 2 shown]
	v_add_f64 v[22:23], v[80:81], 0
	v_add_f64 v[4:5], v[4:5], 0
	v_mul_f64 v[86:87], v[56:57], v[18:19]
	v_mul_f64 v[18:19], v[58:59], v[18:19]
	v_add_f64 v[22:23], v[22:23], v[82:83]
	v_add_f64 v[4:5], v[4:5], v[6:7]
	v_fmac_f64_e32 v[86:87], v[58:59], v[16:17]
	v_fma_f64 v[10:11], v[56:57], v[16:17], -v[18:19]
	v_add_f64 v[6:7], v[22:23], v[84:85]
	v_add_f64 v[4:5], v[4:5], v[8:9]
	s_waitcnt vmcnt(4) lgkmcnt(3)
	v_mul_f64 v[90:91], v[64:65], v[26:27]
	v_mul_f64 v[26:27], v[66:67], v[26:27]
	v_fmac_f64_e32 v[88:89], v[62:63], v[20:21]
	v_add_f64 v[6:7], v[6:7], v[86:87]
	v_add_f64 v[4:5], v[4:5], v[10:11]
	s_waitcnt vmcnt(3) lgkmcnt(2)
	v_mul_f64 v[92:93], v[68:69], v[30:31]
	v_mul_f64 v[30:31], v[70:71], v[30:31]
	v_fmac_f64_e32 v[90:91], v[66:67], v[24:25]
	v_fma_f64 v[14:15], v[64:65], v[24:25], -v[26:27]
	v_add_f64 v[6:7], v[6:7], v[88:89]
	v_add_f64 v[4:5], v[4:5], v[12:13]
	s_waitcnt vmcnt(2) lgkmcnt(1)
	v_mul_f64 v[94:95], v[72:73], v[34:35]
	v_mul_f64 v[34:35], v[74:75], v[34:35]
	v_fmac_f64_e32 v[92:93], v[70:71], v[28:29]
	v_fma_f64 v[16:17], v[68:69], v[28:29], -v[30:31]
	;; [unrolled: 7-line block ×3, first 2 shown]
	v_add_f64 v[6:7], v[6:7], v[92:93]
	v_add_f64 v[4:5], v[4:5], v[16:17]
	v_fmac_f64_e32 v[96:97], v[78:79], v[36:37]
	v_fma_f64 v[20:21], v[76:77], v[36:37], -v[38:39]
	v_add_f64 v[6:7], v[6:7], v[94:95]
	v_add_f64 v[4:5], v[4:5], v[18:19]
	;; [unrolled: 1-line block ×4, first 2 shown]
	s_waitcnt vmcnt(0)
	v_add_f64 v[4:5], v[40:41], -v[4:5]
	v_add_f64 v[6:7], v[42:43], -v[6:7]
	scratch_store_dwordx4 off, v[4:7], off offset:304
	s_and_saveexec_b64 s[2:3], vcc
	s_cbranch_execz .LBB28_151
; %bb.150:
	scratch_load_dwordx4 v[6:9], off, s31
	v_mov_b32_e32 v3, v2
	v_mov_b32_e32 v4, v2
	;; [unrolled: 1-line block ×3, first 2 shown]
	scratch_store_dwordx4 off, v[2:5], off offset:288
	s_waitcnt vmcnt(1)
	ds_write_b128 v170, v[6:9]
.LBB28_151:
	s_or_b64 exec, exec, s[2:3]
	s_waitcnt lgkmcnt(0)
	; wave barrier
	scratch_load_dwordx4 v[4:7], off, off offset:304
	scratch_load_dwordx4 v[8:11], off, off offset:320
	;; [unrolled: 1-line block ×11, first 2 shown]
	ds_read_b128 v[48:51], v2 offset:768
	ds_read_b128 v[52:55], v2 offset:784
	;; [unrolled: 1-line block ×10, first 2 shown]
	v_cmp_lt_u32_e32 vcc, 17, v1
	s_waitcnt vmcnt(10) lgkmcnt(9)
	v_mul_f64 v[2:3], v[48:49], v[6:7]
	v_mul_f64 v[6:7], v[50:51], v[6:7]
	s_waitcnt vmcnt(9) lgkmcnt(8)
	v_mul_f64 v[88:89], v[52:53], v[10:11]
	v_mul_f64 v[10:11], v[54:55], v[10:11]
	v_fmac_f64_e32 v[2:3], v[50:51], v[4:5]
	v_fma_f64 v[4:5], v[48:49], v[4:5], -v[6:7]
	s_waitcnt vmcnt(8) lgkmcnt(7)
	v_mul_f64 v[90:91], v[56:57], v[14:15]
	v_mul_f64 v[14:15], v[58:59], v[14:15]
	v_fmac_f64_e32 v[88:89], v[54:55], v[8:9]
	v_fma_f64 v[6:7], v[52:53], v[8:9], -v[10:11]
	v_add_f64 v[2:3], v[2:3], 0
	v_add_f64 v[4:5], v[4:5], 0
	s_waitcnt vmcnt(7) lgkmcnt(6)
	v_mul_f64 v[92:93], v[60:61], v[18:19]
	v_mul_f64 v[18:19], v[62:63], v[18:19]
	v_fmac_f64_e32 v[90:91], v[58:59], v[12:13]
	v_fma_f64 v[8:9], v[56:57], v[12:13], -v[14:15]
	v_add_f64 v[2:3], v[2:3], v[88:89]
	v_add_f64 v[4:5], v[4:5], v[6:7]
	;; [unrolled: 7-line block ×8, first 2 shown]
	v_fmac_f64_e32 v[104:105], v[86:87], v[40:41]
	v_fma_f64 v[22:23], v[84:85], v[40:41], -v[42:43]
	v_add_f64 v[2:3], v[2:3], v[102:103]
	v_add_f64 v[4:5], v[4:5], v[20:21]
	;; [unrolled: 1-line block ×4, first 2 shown]
	s_waitcnt vmcnt(0)
	v_add_f64 v[2:3], v[44:45], -v[2:3]
	v_add_f64 v[4:5], v[46:47], -v[6:7]
	scratch_store_dwordx4 off, v[2:5], off offset:288
	s_and_saveexec_b64 s[2:3], vcc
	s_cbranch_execz .LBB28_153
; %bb.152:
	scratch_load_dwordx4 v[2:5], off, s30
	v_mov_b32_e32 v6, 0
	v_mov_b32_e32 v7, v6
	;; [unrolled: 1-line block ×4, first 2 shown]
	scratch_store_dwordx4 off, v[6:9], off offset:272
	s_waitcnt vmcnt(1)
	ds_write_b128 v170, v[2:5]
.LBB28_153:
	s_or_b64 exec, exec, s[2:3]
	v_mov_b32_e32 v2, 0
	s_waitcnt lgkmcnt(0)
	; wave barrier
	ds_read_b128 v[4:7], v2 offset:752
	ds_read_b128 v[8:11], v2 offset:768
	;; [unrolled: 1-line block ×4, first 2 shown]
	scratch_load_dwordx4 v[20:23], off, off offset:288
	scratch_load_dwordx4 v[40:43], off, off offset:352
	;; [unrolled: 1-line block ×5, first 2 shown]
	v_cmp_lt_u32_e32 vcc, 16, v1
	scratch_load_dwordx4 v[48:51], off, off offset:368
	scratch_load_dwordx4 v[56:59], off, off offset:384
	;; [unrolled: 1-line block ×3, first 2 shown]
	s_waitcnt vmcnt(7) lgkmcnt(3)
	v_mul_f64 v[24:25], v[4:5], v[22:23]
	v_fmac_f64_e32 v[24:25], v[6:7], v[20:21]
	v_add_f64 v[28:29], v[24:25], 0
	scratch_load_dwordx4 v[24:27], off, off offset:304
	v_mul_f64 v[6:7], v[6:7], v[22:23]
	v_fma_f64 v[4:5], v[4:5], v[20:21], -v[6:7]
	v_add_f64 v[4:5], v[4:5], 0
	s_waitcnt vmcnt(0) lgkmcnt(2)
	v_mul_f64 v[30:31], v[8:9], v[26:27]
	v_fmac_f64_e32 v[30:31], v[10:11], v[24:25]
	v_add_f64 v[32:33], v[28:29], v[30:31]
	scratch_load_dwordx4 v[28:31], off, off offset:320
	v_mul_f64 v[6:7], v[10:11], v[26:27]
	v_fma_f64 v[6:7], v[8:9], v[24:25], -v[6:7]
	v_add_f64 v[4:5], v[4:5], v[6:7]
	;; [unrolled: 8-line block ×3, first 2 shown]
	s_waitcnt vmcnt(0) lgkmcnt(0)
	v_mul_f64 v[38:39], v[16:17], v[34:35]
	v_fmac_f64_e32 v[38:39], v[18:19], v[32:33]
	v_add_f64 v[44:45], v[36:37], v[38:39]
	ds_read_b128 v[36:39], v2 offset:816
	v_mul_f64 v[6:7], v[18:19], v[34:35]
	v_fma_f64 v[6:7], v[16:17], v[32:33], -v[6:7]
	v_add_f64 v[4:5], v[4:5], v[6:7]
	s_waitcnt lgkmcnt(0)
	v_mul_f64 v[46:47], v[36:37], v[42:43]
	v_fmac_f64_e32 v[46:47], v[38:39], v[40:41]
	v_add_f64 v[52:53], v[44:45], v[46:47]
	ds_read_b128 v[44:47], v2 offset:832
	v_mul_f64 v[6:7], v[38:39], v[42:43]
	v_fma_f64 v[6:7], v[36:37], v[40:41], -v[6:7]
	v_add_f64 v[4:5], v[4:5], v[6:7]
	s_waitcnt lgkmcnt(0)
	;; [unrolled: 8-line block ×7, first 2 shown]
	v_mul_f64 v[6:7], v[86:87], v[90:91]
	v_fma_f64 v[6:7], v[84:85], v[88:89], -v[6:7]
	v_add_f64 v[8:9], v[4:5], v[6:7]
	scratch_load_dwordx4 v[4:7], off, off offset:272
	v_mul_f64 v[94:95], v[84:85], v[90:91]
	v_fmac_f64_e32 v[94:95], v[86:87], v[88:89]
	v_add_f64 v[92:93], v[92:93], v[94:95]
	s_waitcnt vmcnt(0)
	v_add_f64 v[4:5], v[4:5], -v[8:9]
	v_add_f64 v[6:7], v[6:7], -v[92:93]
	scratch_store_dwordx4 off, v[4:7], off offset:272
	s_and_saveexec_b64 s[2:3], vcc
	s_cbranch_execz .LBB28_155
; %bb.154:
	scratch_load_dwordx4 v[6:9], off, s29
	v_mov_b32_e32 v3, v2
	v_mov_b32_e32 v4, v2
	;; [unrolled: 1-line block ×3, first 2 shown]
	scratch_store_dwordx4 off, v[2:5], off offset:256
	s_waitcnt vmcnt(1)
	ds_write_b128 v170, v[6:9]
.LBB28_155:
	s_or_b64 exec, exec, s[2:3]
	s_waitcnt lgkmcnt(0)
	; wave barrier
	ds_read_b128 v[4:7], v2 offset:736
	ds_read_b128 v[8:11], v2 offset:752
	;; [unrolled: 1-line block ×4, first 2 shown]
	scratch_load_dwordx4 v[20:23], off, off offset:272
	scratch_load_dwordx4 v[40:43], off, off offset:336
	;; [unrolled: 1-line block ×6, first 2 shown]
	v_cmp_lt_u32_e32 vcc, 15, v1
	scratch_load_dwordx4 v[48:51], off, off offset:352
	scratch_load_dwordx4 v[56:59], off, off offset:368
	;; [unrolled: 1-line block ×3, first 2 shown]
	s_waitcnt vmcnt(8) lgkmcnt(3)
	v_mul_f64 v[24:25], v[4:5], v[22:23]
	v_fmac_f64_e32 v[24:25], v[6:7], v[20:21]
	v_add_f64 v[28:29], v[24:25], 0
	scratch_load_dwordx4 v[24:27], off, off offset:288
	s_waitcnt vmcnt(0) lgkmcnt(2)
	v_mul_f64 v[30:31], v[8:9], v[26:27]
	v_fmac_f64_e32 v[30:31], v[10:11], v[24:25]
	v_add_f64 v[32:33], v[28:29], v[30:31]
	scratch_load_dwordx4 v[28:31], off, off offset:304
	;; [unrolled: 5-line block ×3, first 2 shown]
	s_waitcnt vmcnt(0) lgkmcnt(0)
	v_mul_f64 v[38:39], v[16:17], v[34:35]
	v_fmac_f64_e32 v[38:39], v[18:19], v[32:33]
	v_add_f64 v[44:45], v[36:37], v[38:39]
	ds_read_b128 v[36:39], v2 offset:800
	s_waitcnt lgkmcnt(0)
	v_mul_f64 v[46:47], v[36:37], v[42:43]
	v_fmac_f64_e32 v[46:47], v[38:39], v[40:41]
	v_add_f64 v[52:53], v[44:45], v[46:47]
	ds_read_b128 v[44:47], v2 offset:816
	s_waitcnt lgkmcnt(0)
	v_mul_f64 v[54:55], v[44:45], v[50:51]
	v_fmac_f64_e32 v[54:55], v[46:47], v[48:49]
	v_add_f64 v[60:61], v[52:53], v[54:55]
	ds_read_b128 v[52:55], v2 offset:832
	s_waitcnt lgkmcnt(0)
	v_mul_f64 v[62:63], v[52:53], v[58:59]
	v_fmac_f64_e32 v[62:63], v[54:55], v[56:57]
	v_add_f64 v[68:69], v[60:61], v[62:63]
	ds_read_b128 v[60:63], v2 offset:848
	s_waitcnt lgkmcnt(0)
	v_mul_f64 v[70:71], v[60:61], v[66:67]
	v_fmac_f64_e32 v[70:71], v[62:63], v[64:65]
	v_add_f64 v[76:77], v[68:69], v[70:71]
	ds_read_b128 v[68:71], v2 offset:864
	s_waitcnt lgkmcnt(0)
	v_mul_f64 v[78:79], v[68:69], v[74:75]
	v_fmac_f64_e32 v[78:79], v[70:71], v[72:73]
	v_add_f64 v[84:85], v[76:77], v[78:79]
	ds_read_b128 v[76:79], v2 offset:880
	s_waitcnt lgkmcnt(0)
	v_mul_f64 v[86:87], v[76:77], v[82:83]
	v_fmac_f64_e32 v[86:87], v[78:79], v[80:81]
	v_add_f64 v[92:93], v[84:85], v[86:87]
	ds_read_b128 v[84:87], v2 offset:896
	s_waitcnt lgkmcnt(0)
	v_mul_f64 v[94:95], v[84:85], v[90:91]
	v_fmac_f64_e32 v[94:95], v[86:87], v[88:89]
	v_add_f64 v[100:101], v[92:93], v[94:95]
	ds_read_b128 v[92:95], v2 offset:912
	s_waitcnt lgkmcnt(0)
	v_mul_f64 v[2:3], v[92:93], v[98:99]
	v_fmac_f64_e32 v[2:3], v[94:95], v[96:97]
	v_add_f64 v[100:101], v[100:101], v[2:3]
	v_mul_f64 v[2:3], v[6:7], v[22:23]
	v_fma_f64 v[2:3], v[4:5], v[20:21], -v[2:3]
	v_mul_f64 v[4:5], v[10:11], v[26:27]
	v_add_f64 v[2:3], v[2:3], 0
	v_fma_f64 v[4:5], v[8:9], v[24:25], -v[4:5]
	v_add_f64 v[2:3], v[2:3], v[4:5]
	v_mul_f64 v[4:5], v[14:15], v[30:31]
	v_fma_f64 v[4:5], v[12:13], v[28:29], -v[4:5]
	v_add_f64 v[2:3], v[2:3], v[4:5]
	v_mul_f64 v[4:5], v[18:19], v[34:35]
	;; [unrolled: 3-line block ×10, first 2 shown]
	v_fma_f64 v[4:5], v[92:93], v[96:97], -v[4:5]
	v_add_f64 v[6:7], v[2:3], v[4:5]
	scratch_load_dwordx4 v[2:5], off, off offset:256
	s_waitcnt vmcnt(0)
	v_add_f64 v[2:3], v[2:3], -v[6:7]
	v_add_f64 v[4:5], v[4:5], -v[100:101]
	scratch_store_dwordx4 off, v[2:5], off offset:256
	s_and_saveexec_b64 s[2:3], vcc
	s_cbranch_execz .LBB28_157
; %bb.156:
	scratch_load_dwordx4 v[2:5], off, s43
	v_mov_b32_e32 v6, 0
	v_mov_b32_e32 v7, v6
	;; [unrolled: 1-line block ×4, first 2 shown]
	scratch_store_dwordx4 off, v[6:9], off offset:240
	s_waitcnt vmcnt(1)
	ds_write_b128 v170, v[2:5]
.LBB28_157:
	s_or_b64 exec, exec, s[2:3]
	s_waitcnt lgkmcnt(0)
	; wave barrier
	scratch_load_dwordx4 v[4:7], off, off offset:256
	scratch_load_dwordx4 v[8:11], off, off offset:272
	;; [unrolled: 1-line block ×14, first 2 shown]
	v_mov_b32_e32 v2, 0
	ds_read_b128 v[60:63], v2 offset:720
	ds_read_b128 v[64:67], v2 offset:736
	ds_read_b128 v[68:71], v2 offset:752
	ds_read_b128 v[72:75], v2 offset:768
	ds_read_b128 v[76:79], v2 offset:784
	ds_read_b128 v[80:83], v2 offset:800
	ds_read_b128 v[84:87], v2 offset:816
	ds_read_b128 v[88:91], v2 offset:832
	ds_read_b128 v[92:95], v2 offset:848
	ds_read_b128 v[96:99], v2 offset:864
	ds_read_b128 v[100:103], v2 offset:880
	ds_read_b128 v[104:107], v2 offset:896
	ds_read_b128 v[108:111], v2 offset:912
	v_cmp_lt_u32_e32 vcc, 14, v1
	s_waitcnt vmcnt(13) lgkmcnt(12)
	v_mul_f64 v[112:113], v[60:61], v[6:7]
	v_mul_f64 v[6:7], v[62:63], v[6:7]
	s_waitcnt vmcnt(12) lgkmcnt(11)
	v_mul_f64 v[114:115], v[64:65], v[10:11]
	v_mul_f64 v[10:11], v[66:67], v[10:11]
	v_fmac_f64_e32 v[112:113], v[62:63], v[4:5]
	v_fma_f64 v[4:5], v[60:61], v[4:5], -v[6:7]
	s_waitcnt vmcnt(11) lgkmcnt(10)
	v_mul_f64 v[116:117], v[68:69], v[14:15]
	v_mul_f64 v[14:15], v[70:71], v[14:15]
	v_fma_f64 v[6:7], v[64:65], v[8:9], -v[10:11]
	v_add_f64 v[4:5], v[4:5], 0
	s_waitcnt vmcnt(10) lgkmcnt(9)
	v_mul_f64 v[118:119], v[72:73], v[18:19]
	v_mul_f64 v[18:19], v[74:75], v[18:19]
	v_fmac_f64_e32 v[114:115], v[66:67], v[8:9]
	v_fma_f64 v[8:9], v[68:69], v[12:13], -v[14:15]
	v_add_f64 v[4:5], v[4:5], v[6:7]
	s_waitcnt vmcnt(9) lgkmcnt(8)
	v_mul_f64 v[120:121], v[76:77], v[22:23]
	v_mul_f64 v[22:23], v[78:79], v[22:23]
	v_fma_f64 v[10:11], v[72:73], v[16:17], -v[18:19]
	v_add_f64 v[4:5], v[4:5], v[8:9]
	s_waitcnt vmcnt(8) lgkmcnt(7)
	v_mul_f64 v[122:123], v[80:81], v[26:27]
	v_mul_f64 v[26:27], v[82:83], v[26:27]
	v_fmac_f64_e32 v[116:117], v[70:71], v[12:13]
	v_fma_f64 v[12:13], v[76:77], v[20:21], -v[22:23]
	v_add_f64 v[22:23], v[112:113], 0
	v_add_f64 v[4:5], v[4:5], v[10:11]
	s_waitcnt vmcnt(7) lgkmcnt(6)
	v_mul_f64 v[124:125], v[84:85], v[30:31]
	v_mul_f64 v[30:31], v[86:87], v[30:31]
	v_fma_f64 v[14:15], v[80:81], v[24:25], -v[26:27]
	v_add_f64 v[22:23], v[22:23], v[114:115]
	v_add_f64 v[4:5], v[4:5], v[12:13]
	s_waitcnt vmcnt(6) lgkmcnt(5)
	v_mul_f64 v[126:127], v[88:89], v[34:35]
	v_mul_f64 v[34:35], v[90:91], v[34:35]
	v_fmac_f64_e32 v[118:119], v[74:75], v[16:17]
	v_fma_f64 v[16:17], v[84:85], v[28:29], -v[30:31]
	v_add_f64 v[6:7], v[22:23], v[116:117]
	v_add_f64 v[4:5], v[4:5], v[14:15]
	s_waitcnt vmcnt(5) lgkmcnt(4)
	v_mul_f64 v[128:129], v[92:93], v[38:39]
	v_mul_f64 v[38:39], v[94:95], v[38:39]
	v_fmac_f64_e32 v[120:121], v[78:79], v[20:21]
	v_fma_f64 v[18:19], v[88:89], v[32:33], -v[34:35]
	v_add_f64 v[6:7], v[6:7], v[118:119]
	v_add_f64 v[4:5], v[4:5], v[16:17]
	v_fmac_f64_e32 v[122:123], v[82:83], v[24:25]
	v_fma_f64 v[20:21], v[92:93], v[36:37], -v[38:39]
	v_add_f64 v[6:7], v[6:7], v[120:121]
	v_add_f64 v[4:5], v[4:5], v[18:19]
	s_waitcnt vmcnt(4) lgkmcnt(3)
	v_mul_f64 v[8:9], v[98:99], v[42:43]
	v_fmac_f64_e32 v[124:125], v[86:87], v[28:29]
	v_add_f64 v[6:7], v[6:7], v[122:123]
	v_add_f64 v[4:5], v[4:5], v[20:21]
	v_fma_f64 v[8:9], v[96:97], v[40:41], -v[8:9]
	v_fmac_f64_e32 v[126:127], v[90:91], v[32:33]
	v_add_f64 v[6:7], v[6:7], v[124:125]
	v_add_f64 v[4:5], v[4:5], v[8:9]
	s_waitcnt vmcnt(3) lgkmcnt(2)
	v_mul_f64 v[8:9], v[102:103], v[46:47]
	v_mul_f64 v[130:131], v[96:97], v[42:43]
	v_fmac_f64_e32 v[128:129], v[94:95], v[36:37]
	v_add_f64 v[6:7], v[6:7], v[126:127]
	v_fma_f64 v[8:9], v[100:101], v[44:45], -v[8:9]
	v_mul_f64 v[132:133], v[100:101], v[46:47]
	v_fmac_f64_e32 v[130:131], v[98:99], v[40:41]
	v_add_f64 v[6:7], v[6:7], v[128:129]
	v_add_f64 v[4:5], v[4:5], v[8:9]
	s_waitcnt vmcnt(2) lgkmcnt(1)
	v_mul_f64 v[8:9], v[106:107], v[50:51]
	v_mul_f64 v[134:135], v[104:105], v[50:51]
	v_fmac_f64_e32 v[132:133], v[102:103], v[44:45]
	v_add_f64 v[6:7], v[6:7], v[130:131]
	v_fma_f64 v[8:9], v[104:105], v[48:49], -v[8:9]
	s_waitcnt vmcnt(1) lgkmcnt(0)
	v_mul_f64 v[136:137], v[108:109], v[54:55]
	v_fmac_f64_e32 v[134:135], v[106:107], v[48:49]
	v_add_f64 v[6:7], v[6:7], v[132:133]
	v_add_f64 v[4:5], v[4:5], v[8:9]
	v_mul_f64 v[8:9], v[110:111], v[54:55]
	v_fmac_f64_e32 v[136:137], v[110:111], v[52:53]
	v_add_f64 v[6:7], v[6:7], v[134:135]
	v_fma_f64 v[8:9], v[108:109], v[52:53], -v[8:9]
	v_add_f64 v[6:7], v[6:7], v[136:137]
	v_add_f64 v[4:5], v[4:5], v[8:9]
	s_waitcnt vmcnt(0)
	v_add_f64 v[4:5], v[56:57], -v[4:5]
	v_add_f64 v[6:7], v[58:59], -v[6:7]
	scratch_store_dwordx4 off, v[4:7], off offset:240
	s_and_saveexec_b64 s[2:3], vcc
	s_cbranch_execz .LBB28_159
; %bb.158:
	scratch_load_dwordx4 v[6:9], off, s46
	v_mov_b32_e32 v3, v2
	v_mov_b32_e32 v4, v2
	;; [unrolled: 1-line block ×3, first 2 shown]
	scratch_store_dwordx4 off, v[2:5], off offset:224
	s_waitcnt vmcnt(1)
	ds_write_b128 v170, v[6:9]
.LBB28_159:
	s_or_b64 exec, exec, s[2:3]
	s_waitcnt lgkmcnt(0)
	; wave barrier
	scratch_load_dwordx4 v[4:7], off, off offset:240
	scratch_load_dwordx4 v[8:11], off, off offset:256
	;; [unrolled: 1-line block ×14, first 2 shown]
	ds_read_b128 v[60:63], v2 offset:704
	ds_read_b128 v[64:67], v2 offset:720
	;; [unrolled: 1-line block ×14, first 2 shown]
	scratch_load_dwordx4 v[116:119], off, off offset:224
	v_cmp_lt_u32_e32 vcc, 13, v1
	s_waitcnt vmcnt(14) lgkmcnt(13)
	v_mul_f64 v[2:3], v[60:61], v[6:7]
	s_waitcnt vmcnt(13) lgkmcnt(12)
	v_mul_f64 v[120:121], v[64:65], v[10:11]
	v_fmac_f64_e32 v[2:3], v[62:63], v[4:5]
	s_waitcnt vmcnt(12) lgkmcnt(11)
	v_mul_f64 v[122:123], v[68:69], v[14:15]
	v_fmac_f64_e32 v[120:121], v[66:67], v[8:9]
	v_add_f64 v[2:3], v[2:3], 0
	s_waitcnt vmcnt(11) lgkmcnt(10)
	v_mul_f64 v[124:125], v[72:73], v[18:19]
	v_fmac_f64_e32 v[122:123], v[70:71], v[12:13]
	v_add_f64 v[2:3], v[2:3], v[120:121]
	;; [unrolled: 4-line block ×4, first 2 shown]
	s_waitcnt vmcnt(8) lgkmcnt(7)
	v_mul_f64 v[130:131], v[84:85], v[30:31]
	v_mul_f64 v[6:7], v[62:63], v[6:7]
	v_fmac_f64_e32 v[128:129], v[82:83], v[24:25]
	v_add_f64 v[2:3], v[2:3], v[126:127]
	s_waitcnt vmcnt(7) lgkmcnt(6)
	v_mul_f64 v[132:133], v[88:89], v[34:35]
	v_mul_f64 v[10:11], v[66:67], v[10:11]
	v_fmac_f64_e32 v[130:131], v[86:87], v[28:29]
	v_fma_f64 v[4:5], v[60:61], v[4:5], -v[6:7]
	v_add_f64 v[2:3], v[2:3], v[128:129]
	s_waitcnt vmcnt(6) lgkmcnt(5)
	v_mul_f64 v[134:135], v[92:93], v[38:39]
	v_mul_f64 v[14:15], v[70:71], v[14:15]
	v_fmac_f64_e32 v[132:133], v[90:91], v[32:33]
	v_fma_f64 v[6:7], v[64:65], v[8:9], -v[10:11]
	v_add_f64 v[4:5], v[4:5], 0
	v_add_f64 v[2:3], v[2:3], v[130:131]
	s_waitcnt vmcnt(5) lgkmcnt(4)
	v_mul_f64 v[136:137], v[96:97], v[42:43]
	v_mul_f64 v[18:19], v[74:75], v[18:19]
	v_fmac_f64_e32 v[134:135], v[94:95], v[36:37]
	v_fma_f64 v[8:9], v[68:69], v[12:13], -v[14:15]
	v_add_f64 v[4:5], v[4:5], v[6:7]
	;; [unrolled: 7-line block ×6, first 2 shown]
	v_add_f64 v[2:3], v[2:3], v[140:141]
	v_fmac_f64_e32 v[144:145], v[114:115], v[56:57]
	v_fma_f64 v[18:19], v[88:89], v[32:33], -v[34:35]
	v_add_f64 v[4:5], v[4:5], v[16:17]
	v_add_f64 v[2:3], v[2:3], v[142:143]
	;; [unrolled: 1-line block ×4, first 2 shown]
	v_mul_f64 v[4:5], v[94:95], v[38:39]
	v_fma_f64 v[4:5], v[92:93], v[36:37], -v[4:5]
	v_add_f64 v[2:3], v[2:3], v[4:5]
	v_mul_f64 v[4:5], v[98:99], v[42:43]
	v_fma_f64 v[4:5], v[96:97], v[40:41], -v[4:5]
	v_add_f64 v[2:3], v[2:3], v[4:5]
	v_mul_f64 v[4:5], v[102:103], v[46:47]
	v_fma_f64 v[4:5], v[100:101], v[44:45], -v[4:5]
	v_add_f64 v[2:3], v[2:3], v[4:5]
	v_mul_f64 v[4:5], v[106:107], v[50:51]
	v_fma_f64 v[4:5], v[104:105], v[48:49], -v[4:5]
	v_add_f64 v[2:3], v[2:3], v[4:5]
	v_mul_f64 v[4:5], v[110:111], v[54:55]
	v_fma_f64 v[4:5], v[108:109], v[52:53], -v[4:5]
	v_add_f64 v[2:3], v[2:3], v[4:5]
	v_mul_f64 v[4:5], v[114:115], v[58:59]
	v_fma_f64 v[4:5], v[112:113], v[56:57], -v[4:5]
	v_add_f64 v[2:3], v[2:3], v[4:5]
	s_waitcnt vmcnt(0)
	v_add_f64 v[2:3], v[116:117], -v[2:3]
	v_add_f64 v[4:5], v[118:119], -v[6:7]
	scratch_store_dwordx4 off, v[2:5], off offset:224
	s_and_saveexec_b64 s[2:3], vcc
	s_cbranch_execz .LBB28_161
; %bb.160:
	scratch_load_dwordx4 v[2:5], off, s45
	v_mov_b32_e32 v6, 0
	v_mov_b32_e32 v7, v6
	;; [unrolled: 1-line block ×4, first 2 shown]
	scratch_store_dwordx4 off, v[6:9], off offset:208
	s_waitcnt vmcnt(1)
	ds_write_b128 v170, v[2:5]
.LBB28_161:
	s_or_b64 exec, exec, s[2:3]
	s_waitcnt lgkmcnt(0)
	; wave barrier
	scratch_load_dwordx4 v[4:7], off, off offset:224
	scratch_load_dwordx4 v[8:11], off, off offset:240
	;; [unrolled: 1-line block ×16, first 2 shown]
	v_mov_b32_e32 v2, 0
	ds_read_b128 v[68:71], v2 offset:688
	ds_read_b128 v[72:75], v2 offset:704
	;; [unrolled: 1-line block ×15, first 2 shown]
	v_cmp_lt_u32_e32 vcc, 12, v1
	s_waitcnt vmcnt(15) lgkmcnt(14)
	v_mul_f64 v[128:129], v[68:69], v[6:7]
	v_mul_f64 v[6:7], v[70:71], v[6:7]
	s_waitcnt vmcnt(14) lgkmcnt(13)
	v_mul_f64 v[130:131], v[72:73], v[10:11]
	v_mul_f64 v[10:11], v[74:75], v[10:11]
	v_fmac_f64_e32 v[128:129], v[70:71], v[4:5]
	v_fma_f64 v[4:5], v[68:69], v[4:5], -v[6:7]
	s_waitcnt vmcnt(13) lgkmcnt(12)
	v_mul_f64 v[132:133], v[76:77], v[14:15]
	v_mul_f64 v[14:15], v[78:79], v[14:15]
	v_fma_f64 v[6:7], v[72:73], v[8:9], -v[10:11]
	v_add_f64 v[4:5], v[4:5], 0
	s_waitcnt vmcnt(12) lgkmcnt(11)
	v_mul_f64 v[134:135], v[80:81], v[18:19]
	v_mul_f64 v[18:19], v[82:83], v[18:19]
	v_fmac_f64_e32 v[130:131], v[74:75], v[8:9]
	v_fma_f64 v[8:9], v[76:77], v[12:13], -v[14:15]
	v_add_f64 v[4:5], v[4:5], v[6:7]
	s_waitcnt vmcnt(11) lgkmcnt(10)
	v_mul_f64 v[136:137], v[84:85], v[22:23]
	v_mul_f64 v[22:23], v[86:87], v[22:23]
	v_fma_f64 v[10:11], v[80:81], v[16:17], -v[18:19]
	v_add_f64 v[4:5], v[4:5], v[8:9]
	s_waitcnt vmcnt(10) lgkmcnt(9)
	v_mul_f64 v[138:139], v[88:89], v[26:27]
	v_mul_f64 v[26:27], v[90:91], v[26:27]
	v_fmac_f64_e32 v[132:133], v[78:79], v[12:13]
	v_fma_f64 v[12:13], v[84:85], v[20:21], -v[22:23]
	v_add_f64 v[4:5], v[4:5], v[10:11]
	v_fma_f64 v[14:15], v[88:89], v[24:25], -v[26:27]
	v_add_f64 v[4:5], v[4:5], v[12:13]
	s_waitcnt vmcnt(9) lgkmcnt(8)
	v_mul_f64 v[8:9], v[94:95], v[30:31]
	v_add_f64 v[4:5], v[4:5], v[14:15]
	v_fma_f64 v[8:9], v[92:93], v[28:29], -v[8:9]
	v_add_f64 v[4:5], v[4:5], v[8:9]
	s_waitcnt vmcnt(8) lgkmcnt(7)
	v_mul_f64 v[8:9], v[98:99], v[34:35]
	v_fma_f64 v[8:9], v[96:97], v[32:33], -v[8:9]
	v_fmac_f64_e32 v[134:135], v[82:83], v[16:17]
	v_add_f64 v[16:17], v[128:129], 0
	v_add_f64 v[4:5], v[4:5], v[8:9]
	s_waitcnt vmcnt(7) lgkmcnt(6)
	v_mul_f64 v[8:9], v[102:103], v[38:39]
	v_add_f64 v[16:17], v[16:17], v[130:131]
	v_fma_f64 v[8:9], v[100:101], v[36:37], -v[8:9]
	v_add_f64 v[6:7], v[16:17], v[132:133]
	v_add_f64 v[4:5], v[4:5], v[8:9]
	s_waitcnt vmcnt(6) lgkmcnt(5)
	v_mul_f64 v[8:9], v[106:107], v[42:43]
	v_fmac_f64_e32 v[136:137], v[86:87], v[20:21]
	v_add_f64 v[6:7], v[6:7], v[134:135]
	v_fma_f64 v[8:9], v[104:105], v[40:41], -v[8:9]
	v_mul_f64 v[140:141], v[92:93], v[30:31]
	v_fmac_f64_e32 v[138:139], v[90:91], v[24:25]
	v_add_f64 v[6:7], v[6:7], v[136:137]
	v_add_f64 v[4:5], v[4:5], v[8:9]
	s_waitcnt vmcnt(5) lgkmcnt(4)
	v_mul_f64 v[8:9], v[110:111], v[46:47]
	v_mul_f64 v[142:143], v[96:97], v[34:35]
	v_fmac_f64_e32 v[140:141], v[94:95], v[28:29]
	v_add_f64 v[6:7], v[6:7], v[138:139]
	v_fma_f64 v[8:9], v[108:109], v[44:45], -v[8:9]
	v_mul_f64 v[144:145], v[100:101], v[38:39]
	v_fmac_f64_e32 v[142:143], v[98:99], v[32:33]
	v_add_f64 v[6:7], v[6:7], v[140:141]
	v_add_f64 v[4:5], v[4:5], v[8:9]
	s_waitcnt vmcnt(4) lgkmcnt(3)
	v_mul_f64 v[8:9], v[114:115], v[50:51]
	;; [unrolled: 10-line block ×4, first 2 shown]
	v_mul_f64 v[154:155], v[120:121], v[58:59]
	v_fmac_f64_e32 v[152:153], v[118:119], v[52:53]
	v_add_f64 v[6:7], v[6:7], v[150:151]
	v_fma_f64 v[8:9], v[120:121], v[56:57], -v[8:9]
	s_waitcnt vmcnt(1) lgkmcnt(0)
	v_mul_f64 v[156:157], v[124:125], v[62:63]
	v_fmac_f64_e32 v[154:155], v[122:123], v[56:57]
	v_add_f64 v[6:7], v[6:7], v[152:153]
	v_add_f64 v[4:5], v[4:5], v[8:9]
	v_mul_f64 v[8:9], v[126:127], v[62:63]
	v_fmac_f64_e32 v[156:157], v[126:127], v[60:61]
	v_add_f64 v[6:7], v[6:7], v[154:155]
	v_fma_f64 v[8:9], v[124:125], v[60:61], -v[8:9]
	v_add_f64 v[6:7], v[6:7], v[156:157]
	v_add_f64 v[4:5], v[4:5], v[8:9]
	s_waitcnt vmcnt(0)
	v_add_f64 v[4:5], v[64:65], -v[4:5]
	v_add_f64 v[6:7], v[66:67], -v[6:7]
	scratch_store_dwordx4 off, v[4:7], off offset:208
	s_and_saveexec_b64 s[2:3], vcc
	s_cbranch_execz .LBB28_163
; %bb.162:
	scratch_load_dwordx4 v[6:9], off, s44
	v_mov_b32_e32 v3, v2
	v_mov_b32_e32 v4, v2
	v_mov_b32_e32 v5, v2
	scratch_store_dwordx4 off, v[2:5], off offset:192
	s_waitcnt vmcnt(1)
	ds_write_b128 v170, v[6:9]
.LBB28_163:
	s_or_b64 exec, exec, s[2:3]
	s_waitcnt lgkmcnt(0)
	; wave barrier
	scratch_load_dwordx4 v[4:7], off, off offset:208
	scratch_load_dwordx4 v[8:11], off, off offset:224
	;; [unrolled: 1-line block ×16, first 2 shown]
	ds_read_b128 v[68:71], v2 offset:672
	ds_read_b128 v[72:75], v2 offset:688
	;; [unrolled: 1-line block ×16, first 2 shown]
	scratch_load_dwordx4 v[132:135], off, off offset:192
	v_cmp_lt_u32_e32 vcc, 11, v1
	s_waitcnt vmcnt(16) lgkmcnt(14)
	v_mul_f64 v[2:3], v[68:69], v[6:7]
	s_waitcnt vmcnt(15)
	v_mul_f64 v[136:137], v[72:73], v[10:11]
	v_fmac_f64_e32 v[2:3], v[70:71], v[4:5]
	s_waitcnt vmcnt(14) lgkmcnt(13)
	v_mul_f64 v[138:139], v[76:77], v[14:15]
	v_fmac_f64_e32 v[136:137], v[74:75], v[8:9]
	v_add_f64 v[2:3], v[2:3], 0
	s_waitcnt vmcnt(13) lgkmcnt(12)
	v_mul_f64 v[140:141], v[80:81], v[18:19]
	v_fmac_f64_e32 v[138:139], v[78:79], v[12:13]
	v_add_f64 v[2:3], v[2:3], v[136:137]
	;; [unrolled: 4-line block ×10, first 2 shown]
	s_waitcnt vmcnt(4) lgkmcnt(3)
	v_mul_f64 v[158:159], v[116:117], v[54:55]
	v_mul_f64 v[6:7], v[70:71], v[6:7]
	v_fmac_f64_e32 v[156:157], v[114:115], v[48:49]
	v_add_f64 v[2:3], v[2:3], v[154:155]
	s_waitcnt vmcnt(3) lgkmcnt(2)
	v_mul_f64 v[160:161], v[120:121], v[58:59]
	v_mul_f64 v[10:11], v[74:75], v[10:11]
	v_fmac_f64_e32 v[158:159], v[118:119], v[52:53]
	v_fma_f64 v[4:5], v[68:69], v[4:5], -v[6:7]
	v_add_f64 v[2:3], v[2:3], v[156:157]
	s_waitcnt vmcnt(2) lgkmcnt(1)
	v_mul_f64 v[162:163], v[124:125], v[62:63]
	v_mul_f64 v[14:15], v[78:79], v[14:15]
	v_fmac_f64_e32 v[160:161], v[122:123], v[56:57]
	v_fma_f64 v[6:7], v[72:73], v[8:9], -v[10:11]
	v_add_f64 v[4:5], v[4:5], 0
	v_add_f64 v[2:3], v[2:3], v[158:159]
	s_waitcnt vmcnt(1) lgkmcnt(0)
	v_mul_f64 v[164:165], v[128:129], v[66:67]
	v_mul_f64 v[18:19], v[82:83], v[18:19]
	v_fmac_f64_e32 v[162:163], v[126:127], v[60:61]
	v_fma_f64 v[8:9], v[76:77], v[12:13], -v[14:15]
	v_add_f64 v[4:5], v[4:5], v[6:7]
	v_add_f64 v[2:3], v[2:3], v[160:161]
	v_mul_f64 v[26:27], v[86:87], v[26:27]
	v_fmac_f64_e32 v[164:165], v[130:131], v[64:65]
	v_fma_f64 v[10:11], v[80:81], v[16:17], -v[18:19]
	v_add_f64 v[4:5], v[4:5], v[8:9]
	v_add_f64 v[2:3], v[2:3], v[162:163]
	v_fma_f64 v[12:13], v[84:85], v[24:25], -v[26:27]
	v_add_f64 v[4:5], v[4:5], v[10:11]
	v_add_f64 v[6:7], v[2:3], v[164:165]
	v_mul_f64 v[2:3], v[90:91], v[22:23]
	v_add_f64 v[4:5], v[4:5], v[12:13]
	v_fma_f64 v[2:3], v[88:89], v[20:21], -v[2:3]
	v_add_f64 v[2:3], v[4:5], v[2:3]
	v_mul_f64 v[4:5], v[94:95], v[30:31]
	v_fma_f64 v[4:5], v[92:93], v[28:29], -v[4:5]
	v_add_f64 v[2:3], v[2:3], v[4:5]
	v_mul_f64 v[4:5], v[98:99], v[34:35]
	;; [unrolled: 3-line block ×10, first 2 shown]
	v_fma_f64 v[4:5], v[128:129], v[64:65], -v[4:5]
	v_add_f64 v[2:3], v[2:3], v[4:5]
	s_waitcnt vmcnt(0)
	v_add_f64 v[2:3], v[132:133], -v[2:3]
	v_add_f64 v[4:5], v[134:135], -v[6:7]
	scratch_store_dwordx4 off, v[2:5], off offset:192
	s_and_saveexec_b64 s[2:3], vcc
	s_cbranch_execz .LBB28_165
; %bb.164:
	scratch_load_dwordx4 v[2:5], off, s28
	v_mov_b32_e32 v6, 0
	v_mov_b32_e32 v7, v6
	;; [unrolled: 1-line block ×4, first 2 shown]
	scratch_store_dwordx4 off, v[6:9], off offset:176
	s_waitcnt vmcnt(1)
	ds_write_b128 v170, v[2:5]
.LBB28_165:
	s_or_b64 exec, exec, s[2:3]
	s_waitcnt lgkmcnt(0)
	; wave barrier
	scratch_load_dwordx4 v[4:7], off, off offset:192
	scratch_load_dwordx4 v[8:11], off, off offset:208
	;; [unrolled: 1-line block ×18, first 2 shown]
	v_mov_b32_e32 v2, 0
	ds_read_b128 v[76:79], v2 offset:656
	ds_read_b128 v[80:83], v2 offset:672
	ds_read_b128 v[84:87], v2 offset:688
	ds_read_b128 v[88:91], v2 offset:704
	ds_read_b128 v[92:95], v2 offset:720
	ds_read_b128 v[96:99], v2 offset:736
	ds_read_b128 v[100:103], v2 offset:752
	ds_read_b128 v[104:107], v2 offset:768
	ds_read_b128 v[108:111], v2 offset:784
	ds_read_b128 v[112:115], v2 offset:800
	ds_read_b128 v[116:119], v2 offset:816
	ds_read_b128 v[120:123], v2 offset:832
	ds_read_b128 v[124:127], v2 offset:848
	ds_read_b128 v[128:131], v2 offset:864
	ds_read_b128 v[132:135], v2 offset:880
	ds_read_b128 v[136:139], v2 offset:896
	ds_read_b128 v[140:143], v2 offset:912
	v_cmp_lt_u32_e32 vcc, 10, v1
	s_waitcnt vmcnt(17) lgkmcnt(14)
	v_mul_f64 v[144:145], v[76:77], v[6:7]
	v_mul_f64 v[6:7], v[78:79], v[6:7]
	s_waitcnt vmcnt(16)
	v_mul_f64 v[146:147], v[80:81], v[10:11]
	v_mul_f64 v[10:11], v[82:83], v[10:11]
	v_fmac_f64_e32 v[144:145], v[78:79], v[4:5]
	v_fma_f64 v[4:5], v[76:77], v[4:5], -v[6:7]
	s_waitcnt vmcnt(15)
	v_mul_f64 v[148:149], v[84:85], v[18:19]
	v_mul_f64 v[18:19], v[86:87], v[18:19]
	v_fma_f64 v[6:7], v[80:81], v[8:9], -v[10:11]
	v_add_f64 v[4:5], v[4:5], 0
	s_waitcnt vmcnt(14) lgkmcnt(13)
	v_mul_f64 v[150:151], v[88:89], v[14:15]
	v_mul_f64 v[14:15], v[90:91], v[14:15]
	v_fmac_f64_e32 v[146:147], v[82:83], v[8:9]
	v_fma_f64 v[8:9], v[84:85], v[16:17], -v[18:19]
	v_add_f64 v[4:5], v[4:5], v[6:7]
	v_add_f64 v[4:5], v[4:5], v[8:9]
	v_fma_f64 v[8:9], v[88:89], v[12:13], -v[14:15]
	v_add_f64 v[4:5], v[4:5], v[8:9]
	s_waitcnt vmcnt(13) lgkmcnt(12)
	v_mul_f64 v[8:9], v[94:95], v[22:23]
	v_fma_f64 v[8:9], v[92:93], v[20:21], -v[8:9]
	v_add_f64 v[4:5], v[4:5], v[8:9]
	s_waitcnt vmcnt(12) lgkmcnt(11)
	v_mul_f64 v[8:9], v[98:99], v[26:27]
	;; [unrolled: 4-line block ×5, first 2 shown]
	v_fma_f64 v[8:9], v[108:109], v[36:37], -v[8:9]
	v_add_f64 v[10:11], v[144:145], 0
	v_add_f64 v[4:5], v[4:5], v[8:9]
	s_waitcnt vmcnt(8) lgkmcnt(7)
	v_mul_f64 v[8:9], v[114:115], v[42:43]
	v_fmac_f64_e32 v[148:149], v[86:87], v[16:17]
	v_add_f64 v[10:11], v[10:11], v[146:147]
	v_fma_f64 v[8:9], v[112:113], v[40:41], -v[8:9]
	v_mul_f64 v[152:153], v[92:93], v[22:23]
	v_fmac_f64_e32 v[150:151], v[90:91], v[12:13]
	v_add_f64 v[6:7], v[10:11], v[148:149]
	v_add_f64 v[4:5], v[4:5], v[8:9]
	s_waitcnt vmcnt(7) lgkmcnt(6)
	v_mul_f64 v[8:9], v[118:119], v[46:47]
	v_mul_f64 v[154:155], v[96:97], v[26:27]
	v_fmac_f64_e32 v[152:153], v[94:95], v[20:21]
	v_add_f64 v[6:7], v[6:7], v[150:151]
	v_fma_f64 v[8:9], v[116:117], v[44:45], -v[8:9]
	v_mul_f64 v[156:157], v[100:101], v[30:31]
	v_fmac_f64_e32 v[154:155], v[98:99], v[24:25]
	v_add_f64 v[6:7], v[6:7], v[152:153]
	v_add_f64 v[4:5], v[4:5], v[8:9]
	s_waitcnt vmcnt(6) lgkmcnt(5)
	v_mul_f64 v[8:9], v[122:123], v[50:51]
	;; [unrolled: 10-line block ×6, first 2 shown]
	v_mul_f64 v[176:177], v[136:137], v[66:67]
	v_fmac_f64_e32 v[174:175], v[134:135], v[60:61]
	v_add_f64 v[6:7], v[6:7], v[172:173]
	v_fma_f64 v[8:9], v[136:137], v[64:65], -v[8:9]
	s_waitcnt vmcnt(1) lgkmcnt(0)
	v_mul_f64 v[178:179], v[140:141], v[70:71]
	v_fmac_f64_e32 v[176:177], v[138:139], v[64:65]
	v_add_f64 v[6:7], v[6:7], v[174:175]
	v_add_f64 v[4:5], v[4:5], v[8:9]
	v_mul_f64 v[8:9], v[142:143], v[70:71]
	v_fmac_f64_e32 v[178:179], v[142:143], v[68:69]
	v_add_f64 v[6:7], v[6:7], v[176:177]
	v_fma_f64 v[8:9], v[140:141], v[68:69], -v[8:9]
	v_add_f64 v[6:7], v[6:7], v[178:179]
	v_add_f64 v[4:5], v[4:5], v[8:9]
	s_waitcnt vmcnt(0)
	v_add_f64 v[4:5], v[72:73], -v[4:5]
	v_add_f64 v[6:7], v[74:75], -v[6:7]
	scratch_store_dwordx4 off, v[4:7], off offset:176
	s_and_saveexec_b64 s[2:3], vcc
	s_cbranch_execz .LBB28_167
; %bb.166:
	scratch_load_dwordx4 v[6:9], off, s26
	v_mov_b32_e32 v3, v2
	v_mov_b32_e32 v4, v2
	;; [unrolled: 1-line block ×3, first 2 shown]
	scratch_store_dwordx4 off, v[2:5], off offset:160
	s_waitcnt vmcnt(1)
	ds_write_b128 v170, v[6:9]
.LBB28_167:
	s_or_b64 exec, exec, s[2:3]
	s_waitcnt lgkmcnt(0)
	; wave barrier
	scratch_load_dwordx4 v[4:7], off, off offset:176
	scratch_load_dwordx4 v[12:15], off, off offset:192
	;; [unrolled: 1-line block ×18, first 2 shown]
	ds_read_b128 v[76:79], v2 offset:640
	ds_read_b128 v[80:83], v2 offset:656
	ds_read_b128 v[84:87], v2 offset:672
	ds_read_b128 v[88:91], v2 offset:688
	ds_read_b128 v[92:95], v2 offset:704
	ds_read_b128 v[96:99], v2 offset:720
	ds_read_b128 v[100:103], v2 offset:736
	ds_read_b128 v[104:107], v2 offset:752
	ds_read_b128 v[108:111], v2 offset:768
	ds_read_b128 v[112:115], v2 offset:784
	ds_read_b128 v[116:119], v2 offset:800
	ds_read_b128 v[120:123], v2 offset:816
	ds_read_b128 v[124:127], v2 offset:832
	ds_read_b128 v[128:131], v2 offset:848
	ds_read_b128 v[132:135], v2 offset:864
	ds_read_b128 v[136:139], v2 offset:880
	ds_read_b128 v[140:143], v2 offset:896
	ds_read_b128 v[144:147], v2 offset:912
	scratch_load_dwordx4 v[148:151], off, off offset:160
	v_cmp_lt_u32_e32 vcc, 9, v1
	s_waitcnt vmcnt(18) lgkmcnt(14)
	v_mul_f64 v[2:3], v[76:77], v[6:7]
	s_waitcnt vmcnt(17)
	v_mul_f64 v[152:153], v[80:81], v[14:15]
	v_fmac_f64_e32 v[2:3], v[78:79], v[4:5]
	s_waitcnt vmcnt(16)
	v_mul_f64 v[154:155], v[84:85], v[10:11]
	v_fmac_f64_e32 v[152:153], v[82:83], v[12:13]
	v_add_f64 v[2:3], v[2:3], 0
	s_waitcnt vmcnt(15)
	v_mul_f64 v[156:157], v[88:89], v[18:19]
	v_fmac_f64_e32 v[154:155], v[86:87], v[8:9]
	v_add_f64 v[2:3], v[2:3], v[152:153]
	s_waitcnt vmcnt(14) lgkmcnt(13)
	v_mul_f64 v[158:159], v[92:93], v[22:23]
	v_fmac_f64_e32 v[156:157], v[90:91], v[16:17]
	v_add_f64 v[2:3], v[2:3], v[154:155]
	s_waitcnt vmcnt(13) lgkmcnt(12)
	;; [unrolled: 4-line block ×13, first 2 shown]
	v_mul_f64 v[184:185], v[140:141], v[70:71]
	v_mul_f64 v[6:7], v[78:79], v[6:7]
	v_fmac_f64_e32 v[182:183], v[138:139], v[64:65]
	v_add_f64 v[2:3], v[2:3], v[180:181]
	s_waitcnt vmcnt(1) lgkmcnt(0)
	v_mul_f64 v[186:187], v[144:145], v[74:75]
	v_mul_f64 v[14:15], v[82:83], v[14:15]
	v_fmac_f64_e32 v[184:185], v[142:143], v[68:69]
	v_fma_f64 v[4:5], v[76:77], v[4:5], -v[6:7]
	v_add_f64 v[2:3], v[2:3], v[182:183]
	v_mul_f64 v[10:11], v[86:87], v[10:11]
	v_fmac_f64_e32 v[186:187], v[146:147], v[72:73]
	v_fma_f64 v[6:7], v[80:81], v[12:13], -v[14:15]
	v_add_f64 v[4:5], v[4:5], 0
	v_add_f64 v[2:3], v[2:3], v[184:185]
	;; [unrolled: 1-line block ×4, first 2 shown]
	v_fma_f64 v[2:3], v[84:85], v[8:9], -v[10:11]
	v_add_f64 v[2:3], v[4:5], v[2:3]
	v_mul_f64 v[4:5], v[90:91], v[18:19]
	v_fma_f64 v[4:5], v[88:89], v[16:17], -v[4:5]
	v_add_f64 v[2:3], v[2:3], v[4:5]
	v_mul_f64 v[4:5], v[94:95], v[22:23]
	;; [unrolled: 3-line block ×15, first 2 shown]
	v_fma_f64 v[4:5], v[144:145], v[72:73], -v[4:5]
	v_add_f64 v[2:3], v[2:3], v[4:5]
	s_waitcnt vmcnt(0)
	v_add_f64 v[2:3], v[148:149], -v[2:3]
	v_add_f64 v[4:5], v[150:151], -v[6:7]
	scratch_store_dwordx4 off, v[2:5], off offset:160
	s_and_saveexec_b64 s[2:3], vcc
	s_cbranch_execz .LBB28_169
; %bb.168:
	scratch_load_dwordx4 v[2:5], off, s24
	v_mov_b32_e32 v6, 0
	v_mov_b32_e32 v7, v6
	;; [unrolled: 1-line block ×4, first 2 shown]
	scratch_store_dwordx4 off, v[6:9], off offset:144
	s_waitcnt vmcnt(1)
	ds_write_b128 v170, v[2:5]
.LBB28_169:
	s_or_b64 exec, exec, s[2:3]
	v_mov_b32_e32 v2, 0
	s_waitcnt lgkmcnt(0)
	; wave barrier
	ds_read_b128 v[16:19], v2 offset:624
	ds_read_b128 v[12:15], v2 offset:640
	;; [unrolled: 1-line block ×4, first 2 shown]
	scratch_load_dwordx4 v[20:23], off, off offset:160
	scratch_load_dwordx4 v[40:43], off, off offset:224
	;; [unrolled: 1-line block ×13, first 2 shown]
	v_cmp_lt_u32_e32 vcc, 8, v1
	scratch_load_dwordx4 v[48:51], off, off offset:240
	scratch_load_dwordx4 v[56:59], off, off offset:256
	;; [unrolled: 1-line block ×3, first 2 shown]
	s_waitcnt vmcnt(15) lgkmcnt(3)
	v_mul_f64 v[24:25], v[16:17], v[22:23]
	v_fmac_f64_e32 v[24:25], v[18:19], v[20:21]
	v_add_f64 v[28:29], v[24:25], 0
	scratch_load_dwordx4 v[24:27], off, off offset:176
	v_mul_f64 v[18:19], v[18:19], v[22:23]
	v_fma_f64 v[16:17], v[16:17], v[20:21], -v[18:19]
	v_add_f64 v[16:17], v[16:17], 0
	s_waitcnt vmcnt(0) lgkmcnt(2)
	v_mul_f64 v[30:31], v[12:13], v[26:27]
	v_fmac_f64_e32 v[30:31], v[14:15], v[24:25]
	v_add_f64 v[32:33], v[28:29], v[30:31]
	scratch_load_dwordx4 v[28:31], off, off offset:192
	v_mul_f64 v[14:15], v[14:15], v[26:27]
	v_fma_f64 v[12:13], v[12:13], v[24:25], -v[14:15]
	v_add_f64 v[12:13], v[16:17], v[12:13]
	;; [unrolled: 8-line block ×3, first 2 shown]
	s_waitcnt vmcnt(0) lgkmcnt(0)
	v_mul_f64 v[38:39], v[4:5], v[34:35]
	v_fmac_f64_e32 v[38:39], v[6:7], v[32:33]
	v_add_f64 v[44:45], v[36:37], v[38:39]
	ds_read_b128 v[36:39], v2 offset:688
	v_mul_f64 v[6:7], v[6:7], v[34:35]
	v_fma_f64 v[4:5], v[4:5], v[32:33], -v[6:7]
	v_add_f64 v[4:5], v[8:9], v[4:5]
	s_waitcnt lgkmcnt(0)
	v_mul_f64 v[46:47], v[36:37], v[42:43]
	v_fmac_f64_e32 v[46:47], v[38:39], v[40:41]
	v_add_f64 v[52:53], v[44:45], v[46:47]
	ds_read_b128 v[44:47], v2 offset:704
	v_mul_f64 v[6:7], v[38:39], v[42:43]
	v_fma_f64 v[6:7], v[36:37], v[40:41], -v[6:7]
	v_add_f64 v[4:5], v[4:5], v[6:7]
	s_waitcnt lgkmcnt(0)
	;; [unrolled: 8-line block ×15, first 2 shown]
	v_mul_f64 v[6:7], v[152:153], v[156:157]
	v_fma_f64 v[6:7], v[150:151], v[154:155], -v[6:7]
	v_add_f64 v[8:9], v[4:5], v[6:7]
	scratch_load_dwordx4 v[4:7], off, off offset:144
	v_mul_f64 v[158:159], v[150:151], v[156:157]
	v_fmac_f64_e32 v[158:159], v[152:153], v[154:155]
	v_add_f64 v[88:89], v[88:89], v[158:159]
	s_waitcnt vmcnt(0)
	v_add_f64 v[4:5], v[4:5], -v[8:9]
	v_add_f64 v[6:7], v[6:7], -v[88:89]
	scratch_store_dwordx4 off, v[4:7], off offset:144
	s_and_saveexec_b64 s[2:3], vcc
	s_cbranch_execz .LBB28_171
; %bb.170:
	scratch_load_dwordx4 v[6:9], off, s17
	v_mov_b32_e32 v3, v2
	v_mov_b32_e32 v4, v2
	;; [unrolled: 1-line block ×3, first 2 shown]
	scratch_store_dwordx4 off, v[2:5], off offset:128
	s_waitcnt vmcnt(1)
	ds_write_b128 v170, v[6:9]
.LBB28_171:
	s_or_b64 exec, exec, s[2:3]
	s_waitcnt lgkmcnt(0)
	; wave barrier
	ds_read_b128 v[16:19], v2 offset:608
	ds_read_b128 v[12:15], v2 offset:624
	;; [unrolled: 1-line block ×4, first 2 shown]
	scratch_load_dwordx4 v[20:23], off, off offset:144
	scratch_load_dwordx4 v[40:43], off, off offset:208
	;; [unrolled: 1-line block ×14, first 2 shown]
	v_cmp_lt_u32_e32 vcc, 7, v1
	scratch_load_dwordx4 v[48:51], off, off offset:224
	scratch_load_dwordx4 v[56:59], off, off offset:240
	;; [unrolled: 1-line block ×3, first 2 shown]
	s_waitcnt vmcnt(16) lgkmcnt(3)
	v_mul_f64 v[24:25], v[16:17], v[22:23]
	v_fmac_f64_e32 v[24:25], v[18:19], v[20:21]
	v_add_f64 v[28:29], v[24:25], 0
	scratch_load_dwordx4 v[24:27], off, off offset:160
	s_waitcnt vmcnt(0) lgkmcnt(2)
	v_mul_f64 v[30:31], v[12:13], v[26:27]
	v_fmac_f64_e32 v[30:31], v[14:15], v[24:25]
	v_add_f64 v[32:33], v[28:29], v[30:31]
	scratch_load_dwordx4 v[28:31], off, off offset:176
	v_mul_f64 v[14:15], v[14:15], v[26:27]
	v_fma_f64 v[12:13], v[12:13], v[24:25], -v[14:15]
	s_waitcnt vmcnt(0) lgkmcnt(1)
	v_mul_f64 v[34:35], v[8:9], v[30:31]
	v_fmac_f64_e32 v[34:35], v[10:11], v[28:29]
	v_add_f64 v[36:37], v[32:33], v[34:35]
	scratch_load_dwordx4 v[32:35], off, off offset:192
	v_mul_f64 v[10:11], v[10:11], v[30:31]
	v_fma_f64 v[8:9], v[8:9], v[28:29], -v[10:11]
	s_waitcnt vmcnt(0) lgkmcnt(0)
	v_mul_f64 v[38:39], v[4:5], v[34:35]
	v_fmac_f64_e32 v[38:39], v[6:7], v[32:33]
	v_add_f64 v[44:45], v[36:37], v[38:39]
	ds_read_b128 v[36:39], v2 offset:672
	v_mul_f64 v[6:7], v[6:7], v[34:35]
	v_fma_f64 v[4:5], v[4:5], v[32:33], -v[6:7]
	s_waitcnt lgkmcnt(0)
	v_mul_f64 v[46:47], v[36:37], v[42:43]
	v_fmac_f64_e32 v[46:47], v[38:39], v[40:41]
	v_add_f64 v[52:53], v[44:45], v[46:47]
	ds_read_b128 v[44:47], v2 offset:688
	s_waitcnt lgkmcnt(0)
	v_mul_f64 v[54:55], v[44:45], v[50:51]
	v_fmac_f64_e32 v[54:55], v[46:47], v[48:49]
	v_add_f64 v[60:61], v[52:53], v[54:55]
	ds_read_b128 v[52:55], v2 offset:704
	;; [unrolled: 5-line block ×15, first 2 shown]
	s_waitcnt lgkmcnt(0)
	v_mul_f64 v[2:3], v[158:159], v[164:165]
	v_fmac_f64_e32 v[2:3], v[160:161], v[162:163]
	v_add_f64 v[96:97], v[96:97], v[2:3]
	v_mul_f64 v[2:3], v[18:19], v[22:23]
	v_fma_f64 v[2:3], v[16:17], v[20:21], -v[2:3]
	v_add_f64 v[2:3], v[2:3], 0
	v_add_f64 v[2:3], v[2:3], v[12:13]
	;; [unrolled: 1-line block ×4, first 2 shown]
	v_mul_f64 v[4:5], v[38:39], v[42:43]
	v_fma_f64 v[4:5], v[36:37], v[40:41], -v[4:5]
	v_add_f64 v[2:3], v[2:3], v[4:5]
	v_mul_f64 v[4:5], v[46:47], v[50:51]
	v_fma_f64 v[4:5], v[44:45], v[48:49], -v[4:5]
	v_add_f64 v[2:3], v[2:3], v[4:5]
	;; [unrolled: 3-line block ×16, first 2 shown]
	scratch_load_dwordx4 v[2:5], off, off offset:128
	s_waitcnt vmcnt(0)
	v_add_f64 v[2:3], v[2:3], -v[6:7]
	v_add_f64 v[4:5], v[4:5], -v[96:97]
	scratch_store_dwordx4 off, v[2:5], off offset:128
	s_and_saveexec_b64 s[2:3], vcc
	s_cbranch_execz .LBB28_173
; %bb.172:
	scratch_load_dwordx4 v[2:5], off, s27
	v_mov_b32_e32 v6, 0
	v_mov_b32_e32 v7, v6
	;; [unrolled: 1-line block ×4, first 2 shown]
	scratch_store_dwordx4 off, v[6:9], off offset:112
	s_waitcnt vmcnt(1)
	ds_write_b128 v170, v[2:5]
.LBB28_173:
	s_or_b64 exec, exec, s[2:3]
	v_mov_b32_e32 v2, 0
	s_waitcnt lgkmcnt(0)
	; wave barrier
	ds_read_b128 v[16:19], v2 offset:592
	ds_read_b128 v[12:15], v2 offset:608
	;; [unrolled: 1-line block ×4, first 2 shown]
	scratch_load_dwordx4 v[20:23], off, off offset:128
	scratch_load_dwordx4 v[40:43], off, off offset:192
	;; [unrolled: 1-line block ×15, first 2 shown]
	v_cmp_lt_u32_e32 vcc, 6, v1
	scratch_load_dwordx4 v[48:51], off, off offset:208
	scratch_load_dwordx4 v[56:59], off, off offset:224
	;; [unrolled: 1-line block ×3, first 2 shown]
	s_waitcnt vmcnt(17) lgkmcnt(3)
	v_mul_f64 v[24:25], v[16:17], v[22:23]
	v_fmac_f64_e32 v[24:25], v[18:19], v[20:21]
	v_add_f64 v[28:29], v[24:25], 0
	scratch_load_dwordx4 v[24:27], off, off offset:144
	v_mul_f64 v[18:19], v[18:19], v[22:23]
	v_fma_f64 v[16:17], v[16:17], v[20:21], -v[18:19]
	v_add_f64 v[16:17], v[16:17], 0
	s_waitcnt vmcnt(0) lgkmcnt(2)
	v_mul_f64 v[30:31], v[12:13], v[26:27]
	v_fmac_f64_e32 v[30:31], v[14:15], v[24:25]
	v_add_f64 v[32:33], v[28:29], v[30:31]
	scratch_load_dwordx4 v[28:31], off, off offset:160
	v_mul_f64 v[14:15], v[14:15], v[26:27]
	v_fma_f64 v[12:13], v[12:13], v[24:25], -v[14:15]
	v_add_f64 v[12:13], v[16:17], v[12:13]
	;; [unrolled: 8-line block ×3, first 2 shown]
	s_waitcnt vmcnt(0) lgkmcnt(0)
	v_mul_f64 v[38:39], v[4:5], v[34:35]
	v_fmac_f64_e32 v[38:39], v[6:7], v[32:33]
	v_add_f64 v[44:45], v[36:37], v[38:39]
	ds_read_b128 v[36:39], v2 offset:656
	v_mul_f64 v[6:7], v[6:7], v[34:35]
	v_fma_f64 v[4:5], v[4:5], v[32:33], -v[6:7]
	v_add_f64 v[4:5], v[8:9], v[4:5]
	s_waitcnt lgkmcnt(0)
	v_mul_f64 v[46:47], v[36:37], v[42:43]
	v_fmac_f64_e32 v[46:47], v[38:39], v[40:41]
	v_add_f64 v[52:53], v[44:45], v[46:47]
	ds_read_b128 v[44:47], v2 offset:672
	v_mul_f64 v[6:7], v[38:39], v[42:43]
	v_fma_f64 v[6:7], v[36:37], v[40:41], -v[6:7]
	v_add_f64 v[4:5], v[4:5], v[6:7]
	s_waitcnt lgkmcnt(0)
	;; [unrolled: 8-line block ×17, first 2 shown]
	v_mul_f64 v[6:7], v[168:169], v[174:175]
	v_fma_f64 v[6:7], v[166:167], v[172:173], -v[6:7]
	v_add_f64 v[8:9], v[4:5], v[6:7]
	scratch_load_dwordx4 v[4:7], off, off offset:112
	v_mul_f64 v[176:177], v[166:167], v[174:175]
	v_fmac_f64_e32 v[176:177], v[168:169], v[172:173]
	v_add_f64 v[104:105], v[104:105], v[176:177]
	s_waitcnt vmcnt(0)
	v_add_f64 v[4:5], v[4:5], -v[8:9]
	v_add_f64 v[6:7], v[6:7], -v[104:105]
	scratch_store_dwordx4 off, v[4:7], off offset:112
	s_and_saveexec_b64 s[2:3], vcc
	s_cbranch_execz .LBB28_175
; %bb.174:
	scratch_load_dwordx4 v[6:9], off, s25
	v_mov_b32_e32 v3, v2
	v_mov_b32_e32 v4, v2
	v_mov_b32_e32 v5, v2
	scratch_store_dwordx4 off, v[2:5], off offset:96
	s_waitcnt vmcnt(1)
	ds_write_b128 v170, v[6:9]
.LBB28_175:
	s_or_b64 exec, exec, s[2:3]
	s_waitcnt lgkmcnt(0)
	; wave barrier
	ds_read_b128 v[16:19], v2 offset:576
	ds_read_b128 v[12:15], v2 offset:592
	;; [unrolled: 1-line block ×4, first 2 shown]
	scratch_load_dwordx4 v[20:23], off, off offset:112
	scratch_load_dwordx4 v[40:43], off, off offset:176
	;; [unrolled: 1-line block ×16, first 2 shown]
	v_cmp_lt_u32_e32 vcc, 5, v1
	scratch_load_dwordx4 v[48:51], off, off offset:192
	scratch_load_dwordx4 v[56:59], off, off offset:208
	;; [unrolled: 1-line block ×3, first 2 shown]
	ds_read_b128 v[234:237], v2 offset:912
	s_waitcnt vmcnt(18) lgkmcnt(4)
	v_mul_f64 v[24:25], v[16:17], v[22:23]
	v_fmac_f64_e32 v[24:25], v[18:19], v[20:21]
	v_add_f64 v[28:29], v[24:25], 0
	scratch_load_dwordx4 v[24:27], off, off offset:128
	s_waitcnt vmcnt(0) lgkmcnt(3)
	v_mul_f64 v[30:31], v[12:13], v[26:27]
	v_fmac_f64_e32 v[30:31], v[14:15], v[24:25]
	v_add_f64 v[32:33], v[28:29], v[30:31]
	scratch_load_dwordx4 v[28:31], off, off offset:144
	v_mul_f64 v[14:15], v[14:15], v[26:27]
	v_fma_f64 v[12:13], v[12:13], v[24:25], -v[14:15]
	s_waitcnt vmcnt(0) lgkmcnt(2)
	v_mul_f64 v[34:35], v[8:9], v[30:31]
	v_fmac_f64_e32 v[34:35], v[10:11], v[28:29]
	v_add_f64 v[36:37], v[32:33], v[34:35]
	scratch_load_dwordx4 v[32:35], off, off offset:160
	v_mul_f64 v[10:11], v[10:11], v[30:31]
	v_fma_f64 v[8:9], v[8:9], v[28:29], -v[10:11]
	s_waitcnt vmcnt(0) lgkmcnt(1)
	v_mul_f64 v[38:39], v[4:5], v[34:35]
	v_fmac_f64_e32 v[38:39], v[6:7], v[32:33]
	v_add_f64 v[44:45], v[36:37], v[38:39]
	ds_read_b128 v[36:39], v2 offset:640
	v_mul_f64 v[6:7], v[6:7], v[34:35]
	v_fma_f64 v[4:5], v[4:5], v[32:33], -v[6:7]
	s_waitcnt lgkmcnt(0)
	v_mul_f64 v[46:47], v[36:37], v[42:43]
	v_fmac_f64_e32 v[46:47], v[38:39], v[40:41]
	v_add_f64 v[52:53], v[44:45], v[46:47]
	ds_read_b128 v[44:47], v2 offset:656
	s_waitcnt lgkmcnt(0)
	v_mul_f64 v[54:55], v[44:45], v[50:51]
	v_fmac_f64_e32 v[54:55], v[46:47], v[48:49]
	v_add_f64 v[60:61], v[52:53], v[54:55]
	ds_read_b128 v[52:55], v2 offset:672
	;; [unrolled: 5-line block ×16, first 2 shown]
	v_mul_f64 v[2:3], v[234:235], v[240:241]
	v_fmac_f64_e32 v[2:3], v[236:237], v[238:239]
	s_waitcnt lgkmcnt(0)
	v_mul_f64 v[176:177], v[166:167], v[174:175]
	v_fmac_f64_e32 v[176:177], v[168:169], v[172:173]
	v_add_f64 v[120:121], v[120:121], v[176:177]
	v_add_f64 v[120:121], v[120:121], v[2:3]
	v_mul_f64 v[2:3], v[18:19], v[22:23]
	v_fma_f64 v[2:3], v[16:17], v[20:21], -v[2:3]
	v_add_f64 v[2:3], v[2:3], 0
	v_add_f64 v[2:3], v[2:3], v[12:13]
	;; [unrolled: 1-line block ×4, first 2 shown]
	v_mul_f64 v[4:5], v[38:39], v[42:43]
	v_fma_f64 v[4:5], v[36:37], v[40:41], -v[4:5]
	v_add_f64 v[2:3], v[2:3], v[4:5]
	v_mul_f64 v[4:5], v[46:47], v[50:51]
	v_fma_f64 v[4:5], v[44:45], v[48:49], -v[4:5]
	v_add_f64 v[2:3], v[2:3], v[4:5]
	v_mul_f64 v[4:5], v[54:55], v[58:59]
	v_fma_f64 v[4:5], v[52:53], v[56:57], -v[4:5]
	v_add_f64 v[2:3], v[2:3], v[4:5]
	v_mul_f64 v[4:5], v[62:63], v[66:67]
	v_fma_f64 v[4:5], v[60:61], v[64:65], -v[4:5]
	v_add_f64 v[2:3], v[2:3], v[4:5]
	v_mul_f64 v[4:5], v[70:71], v[74:75]
	v_fma_f64 v[4:5], v[68:69], v[72:73], -v[4:5]
	v_add_f64 v[2:3], v[2:3], v[4:5]
	v_mul_f64 v[4:5], v[78:79], v[82:83]
	v_fma_f64 v[4:5], v[76:77], v[80:81], -v[4:5]
	v_add_f64 v[2:3], v[2:3], v[4:5]
	v_mul_f64 v[4:5], v[86:87], v[90:91]
	v_fma_f64 v[4:5], v[84:85], v[88:89], -v[4:5]
	v_add_f64 v[2:3], v[2:3], v[4:5]
	v_mul_f64 v[4:5], v[94:95], v[98:99]
	v_fma_f64 v[4:5], v[92:93], v[96:97], -v[4:5]
	v_add_f64 v[2:3], v[2:3], v[4:5]
	v_mul_f64 v[4:5], v[102:103], v[106:107]
	v_fma_f64 v[4:5], v[100:101], v[104:105], -v[4:5]
	v_add_f64 v[2:3], v[2:3], v[4:5]
	v_mul_f64 v[4:5], v[110:111], v[114:115]
	v_fma_f64 v[4:5], v[108:109], v[112:113], -v[4:5]
	v_add_f64 v[2:3], v[2:3], v[4:5]
	v_mul_f64 v[4:5], v[118:119], v[124:125]
	v_fma_f64 v[4:5], v[116:117], v[122:123], -v[4:5]
	v_add_f64 v[2:3], v[2:3], v[4:5]
	v_mul_f64 v[4:5], v[128:129], v[132:133]
	v_fma_f64 v[4:5], v[126:127], v[130:131], -v[4:5]
	v_add_f64 v[2:3], v[2:3], v[4:5]
	v_mul_f64 v[4:5], v[136:137], v[140:141]
	v_fma_f64 v[4:5], v[134:135], v[138:139], -v[4:5]
	v_add_f64 v[2:3], v[2:3], v[4:5]
	v_mul_f64 v[4:5], v[144:145], v[148:149]
	v_fma_f64 v[4:5], v[142:143], v[146:147], -v[4:5]
	v_add_f64 v[2:3], v[2:3], v[4:5]
	v_mul_f64 v[4:5], v[152:153], v[156:157]
	v_fma_f64 v[4:5], v[150:151], v[154:155], -v[4:5]
	v_add_f64 v[2:3], v[2:3], v[4:5]
	v_mul_f64 v[4:5], v[160:161], v[164:165]
	v_fma_f64 v[4:5], v[158:159], v[162:163], -v[4:5]
	v_add_f64 v[2:3], v[2:3], v[4:5]
	v_mul_f64 v[4:5], v[168:169], v[174:175]
	v_fma_f64 v[4:5], v[166:167], v[172:173], -v[4:5]
	v_add_f64 v[2:3], v[2:3], v[4:5]
	v_mul_f64 v[4:5], v[236:237], v[240:241]
	v_fma_f64 v[4:5], v[234:235], v[238:239], -v[4:5]
	v_add_f64 v[6:7], v[2:3], v[4:5]
	scratch_load_dwordx4 v[2:5], off, off offset:96
	s_waitcnt vmcnt(0)
	v_add_f64 v[2:3], v[2:3], -v[6:7]
	v_add_f64 v[4:5], v[4:5], -v[120:121]
	scratch_store_dwordx4 off, v[2:5], off offset:96
	s_and_saveexec_b64 s[2:3], vcc
	s_cbranch_execz .LBB28_177
; %bb.176:
	scratch_load_dwordx4 v[2:5], off, s19
	v_mov_b32_e32 v6, 0
	v_mov_b32_e32 v7, v6
	;; [unrolled: 1-line block ×4, first 2 shown]
	scratch_store_dwordx4 off, v[6:9], off offset:80
	s_waitcnt vmcnt(1)
	ds_write_b128 v170, v[2:5]
.LBB28_177:
	s_or_b64 exec, exec, s[2:3]
	v_mov_b32_e32 v2, 0
	s_waitcnt lgkmcnt(0)
	; wave barrier
	ds_read_b128 v[16:19], v2 offset:560
	ds_read_b128 v[12:15], v2 offset:576
	;; [unrolled: 1-line block ×4, first 2 shown]
	scratch_load_dwordx4 v[20:23], off, off offset:96
	scratch_load_dwordx4 v[40:43], off, off offset:160
	;; [unrolled: 1-line block ×17, first 2 shown]
	v_cmp_lt_u32_e32 vcc, 4, v1
	scratch_load_dwordx4 v[48:51], off, off offset:176
	scratch_load_dwordx4 v[56:59], off, off offset:192
	;; [unrolled: 1-line block ×3, first 2 shown]
	ds_read_b128 v[234:237], v2 offset:896
	ds_read_b128 v[242:245], v2 offset:912
	s_waitcnt vmcnt(19) lgkmcnt(5)
	v_mul_f64 v[24:25], v[16:17], v[22:23]
	v_fmac_f64_e32 v[24:25], v[18:19], v[20:21]
	v_add_f64 v[28:29], v[24:25], 0
	scratch_load_dwordx4 v[24:27], off, off offset:112
	v_mul_f64 v[18:19], v[18:19], v[22:23]
	v_fma_f64 v[16:17], v[16:17], v[20:21], -v[18:19]
	v_add_f64 v[16:17], v[16:17], 0
	s_waitcnt vmcnt(0) lgkmcnt(4)
	v_mul_f64 v[30:31], v[12:13], v[26:27]
	v_fmac_f64_e32 v[30:31], v[14:15], v[24:25]
	v_add_f64 v[32:33], v[28:29], v[30:31]
	scratch_load_dwordx4 v[28:31], off, off offset:128
	v_mul_f64 v[14:15], v[14:15], v[26:27]
	v_fma_f64 v[12:13], v[12:13], v[24:25], -v[14:15]
	v_add_f64 v[12:13], v[16:17], v[12:13]
	;; [unrolled: 8-line block ×3, first 2 shown]
	s_waitcnt vmcnt(0) lgkmcnt(2)
	v_mul_f64 v[38:39], v[4:5], v[34:35]
	v_fmac_f64_e32 v[38:39], v[6:7], v[32:33]
	v_add_f64 v[44:45], v[36:37], v[38:39]
	ds_read_b128 v[36:39], v2 offset:624
	v_mul_f64 v[6:7], v[6:7], v[34:35]
	v_fma_f64 v[4:5], v[4:5], v[32:33], -v[6:7]
	v_add_f64 v[4:5], v[8:9], v[4:5]
	s_waitcnt lgkmcnt(0)
	v_mul_f64 v[46:47], v[36:37], v[42:43]
	v_fmac_f64_e32 v[46:47], v[38:39], v[40:41]
	v_add_f64 v[52:53], v[44:45], v[46:47]
	ds_read_b128 v[44:47], v2 offset:640
	v_mul_f64 v[6:7], v[38:39], v[42:43]
	v_fma_f64 v[6:7], v[36:37], v[40:41], -v[6:7]
	v_add_f64 v[4:5], v[4:5], v[6:7]
	s_waitcnt lgkmcnt(0)
	v_mul_f64 v[54:55], v[44:45], v[50:51]
	v_fmac_f64_e32 v[54:55], v[46:47], v[48:49]
	v_add_f64 v[60:61], v[52:53], v[54:55]
	ds_read_b128 v[52:55], v2 offset:656
	v_mul_f64 v[6:7], v[46:47], v[50:51]
	v_fma_f64 v[6:7], v[44:45], v[48:49], -v[6:7]
	v_add_f64 v[4:5], v[4:5], v[6:7]
	s_waitcnt lgkmcnt(0)
	v_mul_f64 v[62:63], v[52:53], v[58:59]
	v_fmac_f64_e32 v[62:63], v[54:55], v[56:57]
	v_add_f64 v[68:69], v[60:61], v[62:63]
	ds_read_b128 v[60:63], v2 offset:672
	v_mul_f64 v[6:7], v[54:55], v[58:59]
	v_fma_f64 v[6:7], v[52:53], v[56:57], -v[6:7]
	v_add_f64 v[4:5], v[4:5], v[6:7]
	s_waitcnt lgkmcnt(0)
	v_mul_f64 v[70:71], v[60:61], v[66:67]
	v_fmac_f64_e32 v[70:71], v[62:63], v[64:65]
	v_add_f64 v[76:77], v[68:69], v[70:71]
	ds_read_b128 v[68:71], v2 offset:688
	v_mul_f64 v[6:7], v[62:63], v[66:67]
	v_fma_f64 v[6:7], v[60:61], v[64:65], -v[6:7]
	v_add_f64 v[4:5], v[4:5], v[6:7]
	s_waitcnt lgkmcnt(0)
	v_mul_f64 v[78:79], v[68:69], v[74:75]
	v_fmac_f64_e32 v[78:79], v[70:71], v[72:73]
	v_add_f64 v[84:85], v[76:77], v[78:79]
	ds_read_b128 v[76:79], v2 offset:704
	v_mul_f64 v[6:7], v[70:71], v[74:75]
	v_fma_f64 v[6:7], v[68:69], v[72:73], -v[6:7]
	v_add_f64 v[4:5], v[4:5], v[6:7]
	s_waitcnt lgkmcnt(0)
	v_mul_f64 v[86:87], v[76:77], v[82:83]
	v_fmac_f64_e32 v[86:87], v[78:79], v[80:81]
	v_add_f64 v[92:93], v[84:85], v[86:87]
	ds_read_b128 v[84:87], v2 offset:720
	v_mul_f64 v[6:7], v[78:79], v[82:83]
	v_fma_f64 v[6:7], v[76:77], v[80:81], -v[6:7]
	v_add_f64 v[4:5], v[4:5], v[6:7]
	s_waitcnt lgkmcnt(0)
	v_mul_f64 v[94:95], v[84:85], v[90:91]
	v_fmac_f64_e32 v[94:95], v[86:87], v[88:89]
	v_add_f64 v[100:101], v[92:93], v[94:95]
	ds_read_b128 v[92:95], v2 offset:736
	v_mul_f64 v[6:7], v[86:87], v[90:91]
	v_fma_f64 v[6:7], v[84:85], v[88:89], -v[6:7]
	v_add_f64 v[4:5], v[4:5], v[6:7]
	s_waitcnt lgkmcnt(0)
	v_mul_f64 v[102:103], v[92:93], v[98:99]
	v_fmac_f64_e32 v[102:103], v[94:95], v[96:97]
	v_add_f64 v[108:109], v[100:101], v[102:103]
	ds_read_b128 v[100:103], v2 offset:752
	v_mul_f64 v[6:7], v[94:95], v[98:99]
	v_fma_f64 v[6:7], v[92:93], v[96:97], -v[6:7]
	v_add_f64 v[4:5], v[4:5], v[6:7]
	s_waitcnt lgkmcnt(0)
	v_mul_f64 v[110:111], v[100:101], v[106:107]
	v_fmac_f64_e32 v[110:111], v[102:103], v[104:105]
	v_add_f64 v[116:117], v[108:109], v[110:111]
	ds_read_b128 v[108:111], v2 offset:768
	v_mul_f64 v[6:7], v[102:103], v[106:107]
	v_fma_f64 v[6:7], v[100:101], v[104:105], -v[6:7]
	v_add_f64 v[4:5], v[4:5], v[6:7]
	s_waitcnt lgkmcnt(0)
	v_mul_f64 v[118:119], v[108:109], v[114:115]
	v_fmac_f64_e32 v[118:119], v[110:111], v[112:113]
	v_add_f64 v[124:125], v[116:117], v[118:119]
	ds_read_b128 v[116:119], v2 offset:784
	v_mul_f64 v[6:7], v[110:111], v[114:115]
	v_fma_f64 v[6:7], v[108:109], v[112:113], -v[6:7]
	v_add_f64 v[4:5], v[4:5], v[6:7]
	s_waitcnt lgkmcnt(0)
	v_mul_f64 v[126:127], v[116:117], v[122:123]
	v_fmac_f64_e32 v[126:127], v[118:119], v[120:121]
	v_add_f64 v[128:129], v[124:125], v[126:127]
	ds_read_b128 v[124:127], v2 offset:800
	v_mul_f64 v[6:7], v[118:119], v[122:123]
	v_fma_f64 v[6:7], v[116:117], v[120:121], -v[6:7]
	v_add_f64 v[4:5], v[4:5], v[6:7]
	s_waitcnt lgkmcnt(0)
	v_mul_f64 v[134:135], v[124:125], v[132:133]
	v_fmac_f64_e32 v[134:135], v[126:127], v[130:131]
	v_add_f64 v[128:129], v[128:129], v[134:135]
	ds_read_b128 v[134:137], v2 offset:816
	v_mul_f64 v[6:7], v[126:127], v[132:133]
	v_fma_f64 v[6:7], v[124:125], v[130:131], -v[6:7]
	v_add_f64 v[4:5], v[4:5], v[6:7]
	s_waitcnt lgkmcnt(0)
	v_mul_f64 v[142:143], v[134:135], v[140:141]
	v_fmac_f64_e32 v[142:143], v[136:137], v[138:139]
	v_add_f64 v[128:129], v[128:129], v[142:143]
	ds_read_b128 v[142:145], v2 offset:832
	v_mul_f64 v[6:7], v[136:137], v[140:141]
	v_fma_f64 v[6:7], v[134:135], v[138:139], -v[6:7]
	v_add_f64 v[4:5], v[4:5], v[6:7]
	s_waitcnt lgkmcnt(0)
	v_mul_f64 v[150:151], v[142:143], v[148:149]
	v_fmac_f64_e32 v[150:151], v[144:145], v[146:147]
	v_add_f64 v[128:129], v[128:129], v[150:151]
	ds_read_b128 v[150:153], v2 offset:848
	v_mul_f64 v[6:7], v[144:145], v[148:149]
	v_fma_f64 v[6:7], v[142:143], v[146:147], -v[6:7]
	v_add_f64 v[4:5], v[4:5], v[6:7]
	s_waitcnt lgkmcnt(0)
	v_mul_f64 v[158:159], v[150:151], v[156:157]
	v_fmac_f64_e32 v[158:159], v[152:153], v[154:155]
	v_add_f64 v[128:129], v[128:129], v[158:159]
	ds_read_b128 v[158:161], v2 offset:864
	v_mul_f64 v[6:7], v[152:153], v[156:157]
	v_fma_f64 v[6:7], v[150:151], v[154:155], -v[6:7]
	v_add_f64 v[4:5], v[4:5], v[6:7]
	s_waitcnt lgkmcnt(0)
	v_mul_f64 v[166:167], v[158:159], v[164:165]
	v_fmac_f64_e32 v[166:167], v[160:161], v[162:163]
	v_add_f64 v[128:129], v[128:129], v[166:167]
	ds_read_b128 v[166:169], v2 offset:880
	v_mul_f64 v[6:7], v[160:161], v[164:165]
	v_fma_f64 v[6:7], v[158:159], v[162:163], -v[6:7]
	v_add_f64 v[4:5], v[4:5], v[6:7]
	s_waitcnt lgkmcnt(0)
	v_mul_f64 v[6:7], v[168:169], v[174:175]
	v_fma_f64 v[6:7], v[166:167], v[172:173], -v[6:7]
	v_add_f64 v[4:5], v[4:5], v[6:7]
	v_mul_f64 v[6:7], v[236:237], v[240:241]
	v_fma_f64 v[6:7], v[234:235], v[238:239], -v[6:7]
	v_add_f64 v[4:5], v[4:5], v[6:7]
	;; [unrolled: 3-line block ×3, first 2 shown]
	scratch_load_dwordx4 v[4:7], off, off offset:80
	v_mul_f64 v[176:177], v[166:167], v[174:175]
	v_fmac_f64_e32 v[176:177], v[168:169], v[172:173]
	v_add_f64 v[128:129], v[128:129], v[176:177]
	v_mul_f64 v[176:177], v[234:235], v[240:241]
	v_fmac_f64_e32 v[176:177], v[236:237], v[238:239]
	v_add_f64 v[128:129], v[128:129], v[176:177]
	;; [unrolled: 3-line block ×3, first 2 shown]
	s_waitcnt vmcnt(0)
	v_add_f64 v[4:5], v[4:5], -v[8:9]
	v_add_f64 v[6:7], v[6:7], -v[128:129]
	scratch_store_dwordx4 off, v[4:7], off offset:80
	s_and_saveexec_b64 s[2:3], vcc
	s_cbranch_execz .LBB28_179
; %bb.178:
	scratch_load_dwordx4 v[6:9], off, s16
	v_mov_b32_e32 v3, v2
	v_mov_b32_e32 v4, v2
	;; [unrolled: 1-line block ×3, first 2 shown]
	scratch_store_dwordx4 off, v[2:5], off offset:64
	s_waitcnt vmcnt(1)
	ds_write_b128 v170, v[6:9]
.LBB28_179:
	s_or_b64 exec, exec, s[2:3]
	s_waitcnt lgkmcnt(0)
	; wave barrier
	ds_read_b128 v[16:19], v2 offset:544
	ds_read_b128 v[12:15], v2 offset:560
	;; [unrolled: 1-line block ×4, first 2 shown]
	scratch_load_dwordx4 v[20:23], off, off offset:80
	scratch_load_dwordx4 v[40:43], off, off offset:144
	;; [unrolled: 1-line block ×17, first 2 shown]
	v_cmp_lt_u32_e32 vcc, 3, v1
	scratch_load_dwordx4 v[48:51], off, off offset:160
	scratch_load_dwordx4 v[56:59], off, off offset:176
	;; [unrolled: 1-line block ×3, first 2 shown]
	ds_read_b128 v[234:237], v2 offset:880
	ds_read_b128 v[242:245], v2 offset:896
	ds_read_b128 v[250:253], v2 offset:912
	s_waitcnt vmcnt(19) lgkmcnt(6)
	v_mul_f64 v[24:25], v[16:17], v[22:23]
	v_fmac_f64_e32 v[24:25], v[18:19], v[20:21]
	v_add_f64 v[28:29], v[24:25], 0
	scratch_load_dwordx4 v[24:27], off, off offset:96
	s_waitcnt vmcnt(0) lgkmcnt(5)
	v_mul_f64 v[30:31], v[12:13], v[26:27]
	v_fmac_f64_e32 v[30:31], v[14:15], v[24:25]
	v_add_f64 v[32:33], v[28:29], v[30:31]
	scratch_load_dwordx4 v[28:31], off, off offset:112
	v_mul_f64 v[14:15], v[14:15], v[26:27]
	v_fma_f64 v[12:13], v[12:13], v[24:25], -v[14:15]
	s_waitcnt vmcnt(0) lgkmcnt(4)
	v_mul_f64 v[34:35], v[8:9], v[30:31]
	v_fmac_f64_e32 v[34:35], v[10:11], v[28:29]
	v_add_f64 v[36:37], v[32:33], v[34:35]
	scratch_load_dwordx4 v[32:35], off, off offset:128
	v_mul_f64 v[10:11], v[10:11], v[30:31]
	v_fma_f64 v[8:9], v[8:9], v[28:29], -v[10:11]
	s_waitcnt vmcnt(0) lgkmcnt(3)
	v_mul_f64 v[38:39], v[4:5], v[34:35]
	v_fmac_f64_e32 v[38:39], v[6:7], v[32:33]
	v_add_f64 v[44:45], v[36:37], v[38:39]
	ds_read_b128 v[36:39], v2 offset:608
	v_mul_f64 v[6:7], v[6:7], v[34:35]
	v_fma_f64 v[4:5], v[4:5], v[32:33], -v[6:7]
	s_waitcnt lgkmcnt(0)
	v_mul_f64 v[46:47], v[36:37], v[42:43]
	v_fmac_f64_e32 v[46:47], v[38:39], v[40:41]
	v_add_f64 v[52:53], v[44:45], v[46:47]
	ds_read_b128 v[44:47], v2 offset:624
	s_waitcnt lgkmcnt(0)
	v_mul_f64 v[54:55], v[44:45], v[50:51]
	v_fmac_f64_e32 v[54:55], v[46:47], v[48:49]
	v_add_f64 v[60:61], v[52:53], v[54:55]
	ds_read_b128 v[52:55], v2 offset:640
	;; [unrolled: 5-line block ×16, first 2 shown]
	s_waitcnt lgkmcnt(0)
	v_mul_f64 v[176:177], v[166:167], v[174:175]
	v_fmac_f64_e32 v[176:177], v[168:169], v[172:173]
	v_add_f64 v[148:149], v[148:149], v[176:177]
	v_mul_f64 v[176:177], v[234:235], v[240:241]
	v_fmac_f64_e32 v[176:177], v[236:237], v[238:239]
	v_add_f64 v[148:149], v[148:149], v[176:177]
	;; [unrolled: 3-line block ×3, first 2 shown]
	scratch_load_dwordx4 v[176:179], off, off offset:448
	s_waitcnt vmcnt(0)
	v_mul_f64 v[2:3], v[250:251], v[178:179]
	v_fmac_f64_e32 v[2:3], v[252:253], v[176:177]
	v_add_f64 v[148:149], v[148:149], v[2:3]
	v_mul_f64 v[2:3], v[18:19], v[22:23]
	v_fma_f64 v[2:3], v[16:17], v[20:21], -v[2:3]
	v_add_f64 v[2:3], v[2:3], 0
	v_add_f64 v[2:3], v[2:3], v[12:13]
	;; [unrolled: 1-line block ×4, first 2 shown]
	v_mul_f64 v[4:5], v[38:39], v[42:43]
	v_fma_f64 v[4:5], v[36:37], v[40:41], -v[4:5]
	v_add_f64 v[2:3], v[2:3], v[4:5]
	v_mul_f64 v[4:5], v[46:47], v[50:51]
	v_fma_f64 v[4:5], v[44:45], v[48:49], -v[4:5]
	v_add_f64 v[2:3], v[2:3], v[4:5]
	v_mul_f64 v[4:5], v[54:55], v[58:59]
	v_fma_f64 v[4:5], v[52:53], v[56:57], -v[4:5]
	v_add_f64 v[2:3], v[2:3], v[4:5]
	v_mul_f64 v[4:5], v[62:63], v[66:67]
	v_fma_f64 v[4:5], v[60:61], v[64:65], -v[4:5]
	v_add_f64 v[2:3], v[2:3], v[4:5]
	v_mul_f64 v[4:5], v[70:71], v[74:75]
	v_fma_f64 v[4:5], v[68:69], v[72:73], -v[4:5]
	v_add_f64 v[2:3], v[2:3], v[4:5]
	v_mul_f64 v[4:5], v[78:79], v[82:83]
	v_fma_f64 v[4:5], v[76:77], v[80:81], -v[4:5]
	v_add_f64 v[2:3], v[2:3], v[4:5]
	v_mul_f64 v[4:5], v[86:87], v[90:91]
	v_fma_f64 v[4:5], v[84:85], v[88:89], -v[4:5]
	v_add_f64 v[2:3], v[2:3], v[4:5]
	v_mul_f64 v[4:5], v[94:95], v[98:99]
	v_fma_f64 v[4:5], v[92:93], v[96:97], -v[4:5]
	v_add_f64 v[2:3], v[2:3], v[4:5]
	v_mul_f64 v[4:5], v[102:103], v[106:107]
	v_fma_f64 v[4:5], v[100:101], v[104:105], -v[4:5]
	v_add_f64 v[2:3], v[2:3], v[4:5]
	v_mul_f64 v[4:5], v[110:111], v[114:115]
	v_fma_f64 v[4:5], v[108:109], v[112:113], -v[4:5]
	v_add_f64 v[2:3], v[2:3], v[4:5]
	v_mul_f64 v[4:5], v[118:119], v[122:123]
	v_fma_f64 v[4:5], v[116:117], v[120:121], -v[4:5]
	v_add_f64 v[2:3], v[2:3], v[4:5]
	v_mul_f64 v[4:5], v[126:127], v[130:131]
	v_fma_f64 v[4:5], v[124:125], v[128:129], -v[4:5]
	v_add_f64 v[2:3], v[2:3], v[4:5]
	v_mul_f64 v[4:5], v[134:135], v[138:139]
	v_fma_f64 v[4:5], v[132:133], v[136:137], -v[4:5]
	v_add_f64 v[2:3], v[2:3], v[4:5]
	v_mul_f64 v[4:5], v[142:143], v[146:147]
	v_fma_f64 v[4:5], v[140:141], v[144:145], -v[4:5]
	v_add_f64 v[2:3], v[2:3], v[4:5]
	v_mul_f64 v[4:5], v[152:153], v[156:157]
	v_fma_f64 v[4:5], v[150:151], v[154:155], -v[4:5]
	v_add_f64 v[2:3], v[2:3], v[4:5]
	v_mul_f64 v[4:5], v[160:161], v[164:165]
	v_fma_f64 v[4:5], v[158:159], v[162:163], -v[4:5]
	v_add_f64 v[2:3], v[2:3], v[4:5]
	v_mul_f64 v[4:5], v[168:169], v[174:175]
	v_fma_f64 v[4:5], v[166:167], v[172:173], -v[4:5]
	v_add_f64 v[2:3], v[2:3], v[4:5]
	v_mul_f64 v[4:5], v[236:237], v[240:241]
	v_fma_f64 v[4:5], v[234:235], v[238:239], -v[4:5]
	v_add_f64 v[2:3], v[2:3], v[4:5]
	v_mul_f64 v[4:5], v[244:245], v[248:249]
	v_fma_f64 v[4:5], v[242:243], v[246:247], -v[4:5]
	v_add_f64 v[2:3], v[2:3], v[4:5]
	v_mul_f64 v[4:5], v[252:253], v[178:179]
	v_fma_f64 v[4:5], v[250:251], v[176:177], -v[4:5]
	v_add_f64 v[6:7], v[2:3], v[4:5]
	scratch_load_dwordx4 v[2:5], off, off offset:64
	s_waitcnt vmcnt(0)
	v_add_f64 v[2:3], v[2:3], -v[6:7]
	v_add_f64 v[4:5], v[4:5], -v[148:149]
	scratch_store_dwordx4 off, v[2:5], off offset:64
	s_and_saveexec_b64 s[2:3], vcc
	s_cbranch_execz .LBB28_181
; %bb.180:
	scratch_load_dwordx4 v[2:5], off, s15
	v_mov_b32_e32 v6, 0
	v_mov_b32_e32 v7, v6
	;; [unrolled: 1-line block ×4, first 2 shown]
	scratch_store_dwordx4 off, v[6:9], off offset:48
	s_waitcnt vmcnt(1)
	ds_write_b128 v170, v[2:5]
.LBB28_181:
	s_or_b64 exec, exec, s[2:3]
	v_mov_b32_e32 v2, 0
	s_waitcnt lgkmcnt(0)
	; wave barrier
	ds_read_b128 v[16:19], v2 offset:528
	ds_read_b128 v[12:15], v2 offset:544
	ds_read_b128 v[8:11], v2 offset:560
	ds_read_b128 v[4:7], v2 offset:576
	scratch_load_dwordx4 v[20:23], off, off offset:64
	scratch_load_dwordx4 v[40:43], off, off offset:128
	scratch_load_dwordx4 v[72:75], off, off offset:192
	scratch_load_dwordx4 v[80:83], off, off offset:208
	scratch_load_dwordx4 v[88:91], off, off offset:224
	scratch_load_dwordx4 v[96:99], off, off offset:240
	scratch_load_dwordx4 v[104:107], off, off offset:256
	scratch_load_dwordx4 v[112:115], off, off offset:272
	scratch_load_dwordx4 v[120:123], off, off offset:288
	scratch_load_dwordx4 v[128:131], off, off offset:304
	scratch_load_dwordx4 v[136:139], off, off offset:320
	scratch_load_dwordx4 v[146:149], off, off offset:336
	scratch_load_dwordx4 v[154:157], off, off offset:352
	scratch_load_dwordx4 v[162:165], off, off offset:368
	scratch_load_dwordx4 v[172:175], off, off offset:384
	scratch_load_dwordx4 v[234:237], off, off offset:400
	scratch_load_dwordx4 v[242:245], off, off offset:416
	scratch_load_dwordx4 v[250:253], off, off offset:432
	scratch_load_dwordx4 v[184:187], off, off offset:448
	v_cmp_lt_u32_e32 vcc, 2, v1
	scratch_load_dwordx4 v[48:51], off, off offset:144
	scratch_load_dwordx4 v[56:59], off, off offset:160
	scratch_load_dwordx4 v[64:67], off, off offset:176
	ds_read_b128 v[238:241], v2 offset:880
	ds_read_b128 v[246:249], v2 offset:896
	s_waitcnt vmcnt(21) lgkmcnt(5)
	v_mul_f64 v[24:25], v[16:17], v[22:23]
	v_fmac_f64_e32 v[24:25], v[18:19], v[20:21]
	v_add_f64 v[28:29], v[24:25], 0
	scratch_load_dwordx4 v[24:27], off, off offset:80
	v_mul_f64 v[18:19], v[18:19], v[22:23]
	v_fma_f64 v[16:17], v[16:17], v[20:21], -v[18:19]
	v_add_f64 v[16:17], v[16:17], 0
	s_waitcnt vmcnt(0) lgkmcnt(4)
	v_mul_f64 v[30:31], v[12:13], v[26:27]
	v_fmac_f64_e32 v[30:31], v[14:15], v[24:25]
	v_add_f64 v[32:33], v[28:29], v[30:31]
	scratch_load_dwordx4 v[28:31], off, off offset:96
	v_mul_f64 v[14:15], v[14:15], v[26:27]
	v_fma_f64 v[12:13], v[12:13], v[24:25], -v[14:15]
	v_add_f64 v[12:13], v[16:17], v[12:13]
	;; [unrolled: 8-line block ×3, first 2 shown]
	s_waitcnt vmcnt(0) lgkmcnt(2)
	v_mul_f64 v[38:39], v[4:5], v[34:35]
	v_fmac_f64_e32 v[38:39], v[6:7], v[32:33]
	v_add_f64 v[44:45], v[36:37], v[38:39]
	ds_read_b128 v[36:39], v2 offset:592
	v_mul_f64 v[6:7], v[6:7], v[34:35]
	v_fma_f64 v[4:5], v[4:5], v[32:33], -v[6:7]
	v_add_f64 v[4:5], v[8:9], v[4:5]
	s_waitcnt lgkmcnt(0)
	v_mul_f64 v[46:47], v[36:37], v[42:43]
	v_fmac_f64_e32 v[46:47], v[38:39], v[40:41]
	v_add_f64 v[52:53], v[44:45], v[46:47]
	ds_read_b128 v[44:47], v2 offset:608
	v_mul_f64 v[6:7], v[38:39], v[42:43]
	v_fma_f64 v[6:7], v[36:37], v[40:41], -v[6:7]
	v_add_f64 v[4:5], v[4:5], v[6:7]
	s_waitcnt lgkmcnt(0)
	;; [unrolled: 8-line block ×18, first 2 shown]
	v_mul_f64 v[180:181], v[176:177], v[236:237]
	v_fmac_f64_e32 v[180:181], v[178:179], v[234:235]
	v_add_f64 v[144:145], v[144:145], v[180:181]
	v_mul_f64 v[180:181], v[238:239], v[244:245]
	v_fmac_f64_e32 v[180:181], v[240:241], v[242:243]
	v_add_f64 v[144:145], v[144:145], v[180:181]
	v_mul_f64 v[180:181], v[246:247], v[252:253]
	v_fmac_f64_e32 v[180:181], v[248:249], v[250:251]
	v_mul_f64 v[6:7], v[178:179], v[236:237]
	v_add_f64 v[144:145], v[144:145], v[180:181]
	ds_read_b128 v[180:183], v2 offset:912
	v_fma_f64 v[6:7], v[176:177], v[234:235], -v[6:7]
	v_add_f64 v[4:5], v[4:5], v[6:7]
	v_mul_f64 v[6:7], v[240:241], v[244:245]
	v_fma_f64 v[6:7], v[238:239], v[242:243], -v[6:7]
	v_add_f64 v[4:5], v[4:5], v[6:7]
	v_mul_f64 v[6:7], v[248:249], v[252:253]
	v_fma_f64 v[6:7], v[246:247], v[250:251], -v[6:7]
	v_add_f64 v[4:5], v[4:5], v[6:7]
	s_waitcnt lgkmcnt(0)
	v_mul_f64 v[6:7], v[182:183], v[186:187]
	v_fma_f64 v[6:7], v[180:181], v[184:185], -v[6:7]
	v_add_f64 v[8:9], v[4:5], v[6:7]
	scratch_load_dwordx4 v[4:7], off, off offset:48
	v_mul_f64 v[188:189], v[180:181], v[186:187]
	v_fmac_f64_e32 v[188:189], v[182:183], v[184:185]
	v_add_f64 v[144:145], v[144:145], v[188:189]
	s_waitcnt vmcnt(0)
	v_add_f64 v[4:5], v[4:5], -v[8:9]
	v_add_f64 v[6:7], v[6:7], -v[144:145]
	scratch_store_dwordx4 off, v[4:7], off offset:48
	s_and_saveexec_b64 s[2:3], vcc
	s_cbranch_execz .LBB28_183
; %bb.182:
	scratch_load_dwordx4 v[6:9], off, s14
	v_mov_b32_e32 v3, v2
	v_mov_b32_e32 v4, v2
	v_mov_b32_e32 v5, v2
	scratch_store_dwordx4 off, v[2:5], off offset:32
	s_waitcnt vmcnt(1)
	ds_write_b128 v170, v[6:9]
.LBB28_183:
	s_or_b64 exec, exec, s[2:3]
	s_waitcnt lgkmcnt(0)
	; wave barrier
	ds_read_b128 v[16:19], v2 offset:512
	ds_read_b128 v[12:15], v2 offset:528
	;; [unrolled: 1-line block ×4, first 2 shown]
	scratch_load_dwordx4 v[20:23], off, off offset:48
	scratch_load_dwordx4 v[40:43], off, off offset:112
	;; [unrolled: 1-line block ×20, first 2 shown]
	v_cmp_lt_u32_e32 vcc, 1, v1
	scratch_load_dwordx4 v[48:51], off, off offset:128
	scratch_load_dwordx4 v[56:59], off, off offset:144
	;; [unrolled: 1-line block ×3, first 2 shown]
	ds_read_b128 v[238:241], v2 offset:880
	ds_read_b128 v[246:249], v2 offset:896
	s_waitcnt vmcnt(22) lgkmcnt(5)
	v_mul_f64 v[24:25], v[16:17], v[22:23]
	v_fmac_f64_e32 v[24:25], v[18:19], v[20:21]
	v_add_f64 v[28:29], v[24:25], 0
	scratch_load_dwordx4 v[24:27], off, off offset:64
	s_waitcnt vmcnt(0) lgkmcnt(4)
	v_mul_f64 v[30:31], v[12:13], v[26:27]
	v_fmac_f64_e32 v[30:31], v[14:15], v[24:25]
	v_add_f64 v[32:33], v[28:29], v[30:31]
	scratch_load_dwordx4 v[28:31], off, off offset:80
	v_mul_f64 v[14:15], v[14:15], v[26:27]
	v_fma_f64 v[12:13], v[12:13], v[24:25], -v[14:15]
	s_waitcnt vmcnt(0) lgkmcnt(3)
	v_mul_f64 v[34:35], v[8:9], v[30:31]
	v_fmac_f64_e32 v[34:35], v[10:11], v[28:29]
	v_add_f64 v[36:37], v[32:33], v[34:35]
	scratch_load_dwordx4 v[32:35], off, off offset:96
	v_mul_f64 v[10:11], v[10:11], v[30:31]
	v_fma_f64 v[8:9], v[8:9], v[28:29], -v[10:11]
	s_waitcnt vmcnt(0) lgkmcnt(2)
	v_mul_f64 v[38:39], v[4:5], v[34:35]
	v_fmac_f64_e32 v[38:39], v[6:7], v[32:33]
	v_add_f64 v[44:45], v[36:37], v[38:39]
	ds_read_b128 v[36:39], v2 offset:576
	v_mul_f64 v[6:7], v[6:7], v[34:35]
	v_fma_f64 v[4:5], v[4:5], v[32:33], -v[6:7]
	s_waitcnt lgkmcnt(0)
	v_mul_f64 v[46:47], v[36:37], v[42:43]
	v_fmac_f64_e32 v[46:47], v[38:39], v[40:41]
	v_add_f64 v[52:53], v[44:45], v[46:47]
	ds_read_b128 v[44:47], v2 offset:592
	s_waitcnt lgkmcnt(0)
	v_mul_f64 v[54:55], v[44:45], v[50:51]
	v_fmac_f64_e32 v[54:55], v[46:47], v[48:49]
	v_add_f64 v[60:61], v[52:53], v[54:55]
	ds_read_b128 v[52:55], v2 offset:608
	;; [unrolled: 5-line block ×18, first 2 shown]
	s_waitcnt lgkmcnt(0)
	v_mul_f64 v[188:189], v[184:185], v[236:237]
	v_fmac_f64_e32 v[188:189], v[186:187], v[234:235]
	v_add_f64 v[168:169], v[168:169], v[188:189]
	v_mul_f64 v[188:189], v[238:239], v[244:245]
	v_fmac_f64_e32 v[188:189], v[240:241], v[242:243]
	v_add_f64 v[168:169], v[168:169], v[188:189]
	;; [unrolled: 3-line block ×3, first 2 shown]
	ds_read_b128 v[188:191], v2 offset:912
	s_waitcnt lgkmcnt(0)
	v_mul_f64 v[2:3], v[188:189], v[194:195]
	v_fmac_f64_e32 v[2:3], v[190:191], v[192:193]
	v_add_f64 v[168:169], v[168:169], v[2:3]
	v_mul_f64 v[2:3], v[18:19], v[22:23]
	v_fma_f64 v[2:3], v[16:17], v[20:21], -v[2:3]
	v_add_f64 v[2:3], v[2:3], 0
	v_add_f64 v[2:3], v[2:3], v[12:13]
	;; [unrolled: 1-line block ×4, first 2 shown]
	v_mul_f64 v[4:5], v[38:39], v[42:43]
	v_fma_f64 v[4:5], v[36:37], v[40:41], -v[4:5]
	v_add_f64 v[2:3], v[2:3], v[4:5]
	v_mul_f64 v[4:5], v[46:47], v[50:51]
	v_fma_f64 v[4:5], v[44:45], v[48:49], -v[4:5]
	v_add_f64 v[2:3], v[2:3], v[4:5]
	;; [unrolled: 3-line block ×22, first 2 shown]
	scratch_load_dwordx4 v[2:5], off, off offset:32
	s_waitcnt vmcnt(0)
	v_add_f64 v[2:3], v[2:3], -v[6:7]
	v_add_f64 v[4:5], v[4:5], -v[168:169]
	scratch_store_dwordx4 off, v[2:5], off offset:32
	s_and_saveexec_b64 s[2:3], vcc
	s_cbranch_execz .LBB28_185
; %bb.184:
	scratch_load_dwordx4 v[2:5], off, s18
	v_mov_b32_e32 v6, 0
	v_mov_b32_e32 v7, v6
	;; [unrolled: 1-line block ×4, first 2 shown]
	scratch_store_dwordx4 off, v[6:9], off offset:16
	s_waitcnt vmcnt(1)
	ds_write_b128 v170, v[2:5]
.LBB28_185:
	s_or_b64 exec, exec, s[2:3]
	v_mov_b32_e32 v2, 0
	s_waitcnt lgkmcnt(0)
	; wave barrier
	ds_read_b128 v[16:19], v2 offset:496
	ds_read_b128 v[12:15], v2 offset:512
	;; [unrolled: 1-line block ×4, first 2 shown]
	scratch_load_dwordx4 v[20:23], off, off offset:32
	scratch_load_dwordx4 v[40:43], off, off offset:96
	;; [unrolled: 1-line block ×21, first 2 shown]
	v_cmp_ne_u32_e32 vcc, 0, v1
	scratch_load_dwordx4 v[48:51], off, off offset:112
	scratch_load_dwordx4 v[56:59], off, off offset:128
	;; [unrolled: 1-line block ×3, first 2 shown]
	ds_read_b128 v[238:241], v2 offset:880
	ds_read_b128 v[246:249], v2 offset:896
	s_waitcnt vmcnt(23) lgkmcnt(5)
	v_mul_f64 v[24:25], v[16:17], v[22:23]
	v_fmac_f64_e32 v[24:25], v[18:19], v[20:21]
	v_add_f64 v[28:29], v[24:25], 0
	scratch_load_dwordx4 v[24:27], off, off offset:48
	v_mul_f64 v[18:19], v[18:19], v[22:23]
	v_fma_f64 v[16:17], v[16:17], v[20:21], -v[18:19]
	v_add_f64 v[16:17], v[16:17], 0
	s_waitcnt vmcnt(0) lgkmcnt(4)
	v_mul_f64 v[30:31], v[12:13], v[26:27]
	v_fmac_f64_e32 v[30:31], v[14:15], v[24:25]
	v_add_f64 v[32:33], v[28:29], v[30:31]
	scratch_load_dwordx4 v[28:31], off, off offset:64
	v_mul_f64 v[14:15], v[14:15], v[26:27]
	v_fma_f64 v[12:13], v[12:13], v[24:25], -v[14:15]
	v_add_f64 v[12:13], v[16:17], v[12:13]
	s_waitcnt vmcnt(0) lgkmcnt(3)
	v_mul_f64 v[34:35], v[8:9], v[30:31]
	v_fmac_f64_e32 v[34:35], v[10:11], v[28:29]
	v_add_f64 v[36:37], v[32:33], v[34:35]
	scratch_load_dwordx4 v[32:35], off, off offset:80
	v_mul_f64 v[10:11], v[10:11], v[30:31]
	v_fma_f64 v[8:9], v[8:9], v[28:29], -v[10:11]
	v_add_f64 v[8:9], v[12:13], v[8:9]
	s_waitcnt vmcnt(0) lgkmcnt(2)
	v_mul_f64 v[38:39], v[4:5], v[34:35]
	v_fmac_f64_e32 v[38:39], v[6:7], v[32:33]
	v_add_f64 v[44:45], v[36:37], v[38:39]
	ds_read_b128 v[36:39], v2 offset:560
	v_mul_f64 v[6:7], v[6:7], v[34:35]
	v_fma_f64 v[4:5], v[4:5], v[32:33], -v[6:7]
	v_add_f64 v[4:5], v[8:9], v[4:5]
	s_waitcnt lgkmcnt(0)
	v_mul_f64 v[46:47], v[36:37], v[42:43]
	v_fmac_f64_e32 v[46:47], v[38:39], v[40:41]
	v_add_f64 v[52:53], v[44:45], v[46:47]
	ds_read_b128 v[44:47], v2 offset:576
	v_mul_f64 v[6:7], v[38:39], v[42:43]
	v_fma_f64 v[6:7], v[36:37], v[40:41], -v[6:7]
	v_add_f64 v[4:5], v[4:5], v[6:7]
	s_waitcnt lgkmcnt(0)
	;; [unrolled: 8-line block ×20, first 2 shown]
	v_mul_f64 v[196:197], v[192:193], v[236:237]
	v_fmac_f64_e32 v[196:197], v[194:195], v[234:235]
	v_add_f64 v[160:161], v[160:161], v[196:197]
	v_mul_f64 v[196:197], v[238:239], v[244:245]
	v_fmac_f64_e32 v[196:197], v[240:241], v[242:243]
	v_add_f64 v[160:161], v[160:161], v[196:197]
	v_mul_f64 v[196:197], v[246:247], v[252:253]
	v_fmac_f64_e32 v[196:197], v[248:249], v[250:251]
	v_mul_f64 v[6:7], v[194:195], v[236:237]
	v_add_f64 v[160:161], v[160:161], v[196:197]
	ds_read_b128 v[196:199], v2 offset:912
	v_fma_f64 v[6:7], v[192:193], v[234:235], -v[6:7]
	v_add_f64 v[4:5], v[4:5], v[6:7]
	v_mul_f64 v[6:7], v[240:241], v[244:245]
	v_fma_f64 v[6:7], v[238:239], v[242:243], -v[6:7]
	v_add_f64 v[4:5], v[4:5], v[6:7]
	v_mul_f64 v[6:7], v[248:249], v[252:253]
	v_fma_f64 v[6:7], v[246:247], v[250:251], -v[6:7]
	v_add_f64 v[4:5], v[4:5], v[6:7]
	s_waitcnt lgkmcnt(0)
	v_mul_f64 v[6:7], v[198:199], v[202:203]
	v_fma_f64 v[6:7], v[196:197], v[200:201], -v[6:7]
	v_add_f64 v[8:9], v[4:5], v[6:7]
	scratch_load_dwordx4 v[4:7], off, off offset:16
	v_mul_f64 v[204:205], v[196:197], v[202:203]
	v_fmac_f64_e32 v[204:205], v[198:199], v[200:201]
	v_add_f64 v[160:161], v[160:161], v[204:205]
	s_waitcnt vmcnt(0)
	v_add_f64 v[4:5], v[4:5], -v[8:9]
	v_add_f64 v[6:7], v[6:7], -v[160:161]
	scratch_store_dwordx4 off, v[4:7], off offset:16
	s_and_saveexec_b64 s[2:3], vcc
	s_cbranch_execz .LBB28_187
; %bb.186:
	scratch_load_dwordx4 v[6:9], off, off
	v_mov_b32_e32 v3, v2
	v_mov_b32_e32 v4, v2
	;; [unrolled: 1-line block ×3, first 2 shown]
	scratch_store_dwordx4 off, v[2:5], off
	s_waitcnt vmcnt(1)
	ds_write_b128 v170, v[6:9]
.LBB28_187:
	s_or_b64 exec, exec, s[2:3]
	s_waitcnt lgkmcnt(0)
	; wave barrier
	ds_read_b128 v[16:19], v2 offset:480
	ds_read_b128 v[12:15], v2 offset:496
	ds_read_b128 v[8:11], v2 offset:512
	ds_read_b128 v[4:7], v2 offset:528
	scratch_load_dwordx4 v[20:23], off, off offset:16
	scratch_load_dwordx4 v[40:43], off, off offset:80
	scratch_load_dwordx4 v[72:75], off, off offset:144
	scratch_load_dwordx4 v[80:83], off, off offset:160
	scratch_load_dwordx4 v[88:91], off, off offset:176
	scratch_load_dwordx4 v[96:99], off, off offset:192
	scratch_load_dwordx4 v[104:107], off, off offset:208
	scratch_load_dwordx4 v[112:115], off, off offset:224
	scratch_load_dwordx4 v[120:123], off, off offset:240
	scratch_load_dwordx4 v[128:131], off, off offset:256
	scratch_load_dwordx4 v[136:139], off, off offset:272
	scratch_load_dwordx4 v[144:147], off, off offset:288
	scratch_load_dwordx4 v[152:155], off, off offset:304
	scratch_load_dwordx4 v[160:163], off, off offset:320
	scratch_load_dwordx4 v[168:171], off, off offset:336
	scratch_load_dwordx4 v[176:179], off, off offset:352
	scratch_load_dwordx4 v[184:187], off, off offset:368
	scratch_load_dwordx4 v[192:195], off, off offset:384
	scratch_load_dwordx4 v[200:203], off, off offset:400
	scratch_load_dwordx4 v[240:243], off, off offset:416
	scratch_load_dwordx4 v[248:251], off, off offset:432
	s_and_b64 vcc, exec, s[22:23]
	scratch_load_dwordx4 v[48:51], off, off offset:96
	scratch_load_dwordx4 v[56:59], off, off offset:112
	;; [unrolled: 1-line block ×3, first 2 shown]
	ds_read_b128 v[236:239], v2 offset:880
	ds_read_b128 v[244:247], v2 offset:896
	;; [unrolled: 1-line block ×3, first 2 shown]
	s_waitcnt vmcnt(23) lgkmcnt(6)
	v_mul_f64 v[24:25], v[16:17], v[22:23]
	v_fmac_f64_e32 v[24:25], v[18:19], v[20:21]
	v_add_f64 v[28:29], v[24:25], 0
	scratch_load_dwordx4 v[24:27], off, off offset:32
	s_waitcnt vmcnt(0) lgkmcnt(5)
	v_mul_f64 v[30:31], v[12:13], v[26:27]
	v_fmac_f64_e32 v[30:31], v[14:15], v[24:25]
	v_add_f64 v[32:33], v[28:29], v[30:31]
	scratch_load_dwordx4 v[28:31], off, off offset:48
	v_mul_f64 v[14:15], v[14:15], v[26:27]
	v_fma_f64 v[12:13], v[12:13], v[24:25], -v[14:15]
	s_waitcnt vmcnt(0) lgkmcnt(4)
	v_mul_f64 v[34:35], v[8:9], v[30:31]
	v_fmac_f64_e32 v[34:35], v[10:11], v[28:29]
	v_add_f64 v[36:37], v[32:33], v[34:35]
	scratch_load_dwordx4 v[32:35], off, off offset:64
	v_mul_f64 v[10:11], v[10:11], v[30:31]
	v_fma_f64 v[8:9], v[8:9], v[28:29], -v[10:11]
	s_waitcnt vmcnt(0) lgkmcnt(3)
	v_mul_f64 v[38:39], v[4:5], v[34:35]
	v_fmac_f64_e32 v[38:39], v[6:7], v[32:33]
	v_add_f64 v[44:45], v[36:37], v[38:39]
	ds_read_b128 v[36:39], v2 offset:544
	v_mul_f64 v[6:7], v[6:7], v[34:35]
	v_fma_f64 v[4:5], v[4:5], v[32:33], -v[6:7]
	s_waitcnt lgkmcnt(0)
	v_mul_f64 v[46:47], v[36:37], v[42:43]
	v_fmac_f64_e32 v[46:47], v[38:39], v[40:41]
	v_add_f64 v[52:53], v[44:45], v[46:47]
	ds_read_b128 v[44:47], v2 offset:560
	s_waitcnt lgkmcnt(0)
	v_mul_f64 v[54:55], v[44:45], v[50:51]
	v_fmac_f64_e32 v[54:55], v[46:47], v[48:49]
	v_add_f64 v[60:61], v[52:53], v[54:55]
	ds_read_b128 v[52:55], v2 offset:576
	;; [unrolled: 5-line block ×20, first 2 shown]
	s_waitcnt lgkmcnt(0)
	v_mul_f64 v[206:207], v[196:197], v[202:203]
	v_fmac_f64_e32 v[206:207], v[198:199], v[200:201]
	v_add_f64 v[204:205], v[204:205], v[206:207]
	v_mul_f64 v[206:207], v[236:237], v[242:243]
	v_fmac_f64_e32 v[206:207], v[238:239], v[240:241]
	v_add_f64 v[204:205], v[204:205], v[206:207]
	;; [unrolled: 3-line block ×3, first 2 shown]
	scratch_load_dwordx4 v[204:207], off, off offset:448
	s_waitcnt vmcnt(0)
	v_mul_f64 v[2:3], v[252:253], v[206:207]
	v_fmac_f64_e32 v[2:3], v[254:255], v[204:205]
	v_add_f64 v[234:235], v[234:235], v[2:3]
	v_mul_f64 v[2:3], v[18:19], v[22:23]
	v_fma_f64 v[2:3], v[16:17], v[20:21], -v[2:3]
	v_add_f64 v[2:3], v[2:3], 0
	v_add_f64 v[2:3], v[2:3], v[12:13]
	;; [unrolled: 1-line block ×4, first 2 shown]
	v_mul_f64 v[4:5], v[38:39], v[42:43]
	v_fma_f64 v[4:5], v[36:37], v[40:41], -v[4:5]
	v_add_f64 v[2:3], v[2:3], v[4:5]
	v_mul_f64 v[4:5], v[46:47], v[50:51]
	v_fma_f64 v[4:5], v[44:45], v[48:49], -v[4:5]
	v_add_f64 v[2:3], v[2:3], v[4:5]
	;; [unrolled: 3-line block ×24, first 2 shown]
	scratch_load_dwordx4 v[2:5], off, off
	s_waitcnt vmcnt(0)
	v_add_f64 v[2:3], v[2:3], -v[6:7]
	v_add_f64 v[4:5], v[4:5], -v[234:235]
	scratch_store_dwordx4 off, v[2:5], off
	s_cbranch_vccz .LBB28_244
; %bb.188:
	s_nop 0
	v_mov_b32_e32 v2, 0
	global_load_dword v3, v2, s[20:21] offset:108
	s_load_dwordx2 s[2:3], s[0:1], 0x4
	v_bfe_u32 v4, v0, 10, 10
	v_bfe_u32 v0, v0, 20, 10
	s_waitcnt lgkmcnt(0)
	s_lshr_b32 s0, s2, 16
	s_mul_i32 s0, s0, s3
	v_mul_u32_u24_e32 v1, s0, v1
	v_mul_u32_u24_e32 v4, s3, v4
	v_add3_u32 v0, v1, v4, v0
	v_mov_b32_e32 v1, 0x3a8
	v_lshl_add_u32 v0, v0, 4, v1
	s_waitcnt vmcnt(0)
	v_readfirstlane_b32 s0, v3
	s_add_i32 s0, s0, -1
	s_cmp_lg_u32 s0, 27
	s_cbranch_scc0 .LBB28_190
; %bb.189:
	s_lshl_b32 s0, s0, 4
	scratch_load_dwordx4 v[4:7], off, s41
	scratch_load_dwordx4 v[8:11], off, s0
	s_waitcnt vmcnt(1)
	ds_write2_b64 v0, v[4:5], v[6:7] offset1:1
	s_waitcnt vmcnt(0)
	scratch_store_dwordx4 off, v[8:11], s41
	scratch_store_dwordx4 off, v[4:7], s0
.LBB28_190:
	global_load_dword v1, v2, s[20:21] offset:104
	s_waitcnt vmcnt(0)
	v_readfirstlane_b32 s0, v1
	s_add_i32 s0, s0, -1
	s_cmp_eq_u32 s0, 26
	s_cbranch_scc1 .LBB28_192
; %bb.191:
	s_lshl_b32 s0, s0, 4
	scratch_load_dwordx4 v[2:5], off, s40
	scratch_load_dwordx4 v[6:9], off, s0
	s_waitcnt vmcnt(1)
	ds_write2_b64 v0, v[2:3], v[4:5] offset1:1
	s_waitcnt vmcnt(0)
	scratch_store_dwordx4 off, v[6:9], s40
	scratch_store_dwordx4 off, v[2:5], s0
.LBB28_192:
	v_mov_b32_e32 v1, 0
	global_load_dword v2, v1, s[20:21] offset:100
	s_waitcnt vmcnt(0)
	v_readfirstlane_b32 s0, v2
	s_add_i32 s0, s0, -1
	s_cmp_eq_u32 s0, 25
	s_cbranch_scc1 .LBB28_194
; %bb.193:
	s_lshl_b32 s0, s0, 4
	scratch_load_dwordx4 v[2:5], off, s39
	scratch_load_dwordx4 v[6:9], off, s0
	s_waitcnt vmcnt(1)
	ds_write2_b64 v0, v[2:3], v[4:5] offset1:1
	s_waitcnt vmcnt(0)
	scratch_store_dwordx4 off, v[6:9], s39
	scratch_store_dwordx4 off, v[2:5], s0
.LBB28_194:
	global_load_dword v1, v1, s[20:21] offset:96
	s_waitcnt vmcnt(0)
	v_readfirstlane_b32 s0, v1
	s_add_i32 s0, s0, -1
	s_cmp_eq_u32 s0, 24
	s_cbranch_scc1 .LBB28_196
; %bb.195:
	s_lshl_b32 s0, s0, 4
	scratch_load_dwordx4 v[2:5], off, s38
	scratch_load_dwordx4 v[6:9], off, s0
	s_waitcnt vmcnt(1)
	ds_write2_b64 v0, v[2:3], v[4:5] offset1:1
	s_waitcnt vmcnt(0)
	scratch_store_dwordx4 off, v[6:9], s38
	scratch_store_dwordx4 off, v[2:5], s0
.LBB28_196:
	v_mov_b32_e32 v1, 0
	global_load_dword v2, v1, s[20:21] offset:92
	s_waitcnt vmcnt(0)
	v_readfirstlane_b32 s0, v2
	s_add_i32 s0, s0, -1
	s_cmp_eq_u32 s0, 23
	s_cbranch_scc1 .LBB28_198
; %bb.197:
	s_lshl_b32 s0, s0, 4
	scratch_load_dwordx4 v[2:5], off, s37
	scratch_load_dwordx4 v[6:9], off, s0
	s_waitcnt vmcnt(1)
	ds_write2_b64 v0, v[2:3], v[4:5] offset1:1
	s_waitcnt vmcnt(0)
	scratch_store_dwordx4 off, v[6:9], s37
	scratch_store_dwordx4 off, v[2:5], s0
.LBB28_198:
	;; [unrolled: 33-line block ×13, first 2 shown]
	global_load_dword v1, v1, s[20:21]
	s_waitcnt vmcnt(0)
	v_readfirstlane_b32 s0, v1
	s_add_i32 s0, s0, -1
	s_cmp_eq_u32 s0, 0
	s_cbranch_scc1 .LBB28_244
; %bb.243:
	s_lshl_b32 s0, s0, 4
	scratch_load_dwordx4 v[2:5], off, off
	scratch_load_dwordx4 v[6:9], off, s0
	s_waitcnt vmcnt(1)
	ds_write2_b64 v0, v[2:3], v[4:5] offset1:1
	s_waitcnt vmcnt(0)
	scratch_store_dwordx4 off, v[6:9], off
	scratch_store_dwordx4 off, v[2:5], s0
.LBB28_244:
	scratch_load_dwordx4 v[0:3], off, off
	s_nop 0
	scratch_load_dwordx4 v[4:7], off, s18
	scratch_load_dwordx4 v[8:11], off, s14
	;; [unrolled: 1-line block ×15, first 2 shown]
                                        ; kill: killed $sgpr46
                                        ; kill: killed $sgpr18
                                        ; kill: killed $sgpr27
                                        ; kill: killed $sgpr45
                                        ; kill: killed $sgpr25
                                        ; kill: killed $sgpr44
                                        ; kill: killed $sgpr19
                                        ; kill: killed $sgpr28
                                        ; kill: killed $sgpr16
                                        ; kill: killed $sgpr26
                                        ; kill: killed $sgpr15
                                        ; kill: killed $sgpr24
                                        ; kill: killed $sgpr43
                                        ; kill: killed $sgpr14
                                        ; kill: killed $sgpr17
	scratch_load_dwordx4 v[64:67], off, s29
	scratch_load_dwordx4 v[68:71], off, s30
	;; [unrolled: 1-line block ×13, first 2 shown]
	v_accvgpr_read_b32 v117, a1
	v_accvgpr_read_b32 v116, a0
	s_waitcnt vmcnt(28)
	global_store_dwordx4 v[116:117], v[0:3], off
	s_nop 1
	v_accvgpr_read_b32 v0, a2
	v_accvgpr_read_b32 v1, a3
	s_waitcnt vmcnt(28)
	global_store_dwordx4 v[0:1], v[4:7], off
	v_accvgpr_read_b32 v0, a4
	v_accvgpr_read_b32 v1, a5
	s_waitcnt vmcnt(28)
	global_store_dwordx4 v[0:1], v[8:11], off
	;; [unrolled: 4-line block ×15, first 2 shown]
	s_waitcnt vmcnt(28)
	global_store_dwordx4 v[208:209], v[64:67], off
	s_waitcnt vmcnt(28)
	global_store_dwordx4 v[210:211], v[68:71], off
	;; [unrolled: 2-line block ×13, first 2 shown]
	s_endpgm
	.section	.rodata,"a",@progbits
	.p2align	6, 0x0
	.amdhsa_kernel _ZN9rocsolver6v33100L18getri_kernel_smallILi29E19rocblas_complex_numIdEPS3_EEvT1_iilPiilS6_bb
		.amdhsa_group_segment_fixed_size 1960
		.amdhsa_private_segment_fixed_size 480
		.amdhsa_kernarg_size 60
		.amdhsa_user_sgpr_count 4
		.amdhsa_user_sgpr_dispatch_ptr 1
		.amdhsa_user_sgpr_queue_ptr 0
		.amdhsa_user_sgpr_kernarg_segment_ptr 1
		.amdhsa_user_sgpr_dispatch_id 0
		.amdhsa_user_sgpr_kernarg_preload_length 0
		.amdhsa_user_sgpr_kernarg_preload_offset 0
		.amdhsa_user_sgpr_private_segment_size 0
		.amdhsa_uses_dynamic_stack 0
		.amdhsa_enable_private_segment 1
		.amdhsa_system_sgpr_workgroup_id_x 1
		.amdhsa_system_sgpr_workgroup_id_y 0
		.amdhsa_system_sgpr_workgroup_id_z 0
		.amdhsa_system_sgpr_workgroup_info 0
		.amdhsa_system_vgpr_workitem_id 2
		.amdhsa_next_free_vgpr 288
		.amdhsa_next_free_sgpr 47
		.amdhsa_accum_offset 256
		.amdhsa_reserve_vcc 1
		.amdhsa_float_round_mode_32 0
		.amdhsa_float_round_mode_16_64 0
		.amdhsa_float_denorm_mode_32 3
		.amdhsa_float_denorm_mode_16_64 3
		.amdhsa_dx10_clamp 1
		.amdhsa_ieee_mode 1
		.amdhsa_fp16_overflow 0
		.amdhsa_tg_split 0
		.amdhsa_exception_fp_ieee_invalid_op 0
		.amdhsa_exception_fp_denorm_src 0
		.amdhsa_exception_fp_ieee_div_zero 0
		.amdhsa_exception_fp_ieee_overflow 0
		.amdhsa_exception_fp_ieee_underflow 0
		.amdhsa_exception_fp_ieee_inexact 0
		.amdhsa_exception_int_div_zero 0
	.end_amdhsa_kernel
	.section	.text._ZN9rocsolver6v33100L18getri_kernel_smallILi29E19rocblas_complex_numIdEPS3_EEvT1_iilPiilS6_bb,"axG",@progbits,_ZN9rocsolver6v33100L18getri_kernel_smallILi29E19rocblas_complex_numIdEPS3_EEvT1_iilPiilS6_bb,comdat
.Lfunc_end28:
	.size	_ZN9rocsolver6v33100L18getri_kernel_smallILi29E19rocblas_complex_numIdEPS3_EEvT1_iilPiilS6_bb, .Lfunc_end28-_ZN9rocsolver6v33100L18getri_kernel_smallILi29E19rocblas_complex_numIdEPS3_EEvT1_iilPiilS6_bb
                                        ; -- End function
	.set _ZN9rocsolver6v33100L18getri_kernel_smallILi29E19rocblas_complex_numIdEPS3_EEvT1_iilPiilS6_bb.num_vgpr, 256
	.set _ZN9rocsolver6v33100L18getri_kernel_smallILi29E19rocblas_complex_numIdEPS3_EEvT1_iilPiilS6_bb.num_agpr, 32
	.set _ZN9rocsolver6v33100L18getri_kernel_smallILi29E19rocblas_complex_numIdEPS3_EEvT1_iilPiilS6_bb.numbered_sgpr, 47
	.set _ZN9rocsolver6v33100L18getri_kernel_smallILi29E19rocblas_complex_numIdEPS3_EEvT1_iilPiilS6_bb.num_named_barrier, 0
	.set _ZN9rocsolver6v33100L18getri_kernel_smallILi29E19rocblas_complex_numIdEPS3_EEvT1_iilPiilS6_bb.private_seg_size, 480
	.set _ZN9rocsolver6v33100L18getri_kernel_smallILi29E19rocblas_complex_numIdEPS3_EEvT1_iilPiilS6_bb.uses_vcc, 1
	.set _ZN9rocsolver6v33100L18getri_kernel_smallILi29E19rocblas_complex_numIdEPS3_EEvT1_iilPiilS6_bb.uses_flat_scratch, 0
	.set _ZN9rocsolver6v33100L18getri_kernel_smallILi29E19rocblas_complex_numIdEPS3_EEvT1_iilPiilS6_bb.has_dyn_sized_stack, 0
	.set _ZN9rocsolver6v33100L18getri_kernel_smallILi29E19rocblas_complex_numIdEPS3_EEvT1_iilPiilS6_bb.has_recursion, 0
	.set _ZN9rocsolver6v33100L18getri_kernel_smallILi29E19rocblas_complex_numIdEPS3_EEvT1_iilPiilS6_bb.has_indirect_call, 0
	.section	.AMDGPU.csdata,"",@progbits
; Kernel info:
; codeLenInByte = 40368
; TotalNumSgprs: 53
; NumVgprs: 256
; NumAgprs: 32
; TotalNumVgprs: 288
; ScratchSize: 480
; MemoryBound: 0
; FloatMode: 240
; IeeeMode: 1
; LDSByteSize: 1960 bytes/workgroup (compile time only)
; SGPRBlocks: 6
; VGPRBlocks: 35
; NumSGPRsForWavesPerEU: 53
; NumVGPRsForWavesPerEU: 288
; AccumOffset: 256
; Occupancy: 1
; WaveLimiterHint : 1
; COMPUTE_PGM_RSRC2:SCRATCH_EN: 1
; COMPUTE_PGM_RSRC2:USER_SGPR: 4
; COMPUTE_PGM_RSRC2:TRAP_HANDLER: 0
; COMPUTE_PGM_RSRC2:TGID_X_EN: 1
; COMPUTE_PGM_RSRC2:TGID_Y_EN: 0
; COMPUTE_PGM_RSRC2:TGID_Z_EN: 0
; COMPUTE_PGM_RSRC2:TIDIG_COMP_CNT: 2
; COMPUTE_PGM_RSRC3_GFX90A:ACCUM_OFFSET: 63
; COMPUTE_PGM_RSRC3_GFX90A:TG_SPLIT: 0
	.section	.text._ZN9rocsolver6v33100L18getri_kernel_smallILi30E19rocblas_complex_numIdEPS3_EEvT1_iilPiilS6_bb,"axG",@progbits,_ZN9rocsolver6v33100L18getri_kernel_smallILi30E19rocblas_complex_numIdEPS3_EEvT1_iilPiilS6_bb,comdat
	.globl	_ZN9rocsolver6v33100L18getri_kernel_smallILi30E19rocblas_complex_numIdEPS3_EEvT1_iilPiilS6_bb ; -- Begin function _ZN9rocsolver6v33100L18getri_kernel_smallILi30E19rocblas_complex_numIdEPS3_EEvT1_iilPiilS6_bb
	.p2align	8
	.type	_ZN9rocsolver6v33100L18getri_kernel_smallILi30E19rocblas_complex_numIdEPS3_EEvT1_iilPiilS6_bb,@function
_ZN9rocsolver6v33100L18getri_kernel_smallILi30E19rocblas_complex_numIdEPS3_EEvT1_iilPiilS6_bb: ; @_ZN9rocsolver6v33100L18getri_kernel_smallILi30E19rocblas_complex_numIdEPS3_EEvT1_iilPiilS6_bb
; %bb.0:
	v_and_b32_e32 v1, 0x3ff, v0
	v_cmp_gt_u32_e32 vcc, 30, v1
	s_and_saveexec_b64 s[6:7], vcc
	s_cbranch_execz .LBB29_134
; %bb.1:
	s_load_dword s6, s[2:3], 0x38
	s_load_dwordx4 s[16:19], s[2:3], 0x10
	s_load_dwordx4 s[8:11], s[2:3], 0x28
                                        ; implicit-def: $sgpr20_sgpr21
	s_waitcnt lgkmcnt(0)
	s_bitcmp1_b32 s6, 8
	s_cselect_b64 s[22:23], -1, 0
	s_ashr_i32 s5, s4, 31
	s_bfe_u32 s6, s6, 0x10008
	s_cmp_eq_u32 s6, 0
	s_cbranch_scc1 .LBB29_3
; %bb.2:
	s_load_dword s6, s[2:3], 0x20
	s_mul_i32 s7, s8, s5
	s_mul_hi_u32 s12, s8, s4
	s_mul_i32 s9, s9, s4
	s_add_i32 s12, s12, s7
	s_add_i32 s9, s12, s9
	s_mul_i32 s8, s8, s4
	s_waitcnt lgkmcnt(0)
	s_ashr_i32 s7, s6, 31
	s_lshl_b64 s[8:9], s[8:9], 2
	s_add_u32 s8, s18, s8
	s_addc_u32 s9, s19, s9
	s_lshl_b64 s[6:7], s[6:7], 2
	s_add_u32 s20, s8, s6
	s_addc_u32 s21, s9, s7
.LBB29_3:
	s_load_dwordx4 s[12:15], s[2:3], 0x0
	s_load_dword s6, s[2:3], 0x38
	s_mul_i32 s7, s16, s5
	s_mul_hi_u32 s8, s16, s4
	s_add_i32 s7, s8, s7
	s_mul_i32 s8, s17, s4
	s_add_i32 s9, s7, s8
	s_mul_i32 s8, s16, s4
	s_waitcnt lgkmcnt(0)
	s_ashr_i32 s3, s14, 31
	s_lshl_b64 s[8:9], s[8:9], 4
	s_mov_b32 s2, s14
	s_add_u32 s7, s12, s8
	s_addc_u32 s8, s13, s9
	s_lshl_b64 s[2:3], s[2:3], 4
	s_add_u32 s2, s7, s2
	s_addc_u32 s3, s8, s3
	s_add_i32 s7, s15, s15
	v_add_u32_e32 v14, s7, v1
	v_ashrrev_i32_e32 v15, 31, v14
	v_lshl_add_u64 v[10:11], v[14:15], 4, s[2:3]
	v_add_u32_e32 v14, s15, v14
	v_add_u32_e32 v22, s15, v14
	v_ashrrev_i32_e32 v23, 31, v22
	v_lshl_add_u64 v[18:19], v[22:23], 4, s[2:3]
	v_add_u32_e32 v22, s15, v22
	;; [unrolled: 4-line block ×3, first 2 shown]
	v_ashrrev_i32_e32 v33, 31, v32
	v_lshl_add_u64 v[34:35], v[32:33], 4, s[2:3]
	v_add_u32_e32 v32, s15, v32
	v_add_u32_e32 v40, s15, v32
	;; [unrolled: 1-line block ×6, first 2 shown]
	v_ashrrev_i32_e32 v57, 31, v56
	v_lshl_add_u64 v[58:59], v[56:57], 4, s[2:3]
	v_add_u32_e32 v56, s15, v56
	v_add_u32_e32 v64, s15, v56
	;; [unrolled: 1-line block ×5, first 2 shown]
	v_ashrrev_i32_e32 v81, 31, v80
	v_lshl_add_u64 v[76:77], v[80:81], 4, s[2:3]
	v_add_u32_e32 v80, s15, v80
	v_add_u32_e32 v88, s15, v80
	v_ashrrev_i32_e32 v89, 31, v88
	v_lshl_add_u64 v[84:85], v[88:89], 4, s[2:3]
	v_add_u32_e32 v88, s15, v88
	v_add_u32_e32 v96, s15, v88
	;; [unrolled: 4-line block ×3, first 2 shown]
	v_ashrrev_i32_e32 v105, 31, v104
	v_lshl_add_u64 v[224:225], v[104:105], 4, s[2:3]
	v_add_u32_e32 v104, s15, v104
	v_lshlrev_b32_e32 v30, 4, v1
	v_mov_b32_e32 v31, 0
	v_add_u32_e32 v112, s15, v104
	v_lshl_add_u64 v[6:7], s[2:3], 0, v[30:31]
	v_ashrrev_i32_e32 v113, 31, v112
	s_ashr_i32 s9, s15, 31
	s_mov_b32 s8, s15
	v_accvgpr_write_b32 a0, v6
	v_ashrrev_i32_e32 v15, 31, v14
	v_ashrrev_i32_e32 v23, 31, v22
	;; [unrolled: 1-line block ×13, first 2 shown]
	v_lshl_add_u64 v[228:229], v[112:113], 4, s[2:3]
	v_add_u32_e32 v112, s15, v112
	v_accvgpr_write_b32 a1, v7
	v_lshl_add_u64 v[6:7], s[8:9], 4, v[6:7]
	v_lshl_add_u64 v[16:17], v[14:15], 4, s[2:3]
	;; [unrolled: 1-line block ×14, first 2 shown]
	v_ashrrev_i32_e32 v97, 31, v96
	v_ashrrev_i32_e32 v105, 31, v104
	;; [unrolled: 1-line block ×3, first 2 shown]
	v_add_u32_e32 v120, s15, v112
	v_accvgpr_write_b32 a2, v6
	v_accvgpr_write_b32 a4, v10
	v_accvgpr_write_b32 a6, v16
	v_accvgpr_write_b32 a8, v18
	v_accvgpr_write_b32 a10, v24
	v_accvgpr_write_b32 a12, v26
	v_accvgpr_write_b32 a14, v34
	v_accvgpr_write_b32 a16, v36
	v_accvgpr_write_b32 a18, v40
	v_accvgpr_write_b32 a20, v44
	v_accvgpr_write_b32 a22, v48
	v_accvgpr_write_b32 a24, v52
	v_accvgpr_write_b32 a26, v58
	v_accvgpr_write_b32 a28, v60
	v_accvgpr_write_b32 a30, v64
	v_accvgpr_write_b32 a32, v68
	v_accvgpr_write_b32 a34, v74
	v_accvgpr_write_b32 a36, v76
	v_accvgpr_write_b32 a38, v82
	v_accvgpr_write_b32 a40, v84
	v_accvgpr_write_b32 a42, v90
	v_lshl_add_u64 v[222:223], v[96:97], 4, s[2:3]
	v_lshl_add_u64 v[226:227], v[104:105], 4, s[2:3]
	;; [unrolled: 1-line block ×3, first 2 shown]
	v_ashrrev_i32_e32 v121, 31, v120
	global_load_dwordx4 v[2:5], v30, s[2:3]
	v_accvgpr_write_b32 a3, v7
	global_load_dwordx4 v[6:9], v[6:7], off
	v_accvgpr_write_b32 a5, v11
	global_load_dwordx4 v[10:13], v[10:11], off
	;; [unrolled: 2-line block ×21, first 2 shown]
	s_nop 0
	global_load_dwordx4 v[92:95], v[220:221], off
	global_load_dwordx4 v[96:99], v[222:223], off
	;; [unrolled: 1-line block ×5, first 2 shown]
	v_lshl_add_u64 v[232:233], v[120:121], 4, s[2:3]
	global_load_dwordx4 v[112:115], v[230:231], off
	global_load_dwordx4 v[116:119], v[232:233], off
	v_add_u32_e32 v120, s15, v120
	v_ashrrev_i32_e32 v121, 31, v120
	v_lshl_add_u64 v[234:235], v[120:121], 4, s[2:3]
	global_load_dwordx4 v[120:123], v[234:235], off
	s_mov_b32 s18, 16
	s_mov_b32 s14, 32
	;; [unrolled: 1-line block ×4, first 2 shown]
	s_movk_i32 s19, 0x50
	s_movk_i32 s25, 0x60
	;; [unrolled: 1-line block ×25, first 2 shown]
	s_bitcmp0_b32 s6, 0
	s_mov_b64 s[6:7], -1
	s_waitcnt vmcnt(29)
	scratch_store_dwordx4 off, v[2:5], off
	s_waitcnt vmcnt(29)
	scratch_store_dwordx4 off, v[6:9], off offset:16
	s_waitcnt vmcnt(29)
	scratch_store_dwordx4 off, v[10:13], off offset:32
	;; [unrolled: 2-line block ×29, first 2 shown]
	s_cbranch_scc1 .LBB29_132
; %bb.4:
	v_cmp_eq_u32_e64 s[2:3], 0, v1
	s_and_saveexec_b64 s[6:7], s[2:3]
; %bb.5:
	v_mov_b32_e32 v2, 0
	ds_write_b32 v2, v2 offset:960
; %bb.6:
	s_or_b64 exec, exec, s[6:7]
	s_waitcnt lgkmcnt(0)
	; wave barrier
	scratch_load_dwordx4 v[2:5], v30, off
	s_waitcnt vmcnt(0)
	v_cmp_eq_f64_e32 vcc, 0, v[2:3]
	v_cmp_eq_f64_e64 s[6:7], 0, v[4:5]
	s_and_b64 s[6:7], vcc, s[6:7]
	s_and_saveexec_b64 s[8:9], s[6:7]
	s_cbranch_execz .LBB29_10
; %bb.7:
	v_mov_b32_e32 v2, 0
	ds_read_b32 v4, v2 offset:960
	v_add_u32_e32 v3, 1, v1
	s_waitcnt lgkmcnt(0)
	v_readfirstlane_b32 s6, v4
	s_cmp_eq_u32 s6, 0
	s_cselect_b64 s[12:13], -1, 0
	v_cmp_gt_i32_e32 vcc, s6, v3
	s_or_b64 s[12:13], s[12:13], vcc
	s_and_b64 exec, exec, s[12:13]
	s_cbranch_execz .LBB29_10
; %bb.8:
	s_mov_b64 s[12:13], 0
	v_mov_b32_e32 v4, s6
.LBB29_9:                               ; =>This Inner Loop Header: Depth=1
	ds_cmpst_rtn_b32 v4, v2, v4, v3 offset:960
	s_waitcnt lgkmcnt(0)
	v_cmp_ne_u32_e32 vcc, 0, v4
	v_cmp_le_i32_e64 s[6:7], v4, v3
	s_and_b64 s[6:7], vcc, s[6:7]
	s_and_b64 s[6:7], exec, s[6:7]
	s_or_b64 s[12:13], s[6:7], s[12:13]
	s_andn2_b64 exec, exec, s[12:13]
	s_cbranch_execnz .LBB29_9
.LBB29_10:
	s_or_b64 exec, exec, s[8:9]
	v_mov_b32_e32 v3, 0
	; wave barrier
	ds_read_b32 v2, v3 offset:960
	s_and_saveexec_b64 s[6:7], s[2:3]
	s_cbranch_execz .LBB29_12
; %bb.11:
	s_lshl_b64 s[8:9], s[4:5], 2
	s_add_u32 s8, s10, s8
	s_addc_u32 s9, s11, s9
	s_waitcnt lgkmcnt(0)
	global_store_dword v3, v2, s[8:9]
.LBB29_12:
	s_or_b64 exec, exec, s[6:7]
	s_waitcnt lgkmcnt(0)
	v_cmp_ne_u32_e32 vcc, 0, v2
	s_mov_b64 s[6:7], 0
	s_cbranch_vccnz .LBB29_132
; %bb.13:
	v_mov_b32_e32 v14, v30
	scratch_load_dwordx4 v[2:5], v14, off
                                        ; implicit-def: $vgpr6_vgpr7
                                        ; implicit-def: $vgpr10_vgpr11
	s_waitcnt vmcnt(0)
	v_cmp_ngt_f64_e64 s[6:7], |v[2:3]|, |v[4:5]|
	s_and_saveexec_b64 s[8:9], s[6:7]
	s_xor_b64 s[6:7], exec, s[8:9]
	s_cbranch_execz .LBB29_15
; %bb.14:
	v_div_scale_f64 v[6:7], s[8:9], v[4:5], v[4:5], v[2:3]
	v_rcp_f64_e32 v[8:9], v[6:7]
	v_div_scale_f64 v[10:11], vcc, v[2:3], v[4:5], v[2:3]
	v_fma_f64 v[12:13], -v[6:7], v[8:9], 1.0
	v_fmac_f64_e32 v[8:9], v[8:9], v[12:13]
	v_fma_f64 v[12:13], -v[6:7], v[8:9], 1.0
	v_fmac_f64_e32 v[8:9], v[8:9], v[12:13]
	v_mul_f64 v[12:13], v[10:11], v[8:9]
	v_fma_f64 v[6:7], -v[6:7], v[12:13], v[10:11]
	v_div_fmas_f64 v[6:7], v[6:7], v[8:9], v[12:13]
	v_div_fixup_f64 v[6:7], v[6:7], v[4:5], v[2:3]
	v_fmac_f64_e32 v[4:5], v[2:3], v[6:7]
	v_div_scale_f64 v[2:3], s[8:9], v[4:5], v[4:5], 1.0
	v_rcp_f64_e32 v[8:9], v[2:3]
	s_nop 0
	v_fma_f64 v[10:11], -v[2:3], v[8:9], 1.0
	v_fmac_f64_e32 v[8:9], v[8:9], v[10:11]
	v_fma_f64 v[10:11], -v[2:3], v[8:9], 1.0
	v_fmac_f64_e32 v[8:9], v[8:9], v[10:11]
	v_div_scale_f64 v[10:11], vcc, 1.0, v[4:5], 1.0
	v_mul_f64 v[12:13], v[10:11], v[8:9]
	v_fma_f64 v[2:3], -v[2:3], v[12:13], v[10:11]
	s_nop 1
	v_div_fmas_f64 v[2:3], v[2:3], v[8:9], v[12:13]
	v_div_fixup_f64 v[8:9], v[2:3], v[4:5], 1.0
	v_mul_f64 v[6:7], v[6:7], v[8:9]
	v_xor_b32_e32 v9, 0x80000000, v9
	v_xor_b32_e32 v11, 0x80000000, v7
	v_mov_b32_e32 v10, v6
                                        ; implicit-def: $vgpr2_vgpr3
.LBB29_15:
	s_andn2_saveexec_b64 s[6:7], s[6:7]
	s_cbranch_execz .LBB29_17
; %bb.16:
	v_div_scale_f64 v[6:7], s[8:9], v[2:3], v[2:3], v[4:5]
	v_rcp_f64_e32 v[8:9], v[6:7]
	v_div_scale_f64 v[10:11], vcc, v[4:5], v[2:3], v[4:5]
	v_fma_f64 v[12:13], -v[6:7], v[8:9], 1.0
	v_fmac_f64_e32 v[8:9], v[8:9], v[12:13]
	v_fma_f64 v[12:13], -v[6:7], v[8:9], 1.0
	v_fmac_f64_e32 v[8:9], v[8:9], v[12:13]
	v_mul_f64 v[12:13], v[10:11], v[8:9]
	v_fma_f64 v[6:7], -v[6:7], v[12:13], v[10:11]
	v_div_fmas_f64 v[6:7], v[6:7], v[8:9], v[12:13]
	v_div_fixup_f64 v[8:9], v[6:7], v[2:3], v[4:5]
	v_fmac_f64_e32 v[2:3], v[4:5], v[8:9]
	v_div_scale_f64 v[4:5], s[8:9], v[2:3], v[2:3], 1.0
	v_rcp_f64_e32 v[6:7], v[4:5]
	s_nop 0
	v_fma_f64 v[10:11], -v[4:5], v[6:7], 1.0
	v_fmac_f64_e32 v[6:7], v[6:7], v[10:11]
	v_fma_f64 v[10:11], -v[4:5], v[6:7], 1.0
	v_fmac_f64_e32 v[6:7], v[6:7], v[10:11]
	v_div_scale_f64 v[10:11], vcc, 1.0, v[2:3], 1.0
	v_mul_f64 v[12:13], v[10:11], v[6:7]
	v_fma_f64 v[4:5], -v[4:5], v[12:13], v[10:11]
	s_nop 1
	v_div_fmas_f64 v[4:5], v[4:5], v[6:7], v[12:13]
	v_div_fixup_f64 v[6:7], v[4:5], v[2:3], 1.0
	v_xor_b32_e32 v11, 0x80000000, v7
	v_mov_b32_e32 v10, v6
	v_mul_f64 v[8:9], v[8:9], -v[6:7]
.LBB29_17:
	s_or_b64 exec, exec, s[6:7]
	scratch_store_dwordx4 v14, v[6:9], off
	scratch_load_dwordx4 v[2:5], off, s18
	v_xor_b32_e32 v13, 0x80000000, v9
	v_mov_b32_e32 v12, v8
	v_add_u32_e32 v6, 0x1e0, v30
	ds_write_b128 v30, v[10:13]
	s_waitcnt vmcnt(0)
	ds_write_b128 v30, v[2:5] offset:480
	s_waitcnt lgkmcnt(0)
	; wave barrier
	s_and_saveexec_b64 s[6:7], s[2:3]
	s_cbranch_execz .LBB29_19
; %bb.18:
	scratch_load_dwordx4 v[2:5], v14, off
	ds_read_b128 v[8:11], v6
	v_mov_b32_e32 v7, 0
	ds_read_b128 v[16:19], v7 offset:16
	s_waitcnt vmcnt(0) lgkmcnt(1)
	v_mul_f64 v[12:13], v[10:11], v[4:5]
	v_mul_f64 v[4:5], v[8:9], v[4:5]
	v_fma_f64 v[8:9], v[8:9], v[2:3], -v[12:13]
	v_fmac_f64_e32 v[4:5], v[10:11], v[2:3]
	v_add_f64 v[2:3], v[8:9], 0
	v_add_f64 v[8:9], v[4:5], 0
	s_waitcnt lgkmcnt(0)
	v_mul_f64 v[10:11], v[8:9], v[18:19]
	v_mul_f64 v[4:5], v[2:3], v[18:19]
	v_fma_f64 v[2:3], v[2:3], v[16:17], -v[10:11]
	v_fmac_f64_e32 v[4:5], v[8:9], v[16:17]
	scratch_store_dwordx4 off, v[2:5], off offset:16
.LBB29_19:
	s_or_b64 exec, exec, s[6:7]
	; wave barrier
	scratch_load_dwordx4 v[2:5], off, s14
	v_cmp_gt_u32_e32 vcc, 2, v1
	s_waitcnt vmcnt(0)
	ds_write_b128 v6, v[2:5]
	s_waitcnt lgkmcnt(0)
	; wave barrier
	s_and_saveexec_b64 s[6:7], vcc
	s_cbranch_execz .LBB29_23
; %bb.20:
	scratch_load_dwordx4 v[2:5], v14, off
	ds_read_b128 v[8:11], v6
	s_waitcnt vmcnt(0) lgkmcnt(0)
	v_mul_f64 v[12:13], v[10:11], v[4:5]
	v_mul_f64 v[14:15], v[8:9], v[4:5]
	v_fma_f64 v[4:5], v[8:9], v[2:3], -v[12:13]
	v_fmac_f64_e32 v[14:15], v[10:11], v[2:3]
	v_add_f64 v[4:5], v[4:5], 0
	v_add_f64 v[2:3], v[14:15], 0
	s_and_saveexec_b64 s[8:9], s[2:3]
	s_cbranch_execz .LBB29_22
; %bb.21:
	scratch_load_dwordx4 v[8:11], off, off offset:16
	v_mov_b32_e32 v7, 0
	ds_read_b128 v[12:15], v7 offset:496
	s_waitcnt vmcnt(0) lgkmcnt(0)
	v_mul_f64 v[16:17], v[12:13], v[10:11]
	v_mul_f64 v[10:11], v[14:15], v[10:11]
	v_fmac_f64_e32 v[16:17], v[14:15], v[8:9]
	v_fma_f64 v[8:9], v[12:13], v[8:9], -v[10:11]
	v_add_f64 v[2:3], v[2:3], v[16:17]
	v_add_f64 v[4:5], v[4:5], v[8:9]
.LBB29_22:
	s_or_b64 exec, exec, s[8:9]
	v_mov_b32_e32 v7, 0
	ds_read_b128 v[8:11], v7 offset:32
	s_waitcnt lgkmcnt(0)
	v_mul_f64 v[14:15], v[2:3], v[10:11]
	v_mul_f64 v[12:13], v[4:5], v[10:11]
	v_fma_f64 v[10:11], v[4:5], v[8:9], -v[14:15]
	v_fmac_f64_e32 v[12:13], v[2:3], v[8:9]
	scratch_store_dwordx4 off, v[10:13], off offset:32
.LBB29_23:
	s_or_b64 exec, exec, s[6:7]
	; wave barrier
	scratch_load_dwordx4 v[2:5], off, s15
	v_cmp_gt_u32_e32 vcc, 3, v1
	v_add_u32_e32 v7, -1, v1
	s_waitcnt vmcnt(0)
	ds_write_b128 v6, v[2:5]
	s_waitcnt lgkmcnt(0)
	; wave barrier
	s_and_saveexec_b64 s[2:3], vcc
	s_cbranch_execz .LBB29_27
; %bb.24:
	v_add_u32_e32 v8, -1, v1
	v_add_u32_e32 v9, 0x1e0, v30
	v_mov_b32_e32 v10, v30
	v_mov_b64_e32 v[2:3], 0
	s_mov_b64 s[6:7], 0
	v_mov_b64_e32 v[4:5], 0
.LBB29_25:                              ; =>This Inner Loop Header: Depth=1
	scratch_load_dwordx4 v[12:15], v10, off
	ds_read_b128 v[16:19], v9
	v_add_u32_e32 v8, 1, v8
	v_cmp_lt_u32_e32 vcc, 1, v8
	v_add_u32_e32 v9, 16, v9
	v_add_u32_e32 v10, 16, v10
	s_or_b64 s[6:7], vcc, s[6:7]
	s_waitcnt vmcnt(0) lgkmcnt(0)
	v_mul_f64 v[20:21], v[18:19], v[14:15]
	v_mul_f64 v[14:15], v[16:17], v[14:15]
	v_fma_f64 v[16:17], v[16:17], v[12:13], -v[20:21]
	v_fmac_f64_e32 v[14:15], v[18:19], v[12:13]
	v_add_f64 v[4:5], v[4:5], v[16:17]
	v_add_f64 v[2:3], v[2:3], v[14:15]
	s_andn2_b64 exec, exec, s[6:7]
	s_cbranch_execnz .LBB29_25
; %bb.26:
	s_or_b64 exec, exec, s[6:7]
	v_mov_b32_e32 v8, 0
	ds_read_b128 v[8:11], v8 offset:48
	s_waitcnt lgkmcnt(0)
	v_mul_f64 v[14:15], v[2:3], v[10:11]
	v_mul_f64 v[12:13], v[4:5], v[10:11]
	v_fma_f64 v[10:11], v[4:5], v[8:9], -v[14:15]
	v_fmac_f64_e32 v[12:13], v[2:3], v[8:9]
	scratch_store_dwordx4 off, v[10:13], off offset:48
.LBB29_27:
	s_or_b64 exec, exec, s[2:3]
	; wave barrier
	scratch_load_dwordx4 v[2:5], off, s16
	v_cmp_gt_u32_e32 vcc, 4, v1
	s_waitcnt vmcnt(0)
	ds_write_b128 v6, v[2:5]
	s_waitcnt lgkmcnt(0)
	; wave barrier
	s_and_saveexec_b64 s[2:3], vcc
	s_cbranch_execz .LBB29_31
; %bb.28:
	v_add_u32_e32 v8, -1, v1
	v_add_u32_e32 v9, 0x1e0, v30
	v_mov_b32_e32 v10, v30
	v_mov_b64_e32 v[2:3], 0
	s_mov_b64 s[6:7], 0
	v_mov_b64_e32 v[4:5], 0
.LBB29_29:                              ; =>This Inner Loop Header: Depth=1
	scratch_load_dwordx4 v[12:15], v10, off
	ds_read_b128 v[16:19], v9
	v_add_u32_e32 v8, 1, v8
	v_cmp_lt_u32_e32 vcc, 2, v8
	v_add_u32_e32 v9, 16, v9
	v_add_u32_e32 v10, 16, v10
	s_or_b64 s[6:7], vcc, s[6:7]
	s_waitcnt vmcnt(0) lgkmcnt(0)
	v_mul_f64 v[20:21], v[18:19], v[14:15]
	v_mul_f64 v[14:15], v[16:17], v[14:15]
	v_fma_f64 v[16:17], v[16:17], v[12:13], -v[20:21]
	v_fmac_f64_e32 v[14:15], v[18:19], v[12:13]
	v_add_f64 v[4:5], v[4:5], v[16:17]
	v_add_f64 v[2:3], v[2:3], v[14:15]
	s_andn2_b64 exec, exec, s[6:7]
	s_cbranch_execnz .LBB29_29
; %bb.30:
	s_or_b64 exec, exec, s[6:7]
	v_mov_b32_e32 v8, 0
	ds_read_b128 v[8:11], v8 offset:64
	s_waitcnt lgkmcnt(0)
	v_mul_f64 v[14:15], v[2:3], v[10:11]
	v_mul_f64 v[12:13], v[4:5], v[10:11]
	v_fma_f64 v[10:11], v[4:5], v[8:9], -v[14:15]
	v_fmac_f64_e32 v[12:13], v[2:3], v[8:9]
	scratch_store_dwordx4 off, v[10:13], off offset:64
.LBB29_31:
	s_or_b64 exec, exec, s[2:3]
	; wave barrier
	scratch_load_dwordx4 v[2:5], off, s19
	v_cmp_gt_u32_e32 vcc, 5, v1
	;; [unrolled: 45-line block ×19, first 2 shown]
	s_waitcnt vmcnt(0)
	ds_write_b128 v6, v[2:5]
	s_waitcnt lgkmcnt(0)
	; wave barrier
	s_and_saveexec_b64 s[2:3], vcc
	s_cbranch_execz .LBB29_103
; %bb.100:
	v_add_u32_e32 v8, -1, v1
	v_add_u32_e32 v9, 0x1e0, v30
	v_mov_b32_e32 v10, v30
	v_mov_b64_e32 v[2:3], 0
	s_mov_b64 s[6:7], 0
	v_mov_b64_e32 v[4:5], 0
.LBB29_101:                             ; =>This Inner Loop Header: Depth=1
	scratch_load_dwordx4 v[12:15], v10, off
	ds_read_b128 v[16:19], v9
	v_add_u32_e32 v8, 1, v8
	v_cmp_lt_u32_e32 vcc, 20, v8
	v_add_u32_e32 v9, 16, v9
	v_add_u32_e32 v10, 16, v10
	s_or_b64 s[6:7], vcc, s[6:7]
	s_waitcnt vmcnt(0) lgkmcnt(0)
	v_mul_f64 v[20:21], v[18:19], v[14:15]
	v_mul_f64 v[14:15], v[16:17], v[14:15]
	v_fma_f64 v[16:17], v[16:17], v[12:13], -v[20:21]
	v_fmac_f64_e32 v[14:15], v[18:19], v[12:13]
	v_add_f64 v[4:5], v[4:5], v[16:17]
	v_add_f64 v[2:3], v[2:3], v[14:15]
	s_andn2_b64 exec, exec, s[6:7]
	s_cbranch_execnz .LBB29_101
; %bb.102:
	s_or_b64 exec, exec, s[6:7]
	v_mov_b32_e32 v8, 0
	ds_read_b128 v[8:11], v8 offset:352
	s_waitcnt lgkmcnt(0)
	v_mul_f64 v[14:15], v[2:3], v[10:11]
	v_mul_f64 v[12:13], v[4:5], v[10:11]
	v_fma_f64 v[10:11], v[4:5], v[8:9], -v[14:15]
	v_fmac_f64_e32 v[12:13], v[2:3], v[8:9]
	scratch_store_dwordx4 off, v[10:13], off offset:352
.LBB29_103:
	s_or_b64 exec, exec, s[2:3]
	; wave barrier
	scratch_load_dwordx4 v[2:5], off, s37
	v_cmp_gt_u32_e32 vcc, 23, v1
	s_waitcnt vmcnt(0)
	ds_write_b128 v6, v[2:5]
	s_waitcnt lgkmcnt(0)
	; wave barrier
	s_and_saveexec_b64 s[2:3], vcc
	s_cbranch_execz .LBB29_107
; %bb.104:
	v_add_u32_e32 v8, -1, v1
	v_add_u32_e32 v9, 0x1e0, v30
	v_mov_b32_e32 v10, v30
	v_mov_b64_e32 v[2:3], 0
	s_mov_b64 s[6:7], 0
	v_mov_b64_e32 v[4:5], 0
.LBB29_105:                             ; =>This Inner Loop Header: Depth=1
	scratch_load_dwordx4 v[12:15], v10, off
	ds_read_b128 v[16:19], v9
	v_add_u32_e32 v8, 1, v8
	v_cmp_lt_u32_e32 vcc, 21, v8
	v_add_u32_e32 v9, 16, v9
	v_add_u32_e32 v10, 16, v10
	s_or_b64 s[6:7], vcc, s[6:7]
	s_waitcnt vmcnt(0) lgkmcnt(0)
	v_mul_f64 v[20:21], v[18:19], v[14:15]
	v_mul_f64 v[14:15], v[16:17], v[14:15]
	v_fma_f64 v[16:17], v[16:17], v[12:13], -v[20:21]
	v_fmac_f64_e32 v[14:15], v[18:19], v[12:13]
	v_add_f64 v[4:5], v[4:5], v[16:17]
	v_add_f64 v[2:3], v[2:3], v[14:15]
	s_andn2_b64 exec, exec, s[6:7]
	s_cbranch_execnz .LBB29_105
; %bb.106:
	s_or_b64 exec, exec, s[6:7]
	v_mov_b32_e32 v8, 0
	ds_read_b128 v[8:11], v8 offset:368
	s_waitcnt lgkmcnt(0)
	v_mul_f64 v[14:15], v[2:3], v[10:11]
	v_mul_f64 v[12:13], v[4:5], v[10:11]
	v_fma_f64 v[10:11], v[4:5], v[8:9], -v[14:15]
	v_fmac_f64_e32 v[12:13], v[2:3], v[8:9]
	scratch_store_dwordx4 off, v[10:13], off offset:368
.LBB29_107:
	s_or_b64 exec, exec, s[2:3]
	; wave barrier
	scratch_load_dwordx4 v[2:5], off, s38
	v_cmp_gt_u32_e32 vcc, 24, v1
	;; [unrolled: 45-line block ×6, first 2 shown]
	s_waitcnt vmcnt(0)
	ds_write_b128 v6, v[2:5]
	s_waitcnt lgkmcnt(0)
	; wave barrier
	s_and_saveexec_b64 s[2:3], vcc
	s_cbranch_execz .LBB29_127
; %bb.124:
	v_add_u32_e32 v8, -1, v1
	v_add_u32_e32 v9, 0x1e0, v30
	v_mov_b32_e32 v10, v30
	v_mov_b64_e32 v[2:3], 0
	s_mov_b64 s[6:7], 0
	v_mov_b64_e32 v[4:5], 0
.LBB29_125:                             ; =>This Inner Loop Header: Depth=1
	scratch_load_dwordx4 v[12:15], v10, off
	ds_read_b128 v[16:19], v9
	v_add_u32_e32 v8, 1, v8
	v_cmp_lt_u32_e32 vcc, 26, v8
	v_add_u32_e32 v9, 16, v9
	v_add_u32_e32 v10, 16, v10
	s_or_b64 s[6:7], vcc, s[6:7]
	s_waitcnt vmcnt(0) lgkmcnt(0)
	v_mul_f64 v[20:21], v[18:19], v[14:15]
	v_mul_f64 v[14:15], v[16:17], v[14:15]
	v_fma_f64 v[16:17], v[16:17], v[12:13], -v[20:21]
	v_fmac_f64_e32 v[14:15], v[18:19], v[12:13]
	v_add_f64 v[4:5], v[4:5], v[16:17]
	v_add_f64 v[2:3], v[2:3], v[14:15]
	s_andn2_b64 exec, exec, s[6:7]
	s_cbranch_execnz .LBB29_125
; %bb.126:
	s_or_b64 exec, exec, s[6:7]
	v_mov_b32_e32 v8, 0
	ds_read_b128 v[8:11], v8 offset:448
	s_waitcnt lgkmcnt(0)
	v_mul_f64 v[14:15], v[2:3], v[10:11]
	v_mul_f64 v[12:13], v[4:5], v[10:11]
	v_fma_f64 v[10:11], v[4:5], v[8:9], -v[14:15]
	v_fmac_f64_e32 v[12:13], v[2:3], v[8:9]
	scratch_store_dwordx4 off, v[10:13], off offset:448
.LBB29_127:
	s_or_b64 exec, exec, s[2:3]
	; wave barrier
	scratch_load_dwordx4 v[2:5], off, s43
	v_cmp_ne_u32_e32 vcc, 29, v1
	s_waitcnt vmcnt(0)
	ds_write_b128 v6, v[2:5]
	s_waitcnt lgkmcnt(0)
	; wave barrier
	s_and_saveexec_b64 s[2:3], vcc
	s_cbranch_execz .LBB29_131
; %bb.128:
	v_add_u32_e32 v6, 0x1e0, v30
	v_mov_b32_e32 v8, v30
	v_mov_b64_e32 v[2:3], 0
	s_mov_b64 s[6:7], 0
	v_mov_b64_e32 v[4:5], 0
.LBB29_129:                             ; =>This Inner Loop Header: Depth=1
	scratch_load_dwordx4 v[10:13], v8, off
	ds_read_b128 v[14:17], v6
	v_add_u32_e32 v7, 1, v7
	v_cmp_lt_u32_e32 vcc, 27, v7
	v_add_u32_e32 v6, 16, v6
	v_add_u32_e32 v8, 16, v8
	s_or_b64 s[6:7], vcc, s[6:7]
	s_waitcnt vmcnt(0) lgkmcnt(0)
	v_mul_f64 v[18:19], v[16:17], v[12:13]
	v_mul_f64 v[12:13], v[14:15], v[12:13]
	v_fma_f64 v[14:15], v[14:15], v[10:11], -v[18:19]
	v_fmac_f64_e32 v[12:13], v[16:17], v[10:11]
	v_add_f64 v[4:5], v[4:5], v[14:15]
	v_add_f64 v[2:3], v[2:3], v[12:13]
	s_andn2_b64 exec, exec, s[6:7]
	s_cbranch_execnz .LBB29_129
; %bb.130:
	s_or_b64 exec, exec, s[6:7]
	v_mov_b32_e32 v6, 0
	ds_read_b128 v[6:9], v6 offset:464
	s_waitcnt lgkmcnt(0)
	v_mul_f64 v[12:13], v[2:3], v[8:9]
	v_mul_f64 v[10:11], v[4:5], v[8:9]
	v_fma_f64 v[8:9], v[4:5], v[6:7], -v[12:13]
	v_fmac_f64_e32 v[10:11], v[2:3], v[6:7]
	scratch_store_dwordx4 off, v[8:11], off offset:464
.LBB29_131:
	s_or_b64 exec, exec, s[2:3]
	s_mov_b64 s[6:7], -1
	; wave barrier
.LBB29_132:
	s_and_b64 vcc, exec, s[6:7]
	s_cbranch_vccz .LBB29_134
; %bb.133:
	s_lshl_b64 s[2:3], s[4:5], 2
	s_add_u32 s2, s10, s2
	s_addc_u32 s3, s11, s3
	v_mov_b32_e32 v2, 0
	global_load_dword v2, v2, s[2:3]
	s_waitcnt vmcnt(0)
	v_cmp_ne_u32_e32 vcc, 0, v2
	s_cbranch_vccz .LBB29_135
.LBB29_134:
	s_endpgm
.LBB29_135:
	v_mov_b32_e32 v2, 0x1e0
	v_lshl_add_u32 v238, v1, 4, v2
	v_cmp_eq_u32_e32 vcc, 29, v1
	s_and_saveexec_b64 s[2:3], vcc
	s_cbranch_execz .LBB29_137
; %bb.136:
	scratch_load_dwordx4 v[2:5], off, s42
	v_mov_b32_e32 v6, 0
	v_mov_b32_e32 v7, v6
	;; [unrolled: 1-line block ×4, first 2 shown]
	scratch_store_dwordx4 off, v[6:9], off offset:448
	s_waitcnt vmcnt(1)
	ds_write_b128 v238, v[2:5]
.LBB29_137:
	s_or_b64 exec, exec, s[2:3]
	s_waitcnt lgkmcnt(0)
	; wave barrier
	scratch_load_dwordx4 v[4:7], off, off offset:464
	scratch_load_dwordx4 v[8:11], off, off offset:448
	v_mov_b32_e32 v2, 0
	ds_read_b128 v[12:15], v2 offset:944
	v_cmp_lt_u32_e32 vcc, 27, v1
	s_waitcnt vmcnt(1) lgkmcnt(0)
	v_mul_f64 v[16:17], v[12:13], v[6:7]
	v_mul_f64 v[6:7], v[14:15], v[6:7]
	v_fmac_f64_e32 v[16:17], v[14:15], v[4:5]
	v_fma_f64 v[4:5], v[12:13], v[4:5], -v[6:7]
	v_add_f64 v[6:7], v[16:17], 0
	v_add_f64 v[4:5], v[4:5], 0
	s_waitcnt vmcnt(0)
	v_add_f64 v[4:5], v[8:9], -v[4:5]
	v_add_f64 v[6:7], v[10:11], -v[6:7]
	scratch_store_dwordx4 off, v[4:7], off offset:448
	s_and_saveexec_b64 s[2:3], vcc
	s_cbranch_execz .LBB29_139
; %bb.138:
	scratch_load_dwordx4 v[6:9], off, s41
	v_mov_b32_e32 v3, v2
	v_mov_b32_e32 v4, v2
	v_mov_b32_e32 v5, v2
	scratch_store_dwordx4 off, v[2:5], off offset:432
	s_waitcnt vmcnt(1)
	ds_write_b128 v238, v[6:9]
.LBB29_139:
	s_or_b64 exec, exec, s[2:3]
	s_waitcnt lgkmcnt(0)
	; wave barrier
	scratch_load_dwordx4 v[4:7], off, off offset:448
	scratch_load_dwordx4 v[8:11], off, off offset:464
	;; [unrolled: 1-line block ×3, first 2 shown]
	ds_read_b128 v[16:19], v2 offset:928
	ds_read_b128 v[20:23], v2 offset:944
	v_cmp_lt_u32_e32 vcc, 26, v1
	s_waitcnt vmcnt(2) lgkmcnt(1)
	v_mul_f64 v[2:3], v[16:17], v[6:7]
	v_mul_f64 v[6:7], v[18:19], v[6:7]
	s_waitcnt vmcnt(1) lgkmcnt(0)
	v_mul_f64 v[24:25], v[20:21], v[10:11]
	v_mul_f64 v[10:11], v[22:23], v[10:11]
	v_fmac_f64_e32 v[2:3], v[18:19], v[4:5]
	v_fma_f64 v[4:5], v[16:17], v[4:5], -v[6:7]
	v_fmac_f64_e32 v[24:25], v[22:23], v[8:9]
	v_fma_f64 v[6:7], v[20:21], v[8:9], -v[10:11]
	v_add_f64 v[2:3], v[2:3], 0
	v_add_f64 v[4:5], v[4:5], 0
	;; [unrolled: 1-line block ×4, first 2 shown]
	s_waitcnt vmcnt(0)
	v_add_f64 v[2:3], v[12:13], -v[2:3]
	v_add_f64 v[4:5], v[14:15], -v[8:9]
	scratch_store_dwordx4 off, v[2:5], off offset:432
	s_and_saveexec_b64 s[2:3], vcc
	s_cbranch_execz .LBB29_141
; %bb.140:
	scratch_load_dwordx4 v[2:5], off, s40
	v_mov_b32_e32 v6, 0
	v_mov_b32_e32 v7, v6
	;; [unrolled: 1-line block ×4, first 2 shown]
	scratch_store_dwordx4 off, v[6:9], off offset:416
	s_waitcnt vmcnt(1)
	ds_write_b128 v238, v[2:5]
.LBB29_141:
	s_or_b64 exec, exec, s[2:3]
	s_waitcnt lgkmcnt(0)
	; wave barrier
	scratch_load_dwordx4 v[4:7], off, off offset:432
	scratch_load_dwordx4 v[8:11], off, off offset:448
	;; [unrolled: 1-line block ×4, first 2 shown]
	v_mov_b32_e32 v2, 0
	ds_read_b128 v[20:23], v2 offset:912
	ds_read_b128 v[24:27], v2 offset:928
	;; [unrolled: 1-line block ×3, first 2 shown]
	v_cmp_lt_u32_e32 vcc, 25, v1
	s_waitcnt vmcnt(3) lgkmcnt(2)
	v_mul_f64 v[32:33], v[20:21], v[6:7]
	v_mul_f64 v[6:7], v[22:23], v[6:7]
	s_waitcnt vmcnt(2) lgkmcnt(1)
	v_mul_f64 v[34:35], v[24:25], v[10:11]
	v_mul_f64 v[10:11], v[26:27], v[10:11]
	v_fmac_f64_e32 v[32:33], v[22:23], v[4:5]
	v_fma_f64 v[4:5], v[20:21], v[4:5], -v[6:7]
	s_waitcnt vmcnt(1) lgkmcnt(0)
	v_mul_f64 v[36:37], v[28:29], v[14:15]
	v_mul_f64 v[14:15], v[30:31], v[14:15]
	v_fmac_f64_e32 v[34:35], v[26:27], v[8:9]
	v_fma_f64 v[6:7], v[24:25], v[8:9], -v[10:11]
	v_add_f64 v[10:11], v[32:33], 0
	v_add_f64 v[4:5], v[4:5], 0
	v_fmac_f64_e32 v[36:37], v[30:31], v[12:13]
	v_fma_f64 v[8:9], v[28:29], v[12:13], -v[14:15]
	v_add_f64 v[10:11], v[10:11], v[34:35]
	v_add_f64 v[4:5], v[4:5], v[6:7]
	;; [unrolled: 1-line block ×4, first 2 shown]
	s_waitcnt vmcnt(0)
	v_add_f64 v[4:5], v[16:17], -v[4:5]
	v_add_f64 v[6:7], v[18:19], -v[6:7]
	scratch_store_dwordx4 off, v[4:7], off offset:416
	s_and_saveexec_b64 s[2:3], vcc
	s_cbranch_execz .LBB29_143
; %bb.142:
	scratch_load_dwordx4 v[6:9], off, s39
	v_mov_b32_e32 v3, v2
	v_mov_b32_e32 v4, v2
	;; [unrolled: 1-line block ×3, first 2 shown]
	scratch_store_dwordx4 off, v[2:5], off offset:400
	s_waitcnt vmcnt(1)
	ds_write_b128 v238, v[6:9]
.LBB29_143:
	s_or_b64 exec, exec, s[2:3]
	s_waitcnt lgkmcnt(0)
	; wave barrier
	scratch_load_dwordx4 v[4:7], off, off offset:416
	scratch_load_dwordx4 v[8:11], off, off offset:432
	;; [unrolled: 1-line block ×5, first 2 shown]
	ds_read_b128 v[24:27], v2 offset:896
	ds_read_b128 v[28:31], v2 offset:912
	;; [unrolled: 1-line block ×4, first 2 shown]
	v_cmp_lt_u32_e32 vcc, 24, v1
	s_waitcnt vmcnt(4) lgkmcnt(3)
	v_mul_f64 v[2:3], v[24:25], v[6:7]
	v_mul_f64 v[6:7], v[26:27], v[6:7]
	s_waitcnt vmcnt(3) lgkmcnt(2)
	v_mul_f64 v[40:41], v[28:29], v[10:11]
	v_mul_f64 v[10:11], v[30:31], v[10:11]
	v_fmac_f64_e32 v[2:3], v[26:27], v[4:5]
	v_fma_f64 v[4:5], v[24:25], v[4:5], -v[6:7]
	s_waitcnt vmcnt(2) lgkmcnt(1)
	v_mul_f64 v[42:43], v[32:33], v[14:15]
	v_mul_f64 v[14:15], v[34:35], v[14:15]
	v_fmac_f64_e32 v[40:41], v[30:31], v[8:9]
	v_fma_f64 v[6:7], v[28:29], v[8:9], -v[10:11]
	v_add_f64 v[2:3], v[2:3], 0
	v_add_f64 v[4:5], v[4:5], 0
	s_waitcnt vmcnt(1) lgkmcnt(0)
	v_mul_f64 v[44:45], v[36:37], v[18:19]
	v_mul_f64 v[18:19], v[38:39], v[18:19]
	v_fmac_f64_e32 v[42:43], v[34:35], v[12:13]
	v_fma_f64 v[8:9], v[32:33], v[12:13], -v[14:15]
	v_add_f64 v[2:3], v[2:3], v[40:41]
	v_add_f64 v[4:5], v[4:5], v[6:7]
	v_fmac_f64_e32 v[44:45], v[38:39], v[16:17]
	v_fma_f64 v[10:11], v[36:37], v[16:17], -v[18:19]
	v_add_f64 v[2:3], v[2:3], v[42:43]
	v_add_f64 v[4:5], v[4:5], v[8:9]
	;; [unrolled: 1-line block ×4, first 2 shown]
	s_waitcnt vmcnt(0)
	v_add_f64 v[2:3], v[20:21], -v[2:3]
	v_add_f64 v[4:5], v[22:23], -v[6:7]
	scratch_store_dwordx4 off, v[2:5], off offset:400
	s_and_saveexec_b64 s[2:3], vcc
	s_cbranch_execz .LBB29_145
; %bb.144:
	scratch_load_dwordx4 v[2:5], off, s38
	v_mov_b32_e32 v6, 0
	v_mov_b32_e32 v7, v6
	;; [unrolled: 1-line block ×4, first 2 shown]
	scratch_store_dwordx4 off, v[6:9], off offset:384
	s_waitcnt vmcnt(1)
	ds_write_b128 v238, v[2:5]
.LBB29_145:
	s_or_b64 exec, exec, s[2:3]
	s_waitcnt lgkmcnt(0)
	; wave barrier
	scratch_load_dwordx4 v[4:7], off, off offset:400
	scratch_load_dwordx4 v[8:11], off, off offset:416
	;; [unrolled: 1-line block ×6, first 2 shown]
	v_mov_b32_e32 v2, 0
	ds_read_b128 v[28:31], v2 offset:880
	ds_read_b128 v[32:35], v2 offset:896
	ds_read_b128 v[36:39], v2 offset:912
	ds_read_b128 v[40:43], v2 offset:928
	ds_read_b128 v[44:47], v2 offset:944
	v_cmp_lt_u32_e32 vcc, 23, v1
	s_waitcnt vmcnt(5) lgkmcnt(4)
	v_mul_f64 v[48:49], v[28:29], v[6:7]
	v_mul_f64 v[6:7], v[30:31], v[6:7]
	s_waitcnt vmcnt(4) lgkmcnt(3)
	v_mul_f64 v[50:51], v[32:33], v[10:11]
	s_waitcnt vmcnt(3) lgkmcnt(2)
	v_mul_f64 v[52:53], v[36:37], v[14:15]
	v_mul_f64 v[10:11], v[34:35], v[10:11]
	;; [unrolled: 1-line block ×3, first 2 shown]
	v_fmac_f64_e32 v[48:49], v[30:31], v[4:5]
	v_fma_f64 v[4:5], v[28:29], v[4:5], -v[6:7]
	v_fmac_f64_e32 v[50:51], v[34:35], v[8:9]
	v_fma_f64 v[6:7], v[32:33], v[8:9], -v[10:11]
	v_fma_f64 v[8:9], v[36:37], v[12:13], -v[14:15]
	v_add_f64 v[14:15], v[48:49], 0
	v_add_f64 v[4:5], v[4:5], 0
	s_waitcnt vmcnt(2) lgkmcnt(1)
	v_mul_f64 v[54:55], v[40:41], v[18:19]
	v_mul_f64 v[18:19], v[42:43], v[18:19]
	v_fmac_f64_e32 v[52:53], v[38:39], v[12:13]
	v_add_f64 v[14:15], v[14:15], v[50:51]
	v_add_f64 v[4:5], v[4:5], v[6:7]
	s_waitcnt vmcnt(1) lgkmcnt(0)
	v_mul_f64 v[56:57], v[44:45], v[22:23]
	v_mul_f64 v[22:23], v[46:47], v[22:23]
	v_fmac_f64_e32 v[54:55], v[42:43], v[16:17]
	v_fma_f64 v[10:11], v[40:41], v[16:17], -v[18:19]
	v_add_f64 v[6:7], v[14:15], v[52:53]
	v_add_f64 v[4:5], v[4:5], v[8:9]
	v_fmac_f64_e32 v[56:57], v[46:47], v[20:21]
	v_fma_f64 v[12:13], v[44:45], v[20:21], -v[22:23]
	v_add_f64 v[6:7], v[6:7], v[54:55]
	v_add_f64 v[4:5], v[4:5], v[10:11]
	;; [unrolled: 1-line block ×4, first 2 shown]
	s_waitcnt vmcnt(0)
	v_add_f64 v[4:5], v[24:25], -v[4:5]
	v_add_f64 v[6:7], v[26:27], -v[6:7]
	scratch_store_dwordx4 off, v[4:7], off offset:384
	s_and_saveexec_b64 s[2:3], vcc
	s_cbranch_execz .LBB29_147
; %bb.146:
	scratch_load_dwordx4 v[6:9], off, s37
	v_mov_b32_e32 v3, v2
	v_mov_b32_e32 v4, v2
	;; [unrolled: 1-line block ×3, first 2 shown]
	scratch_store_dwordx4 off, v[2:5], off offset:368
	s_waitcnt vmcnt(1)
	ds_write_b128 v238, v[6:9]
.LBB29_147:
	s_or_b64 exec, exec, s[2:3]
	s_waitcnt lgkmcnt(0)
	; wave barrier
	ds_read_b128 v[4:7], v2 offset:864
	ds_read_b128 v[8:11], v2 offset:880
	;; [unrolled: 1-line block ×4, first 2 shown]
	scratch_load_dwordx4 v[20:23], off, off offset:384
	scratch_load_dwordx4 v[40:43], off, off offset:448
	v_cmp_lt_u32_e32 vcc, 22, v1
	scratch_load_dwordx4 v[48:51], off, off offset:464
	s_waitcnt vmcnt(2) lgkmcnt(3)
	v_mul_f64 v[24:25], v[4:5], v[22:23]
	v_fmac_f64_e32 v[24:25], v[6:7], v[20:21]
	v_add_f64 v[28:29], v[24:25], 0
	scratch_load_dwordx4 v[24:27], off, off offset:400
	s_waitcnt vmcnt(0) lgkmcnt(2)
	v_mul_f64 v[30:31], v[8:9], v[26:27]
	v_fmac_f64_e32 v[30:31], v[10:11], v[24:25]
	v_add_f64 v[32:33], v[28:29], v[30:31]
	;; [unrolled: 5-line block ×4, first 2 shown]
	ds_read_b128 v[36:39], v2 offset:928
	s_waitcnt lgkmcnt(0)
	v_mul_f64 v[46:47], v[36:37], v[42:43]
	v_fmac_f64_e32 v[46:47], v[38:39], v[40:41]
	v_add_f64 v[52:53], v[44:45], v[46:47]
	ds_read_b128 v[44:47], v2 offset:944
	s_waitcnt lgkmcnt(0)
	v_mul_f64 v[2:3], v[44:45], v[50:51]
	v_fmac_f64_e32 v[2:3], v[46:47], v[48:49]
	v_add_f64 v[52:53], v[52:53], v[2:3]
	v_mul_f64 v[2:3], v[6:7], v[22:23]
	v_fma_f64 v[2:3], v[4:5], v[20:21], -v[2:3]
	v_mul_f64 v[4:5], v[10:11], v[26:27]
	v_add_f64 v[2:3], v[2:3], 0
	v_fma_f64 v[4:5], v[8:9], v[24:25], -v[4:5]
	v_add_f64 v[2:3], v[2:3], v[4:5]
	v_mul_f64 v[4:5], v[14:15], v[30:31]
	v_fma_f64 v[4:5], v[12:13], v[28:29], -v[4:5]
	v_add_f64 v[2:3], v[2:3], v[4:5]
	v_mul_f64 v[4:5], v[18:19], v[34:35]
	;; [unrolled: 3-line block ×4, first 2 shown]
	v_fma_f64 v[4:5], v[44:45], v[48:49], -v[4:5]
	v_add_f64 v[6:7], v[2:3], v[4:5]
	scratch_load_dwordx4 v[2:5], off, off offset:368
	s_waitcnt vmcnt(0)
	v_add_f64 v[2:3], v[2:3], -v[6:7]
	v_add_f64 v[4:5], v[4:5], -v[52:53]
	scratch_store_dwordx4 off, v[2:5], off offset:368
	s_and_saveexec_b64 s[2:3], vcc
	s_cbranch_execz .LBB29_149
; %bb.148:
	scratch_load_dwordx4 v[2:5], off, s36
	v_mov_b32_e32 v6, 0
	v_mov_b32_e32 v7, v6
	;; [unrolled: 1-line block ×4, first 2 shown]
	scratch_store_dwordx4 off, v[6:9], off offset:352
	s_waitcnt vmcnt(1)
	ds_write_b128 v238, v[2:5]
.LBB29_149:
	s_or_b64 exec, exec, s[2:3]
	v_mov_b32_e32 v2, 0
	s_waitcnt lgkmcnt(0)
	; wave barrier
	ds_read_b128 v[4:7], v2 offset:848
	ds_read_b128 v[8:11], v2 offset:864
	;; [unrolled: 1-line block ×4, first 2 shown]
	scratch_load_dwordx4 v[20:23], off, off offset:368
	scratch_load_dwordx4 v[40:43], off, off offset:432
	v_cmp_lt_u32_e32 vcc, 21, v1
	scratch_load_dwordx4 v[48:51], off, off offset:448
	scratch_load_dwordx4 v[56:59], off, off offset:464
	s_waitcnt vmcnt(3) lgkmcnt(3)
	v_mul_f64 v[24:25], v[4:5], v[22:23]
	v_fmac_f64_e32 v[24:25], v[6:7], v[20:21]
	v_add_f64 v[28:29], v[24:25], 0
	scratch_load_dwordx4 v[24:27], off, off offset:384
	v_mul_f64 v[6:7], v[6:7], v[22:23]
	v_fma_f64 v[4:5], v[4:5], v[20:21], -v[6:7]
	v_add_f64 v[4:5], v[4:5], 0
	s_waitcnt vmcnt(0) lgkmcnt(2)
	v_mul_f64 v[30:31], v[8:9], v[26:27]
	v_fmac_f64_e32 v[30:31], v[10:11], v[24:25]
	v_add_f64 v[32:33], v[28:29], v[30:31]
	scratch_load_dwordx4 v[28:31], off, off offset:400
	v_mul_f64 v[6:7], v[10:11], v[26:27]
	v_fma_f64 v[6:7], v[8:9], v[24:25], -v[6:7]
	v_add_f64 v[4:5], v[4:5], v[6:7]
	;; [unrolled: 8-line block ×3, first 2 shown]
	s_waitcnt vmcnt(0) lgkmcnt(0)
	v_mul_f64 v[38:39], v[16:17], v[34:35]
	v_fmac_f64_e32 v[38:39], v[18:19], v[32:33]
	v_add_f64 v[44:45], v[36:37], v[38:39]
	ds_read_b128 v[36:39], v2 offset:912
	v_mul_f64 v[6:7], v[18:19], v[34:35]
	v_fma_f64 v[6:7], v[16:17], v[32:33], -v[6:7]
	v_add_f64 v[4:5], v[4:5], v[6:7]
	s_waitcnt lgkmcnt(0)
	v_mul_f64 v[46:47], v[36:37], v[42:43]
	v_fmac_f64_e32 v[46:47], v[38:39], v[40:41]
	v_add_f64 v[52:53], v[44:45], v[46:47]
	ds_read_b128 v[44:47], v2 offset:928
	v_mul_f64 v[6:7], v[38:39], v[42:43]
	v_fma_f64 v[6:7], v[36:37], v[40:41], -v[6:7]
	v_add_f64 v[4:5], v[4:5], v[6:7]
	s_waitcnt lgkmcnt(0)
	;; [unrolled: 8-line block ×3, first 2 shown]
	v_mul_f64 v[6:7], v[54:55], v[58:59]
	v_fma_f64 v[6:7], v[52:53], v[56:57], -v[6:7]
	v_add_f64 v[8:9], v[4:5], v[6:7]
	scratch_load_dwordx4 v[4:7], off, off offset:352
	v_mul_f64 v[62:63], v[52:53], v[58:59]
	v_fmac_f64_e32 v[62:63], v[54:55], v[56:57]
	v_add_f64 v[60:61], v[60:61], v[62:63]
	s_waitcnt vmcnt(0)
	v_add_f64 v[4:5], v[4:5], -v[8:9]
	v_add_f64 v[6:7], v[6:7], -v[60:61]
	scratch_store_dwordx4 off, v[4:7], off offset:352
	s_and_saveexec_b64 s[2:3], vcc
	s_cbranch_execz .LBB29_151
; %bb.150:
	scratch_load_dwordx4 v[6:9], off, s35
	v_mov_b32_e32 v3, v2
	v_mov_b32_e32 v4, v2
	;; [unrolled: 1-line block ×3, first 2 shown]
	scratch_store_dwordx4 off, v[2:5], off offset:336
	s_waitcnt vmcnt(1)
	ds_write_b128 v238, v[6:9]
.LBB29_151:
	s_or_b64 exec, exec, s[2:3]
	s_waitcnt lgkmcnt(0)
	; wave barrier
	scratch_load_dwordx4 v[4:7], off, off offset:352
	scratch_load_dwordx4 v[8:11], off, off offset:368
	scratch_load_dwordx4 v[12:15], off, off offset:384
	scratch_load_dwordx4 v[16:19], off, off offset:400
	scratch_load_dwordx4 v[20:23], off, off offset:416
	scratch_load_dwordx4 v[24:27], off, off offset:432
	scratch_load_dwordx4 v[28:31], off, off offset:448
	scratch_load_dwordx4 v[32:35], off, off offset:464
	scratch_load_dwordx4 v[36:39], off, off offset:336
	ds_read_b128 v[40:43], v2 offset:832
	ds_read_b128 v[44:47], v2 offset:848
	;; [unrolled: 1-line block ×8, first 2 shown]
	v_cmp_lt_u32_e32 vcc, 20, v1
	s_waitcnt vmcnt(8) lgkmcnt(7)
	v_mul_f64 v[2:3], v[40:41], v[6:7]
	v_mul_f64 v[6:7], v[42:43], v[6:7]
	s_waitcnt vmcnt(7) lgkmcnt(6)
	v_mul_f64 v[72:73], v[44:45], v[10:11]
	v_mul_f64 v[10:11], v[46:47], v[10:11]
	v_fmac_f64_e32 v[2:3], v[42:43], v[4:5]
	v_fma_f64 v[4:5], v[40:41], v[4:5], -v[6:7]
	s_waitcnt vmcnt(6) lgkmcnt(5)
	v_mul_f64 v[74:75], v[48:49], v[14:15]
	v_mul_f64 v[14:15], v[50:51], v[14:15]
	v_fmac_f64_e32 v[72:73], v[46:47], v[8:9]
	v_fma_f64 v[6:7], v[44:45], v[8:9], -v[10:11]
	v_add_f64 v[2:3], v[2:3], 0
	v_add_f64 v[4:5], v[4:5], 0
	s_waitcnt vmcnt(5) lgkmcnt(4)
	v_mul_f64 v[76:77], v[52:53], v[18:19]
	v_mul_f64 v[18:19], v[54:55], v[18:19]
	v_fmac_f64_e32 v[74:75], v[50:51], v[12:13]
	v_fma_f64 v[8:9], v[48:49], v[12:13], -v[14:15]
	v_add_f64 v[2:3], v[2:3], v[72:73]
	v_add_f64 v[4:5], v[4:5], v[6:7]
	;; [unrolled: 7-line block ×6, first 2 shown]
	v_fmac_f64_e32 v[84:85], v[70:71], v[32:33]
	v_fma_f64 v[18:19], v[68:69], v[32:33], -v[34:35]
	v_add_f64 v[2:3], v[2:3], v[82:83]
	v_add_f64 v[4:5], v[4:5], v[16:17]
	;; [unrolled: 1-line block ×4, first 2 shown]
	s_waitcnt vmcnt(0)
	v_add_f64 v[2:3], v[36:37], -v[2:3]
	v_add_f64 v[4:5], v[38:39], -v[6:7]
	scratch_store_dwordx4 off, v[2:5], off offset:336
	s_and_saveexec_b64 s[2:3], vcc
	s_cbranch_execz .LBB29_153
; %bb.152:
	scratch_load_dwordx4 v[2:5], off, s34
	v_mov_b32_e32 v6, 0
	v_mov_b32_e32 v7, v6
	;; [unrolled: 1-line block ×4, first 2 shown]
	scratch_store_dwordx4 off, v[6:9], off offset:320
	s_waitcnt vmcnt(1)
	ds_write_b128 v238, v[2:5]
.LBB29_153:
	s_or_b64 exec, exec, s[2:3]
	s_waitcnt lgkmcnt(0)
	; wave barrier
	scratch_load_dwordx4 v[4:7], off, off offset:336
	scratch_load_dwordx4 v[8:11], off, off offset:352
	;; [unrolled: 1-line block ×10, first 2 shown]
	v_mov_b32_e32 v2, 0
	ds_read_b128 v[44:47], v2 offset:816
	ds_read_b128 v[48:51], v2 offset:832
	;; [unrolled: 1-line block ×9, first 2 shown]
	v_cmp_lt_u32_e32 vcc, 19, v1
	s_waitcnt vmcnt(9) lgkmcnt(8)
	v_mul_f64 v[80:81], v[44:45], v[6:7]
	v_mul_f64 v[6:7], v[46:47], v[6:7]
	s_waitcnt vmcnt(8) lgkmcnt(7)
	v_mul_f64 v[82:83], v[48:49], v[10:11]
	s_waitcnt vmcnt(7) lgkmcnt(6)
	;; [unrolled: 2-line block ×3, first 2 shown]
	v_mul_f64 v[88:89], v[60:61], v[22:23]
	v_mul_f64 v[10:11], v[50:51], v[10:11]
	;; [unrolled: 1-line block ×4, first 2 shown]
	v_fmac_f64_e32 v[80:81], v[46:47], v[4:5]
	v_fma_f64 v[4:5], v[44:45], v[4:5], -v[6:7]
	v_fmac_f64_e32 v[82:83], v[50:51], v[8:9]
	v_fmac_f64_e32 v[84:85], v[54:55], v[12:13]
	v_fma_f64 v[6:7], v[48:49], v[8:9], -v[10:11]
	v_fma_f64 v[8:9], v[52:53], v[12:13], -v[14:15]
	;; [unrolled: 1-line block ×3, first 2 shown]
	v_add_f64 v[22:23], v[80:81], 0
	v_add_f64 v[4:5], v[4:5], 0
	v_mul_f64 v[86:87], v[56:57], v[18:19]
	v_mul_f64 v[18:19], v[58:59], v[18:19]
	v_add_f64 v[22:23], v[22:23], v[82:83]
	v_add_f64 v[4:5], v[4:5], v[6:7]
	v_fmac_f64_e32 v[86:87], v[58:59], v[16:17]
	v_fma_f64 v[10:11], v[56:57], v[16:17], -v[18:19]
	v_add_f64 v[6:7], v[22:23], v[84:85]
	v_add_f64 v[4:5], v[4:5], v[8:9]
	s_waitcnt vmcnt(4) lgkmcnt(3)
	v_mul_f64 v[90:91], v[64:65], v[26:27]
	v_mul_f64 v[26:27], v[66:67], v[26:27]
	v_fmac_f64_e32 v[88:89], v[62:63], v[20:21]
	v_add_f64 v[6:7], v[6:7], v[86:87]
	v_add_f64 v[4:5], v[4:5], v[10:11]
	s_waitcnt vmcnt(3) lgkmcnt(2)
	v_mul_f64 v[92:93], v[68:69], v[30:31]
	v_mul_f64 v[30:31], v[70:71], v[30:31]
	v_fmac_f64_e32 v[90:91], v[66:67], v[24:25]
	v_fma_f64 v[14:15], v[64:65], v[24:25], -v[26:27]
	v_add_f64 v[6:7], v[6:7], v[88:89]
	v_add_f64 v[4:5], v[4:5], v[12:13]
	s_waitcnt vmcnt(2) lgkmcnt(1)
	v_mul_f64 v[94:95], v[72:73], v[34:35]
	v_mul_f64 v[34:35], v[74:75], v[34:35]
	v_fmac_f64_e32 v[92:93], v[70:71], v[28:29]
	v_fma_f64 v[16:17], v[68:69], v[28:29], -v[30:31]
	;; [unrolled: 7-line block ×3, first 2 shown]
	v_add_f64 v[6:7], v[6:7], v[92:93]
	v_add_f64 v[4:5], v[4:5], v[16:17]
	v_fmac_f64_e32 v[96:97], v[78:79], v[36:37]
	v_fma_f64 v[20:21], v[76:77], v[36:37], -v[38:39]
	v_add_f64 v[6:7], v[6:7], v[94:95]
	v_add_f64 v[4:5], v[4:5], v[18:19]
	;; [unrolled: 1-line block ×4, first 2 shown]
	s_waitcnt vmcnt(0)
	v_add_f64 v[4:5], v[40:41], -v[4:5]
	v_add_f64 v[6:7], v[42:43], -v[6:7]
	scratch_store_dwordx4 off, v[4:7], off offset:320
	s_and_saveexec_b64 s[2:3], vcc
	s_cbranch_execz .LBB29_155
; %bb.154:
	scratch_load_dwordx4 v[6:9], off, s33
	v_mov_b32_e32 v3, v2
	v_mov_b32_e32 v4, v2
	;; [unrolled: 1-line block ×3, first 2 shown]
	scratch_store_dwordx4 off, v[2:5], off offset:304
	s_waitcnt vmcnt(1)
	ds_write_b128 v238, v[6:9]
.LBB29_155:
	s_or_b64 exec, exec, s[2:3]
	s_waitcnt lgkmcnt(0)
	; wave barrier
	ds_read_b128 v[4:7], v2 offset:800
	ds_read_b128 v[8:11], v2 offset:816
	;; [unrolled: 1-line block ×4, first 2 shown]
	scratch_load_dwordx4 v[20:23], off, off offset:320
	scratch_load_dwordx4 v[40:43], off, off offset:384
	;; [unrolled: 1-line block ×4, first 2 shown]
	v_cmp_lt_u32_e32 vcc, 18, v1
	scratch_load_dwordx4 v[48:51], off, off offset:400
	scratch_load_dwordx4 v[56:59], off, off offset:416
	;; [unrolled: 1-line block ×3, first 2 shown]
	s_waitcnt vmcnt(6) lgkmcnt(3)
	v_mul_f64 v[24:25], v[4:5], v[22:23]
	v_fmac_f64_e32 v[24:25], v[6:7], v[20:21]
	v_add_f64 v[28:29], v[24:25], 0
	scratch_load_dwordx4 v[24:27], off, off offset:336
	s_waitcnt vmcnt(0) lgkmcnt(2)
	v_mul_f64 v[30:31], v[8:9], v[26:27]
	v_fmac_f64_e32 v[30:31], v[10:11], v[24:25]
	v_add_f64 v[32:33], v[28:29], v[30:31]
	scratch_load_dwordx4 v[28:31], off, off offset:352
	;; [unrolled: 5-line block ×3, first 2 shown]
	s_waitcnt vmcnt(0) lgkmcnt(0)
	v_mul_f64 v[38:39], v[16:17], v[34:35]
	v_fmac_f64_e32 v[38:39], v[18:19], v[32:33]
	v_add_f64 v[44:45], v[36:37], v[38:39]
	ds_read_b128 v[36:39], v2 offset:864
	s_waitcnt lgkmcnt(0)
	v_mul_f64 v[46:47], v[36:37], v[42:43]
	v_fmac_f64_e32 v[46:47], v[38:39], v[40:41]
	v_add_f64 v[52:53], v[44:45], v[46:47]
	ds_read_b128 v[44:47], v2 offset:880
	s_waitcnt lgkmcnt(0)
	;; [unrolled: 5-line block ×6, first 2 shown]
	v_mul_f64 v[2:3], v[76:77], v[82:83]
	v_fmac_f64_e32 v[2:3], v[78:79], v[80:81]
	v_add_f64 v[84:85], v[84:85], v[2:3]
	v_mul_f64 v[2:3], v[6:7], v[22:23]
	v_fma_f64 v[2:3], v[4:5], v[20:21], -v[2:3]
	v_mul_f64 v[4:5], v[10:11], v[26:27]
	v_add_f64 v[2:3], v[2:3], 0
	v_fma_f64 v[4:5], v[8:9], v[24:25], -v[4:5]
	v_add_f64 v[2:3], v[2:3], v[4:5]
	v_mul_f64 v[4:5], v[14:15], v[30:31]
	v_fma_f64 v[4:5], v[12:13], v[28:29], -v[4:5]
	v_add_f64 v[2:3], v[2:3], v[4:5]
	v_mul_f64 v[4:5], v[18:19], v[34:35]
	;; [unrolled: 3-line block ×8, first 2 shown]
	v_fma_f64 v[4:5], v[76:77], v[80:81], -v[4:5]
	v_add_f64 v[6:7], v[2:3], v[4:5]
	scratch_load_dwordx4 v[2:5], off, off offset:304
	s_waitcnt vmcnt(0)
	v_add_f64 v[2:3], v[2:3], -v[6:7]
	v_add_f64 v[4:5], v[4:5], -v[84:85]
	scratch_store_dwordx4 off, v[2:5], off offset:304
	s_and_saveexec_b64 s[2:3], vcc
	s_cbranch_execz .LBB29_157
; %bb.156:
	scratch_load_dwordx4 v[2:5], off, s31
	v_mov_b32_e32 v6, 0
	v_mov_b32_e32 v7, v6
	;; [unrolled: 1-line block ×4, first 2 shown]
	scratch_store_dwordx4 off, v[6:9], off offset:288
	s_waitcnt vmcnt(1)
	ds_write_b128 v238, v[2:5]
.LBB29_157:
	s_or_b64 exec, exec, s[2:3]
	v_mov_b32_e32 v2, 0
	s_waitcnt lgkmcnt(0)
	; wave barrier
	ds_read_b128 v[4:7], v2 offset:784
	ds_read_b128 v[8:11], v2 offset:800
	;; [unrolled: 1-line block ×4, first 2 shown]
	scratch_load_dwordx4 v[20:23], off, off offset:304
	scratch_load_dwordx4 v[40:43], off, off offset:368
	scratch_load_dwordx4 v[72:75], off, off offset:432
	scratch_load_dwordx4 v[80:83], off, off offset:448
	scratch_load_dwordx4 v[88:91], off, off offset:464
	v_cmp_lt_u32_e32 vcc, 17, v1
	scratch_load_dwordx4 v[48:51], off, off offset:384
	scratch_load_dwordx4 v[56:59], off, off offset:400
	;; [unrolled: 1-line block ×3, first 2 shown]
	s_waitcnt vmcnt(7) lgkmcnt(3)
	v_mul_f64 v[24:25], v[4:5], v[22:23]
	v_fmac_f64_e32 v[24:25], v[6:7], v[20:21]
	v_add_f64 v[28:29], v[24:25], 0
	scratch_load_dwordx4 v[24:27], off, off offset:320
	v_mul_f64 v[6:7], v[6:7], v[22:23]
	v_fma_f64 v[4:5], v[4:5], v[20:21], -v[6:7]
	v_add_f64 v[4:5], v[4:5], 0
	s_waitcnt vmcnt(0) lgkmcnt(2)
	v_mul_f64 v[30:31], v[8:9], v[26:27]
	v_fmac_f64_e32 v[30:31], v[10:11], v[24:25]
	v_add_f64 v[32:33], v[28:29], v[30:31]
	scratch_load_dwordx4 v[28:31], off, off offset:336
	v_mul_f64 v[6:7], v[10:11], v[26:27]
	v_fma_f64 v[6:7], v[8:9], v[24:25], -v[6:7]
	v_add_f64 v[4:5], v[4:5], v[6:7]
	;; [unrolled: 8-line block ×3, first 2 shown]
	s_waitcnt vmcnt(0) lgkmcnt(0)
	v_mul_f64 v[38:39], v[16:17], v[34:35]
	v_fmac_f64_e32 v[38:39], v[18:19], v[32:33]
	v_add_f64 v[44:45], v[36:37], v[38:39]
	ds_read_b128 v[36:39], v2 offset:848
	v_mul_f64 v[6:7], v[18:19], v[34:35]
	v_fma_f64 v[6:7], v[16:17], v[32:33], -v[6:7]
	v_add_f64 v[4:5], v[4:5], v[6:7]
	s_waitcnt lgkmcnt(0)
	v_mul_f64 v[46:47], v[36:37], v[42:43]
	v_fmac_f64_e32 v[46:47], v[38:39], v[40:41]
	v_add_f64 v[52:53], v[44:45], v[46:47]
	ds_read_b128 v[44:47], v2 offset:864
	v_mul_f64 v[6:7], v[38:39], v[42:43]
	v_fma_f64 v[6:7], v[36:37], v[40:41], -v[6:7]
	v_add_f64 v[4:5], v[4:5], v[6:7]
	s_waitcnt lgkmcnt(0)
	;; [unrolled: 8-line block ×7, first 2 shown]
	v_mul_f64 v[6:7], v[86:87], v[90:91]
	v_fma_f64 v[6:7], v[84:85], v[88:89], -v[6:7]
	v_add_f64 v[8:9], v[4:5], v[6:7]
	scratch_load_dwordx4 v[4:7], off, off offset:288
	v_mul_f64 v[94:95], v[84:85], v[90:91]
	v_fmac_f64_e32 v[94:95], v[86:87], v[88:89]
	v_add_f64 v[92:93], v[92:93], v[94:95]
	s_waitcnt vmcnt(0)
	v_add_f64 v[4:5], v[4:5], -v[8:9]
	v_add_f64 v[6:7], v[6:7], -v[92:93]
	scratch_store_dwordx4 off, v[4:7], off offset:288
	s_and_saveexec_b64 s[2:3], vcc
	s_cbranch_execz .LBB29_159
; %bb.158:
	scratch_load_dwordx4 v[6:9], off, s30
	v_mov_b32_e32 v3, v2
	v_mov_b32_e32 v4, v2
	;; [unrolled: 1-line block ×3, first 2 shown]
	scratch_store_dwordx4 off, v[2:5], off offset:272
	s_waitcnt vmcnt(1)
	ds_write_b128 v238, v[6:9]
.LBB29_159:
	s_or_b64 exec, exec, s[2:3]
	s_waitcnt lgkmcnt(0)
	; wave barrier
	ds_read_b128 v[4:7], v2 offset:768
	ds_read_b128 v[8:11], v2 offset:784
	;; [unrolled: 1-line block ×4, first 2 shown]
	scratch_load_dwordx4 v[20:23], off, off offset:288
	scratch_load_dwordx4 v[40:43], off, off offset:352
	;; [unrolled: 1-line block ×6, first 2 shown]
	v_cmp_lt_u32_e32 vcc, 16, v1
	scratch_load_dwordx4 v[48:51], off, off offset:368
	scratch_load_dwordx4 v[56:59], off, off offset:384
	scratch_load_dwordx4 v[64:67], off, off offset:400
	s_waitcnt vmcnt(8) lgkmcnt(3)
	v_mul_f64 v[24:25], v[4:5], v[22:23]
	v_fmac_f64_e32 v[24:25], v[6:7], v[20:21]
	v_add_f64 v[28:29], v[24:25], 0
	scratch_load_dwordx4 v[24:27], off, off offset:304
	s_waitcnt vmcnt(0) lgkmcnt(2)
	v_mul_f64 v[30:31], v[8:9], v[26:27]
	v_fmac_f64_e32 v[30:31], v[10:11], v[24:25]
	v_add_f64 v[32:33], v[28:29], v[30:31]
	scratch_load_dwordx4 v[28:31], off, off offset:320
	s_waitcnt vmcnt(0) lgkmcnt(1)
	v_mul_f64 v[34:35], v[12:13], v[30:31]
	v_fmac_f64_e32 v[34:35], v[14:15], v[28:29]
	v_add_f64 v[36:37], v[32:33], v[34:35]
	scratch_load_dwordx4 v[32:35], off, off offset:336
	s_waitcnt vmcnt(0) lgkmcnt(0)
	v_mul_f64 v[38:39], v[16:17], v[34:35]
	v_fmac_f64_e32 v[38:39], v[18:19], v[32:33]
	v_add_f64 v[44:45], v[36:37], v[38:39]
	ds_read_b128 v[36:39], v2 offset:832
	s_waitcnt lgkmcnt(0)
	v_mul_f64 v[46:47], v[36:37], v[42:43]
	v_fmac_f64_e32 v[46:47], v[38:39], v[40:41]
	v_add_f64 v[52:53], v[44:45], v[46:47]
	ds_read_b128 v[44:47], v2 offset:848
	s_waitcnt lgkmcnt(0)
	;; [unrolled: 5-line block ×8, first 2 shown]
	v_mul_f64 v[2:3], v[92:93], v[98:99]
	v_fmac_f64_e32 v[2:3], v[94:95], v[96:97]
	v_add_f64 v[100:101], v[100:101], v[2:3]
	v_mul_f64 v[2:3], v[6:7], v[22:23]
	v_fma_f64 v[2:3], v[4:5], v[20:21], -v[2:3]
	v_mul_f64 v[4:5], v[10:11], v[26:27]
	v_add_f64 v[2:3], v[2:3], 0
	v_fma_f64 v[4:5], v[8:9], v[24:25], -v[4:5]
	v_add_f64 v[2:3], v[2:3], v[4:5]
	v_mul_f64 v[4:5], v[14:15], v[30:31]
	v_fma_f64 v[4:5], v[12:13], v[28:29], -v[4:5]
	v_add_f64 v[2:3], v[2:3], v[4:5]
	v_mul_f64 v[4:5], v[18:19], v[34:35]
	;; [unrolled: 3-line block ×10, first 2 shown]
	v_fma_f64 v[4:5], v[92:93], v[96:97], -v[4:5]
	v_add_f64 v[6:7], v[2:3], v[4:5]
	scratch_load_dwordx4 v[2:5], off, off offset:272
	s_waitcnt vmcnt(0)
	v_add_f64 v[2:3], v[2:3], -v[6:7]
	v_add_f64 v[4:5], v[4:5], -v[100:101]
	scratch_store_dwordx4 off, v[2:5], off offset:272
	s_and_saveexec_b64 s[2:3], vcc
	s_cbranch_execz .LBB29_161
; %bb.160:
	scratch_load_dwordx4 v[2:5], off, s29
	v_mov_b32_e32 v6, 0
	v_mov_b32_e32 v7, v6
	;; [unrolled: 1-line block ×4, first 2 shown]
	scratch_store_dwordx4 off, v[6:9], off offset:256
	s_waitcnt vmcnt(1)
	ds_write_b128 v238, v[2:5]
.LBB29_161:
	s_or_b64 exec, exec, s[2:3]
	s_waitcnt lgkmcnt(0)
	; wave barrier
	scratch_load_dwordx4 v[4:7], off, off offset:272
	scratch_load_dwordx4 v[8:11], off, off offset:288
	;; [unrolled: 1-line block ×14, first 2 shown]
	v_mov_b32_e32 v2, 0
	ds_read_b128 v[60:63], v2 offset:752
	ds_read_b128 v[64:67], v2 offset:768
	;; [unrolled: 1-line block ×13, first 2 shown]
	v_cmp_lt_u32_e32 vcc, 15, v1
	s_waitcnt vmcnt(13) lgkmcnt(12)
	v_mul_f64 v[112:113], v[60:61], v[6:7]
	v_mul_f64 v[6:7], v[62:63], v[6:7]
	s_waitcnt vmcnt(12) lgkmcnt(11)
	v_mul_f64 v[114:115], v[64:65], v[10:11]
	v_mul_f64 v[10:11], v[66:67], v[10:11]
	v_fmac_f64_e32 v[112:113], v[62:63], v[4:5]
	v_fma_f64 v[4:5], v[60:61], v[4:5], -v[6:7]
	s_waitcnt vmcnt(11) lgkmcnt(10)
	v_mul_f64 v[116:117], v[68:69], v[14:15]
	v_mul_f64 v[14:15], v[70:71], v[14:15]
	v_fma_f64 v[6:7], v[64:65], v[8:9], -v[10:11]
	v_add_f64 v[4:5], v[4:5], 0
	s_waitcnt vmcnt(10) lgkmcnt(9)
	v_mul_f64 v[118:119], v[72:73], v[18:19]
	v_mul_f64 v[18:19], v[74:75], v[18:19]
	v_fmac_f64_e32 v[114:115], v[66:67], v[8:9]
	v_fma_f64 v[8:9], v[68:69], v[12:13], -v[14:15]
	v_add_f64 v[4:5], v[4:5], v[6:7]
	s_waitcnt vmcnt(9) lgkmcnt(8)
	v_mul_f64 v[120:121], v[76:77], v[22:23]
	v_mul_f64 v[22:23], v[78:79], v[22:23]
	v_fma_f64 v[10:11], v[72:73], v[16:17], -v[18:19]
	v_add_f64 v[4:5], v[4:5], v[8:9]
	s_waitcnt vmcnt(8) lgkmcnt(7)
	v_mul_f64 v[122:123], v[80:81], v[26:27]
	v_mul_f64 v[26:27], v[82:83], v[26:27]
	v_fmac_f64_e32 v[116:117], v[70:71], v[12:13]
	v_fma_f64 v[12:13], v[76:77], v[20:21], -v[22:23]
	v_add_f64 v[22:23], v[112:113], 0
	v_add_f64 v[4:5], v[4:5], v[10:11]
	s_waitcnt vmcnt(7) lgkmcnt(6)
	v_mul_f64 v[124:125], v[84:85], v[30:31]
	v_mul_f64 v[30:31], v[86:87], v[30:31]
	v_fma_f64 v[14:15], v[80:81], v[24:25], -v[26:27]
	v_add_f64 v[22:23], v[22:23], v[114:115]
	v_add_f64 v[4:5], v[4:5], v[12:13]
	s_waitcnt vmcnt(6) lgkmcnt(5)
	v_mul_f64 v[126:127], v[88:89], v[34:35]
	v_mul_f64 v[34:35], v[90:91], v[34:35]
	v_fmac_f64_e32 v[118:119], v[74:75], v[16:17]
	v_fma_f64 v[16:17], v[84:85], v[28:29], -v[30:31]
	v_add_f64 v[6:7], v[22:23], v[116:117]
	v_add_f64 v[4:5], v[4:5], v[14:15]
	s_waitcnt vmcnt(5) lgkmcnt(4)
	v_mul_f64 v[128:129], v[92:93], v[38:39]
	v_mul_f64 v[38:39], v[94:95], v[38:39]
	v_fmac_f64_e32 v[120:121], v[78:79], v[20:21]
	v_fma_f64 v[18:19], v[88:89], v[32:33], -v[34:35]
	v_add_f64 v[6:7], v[6:7], v[118:119]
	v_add_f64 v[4:5], v[4:5], v[16:17]
	v_fmac_f64_e32 v[122:123], v[82:83], v[24:25]
	v_fma_f64 v[20:21], v[92:93], v[36:37], -v[38:39]
	v_add_f64 v[6:7], v[6:7], v[120:121]
	v_add_f64 v[4:5], v[4:5], v[18:19]
	s_waitcnt vmcnt(4) lgkmcnt(3)
	v_mul_f64 v[8:9], v[98:99], v[42:43]
	v_fmac_f64_e32 v[124:125], v[86:87], v[28:29]
	v_add_f64 v[6:7], v[6:7], v[122:123]
	v_add_f64 v[4:5], v[4:5], v[20:21]
	v_fma_f64 v[8:9], v[96:97], v[40:41], -v[8:9]
	v_fmac_f64_e32 v[126:127], v[90:91], v[32:33]
	v_add_f64 v[6:7], v[6:7], v[124:125]
	v_add_f64 v[4:5], v[4:5], v[8:9]
	s_waitcnt vmcnt(3) lgkmcnt(2)
	v_mul_f64 v[8:9], v[102:103], v[46:47]
	v_mul_f64 v[130:131], v[96:97], v[42:43]
	v_fmac_f64_e32 v[128:129], v[94:95], v[36:37]
	v_add_f64 v[6:7], v[6:7], v[126:127]
	v_fma_f64 v[8:9], v[100:101], v[44:45], -v[8:9]
	v_mul_f64 v[132:133], v[100:101], v[46:47]
	v_fmac_f64_e32 v[130:131], v[98:99], v[40:41]
	v_add_f64 v[6:7], v[6:7], v[128:129]
	v_add_f64 v[4:5], v[4:5], v[8:9]
	s_waitcnt vmcnt(2) lgkmcnt(1)
	v_mul_f64 v[8:9], v[106:107], v[50:51]
	v_mul_f64 v[134:135], v[104:105], v[50:51]
	v_fmac_f64_e32 v[132:133], v[102:103], v[44:45]
	v_add_f64 v[6:7], v[6:7], v[130:131]
	v_fma_f64 v[8:9], v[104:105], v[48:49], -v[8:9]
	s_waitcnt vmcnt(1) lgkmcnt(0)
	v_mul_f64 v[136:137], v[108:109], v[54:55]
	v_fmac_f64_e32 v[134:135], v[106:107], v[48:49]
	v_add_f64 v[6:7], v[6:7], v[132:133]
	v_add_f64 v[4:5], v[4:5], v[8:9]
	v_mul_f64 v[8:9], v[110:111], v[54:55]
	v_fmac_f64_e32 v[136:137], v[110:111], v[52:53]
	v_add_f64 v[6:7], v[6:7], v[134:135]
	v_fma_f64 v[8:9], v[108:109], v[52:53], -v[8:9]
	v_add_f64 v[6:7], v[6:7], v[136:137]
	v_add_f64 v[4:5], v[4:5], v[8:9]
	s_waitcnt vmcnt(0)
	v_add_f64 v[4:5], v[56:57], -v[4:5]
	v_add_f64 v[6:7], v[58:59], -v[6:7]
	scratch_store_dwordx4 off, v[4:7], off offset:256
	s_and_saveexec_b64 s[2:3], vcc
	s_cbranch_execz .LBB29_163
; %bb.162:
	scratch_load_dwordx4 v[6:9], off, s44
	v_mov_b32_e32 v3, v2
	v_mov_b32_e32 v4, v2
	;; [unrolled: 1-line block ×3, first 2 shown]
	scratch_store_dwordx4 off, v[2:5], off offset:240
	s_waitcnt vmcnt(1)
	ds_write_b128 v238, v[6:9]
.LBB29_163:
	s_or_b64 exec, exec, s[2:3]
	s_waitcnt lgkmcnt(0)
	; wave barrier
	scratch_load_dwordx4 v[4:7], off, off offset:256
	scratch_load_dwordx4 v[8:11], off, off offset:272
	;; [unrolled: 1-line block ×14, first 2 shown]
	ds_read_b128 v[60:63], v2 offset:736
	ds_read_b128 v[64:67], v2 offset:752
	ds_read_b128 v[68:71], v2 offset:768
	ds_read_b128 v[72:75], v2 offset:784
	ds_read_b128 v[76:79], v2 offset:800
	ds_read_b128 v[80:83], v2 offset:816
	ds_read_b128 v[84:87], v2 offset:832
	ds_read_b128 v[88:91], v2 offset:848
	ds_read_b128 v[92:95], v2 offset:864
	ds_read_b128 v[96:99], v2 offset:880
	ds_read_b128 v[100:103], v2 offset:896
	ds_read_b128 v[104:107], v2 offset:912
	ds_read_b128 v[108:111], v2 offset:928
	ds_read_b128 v[112:115], v2 offset:944
	scratch_load_dwordx4 v[116:119], off, off offset:240
	v_cmp_lt_u32_e32 vcc, 14, v1
	s_waitcnt vmcnt(14) lgkmcnt(13)
	v_mul_f64 v[2:3], v[60:61], v[6:7]
	s_waitcnt vmcnt(13) lgkmcnt(12)
	v_mul_f64 v[120:121], v[64:65], v[10:11]
	v_fmac_f64_e32 v[2:3], v[62:63], v[4:5]
	s_waitcnt vmcnt(12) lgkmcnt(11)
	v_mul_f64 v[122:123], v[68:69], v[14:15]
	v_fmac_f64_e32 v[120:121], v[66:67], v[8:9]
	v_add_f64 v[2:3], v[2:3], 0
	s_waitcnt vmcnt(11) lgkmcnt(10)
	v_mul_f64 v[124:125], v[72:73], v[18:19]
	v_fmac_f64_e32 v[122:123], v[70:71], v[12:13]
	v_add_f64 v[2:3], v[2:3], v[120:121]
	;; [unrolled: 4-line block ×4, first 2 shown]
	s_waitcnt vmcnt(8) lgkmcnt(7)
	v_mul_f64 v[130:131], v[84:85], v[30:31]
	v_mul_f64 v[6:7], v[62:63], v[6:7]
	v_fmac_f64_e32 v[128:129], v[82:83], v[24:25]
	v_add_f64 v[2:3], v[2:3], v[126:127]
	s_waitcnt vmcnt(7) lgkmcnt(6)
	v_mul_f64 v[132:133], v[88:89], v[34:35]
	v_mul_f64 v[10:11], v[66:67], v[10:11]
	v_fmac_f64_e32 v[130:131], v[86:87], v[28:29]
	v_fma_f64 v[4:5], v[60:61], v[4:5], -v[6:7]
	v_add_f64 v[2:3], v[2:3], v[128:129]
	s_waitcnt vmcnt(6) lgkmcnt(5)
	v_mul_f64 v[134:135], v[92:93], v[38:39]
	v_mul_f64 v[14:15], v[70:71], v[14:15]
	v_fmac_f64_e32 v[132:133], v[90:91], v[32:33]
	v_fma_f64 v[6:7], v[64:65], v[8:9], -v[10:11]
	v_add_f64 v[4:5], v[4:5], 0
	v_add_f64 v[2:3], v[2:3], v[130:131]
	s_waitcnt vmcnt(5) lgkmcnt(4)
	v_mul_f64 v[136:137], v[96:97], v[42:43]
	v_mul_f64 v[18:19], v[74:75], v[18:19]
	v_fmac_f64_e32 v[134:135], v[94:95], v[36:37]
	v_fma_f64 v[8:9], v[68:69], v[12:13], -v[14:15]
	v_add_f64 v[4:5], v[4:5], v[6:7]
	;; [unrolled: 7-line block ×6, first 2 shown]
	v_add_f64 v[2:3], v[2:3], v[140:141]
	v_fmac_f64_e32 v[144:145], v[114:115], v[56:57]
	v_fma_f64 v[18:19], v[88:89], v[32:33], -v[34:35]
	v_add_f64 v[4:5], v[4:5], v[16:17]
	v_add_f64 v[2:3], v[2:3], v[142:143]
	;; [unrolled: 1-line block ×4, first 2 shown]
	v_mul_f64 v[4:5], v[94:95], v[38:39]
	v_fma_f64 v[4:5], v[92:93], v[36:37], -v[4:5]
	v_add_f64 v[2:3], v[2:3], v[4:5]
	v_mul_f64 v[4:5], v[98:99], v[42:43]
	v_fma_f64 v[4:5], v[96:97], v[40:41], -v[4:5]
	v_add_f64 v[2:3], v[2:3], v[4:5]
	;; [unrolled: 3-line block ×6, first 2 shown]
	s_waitcnt vmcnt(0)
	v_add_f64 v[2:3], v[116:117], -v[2:3]
	v_add_f64 v[4:5], v[118:119], -v[6:7]
	scratch_store_dwordx4 off, v[2:5], off offset:240
	s_and_saveexec_b64 s[2:3], vcc
	s_cbranch_execz .LBB29_165
; %bb.164:
	scratch_load_dwordx4 v[2:5], off, s47
	v_mov_b32_e32 v6, 0
	v_mov_b32_e32 v7, v6
	;; [unrolled: 1-line block ×4, first 2 shown]
	scratch_store_dwordx4 off, v[6:9], off offset:224
	s_waitcnt vmcnt(1)
	ds_write_b128 v238, v[2:5]
.LBB29_165:
	s_or_b64 exec, exec, s[2:3]
	s_waitcnt lgkmcnt(0)
	; wave barrier
	scratch_load_dwordx4 v[4:7], off, off offset:240
	scratch_load_dwordx4 v[8:11], off, off offset:256
	;; [unrolled: 1-line block ×16, first 2 shown]
	v_mov_b32_e32 v2, 0
	ds_read_b128 v[68:71], v2 offset:720
	ds_read_b128 v[72:75], v2 offset:736
	;; [unrolled: 1-line block ×15, first 2 shown]
	v_cmp_lt_u32_e32 vcc, 13, v1
	s_waitcnt vmcnt(15) lgkmcnt(14)
	v_mul_f64 v[128:129], v[68:69], v[6:7]
	v_mul_f64 v[6:7], v[70:71], v[6:7]
	s_waitcnt vmcnt(14) lgkmcnt(13)
	v_mul_f64 v[130:131], v[72:73], v[10:11]
	v_mul_f64 v[10:11], v[74:75], v[10:11]
	v_fmac_f64_e32 v[128:129], v[70:71], v[4:5]
	v_fma_f64 v[4:5], v[68:69], v[4:5], -v[6:7]
	s_waitcnt vmcnt(13) lgkmcnt(12)
	v_mul_f64 v[132:133], v[76:77], v[14:15]
	v_mul_f64 v[14:15], v[78:79], v[14:15]
	v_fma_f64 v[6:7], v[72:73], v[8:9], -v[10:11]
	v_add_f64 v[4:5], v[4:5], 0
	s_waitcnt vmcnt(12) lgkmcnt(11)
	v_mul_f64 v[134:135], v[80:81], v[18:19]
	v_mul_f64 v[18:19], v[82:83], v[18:19]
	v_fmac_f64_e32 v[130:131], v[74:75], v[8:9]
	v_fma_f64 v[8:9], v[76:77], v[12:13], -v[14:15]
	v_add_f64 v[4:5], v[4:5], v[6:7]
	s_waitcnt vmcnt(11) lgkmcnt(10)
	v_mul_f64 v[136:137], v[84:85], v[22:23]
	v_mul_f64 v[22:23], v[86:87], v[22:23]
	v_fma_f64 v[10:11], v[80:81], v[16:17], -v[18:19]
	v_add_f64 v[4:5], v[4:5], v[8:9]
	s_waitcnt vmcnt(10) lgkmcnt(9)
	v_mul_f64 v[138:139], v[88:89], v[26:27]
	v_mul_f64 v[26:27], v[90:91], v[26:27]
	v_fmac_f64_e32 v[132:133], v[78:79], v[12:13]
	v_fma_f64 v[12:13], v[84:85], v[20:21], -v[22:23]
	v_add_f64 v[4:5], v[4:5], v[10:11]
	v_fma_f64 v[14:15], v[88:89], v[24:25], -v[26:27]
	v_add_f64 v[4:5], v[4:5], v[12:13]
	s_waitcnt vmcnt(9) lgkmcnt(8)
	v_mul_f64 v[8:9], v[94:95], v[30:31]
	v_add_f64 v[4:5], v[4:5], v[14:15]
	v_fma_f64 v[8:9], v[92:93], v[28:29], -v[8:9]
	v_add_f64 v[4:5], v[4:5], v[8:9]
	s_waitcnt vmcnt(8) lgkmcnt(7)
	v_mul_f64 v[8:9], v[98:99], v[34:35]
	v_fma_f64 v[8:9], v[96:97], v[32:33], -v[8:9]
	v_fmac_f64_e32 v[134:135], v[82:83], v[16:17]
	v_add_f64 v[16:17], v[128:129], 0
	v_add_f64 v[4:5], v[4:5], v[8:9]
	s_waitcnt vmcnt(7) lgkmcnt(6)
	v_mul_f64 v[8:9], v[102:103], v[38:39]
	v_add_f64 v[16:17], v[16:17], v[130:131]
	v_fma_f64 v[8:9], v[100:101], v[36:37], -v[8:9]
	v_add_f64 v[6:7], v[16:17], v[132:133]
	v_add_f64 v[4:5], v[4:5], v[8:9]
	s_waitcnt vmcnt(6) lgkmcnt(5)
	v_mul_f64 v[8:9], v[106:107], v[42:43]
	v_fmac_f64_e32 v[136:137], v[86:87], v[20:21]
	v_add_f64 v[6:7], v[6:7], v[134:135]
	v_fma_f64 v[8:9], v[104:105], v[40:41], -v[8:9]
	v_mul_f64 v[140:141], v[92:93], v[30:31]
	v_fmac_f64_e32 v[138:139], v[90:91], v[24:25]
	v_add_f64 v[6:7], v[6:7], v[136:137]
	v_add_f64 v[4:5], v[4:5], v[8:9]
	s_waitcnt vmcnt(5) lgkmcnt(4)
	v_mul_f64 v[8:9], v[110:111], v[46:47]
	v_mul_f64 v[142:143], v[96:97], v[34:35]
	v_fmac_f64_e32 v[140:141], v[94:95], v[28:29]
	v_add_f64 v[6:7], v[6:7], v[138:139]
	v_fma_f64 v[8:9], v[108:109], v[44:45], -v[8:9]
	v_mul_f64 v[144:145], v[100:101], v[38:39]
	v_fmac_f64_e32 v[142:143], v[98:99], v[32:33]
	v_add_f64 v[6:7], v[6:7], v[140:141]
	v_add_f64 v[4:5], v[4:5], v[8:9]
	s_waitcnt vmcnt(4) lgkmcnt(3)
	v_mul_f64 v[8:9], v[114:115], v[50:51]
	;; [unrolled: 10-line block ×4, first 2 shown]
	v_mul_f64 v[154:155], v[120:121], v[58:59]
	v_fmac_f64_e32 v[152:153], v[118:119], v[52:53]
	v_add_f64 v[6:7], v[6:7], v[150:151]
	v_fma_f64 v[8:9], v[120:121], v[56:57], -v[8:9]
	s_waitcnt vmcnt(1) lgkmcnt(0)
	v_mul_f64 v[156:157], v[124:125], v[62:63]
	v_fmac_f64_e32 v[154:155], v[122:123], v[56:57]
	v_add_f64 v[6:7], v[6:7], v[152:153]
	v_add_f64 v[4:5], v[4:5], v[8:9]
	v_mul_f64 v[8:9], v[126:127], v[62:63]
	v_fmac_f64_e32 v[156:157], v[126:127], v[60:61]
	v_add_f64 v[6:7], v[6:7], v[154:155]
	v_fma_f64 v[8:9], v[124:125], v[60:61], -v[8:9]
	v_add_f64 v[6:7], v[6:7], v[156:157]
	v_add_f64 v[4:5], v[4:5], v[8:9]
	s_waitcnt vmcnt(0)
	v_add_f64 v[4:5], v[64:65], -v[4:5]
	v_add_f64 v[6:7], v[66:67], -v[6:7]
	scratch_store_dwordx4 off, v[4:7], off offset:224
	s_and_saveexec_b64 s[2:3], vcc
	s_cbranch_execz .LBB29_167
; %bb.166:
	scratch_load_dwordx4 v[6:9], off, s46
	v_mov_b32_e32 v3, v2
	v_mov_b32_e32 v4, v2
	;; [unrolled: 1-line block ×3, first 2 shown]
	scratch_store_dwordx4 off, v[2:5], off offset:208
	s_waitcnt vmcnt(1)
	ds_write_b128 v238, v[6:9]
.LBB29_167:
	s_or_b64 exec, exec, s[2:3]
	s_waitcnt lgkmcnt(0)
	; wave barrier
	scratch_load_dwordx4 v[4:7], off, off offset:224
	scratch_load_dwordx4 v[8:11], off, off offset:240
	;; [unrolled: 1-line block ×16, first 2 shown]
	ds_read_b128 v[68:71], v2 offset:704
	ds_read_b128 v[72:75], v2 offset:720
	;; [unrolled: 1-line block ×16, first 2 shown]
	scratch_load_dwordx4 v[132:135], off, off offset:208
	v_cmp_lt_u32_e32 vcc, 12, v1
	s_waitcnt vmcnt(16) lgkmcnt(14)
	v_mul_f64 v[2:3], v[68:69], v[6:7]
	s_waitcnt vmcnt(15)
	v_mul_f64 v[136:137], v[72:73], v[10:11]
	v_fmac_f64_e32 v[2:3], v[70:71], v[4:5]
	s_waitcnt vmcnt(14) lgkmcnt(13)
	v_mul_f64 v[138:139], v[76:77], v[14:15]
	v_fmac_f64_e32 v[136:137], v[74:75], v[8:9]
	v_add_f64 v[2:3], v[2:3], 0
	s_waitcnt vmcnt(13) lgkmcnt(12)
	v_mul_f64 v[140:141], v[80:81], v[18:19]
	v_fmac_f64_e32 v[138:139], v[78:79], v[12:13]
	v_add_f64 v[2:3], v[2:3], v[136:137]
	;; [unrolled: 4-line block ×10, first 2 shown]
	s_waitcnt vmcnt(4) lgkmcnt(3)
	v_mul_f64 v[158:159], v[116:117], v[54:55]
	v_mul_f64 v[6:7], v[70:71], v[6:7]
	v_fmac_f64_e32 v[156:157], v[114:115], v[48:49]
	v_add_f64 v[2:3], v[2:3], v[154:155]
	s_waitcnt vmcnt(3) lgkmcnt(2)
	v_mul_f64 v[160:161], v[120:121], v[58:59]
	v_mul_f64 v[10:11], v[74:75], v[10:11]
	v_fmac_f64_e32 v[158:159], v[118:119], v[52:53]
	v_fma_f64 v[4:5], v[68:69], v[4:5], -v[6:7]
	v_add_f64 v[2:3], v[2:3], v[156:157]
	s_waitcnt vmcnt(2) lgkmcnt(1)
	v_mul_f64 v[162:163], v[124:125], v[62:63]
	v_mul_f64 v[14:15], v[78:79], v[14:15]
	v_fmac_f64_e32 v[160:161], v[122:123], v[56:57]
	v_fma_f64 v[6:7], v[72:73], v[8:9], -v[10:11]
	v_add_f64 v[4:5], v[4:5], 0
	v_add_f64 v[2:3], v[2:3], v[158:159]
	s_waitcnt vmcnt(1) lgkmcnt(0)
	v_mul_f64 v[164:165], v[128:129], v[66:67]
	v_mul_f64 v[18:19], v[82:83], v[18:19]
	v_fmac_f64_e32 v[162:163], v[126:127], v[60:61]
	v_fma_f64 v[8:9], v[76:77], v[12:13], -v[14:15]
	v_add_f64 v[4:5], v[4:5], v[6:7]
	v_add_f64 v[2:3], v[2:3], v[160:161]
	v_mul_f64 v[26:27], v[86:87], v[26:27]
	v_fmac_f64_e32 v[164:165], v[130:131], v[64:65]
	v_fma_f64 v[10:11], v[80:81], v[16:17], -v[18:19]
	v_add_f64 v[4:5], v[4:5], v[8:9]
	v_add_f64 v[2:3], v[2:3], v[162:163]
	v_fma_f64 v[12:13], v[84:85], v[24:25], -v[26:27]
	v_add_f64 v[4:5], v[4:5], v[10:11]
	v_add_f64 v[6:7], v[2:3], v[164:165]
	v_mul_f64 v[2:3], v[90:91], v[22:23]
	v_add_f64 v[4:5], v[4:5], v[12:13]
	v_fma_f64 v[2:3], v[88:89], v[20:21], -v[2:3]
	v_add_f64 v[2:3], v[4:5], v[2:3]
	v_mul_f64 v[4:5], v[94:95], v[30:31]
	v_fma_f64 v[4:5], v[92:93], v[28:29], -v[4:5]
	v_add_f64 v[2:3], v[2:3], v[4:5]
	v_mul_f64 v[4:5], v[98:99], v[34:35]
	;; [unrolled: 3-line block ×10, first 2 shown]
	v_fma_f64 v[4:5], v[128:129], v[64:65], -v[4:5]
	v_add_f64 v[2:3], v[2:3], v[4:5]
	s_waitcnt vmcnt(0)
	v_add_f64 v[2:3], v[132:133], -v[2:3]
	v_add_f64 v[4:5], v[134:135], -v[6:7]
	scratch_store_dwordx4 off, v[2:5], off offset:208
	s_and_saveexec_b64 s[2:3], vcc
	s_cbranch_execz .LBB29_169
; %bb.168:
	scratch_load_dwordx4 v[2:5], off, s45
	v_mov_b32_e32 v6, 0
	v_mov_b32_e32 v7, v6
	;; [unrolled: 1-line block ×4, first 2 shown]
	scratch_store_dwordx4 off, v[6:9], off offset:192
	s_waitcnt vmcnt(1)
	ds_write_b128 v238, v[2:5]
.LBB29_169:
	s_or_b64 exec, exec, s[2:3]
	s_waitcnt lgkmcnt(0)
	; wave barrier
	scratch_load_dwordx4 v[4:7], off, off offset:208
	scratch_load_dwordx4 v[8:11], off, off offset:224
	;; [unrolled: 1-line block ×18, first 2 shown]
	v_mov_b32_e32 v2, 0
	ds_read_b128 v[76:79], v2 offset:688
	ds_read_b128 v[80:83], v2 offset:704
	;; [unrolled: 1-line block ×17, first 2 shown]
	v_cmp_lt_u32_e32 vcc, 11, v1
	s_waitcnt vmcnt(17) lgkmcnt(14)
	v_mul_f64 v[144:145], v[76:77], v[6:7]
	v_mul_f64 v[6:7], v[78:79], v[6:7]
	s_waitcnt vmcnt(16)
	v_mul_f64 v[146:147], v[80:81], v[10:11]
	v_mul_f64 v[10:11], v[82:83], v[10:11]
	v_fmac_f64_e32 v[144:145], v[78:79], v[4:5]
	v_fma_f64 v[4:5], v[76:77], v[4:5], -v[6:7]
	s_waitcnt vmcnt(15)
	v_mul_f64 v[148:149], v[84:85], v[18:19]
	v_mul_f64 v[18:19], v[86:87], v[18:19]
	v_fma_f64 v[6:7], v[80:81], v[8:9], -v[10:11]
	v_add_f64 v[4:5], v[4:5], 0
	s_waitcnt vmcnt(14) lgkmcnt(13)
	v_mul_f64 v[150:151], v[88:89], v[14:15]
	v_mul_f64 v[14:15], v[90:91], v[14:15]
	v_fmac_f64_e32 v[146:147], v[82:83], v[8:9]
	v_fma_f64 v[8:9], v[84:85], v[16:17], -v[18:19]
	v_add_f64 v[4:5], v[4:5], v[6:7]
	v_add_f64 v[4:5], v[4:5], v[8:9]
	v_fma_f64 v[8:9], v[88:89], v[12:13], -v[14:15]
	v_add_f64 v[4:5], v[4:5], v[8:9]
	s_waitcnt vmcnt(13) lgkmcnt(12)
	v_mul_f64 v[8:9], v[94:95], v[22:23]
	v_fma_f64 v[8:9], v[92:93], v[20:21], -v[8:9]
	v_add_f64 v[4:5], v[4:5], v[8:9]
	s_waitcnt vmcnt(12) lgkmcnt(11)
	v_mul_f64 v[8:9], v[98:99], v[26:27]
	;; [unrolled: 4-line block ×5, first 2 shown]
	v_fma_f64 v[8:9], v[108:109], v[36:37], -v[8:9]
	v_add_f64 v[10:11], v[144:145], 0
	v_add_f64 v[4:5], v[4:5], v[8:9]
	s_waitcnt vmcnt(8) lgkmcnt(7)
	v_mul_f64 v[8:9], v[114:115], v[42:43]
	v_fmac_f64_e32 v[148:149], v[86:87], v[16:17]
	v_add_f64 v[10:11], v[10:11], v[146:147]
	v_fma_f64 v[8:9], v[112:113], v[40:41], -v[8:9]
	v_mul_f64 v[152:153], v[92:93], v[22:23]
	v_fmac_f64_e32 v[150:151], v[90:91], v[12:13]
	v_add_f64 v[6:7], v[10:11], v[148:149]
	v_add_f64 v[4:5], v[4:5], v[8:9]
	s_waitcnt vmcnt(7) lgkmcnt(6)
	v_mul_f64 v[8:9], v[118:119], v[46:47]
	v_mul_f64 v[154:155], v[96:97], v[26:27]
	v_fmac_f64_e32 v[152:153], v[94:95], v[20:21]
	v_add_f64 v[6:7], v[6:7], v[150:151]
	v_fma_f64 v[8:9], v[116:117], v[44:45], -v[8:9]
	v_mul_f64 v[156:157], v[100:101], v[30:31]
	v_fmac_f64_e32 v[154:155], v[98:99], v[24:25]
	v_add_f64 v[6:7], v[6:7], v[152:153]
	v_add_f64 v[4:5], v[4:5], v[8:9]
	s_waitcnt vmcnt(6) lgkmcnt(5)
	v_mul_f64 v[8:9], v[122:123], v[50:51]
	v_mul_f64 v[158:159], v[104:105], v[34:35]
	v_fmac_f64_e32 v[156:157], v[102:103], v[28:29]
	v_add_f64 v[6:7], v[6:7], v[154:155]
	v_fma_f64 v[8:9], v[120:121], v[48:49], -v[8:9]
	v_mul_f64 v[160:161], v[108:109], v[38:39]
	v_fmac_f64_e32 v[158:159], v[106:107], v[32:33]
	v_add_f64 v[6:7], v[6:7], v[156:157]
	v_add_f64 v[4:5], v[4:5], v[8:9]
	s_waitcnt vmcnt(5) lgkmcnt(4)
	v_mul_f64 v[8:9], v[126:127], v[54:55]
	v_mul_f64 v[162:163], v[112:113], v[42:43]
	v_fmac_f64_e32 v[160:161], v[110:111], v[36:37]
	v_add_f64 v[6:7], v[6:7], v[158:159]
	v_fma_f64 v[8:9], v[124:125], v[52:53], -v[8:9]
	v_mul_f64 v[164:165], v[116:117], v[46:47]
	v_fmac_f64_e32 v[162:163], v[114:115], v[40:41]
	v_add_f64 v[6:7], v[6:7], v[160:161]
	v_add_f64 v[4:5], v[4:5], v[8:9]
	s_waitcnt vmcnt(4) lgkmcnt(3)
	v_mul_f64 v[8:9], v[130:131], v[58:59]
	v_mul_f64 v[166:167], v[120:121], v[50:51]
	v_fmac_f64_e32 v[164:165], v[118:119], v[44:45]
	v_add_f64 v[6:7], v[6:7], v[162:163]
	v_fma_f64 v[8:9], v[128:129], v[56:57], -v[8:9]
	v_mul_f64 v[168:169], v[124:125], v[54:55]
	v_fmac_f64_e32 v[166:167], v[122:123], v[48:49]
	v_add_f64 v[6:7], v[6:7], v[164:165]
	v_add_f64 v[4:5], v[4:5], v[8:9]
	s_waitcnt vmcnt(3) lgkmcnt(2)
	v_mul_f64 v[8:9], v[134:135], v[62:63]
	v_mul_f64 v[170:171], v[128:129], v[58:59]
	v_fmac_f64_e32 v[168:169], v[126:127], v[52:53]
	v_add_f64 v[6:7], v[6:7], v[166:167]
	v_fma_f64 v[8:9], v[132:133], v[60:61], -v[8:9]
	v_mul_f64 v[172:173], v[132:133], v[62:63]
	v_fmac_f64_e32 v[170:171], v[130:131], v[56:57]
	v_add_f64 v[6:7], v[6:7], v[168:169]
	v_add_f64 v[4:5], v[4:5], v[8:9]
	s_waitcnt vmcnt(2) lgkmcnt(1)
	v_mul_f64 v[8:9], v[138:139], v[66:67]
	v_mul_f64 v[174:175], v[136:137], v[66:67]
	v_fmac_f64_e32 v[172:173], v[134:135], v[60:61]
	v_add_f64 v[6:7], v[6:7], v[170:171]
	v_fma_f64 v[8:9], v[136:137], v[64:65], -v[8:9]
	s_waitcnt vmcnt(1) lgkmcnt(0)
	v_mul_f64 v[176:177], v[140:141], v[70:71]
	v_fmac_f64_e32 v[174:175], v[138:139], v[64:65]
	v_add_f64 v[6:7], v[6:7], v[172:173]
	v_add_f64 v[4:5], v[4:5], v[8:9]
	v_mul_f64 v[8:9], v[142:143], v[70:71]
	v_fmac_f64_e32 v[176:177], v[142:143], v[68:69]
	v_add_f64 v[6:7], v[6:7], v[174:175]
	v_fma_f64 v[8:9], v[140:141], v[68:69], -v[8:9]
	v_add_f64 v[6:7], v[6:7], v[176:177]
	v_add_f64 v[4:5], v[4:5], v[8:9]
	s_waitcnt vmcnt(0)
	v_add_f64 v[4:5], v[72:73], -v[4:5]
	v_add_f64 v[6:7], v[74:75], -v[6:7]
	scratch_store_dwordx4 off, v[4:7], off offset:192
	s_and_saveexec_b64 s[2:3], vcc
	s_cbranch_execz .LBB29_171
; %bb.170:
	scratch_load_dwordx4 v[6:9], off, s28
	v_mov_b32_e32 v3, v2
	v_mov_b32_e32 v4, v2
	;; [unrolled: 1-line block ×3, first 2 shown]
	scratch_store_dwordx4 off, v[2:5], off offset:176
	s_waitcnt vmcnt(1)
	ds_write_b128 v238, v[6:9]
.LBB29_171:
	s_or_b64 exec, exec, s[2:3]
	s_waitcnt lgkmcnt(0)
	; wave barrier
	scratch_load_dwordx4 v[4:7], off, off offset:192
	scratch_load_dwordx4 v[12:15], off, off offset:208
	scratch_load_dwordx4 v[8:11], off, off offset:224
	scratch_load_dwordx4 v[16:19], off, off offset:240
	scratch_load_dwordx4 v[20:23], off, off offset:256
	scratch_load_dwordx4 v[24:27], off, off offset:272
	scratch_load_dwordx4 v[28:31], off, off offset:288
	scratch_load_dwordx4 v[32:35], off, off offset:304
	scratch_load_dwordx4 v[36:39], off, off offset:320
	scratch_load_dwordx4 v[40:43], off, off offset:336
	scratch_load_dwordx4 v[44:47], off, off offset:352
	scratch_load_dwordx4 v[48:51], off, off offset:368
	scratch_load_dwordx4 v[52:55], off, off offset:384
	scratch_load_dwordx4 v[56:59], off, off offset:400
	scratch_load_dwordx4 v[60:63], off, off offset:416
	scratch_load_dwordx4 v[64:67], off, off offset:432
	scratch_load_dwordx4 v[68:71], off, off offset:448
	scratch_load_dwordx4 v[72:75], off, off offset:464
	ds_read_b128 v[76:79], v2 offset:672
	ds_read_b128 v[80:83], v2 offset:688
	;; [unrolled: 1-line block ×18, first 2 shown]
	scratch_load_dwordx4 v[148:151], off, off offset:176
	v_cmp_lt_u32_e32 vcc, 10, v1
	s_waitcnt vmcnt(18) lgkmcnt(14)
	v_mul_f64 v[2:3], v[76:77], v[6:7]
	s_waitcnt vmcnt(17)
	v_mul_f64 v[152:153], v[80:81], v[14:15]
	v_fmac_f64_e32 v[2:3], v[78:79], v[4:5]
	s_waitcnt vmcnt(16)
	v_mul_f64 v[154:155], v[84:85], v[10:11]
	v_fmac_f64_e32 v[152:153], v[82:83], v[12:13]
	v_add_f64 v[2:3], v[2:3], 0
	s_waitcnt vmcnt(15)
	v_mul_f64 v[156:157], v[88:89], v[18:19]
	v_fmac_f64_e32 v[154:155], v[86:87], v[8:9]
	v_add_f64 v[2:3], v[2:3], v[152:153]
	s_waitcnt vmcnt(14) lgkmcnt(13)
	v_mul_f64 v[158:159], v[92:93], v[22:23]
	v_fmac_f64_e32 v[156:157], v[90:91], v[16:17]
	v_add_f64 v[2:3], v[2:3], v[154:155]
	s_waitcnt vmcnt(13) lgkmcnt(12)
	;; [unrolled: 4-line block ×13, first 2 shown]
	v_mul_f64 v[182:183], v[140:141], v[70:71]
	v_mul_f64 v[6:7], v[78:79], v[6:7]
	v_fmac_f64_e32 v[180:181], v[138:139], v[64:65]
	v_add_f64 v[2:3], v[2:3], v[178:179]
	s_waitcnt vmcnt(1) lgkmcnt(0)
	v_mul_f64 v[184:185], v[144:145], v[74:75]
	v_mul_f64 v[14:15], v[82:83], v[14:15]
	v_fmac_f64_e32 v[182:183], v[142:143], v[68:69]
	v_fma_f64 v[4:5], v[76:77], v[4:5], -v[6:7]
	v_add_f64 v[2:3], v[2:3], v[180:181]
	v_mul_f64 v[10:11], v[86:87], v[10:11]
	v_fmac_f64_e32 v[184:185], v[146:147], v[72:73]
	v_fma_f64 v[6:7], v[80:81], v[12:13], -v[14:15]
	v_add_f64 v[4:5], v[4:5], 0
	v_add_f64 v[2:3], v[2:3], v[182:183]
	;; [unrolled: 1-line block ×4, first 2 shown]
	v_fma_f64 v[2:3], v[84:85], v[8:9], -v[10:11]
	v_add_f64 v[2:3], v[4:5], v[2:3]
	v_mul_f64 v[4:5], v[90:91], v[18:19]
	v_fma_f64 v[4:5], v[88:89], v[16:17], -v[4:5]
	v_add_f64 v[2:3], v[2:3], v[4:5]
	v_mul_f64 v[4:5], v[94:95], v[22:23]
	;; [unrolled: 3-line block ×15, first 2 shown]
	v_fma_f64 v[4:5], v[144:145], v[72:73], -v[4:5]
	v_add_f64 v[2:3], v[2:3], v[4:5]
	s_waitcnt vmcnt(0)
	v_add_f64 v[2:3], v[148:149], -v[2:3]
	v_add_f64 v[4:5], v[150:151], -v[6:7]
	scratch_store_dwordx4 off, v[2:5], off offset:176
	s_and_saveexec_b64 s[2:3], vcc
	s_cbranch_execz .LBB29_173
; %bb.172:
	scratch_load_dwordx4 v[2:5], off, s26
	v_mov_b32_e32 v6, 0
	v_mov_b32_e32 v7, v6
	;; [unrolled: 1-line block ×4, first 2 shown]
	scratch_store_dwordx4 off, v[6:9], off offset:160
	s_waitcnt vmcnt(1)
	ds_write_b128 v238, v[2:5]
.LBB29_173:
	s_or_b64 exec, exec, s[2:3]
	v_mov_b32_e32 v2, 0
	s_waitcnt lgkmcnt(0)
	; wave barrier
	ds_read_b128 v[16:19], v2 offset:656
	ds_read_b128 v[12:15], v2 offset:672
	;; [unrolled: 1-line block ×4, first 2 shown]
	scratch_load_dwordx4 v[20:23], off, off offset:176
	scratch_load_dwordx4 v[40:43], off, off offset:240
	;; [unrolled: 1-line block ×13, first 2 shown]
	v_cmp_lt_u32_e32 vcc, 9, v1
	scratch_load_dwordx4 v[48:51], off, off offset:256
	scratch_load_dwordx4 v[56:59], off, off offset:272
	;; [unrolled: 1-line block ×3, first 2 shown]
	s_waitcnt vmcnt(15) lgkmcnt(3)
	v_mul_f64 v[24:25], v[16:17], v[22:23]
	v_fmac_f64_e32 v[24:25], v[18:19], v[20:21]
	v_add_f64 v[28:29], v[24:25], 0
	scratch_load_dwordx4 v[24:27], off, off offset:192
	v_mul_f64 v[18:19], v[18:19], v[22:23]
	v_fma_f64 v[16:17], v[16:17], v[20:21], -v[18:19]
	v_add_f64 v[16:17], v[16:17], 0
	s_waitcnt vmcnt(0) lgkmcnt(2)
	v_mul_f64 v[30:31], v[12:13], v[26:27]
	v_fmac_f64_e32 v[30:31], v[14:15], v[24:25]
	v_add_f64 v[32:33], v[28:29], v[30:31]
	scratch_load_dwordx4 v[28:31], off, off offset:208
	v_mul_f64 v[14:15], v[14:15], v[26:27]
	v_fma_f64 v[12:13], v[12:13], v[24:25], -v[14:15]
	v_add_f64 v[12:13], v[16:17], v[12:13]
	s_waitcnt vmcnt(0) lgkmcnt(1)
	v_mul_f64 v[34:35], v[8:9], v[30:31]
	v_fmac_f64_e32 v[34:35], v[10:11], v[28:29]
	v_add_f64 v[36:37], v[32:33], v[34:35]
	scratch_load_dwordx4 v[32:35], off, off offset:224
	v_mul_f64 v[10:11], v[10:11], v[30:31]
	v_fma_f64 v[8:9], v[8:9], v[28:29], -v[10:11]
	v_add_f64 v[8:9], v[12:13], v[8:9]
	s_waitcnt vmcnt(0) lgkmcnt(0)
	v_mul_f64 v[38:39], v[4:5], v[34:35]
	v_fmac_f64_e32 v[38:39], v[6:7], v[32:33]
	v_add_f64 v[44:45], v[36:37], v[38:39]
	ds_read_b128 v[36:39], v2 offset:720
	v_mul_f64 v[6:7], v[6:7], v[34:35]
	v_fma_f64 v[4:5], v[4:5], v[32:33], -v[6:7]
	v_add_f64 v[4:5], v[8:9], v[4:5]
	s_waitcnt lgkmcnt(0)
	v_mul_f64 v[46:47], v[36:37], v[42:43]
	v_fmac_f64_e32 v[46:47], v[38:39], v[40:41]
	v_add_f64 v[52:53], v[44:45], v[46:47]
	ds_read_b128 v[44:47], v2 offset:736
	v_mul_f64 v[6:7], v[38:39], v[42:43]
	v_fma_f64 v[6:7], v[36:37], v[40:41], -v[6:7]
	v_add_f64 v[4:5], v[4:5], v[6:7]
	s_waitcnt lgkmcnt(0)
	;; [unrolled: 8-line block ×15, first 2 shown]
	v_mul_f64 v[6:7], v[152:153], v[156:157]
	v_fma_f64 v[6:7], v[150:151], v[154:155], -v[6:7]
	v_add_f64 v[8:9], v[4:5], v[6:7]
	scratch_load_dwordx4 v[4:7], off, off offset:160
	v_mul_f64 v[158:159], v[150:151], v[156:157]
	v_fmac_f64_e32 v[158:159], v[152:153], v[154:155]
	v_add_f64 v[88:89], v[88:89], v[158:159]
	s_waitcnt vmcnt(0)
	v_add_f64 v[4:5], v[4:5], -v[8:9]
	v_add_f64 v[6:7], v[6:7], -v[88:89]
	scratch_store_dwordx4 off, v[4:7], off offset:160
	s_and_saveexec_b64 s[2:3], vcc
	s_cbranch_execz .LBB29_175
; %bb.174:
	scratch_load_dwordx4 v[6:9], off, s24
	v_mov_b32_e32 v3, v2
	v_mov_b32_e32 v4, v2
	;; [unrolled: 1-line block ×3, first 2 shown]
	scratch_store_dwordx4 off, v[2:5], off offset:144
	s_waitcnt vmcnt(1)
	ds_write_b128 v238, v[6:9]
.LBB29_175:
	s_or_b64 exec, exec, s[2:3]
	s_waitcnt lgkmcnt(0)
	; wave barrier
	ds_read_b128 v[16:19], v2 offset:640
	ds_read_b128 v[12:15], v2 offset:656
	;; [unrolled: 1-line block ×4, first 2 shown]
	scratch_load_dwordx4 v[20:23], off, off offset:160
	scratch_load_dwordx4 v[40:43], off, off offset:224
	;; [unrolled: 1-line block ×14, first 2 shown]
	v_cmp_lt_u32_e32 vcc, 8, v1
	scratch_load_dwordx4 v[48:51], off, off offset:240
	scratch_load_dwordx4 v[56:59], off, off offset:256
	;; [unrolled: 1-line block ×3, first 2 shown]
	s_waitcnt vmcnt(16) lgkmcnt(3)
	v_mul_f64 v[24:25], v[16:17], v[22:23]
	v_fmac_f64_e32 v[24:25], v[18:19], v[20:21]
	v_add_f64 v[28:29], v[24:25], 0
	scratch_load_dwordx4 v[24:27], off, off offset:176
	s_waitcnt vmcnt(0) lgkmcnt(2)
	v_mul_f64 v[30:31], v[12:13], v[26:27]
	v_fmac_f64_e32 v[30:31], v[14:15], v[24:25]
	v_add_f64 v[32:33], v[28:29], v[30:31]
	scratch_load_dwordx4 v[28:31], off, off offset:192
	v_mul_f64 v[14:15], v[14:15], v[26:27]
	v_fma_f64 v[12:13], v[12:13], v[24:25], -v[14:15]
	s_waitcnt vmcnt(0) lgkmcnt(1)
	v_mul_f64 v[34:35], v[8:9], v[30:31]
	v_fmac_f64_e32 v[34:35], v[10:11], v[28:29]
	v_add_f64 v[36:37], v[32:33], v[34:35]
	scratch_load_dwordx4 v[32:35], off, off offset:208
	v_mul_f64 v[10:11], v[10:11], v[30:31]
	v_fma_f64 v[8:9], v[8:9], v[28:29], -v[10:11]
	s_waitcnt vmcnt(0) lgkmcnt(0)
	v_mul_f64 v[38:39], v[4:5], v[34:35]
	v_fmac_f64_e32 v[38:39], v[6:7], v[32:33]
	v_add_f64 v[44:45], v[36:37], v[38:39]
	ds_read_b128 v[36:39], v2 offset:704
	v_mul_f64 v[6:7], v[6:7], v[34:35]
	v_fma_f64 v[4:5], v[4:5], v[32:33], -v[6:7]
	s_waitcnt lgkmcnt(0)
	v_mul_f64 v[46:47], v[36:37], v[42:43]
	v_fmac_f64_e32 v[46:47], v[38:39], v[40:41]
	v_add_f64 v[52:53], v[44:45], v[46:47]
	ds_read_b128 v[44:47], v2 offset:720
	s_waitcnt lgkmcnt(0)
	v_mul_f64 v[54:55], v[44:45], v[50:51]
	v_fmac_f64_e32 v[54:55], v[46:47], v[48:49]
	v_add_f64 v[60:61], v[52:53], v[54:55]
	ds_read_b128 v[52:55], v2 offset:736
	;; [unrolled: 5-line block ×15, first 2 shown]
	s_waitcnt lgkmcnt(0)
	v_mul_f64 v[2:3], v[158:159], v[164:165]
	v_fmac_f64_e32 v[2:3], v[160:161], v[162:163]
	v_add_f64 v[96:97], v[96:97], v[2:3]
	v_mul_f64 v[2:3], v[18:19], v[22:23]
	v_fma_f64 v[2:3], v[16:17], v[20:21], -v[2:3]
	v_add_f64 v[2:3], v[2:3], 0
	v_add_f64 v[2:3], v[2:3], v[12:13]
	;; [unrolled: 1-line block ×4, first 2 shown]
	v_mul_f64 v[4:5], v[38:39], v[42:43]
	v_fma_f64 v[4:5], v[36:37], v[40:41], -v[4:5]
	v_add_f64 v[2:3], v[2:3], v[4:5]
	v_mul_f64 v[4:5], v[46:47], v[50:51]
	v_fma_f64 v[4:5], v[44:45], v[48:49], -v[4:5]
	v_add_f64 v[2:3], v[2:3], v[4:5]
	;; [unrolled: 3-line block ×16, first 2 shown]
	scratch_load_dwordx4 v[2:5], off, off offset:144
	s_waitcnt vmcnt(0)
	v_add_f64 v[2:3], v[2:3], -v[6:7]
	v_add_f64 v[4:5], v[4:5], -v[96:97]
	scratch_store_dwordx4 off, v[2:5], off offset:144
	s_and_saveexec_b64 s[2:3], vcc
	s_cbranch_execz .LBB29_177
; %bb.176:
	scratch_load_dwordx4 v[2:5], off, s17
	v_mov_b32_e32 v6, 0
	v_mov_b32_e32 v7, v6
	;; [unrolled: 1-line block ×4, first 2 shown]
	scratch_store_dwordx4 off, v[6:9], off offset:128
	s_waitcnt vmcnt(1)
	ds_write_b128 v238, v[2:5]
.LBB29_177:
	s_or_b64 exec, exec, s[2:3]
	v_mov_b32_e32 v2, 0
	s_waitcnt lgkmcnt(0)
	; wave barrier
	ds_read_b128 v[16:19], v2 offset:624
	ds_read_b128 v[12:15], v2 offset:640
	;; [unrolled: 1-line block ×4, first 2 shown]
	scratch_load_dwordx4 v[20:23], off, off offset:144
	scratch_load_dwordx4 v[40:43], off, off offset:208
	;; [unrolled: 1-line block ×15, first 2 shown]
	v_cmp_lt_u32_e32 vcc, 7, v1
	scratch_load_dwordx4 v[48:51], off, off offset:224
	scratch_load_dwordx4 v[56:59], off, off offset:240
	;; [unrolled: 1-line block ×3, first 2 shown]
	s_waitcnt vmcnt(17) lgkmcnt(3)
	v_mul_f64 v[24:25], v[16:17], v[22:23]
	v_fmac_f64_e32 v[24:25], v[18:19], v[20:21]
	v_add_f64 v[28:29], v[24:25], 0
	scratch_load_dwordx4 v[24:27], off, off offset:160
	v_mul_f64 v[18:19], v[18:19], v[22:23]
	v_fma_f64 v[16:17], v[16:17], v[20:21], -v[18:19]
	v_add_f64 v[16:17], v[16:17], 0
	s_waitcnt vmcnt(0) lgkmcnt(2)
	v_mul_f64 v[30:31], v[12:13], v[26:27]
	v_fmac_f64_e32 v[30:31], v[14:15], v[24:25]
	v_add_f64 v[32:33], v[28:29], v[30:31]
	scratch_load_dwordx4 v[28:31], off, off offset:176
	v_mul_f64 v[14:15], v[14:15], v[26:27]
	v_fma_f64 v[12:13], v[12:13], v[24:25], -v[14:15]
	v_add_f64 v[12:13], v[16:17], v[12:13]
	;; [unrolled: 8-line block ×3, first 2 shown]
	s_waitcnt vmcnt(0) lgkmcnt(0)
	v_mul_f64 v[38:39], v[4:5], v[34:35]
	v_fmac_f64_e32 v[38:39], v[6:7], v[32:33]
	v_add_f64 v[44:45], v[36:37], v[38:39]
	ds_read_b128 v[36:39], v2 offset:688
	v_mul_f64 v[6:7], v[6:7], v[34:35]
	v_fma_f64 v[4:5], v[4:5], v[32:33], -v[6:7]
	v_add_f64 v[4:5], v[8:9], v[4:5]
	s_waitcnt lgkmcnt(0)
	v_mul_f64 v[46:47], v[36:37], v[42:43]
	v_fmac_f64_e32 v[46:47], v[38:39], v[40:41]
	v_add_f64 v[52:53], v[44:45], v[46:47]
	ds_read_b128 v[44:47], v2 offset:704
	v_mul_f64 v[6:7], v[38:39], v[42:43]
	v_fma_f64 v[6:7], v[36:37], v[40:41], -v[6:7]
	v_add_f64 v[4:5], v[4:5], v[6:7]
	s_waitcnt lgkmcnt(0)
	;; [unrolled: 8-line block ×17, first 2 shown]
	v_mul_f64 v[6:7], v[168:169], v[172:173]
	v_fma_f64 v[6:7], v[166:167], v[170:171], -v[6:7]
	v_add_f64 v[8:9], v[4:5], v[6:7]
	scratch_load_dwordx4 v[4:7], off, off offset:128
	v_mul_f64 v[174:175], v[166:167], v[172:173]
	v_fmac_f64_e32 v[174:175], v[168:169], v[170:171]
	v_add_f64 v[104:105], v[104:105], v[174:175]
	s_waitcnt vmcnt(0)
	v_add_f64 v[4:5], v[4:5], -v[8:9]
	v_add_f64 v[6:7], v[6:7], -v[104:105]
	scratch_store_dwordx4 off, v[4:7], off offset:128
	s_and_saveexec_b64 s[2:3], vcc
	s_cbranch_execz .LBB29_179
; %bb.178:
	scratch_load_dwordx4 v[6:9], off, s27
	v_mov_b32_e32 v3, v2
	v_mov_b32_e32 v4, v2
	v_mov_b32_e32 v5, v2
	scratch_store_dwordx4 off, v[2:5], off offset:112
	s_waitcnt vmcnt(1)
	ds_write_b128 v238, v[6:9]
.LBB29_179:
	s_or_b64 exec, exec, s[2:3]
	s_waitcnt lgkmcnt(0)
	; wave barrier
	ds_read_b128 v[16:19], v2 offset:608
	ds_read_b128 v[12:15], v2 offset:624
	;; [unrolled: 1-line block ×4, first 2 shown]
	scratch_load_dwordx4 v[20:23], off, off offset:128
	scratch_load_dwordx4 v[40:43], off, off offset:192
	;; [unrolled: 1-line block ×16, first 2 shown]
	v_cmp_lt_u32_e32 vcc, 6, v1
	scratch_load_dwordx4 v[48:51], off, off offset:208
	scratch_load_dwordx4 v[56:59], off, off offset:224
	;; [unrolled: 1-line block ×3, first 2 shown]
	ds_read_b128 v[240:243], v2 offset:944
	s_waitcnt vmcnt(18) lgkmcnt(4)
	v_mul_f64 v[24:25], v[16:17], v[22:23]
	v_fmac_f64_e32 v[24:25], v[18:19], v[20:21]
	v_add_f64 v[28:29], v[24:25], 0
	scratch_load_dwordx4 v[24:27], off, off offset:144
	s_waitcnt vmcnt(0) lgkmcnt(3)
	v_mul_f64 v[30:31], v[12:13], v[26:27]
	v_fmac_f64_e32 v[30:31], v[14:15], v[24:25]
	v_add_f64 v[32:33], v[28:29], v[30:31]
	scratch_load_dwordx4 v[28:31], off, off offset:160
	v_mul_f64 v[14:15], v[14:15], v[26:27]
	v_fma_f64 v[12:13], v[12:13], v[24:25], -v[14:15]
	s_waitcnt vmcnt(0) lgkmcnt(2)
	v_mul_f64 v[34:35], v[8:9], v[30:31]
	v_fmac_f64_e32 v[34:35], v[10:11], v[28:29]
	v_add_f64 v[36:37], v[32:33], v[34:35]
	scratch_load_dwordx4 v[32:35], off, off offset:176
	v_mul_f64 v[10:11], v[10:11], v[30:31]
	v_fma_f64 v[8:9], v[8:9], v[28:29], -v[10:11]
	s_waitcnt vmcnt(0) lgkmcnt(1)
	v_mul_f64 v[38:39], v[4:5], v[34:35]
	v_fmac_f64_e32 v[38:39], v[6:7], v[32:33]
	v_add_f64 v[44:45], v[36:37], v[38:39]
	ds_read_b128 v[36:39], v2 offset:672
	v_mul_f64 v[6:7], v[6:7], v[34:35]
	v_fma_f64 v[4:5], v[4:5], v[32:33], -v[6:7]
	s_waitcnt lgkmcnt(0)
	v_mul_f64 v[46:47], v[36:37], v[42:43]
	v_fmac_f64_e32 v[46:47], v[38:39], v[40:41]
	v_add_f64 v[52:53], v[44:45], v[46:47]
	ds_read_b128 v[44:47], v2 offset:688
	s_waitcnt lgkmcnt(0)
	v_mul_f64 v[54:55], v[44:45], v[50:51]
	v_fmac_f64_e32 v[54:55], v[46:47], v[48:49]
	v_add_f64 v[60:61], v[52:53], v[54:55]
	ds_read_b128 v[52:55], v2 offset:704
	;; [unrolled: 5-line block ×16, first 2 shown]
	v_mul_f64 v[2:3], v[240:241], v[246:247]
	v_fmac_f64_e32 v[2:3], v[242:243], v[244:245]
	s_waitcnt lgkmcnt(0)
	v_mul_f64 v[174:175], v[166:167], v[172:173]
	v_fmac_f64_e32 v[174:175], v[168:169], v[170:171]
	v_add_f64 v[120:121], v[120:121], v[174:175]
	v_add_f64 v[120:121], v[120:121], v[2:3]
	v_mul_f64 v[2:3], v[18:19], v[22:23]
	v_fma_f64 v[2:3], v[16:17], v[20:21], -v[2:3]
	v_add_f64 v[2:3], v[2:3], 0
	v_add_f64 v[2:3], v[2:3], v[12:13]
	;; [unrolled: 1-line block ×4, first 2 shown]
	v_mul_f64 v[4:5], v[38:39], v[42:43]
	v_fma_f64 v[4:5], v[36:37], v[40:41], -v[4:5]
	v_add_f64 v[2:3], v[2:3], v[4:5]
	v_mul_f64 v[4:5], v[46:47], v[50:51]
	v_fma_f64 v[4:5], v[44:45], v[48:49], -v[4:5]
	v_add_f64 v[2:3], v[2:3], v[4:5]
	;; [unrolled: 3-line block ×18, first 2 shown]
	scratch_load_dwordx4 v[2:5], off, off offset:112
	s_waitcnt vmcnt(0)
	v_add_f64 v[2:3], v[2:3], -v[6:7]
	v_add_f64 v[4:5], v[4:5], -v[120:121]
	scratch_store_dwordx4 off, v[2:5], off offset:112
	s_and_saveexec_b64 s[2:3], vcc
	s_cbranch_execz .LBB29_181
; %bb.180:
	scratch_load_dwordx4 v[2:5], off, s25
	v_mov_b32_e32 v6, 0
	v_mov_b32_e32 v7, v6
	;; [unrolled: 1-line block ×4, first 2 shown]
	scratch_store_dwordx4 off, v[6:9], off offset:96
	s_waitcnt vmcnt(1)
	ds_write_b128 v238, v[2:5]
.LBB29_181:
	s_or_b64 exec, exec, s[2:3]
	v_mov_b32_e32 v2, 0
	s_waitcnt lgkmcnt(0)
	; wave barrier
	ds_read_b128 v[16:19], v2 offset:592
	ds_read_b128 v[12:15], v2 offset:608
	;; [unrolled: 1-line block ×4, first 2 shown]
	scratch_load_dwordx4 v[20:23], off, off offset:112
	scratch_load_dwordx4 v[40:43], off, off offset:176
	;; [unrolled: 1-line block ×17, first 2 shown]
	v_cmp_lt_u32_e32 vcc, 5, v1
	scratch_load_dwordx4 v[48:51], off, off offset:192
	scratch_load_dwordx4 v[56:59], off, off offset:208
	;; [unrolled: 1-line block ×3, first 2 shown]
	ds_read_b128 v[240:243], v2 offset:928
	ds_read_b128 v[248:251], v2 offset:944
	s_waitcnt vmcnt(19) lgkmcnt(5)
	v_mul_f64 v[24:25], v[16:17], v[22:23]
	v_fmac_f64_e32 v[24:25], v[18:19], v[20:21]
	v_add_f64 v[28:29], v[24:25], 0
	scratch_load_dwordx4 v[24:27], off, off offset:128
	v_mul_f64 v[18:19], v[18:19], v[22:23]
	v_fma_f64 v[16:17], v[16:17], v[20:21], -v[18:19]
	v_add_f64 v[16:17], v[16:17], 0
	s_waitcnt vmcnt(0) lgkmcnt(4)
	v_mul_f64 v[30:31], v[12:13], v[26:27]
	v_fmac_f64_e32 v[30:31], v[14:15], v[24:25]
	v_add_f64 v[32:33], v[28:29], v[30:31]
	scratch_load_dwordx4 v[28:31], off, off offset:144
	v_mul_f64 v[14:15], v[14:15], v[26:27]
	v_fma_f64 v[12:13], v[12:13], v[24:25], -v[14:15]
	v_add_f64 v[12:13], v[16:17], v[12:13]
	;; [unrolled: 8-line block ×3, first 2 shown]
	s_waitcnt vmcnt(0) lgkmcnt(2)
	v_mul_f64 v[38:39], v[4:5], v[34:35]
	v_fmac_f64_e32 v[38:39], v[6:7], v[32:33]
	v_add_f64 v[44:45], v[36:37], v[38:39]
	ds_read_b128 v[36:39], v2 offset:656
	v_mul_f64 v[6:7], v[6:7], v[34:35]
	v_fma_f64 v[4:5], v[4:5], v[32:33], -v[6:7]
	v_add_f64 v[4:5], v[8:9], v[4:5]
	s_waitcnt lgkmcnt(0)
	v_mul_f64 v[46:47], v[36:37], v[42:43]
	v_fmac_f64_e32 v[46:47], v[38:39], v[40:41]
	v_add_f64 v[52:53], v[44:45], v[46:47]
	ds_read_b128 v[44:47], v2 offset:672
	v_mul_f64 v[6:7], v[38:39], v[42:43]
	v_fma_f64 v[6:7], v[36:37], v[40:41], -v[6:7]
	v_add_f64 v[4:5], v[4:5], v[6:7]
	s_waitcnt lgkmcnt(0)
	;; [unrolled: 8-line block ×17, first 2 shown]
	v_mul_f64 v[6:7], v[168:169], v[172:173]
	v_fma_f64 v[6:7], v[166:167], v[170:171], -v[6:7]
	v_add_f64 v[4:5], v[4:5], v[6:7]
	v_mul_f64 v[6:7], v[242:243], v[246:247]
	v_fma_f64 v[6:7], v[240:241], v[244:245], -v[6:7]
	v_add_f64 v[4:5], v[4:5], v[6:7]
	;; [unrolled: 3-line block ×3, first 2 shown]
	scratch_load_dwordx4 v[4:7], off, off offset:96
	v_mul_f64 v[174:175], v[166:167], v[172:173]
	v_fmac_f64_e32 v[174:175], v[168:169], v[170:171]
	v_add_f64 v[128:129], v[128:129], v[174:175]
	v_mul_f64 v[174:175], v[240:241], v[246:247]
	v_fmac_f64_e32 v[174:175], v[242:243], v[244:245]
	v_add_f64 v[128:129], v[128:129], v[174:175]
	;; [unrolled: 3-line block ×3, first 2 shown]
	s_waitcnt vmcnt(0)
	v_add_f64 v[4:5], v[4:5], -v[8:9]
	v_add_f64 v[6:7], v[6:7], -v[128:129]
	scratch_store_dwordx4 off, v[4:7], off offset:96
	s_and_saveexec_b64 s[2:3], vcc
	s_cbranch_execz .LBB29_183
; %bb.182:
	scratch_load_dwordx4 v[6:9], off, s19
	v_mov_b32_e32 v3, v2
	v_mov_b32_e32 v4, v2
	;; [unrolled: 1-line block ×3, first 2 shown]
	scratch_store_dwordx4 off, v[2:5], off offset:80
	s_waitcnt vmcnt(1)
	ds_write_b128 v238, v[6:9]
.LBB29_183:
	s_or_b64 exec, exec, s[2:3]
	s_waitcnt lgkmcnt(0)
	; wave barrier
	ds_read_b128 v[16:19], v2 offset:576
	ds_read_b128 v[12:15], v2 offset:592
	;; [unrolled: 1-line block ×4, first 2 shown]
	scratch_load_dwordx4 v[20:23], off, off offset:96
	scratch_load_dwordx4 v[40:43], off, off offset:160
	;; [unrolled: 1-line block ×18, first 2 shown]
	v_cmp_lt_u32_e32 vcc, 4, v1
	scratch_load_dwordx4 v[48:51], off, off offset:176
	scratch_load_dwordx4 v[56:59], off, off offset:192
	;; [unrolled: 1-line block ×3, first 2 shown]
	ds_read_b128 v[240:243], v2 offset:912
	ds_read_b128 v[248:251], v2 offset:928
	s_waitcnt vmcnt(20) lgkmcnt(5)
	v_mul_f64 v[24:25], v[16:17], v[22:23]
	v_fmac_f64_e32 v[24:25], v[18:19], v[20:21]
	v_add_f64 v[28:29], v[24:25], 0
	scratch_load_dwordx4 v[24:27], off, off offset:112
	s_waitcnt vmcnt(0) lgkmcnt(4)
	v_mul_f64 v[30:31], v[12:13], v[26:27]
	v_fmac_f64_e32 v[30:31], v[14:15], v[24:25]
	v_add_f64 v[32:33], v[28:29], v[30:31]
	scratch_load_dwordx4 v[28:31], off, off offset:128
	v_mul_f64 v[14:15], v[14:15], v[26:27]
	v_fma_f64 v[12:13], v[12:13], v[24:25], -v[14:15]
	s_waitcnt vmcnt(0) lgkmcnt(3)
	v_mul_f64 v[34:35], v[8:9], v[30:31]
	v_fmac_f64_e32 v[34:35], v[10:11], v[28:29]
	v_add_f64 v[36:37], v[32:33], v[34:35]
	scratch_load_dwordx4 v[32:35], off, off offset:144
	v_mul_f64 v[10:11], v[10:11], v[30:31]
	v_fma_f64 v[8:9], v[8:9], v[28:29], -v[10:11]
	s_waitcnt vmcnt(0) lgkmcnt(2)
	v_mul_f64 v[38:39], v[4:5], v[34:35]
	v_fmac_f64_e32 v[38:39], v[6:7], v[32:33]
	v_add_f64 v[44:45], v[36:37], v[38:39]
	ds_read_b128 v[36:39], v2 offset:640
	v_mul_f64 v[6:7], v[6:7], v[34:35]
	v_fma_f64 v[4:5], v[4:5], v[32:33], -v[6:7]
	s_waitcnt lgkmcnt(0)
	v_mul_f64 v[46:47], v[36:37], v[42:43]
	v_fmac_f64_e32 v[46:47], v[38:39], v[40:41]
	v_add_f64 v[52:53], v[44:45], v[46:47]
	ds_read_b128 v[44:47], v2 offset:656
	s_waitcnt lgkmcnt(0)
	v_mul_f64 v[54:55], v[44:45], v[50:51]
	v_fmac_f64_e32 v[54:55], v[46:47], v[48:49]
	v_add_f64 v[60:61], v[52:53], v[54:55]
	ds_read_b128 v[52:55], v2 offset:672
	;; [unrolled: 5-line block ×16, first 2 shown]
	s_waitcnt lgkmcnt(0)
	v_mul_f64 v[174:175], v[166:167], v[172:173]
	v_fmac_f64_e32 v[174:175], v[168:169], v[170:171]
	v_add_f64 v[148:149], v[148:149], v[174:175]
	v_mul_f64 v[174:175], v[240:241], v[246:247]
	v_fmac_f64_e32 v[174:175], v[242:243], v[244:245]
	v_add_f64 v[148:149], v[148:149], v[174:175]
	v_mul_f64 v[174:175], v[248:249], v[254:255]
	v_fmac_f64_e32 v[174:175], v[250:251], v[252:253]
	v_add_f64 v[148:149], v[148:149], v[174:175]
	ds_read_b128 v[174:177], v2 offset:944
	s_waitcnt lgkmcnt(0)
	v_mul_f64 v[2:3], v[174:175], v[180:181]
	v_fmac_f64_e32 v[2:3], v[176:177], v[178:179]
	v_add_f64 v[148:149], v[148:149], v[2:3]
	v_mul_f64 v[2:3], v[18:19], v[22:23]
	v_fma_f64 v[2:3], v[16:17], v[20:21], -v[2:3]
	v_add_f64 v[2:3], v[2:3], 0
	v_add_f64 v[2:3], v[2:3], v[12:13]
	;; [unrolled: 1-line block ×4, first 2 shown]
	v_mul_f64 v[4:5], v[38:39], v[42:43]
	v_fma_f64 v[4:5], v[36:37], v[40:41], -v[4:5]
	v_add_f64 v[2:3], v[2:3], v[4:5]
	v_mul_f64 v[4:5], v[46:47], v[50:51]
	v_fma_f64 v[4:5], v[44:45], v[48:49], -v[4:5]
	v_add_f64 v[2:3], v[2:3], v[4:5]
	;; [unrolled: 3-line block ×20, first 2 shown]
	scratch_load_dwordx4 v[2:5], off, off offset:80
	s_waitcnt vmcnt(0)
	v_add_f64 v[2:3], v[2:3], -v[6:7]
	v_add_f64 v[4:5], v[4:5], -v[148:149]
	scratch_store_dwordx4 off, v[2:5], off offset:80
	s_and_saveexec_b64 s[2:3], vcc
	s_cbranch_execz .LBB29_185
; %bb.184:
	scratch_load_dwordx4 v[2:5], off, s16
	v_mov_b32_e32 v6, 0
	v_mov_b32_e32 v7, v6
	;; [unrolled: 1-line block ×4, first 2 shown]
	scratch_store_dwordx4 off, v[6:9], off offset:64
	s_waitcnt vmcnt(1)
	ds_write_b128 v238, v[2:5]
.LBB29_185:
	s_or_b64 exec, exec, s[2:3]
	v_mov_b32_e32 v2, 0
	s_waitcnt lgkmcnt(0)
	; wave barrier
	ds_read_b128 v[16:19], v2 offset:560
	ds_read_b128 v[12:15], v2 offset:576
	;; [unrolled: 1-line block ×4, first 2 shown]
	scratch_load_dwordx4 v[20:23], off, off offset:80
	scratch_load_dwordx4 v[40:43], off, off offset:144
	;; [unrolled: 1-line block ×19, first 2 shown]
	v_cmp_lt_u32_e32 vcc, 3, v1
	scratch_load_dwordx4 v[48:51], off, off offset:160
	scratch_load_dwordx4 v[56:59], off, off offset:176
	;; [unrolled: 1-line block ×3, first 2 shown]
	ds_read_b128 v[240:243], v2 offset:912
	ds_read_b128 v[248:251], v2 offset:928
	s_waitcnt vmcnt(21) lgkmcnt(5)
	v_mul_f64 v[24:25], v[16:17], v[22:23]
	v_fmac_f64_e32 v[24:25], v[18:19], v[20:21]
	v_add_f64 v[28:29], v[24:25], 0
	scratch_load_dwordx4 v[24:27], off, off offset:96
	v_mul_f64 v[18:19], v[18:19], v[22:23]
	v_fma_f64 v[16:17], v[16:17], v[20:21], -v[18:19]
	v_add_f64 v[16:17], v[16:17], 0
	s_waitcnt vmcnt(0) lgkmcnt(4)
	v_mul_f64 v[30:31], v[12:13], v[26:27]
	v_fmac_f64_e32 v[30:31], v[14:15], v[24:25]
	v_add_f64 v[32:33], v[28:29], v[30:31]
	scratch_load_dwordx4 v[28:31], off, off offset:112
	v_mul_f64 v[14:15], v[14:15], v[26:27]
	v_fma_f64 v[12:13], v[12:13], v[24:25], -v[14:15]
	v_add_f64 v[12:13], v[16:17], v[12:13]
	;; [unrolled: 8-line block ×3, first 2 shown]
	s_waitcnt vmcnt(0) lgkmcnt(2)
	v_mul_f64 v[38:39], v[4:5], v[34:35]
	v_fmac_f64_e32 v[38:39], v[6:7], v[32:33]
	v_add_f64 v[44:45], v[36:37], v[38:39]
	ds_read_b128 v[36:39], v2 offset:624
	v_mul_f64 v[6:7], v[6:7], v[34:35]
	v_fma_f64 v[4:5], v[4:5], v[32:33], -v[6:7]
	v_add_f64 v[4:5], v[8:9], v[4:5]
	s_waitcnt lgkmcnt(0)
	v_mul_f64 v[46:47], v[36:37], v[42:43]
	v_fmac_f64_e32 v[46:47], v[38:39], v[40:41]
	v_add_f64 v[52:53], v[44:45], v[46:47]
	ds_read_b128 v[44:47], v2 offset:640
	v_mul_f64 v[6:7], v[38:39], v[42:43]
	v_fma_f64 v[6:7], v[36:37], v[40:41], -v[6:7]
	v_add_f64 v[4:5], v[4:5], v[6:7]
	s_waitcnt lgkmcnt(0)
	v_mul_f64 v[54:55], v[44:45], v[50:51]
	v_fmac_f64_e32 v[54:55], v[46:47], v[48:49]
	v_add_f64 v[60:61], v[52:53], v[54:55]
	ds_read_b128 v[52:55], v2 offset:656
	v_mul_f64 v[6:7], v[46:47], v[50:51]
	v_fma_f64 v[6:7], v[44:45], v[48:49], -v[6:7]
	v_add_f64 v[4:5], v[4:5], v[6:7]
	s_waitcnt lgkmcnt(0)
	v_mul_f64 v[62:63], v[52:53], v[58:59]
	v_fmac_f64_e32 v[62:63], v[54:55], v[56:57]
	v_add_f64 v[68:69], v[60:61], v[62:63]
	ds_read_b128 v[60:63], v2 offset:672
	v_mul_f64 v[6:7], v[54:55], v[58:59]
	v_fma_f64 v[6:7], v[52:53], v[56:57], -v[6:7]
	v_add_f64 v[4:5], v[4:5], v[6:7]
	s_waitcnt lgkmcnt(0)
	v_mul_f64 v[70:71], v[60:61], v[66:67]
	v_fmac_f64_e32 v[70:71], v[62:63], v[64:65]
	v_add_f64 v[76:77], v[68:69], v[70:71]
	ds_read_b128 v[68:71], v2 offset:688
	v_mul_f64 v[6:7], v[62:63], v[66:67]
	v_fma_f64 v[6:7], v[60:61], v[64:65], -v[6:7]
	v_add_f64 v[4:5], v[4:5], v[6:7]
	s_waitcnt lgkmcnt(0)
	v_mul_f64 v[78:79], v[68:69], v[74:75]
	v_fmac_f64_e32 v[78:79], v[70:71], v[72:73]
	v_add_f64 v[84:85], v[76:77], v[78:79]
	ds_read_b128 v[76:79], v2 offset:704
	v_mul_f64 v[6:7], v[70:71], v[74:75]
	v_fma_f64 v[6:7], v[68:69], v[72:73], -v[6:7]
	v_add_f64 v[4:5], v[4:5], v[6:7]
	s_waitcnt lgkmcnt(0)
	v_mul_f64 v[86:87], v[76:77], v[82:83]
	v_fmac_f64_e32 v[86:87], v[78:79], v[80:81]
	v_add_f64 v[92:93], v[84:85], v[86:87]
	ds_read_b128 v[84:87], v2 offset:720
	v_mul_f64 v[6:7], v[78:79], v[82:83]
	v_fma_f64 v[6:7], v[76:77], v[80:81], -v[6:7]
	v_add_f64 v[4:5], v[4:5], v[6:7]
	s_waitcnt lgkmcnt(0)
	v_mul_f64 v[94:95], v[84:85], v[90:91]
	v_fmac_f64_e32 v[94:95], v[86:87], v[88:89]
	v_add_f64 v[100:101], v[92:93], v[94:95]
	ds_read_b128 v[92:95], v2 offset:736
	v_mul_f64 v[6:7], v[86:87], v[90:91]
	v_fma_f64 v[6:7], v[84:85], v[88:89], -v[6:7]
	v_add_f64 v[4:5], v[4:5], v[6:7]
	s_waitcnt lgkmcnt(0)
	v_mul_f64 v[102:103], v[92:93], v[98:99]
	v_fmac_f64_e32 v[102:103], v[94:95], v[96:97]
	v_add_f64 v[108:109], v[100:101], v[102:103]
	ds_read_b128 v[100:103], v2 offset:752
	v_mul_f64 v[6:7], v[94:95], v[98:99]
	v_fma_f64 v[6:7], v[92:93], v[96:97], -v[6:7]
	v_add_f64 v[4:5], v[4:5], v[6:7]
	s_waitcnt lgkmcnt(0)
	v_mul_f64 v[110:111], v[100:101], v[106:107]
	v_fmac_f64_e32 v[110:111], v[102:103], v[104:105]
	v_add_f64 v[116:117], v[108:109], v[110:111]
	ds_read_b128 v[108:111], v2 offset:768
	v_mul_f64 v[6:7], v[102:103], v[106:107]
	v_fma_f64 v[6:7], v[100:101], v[104:105], -v[6:7]
	v_add_f64 v[4:5], v[4:5], v[6:7]
	s_waitcnt lgkmcnt(0)
	v_mul_f64 v[118:119], v[108:109], v[114:115]
	v_fmac_f64_e32 v[118:119], v[110:111], v[112:113]
	v_add_f64 v[124:125], v[116:117], v[118:119]
	ds_read_b128 v[116:119], v2 offset:784
	v_mul_f64 v[6:7], v[110:111], v[114:115]
	v_fma_f64 v[6:7], v[108:109], v[112:113], -v[6:7]
	v_add_f64 v[4:5], v[4:5], v[6:7]
	s_waitcnt lgkmcnt(0)
	v_mul_f64 v[126:127], v[116:117], v[122:123]
	v_fmac_f64_e32 v[126:127], v[118:119], v[120:121]
	v_add_f64 v[132:133], v[124:125], v[126:127]
	ds_read_b128 v[124:127], v2 offset:800
	v_mul_f64 v[6:7], v[118:119], v[122:123]
	v_fma_f64 v[6:7], v[116:117], v[120:121], -v[6:7]
	v_add_f64 v[4:5], v[4:5], v[6:7]
	s_waitcnt lgkmcnt(0)
	v_mul_f64 v[134:135], v[124:125], v[130:131]
	v_fmac_f64_e32 v[134:135], v[126:127], v[128:129]
	v_add_f64 v[140:141], v[132:133], v[134:135]
	ds_read_b128 v[132:135], v2 offset:816
	v_mul_f64 v[6:7], v[126:127], v[130:131]
	v_fma_f64 v[6:7], v[124:125], v[128:129], -v[6:7]
	v_add_f64 v[4:5], v[4:5], v[6:7]
	s_waitcnt lgkmcnt(0)
	v_mul_f64 v[142:143], v[132:133], v[138:139]
	v_fmac_f64_e32 v[142:143], v[134:135], v[136:137]
	v_add_f64 v[144:145], v[140:141], v[142:143]
	ds_read_b128 v[140:143], v2 offset:832
	v_mul_f64 v[6:7], v[134:135], v[138:139]
	v_fma_f64 v[6:7], v[132:133], v[136:137], -v[6:7]
	v_add_f64 v[4:5], v[4:5], v[6:7]
	s_waitcnt lgkmcnt(0)
	v_mul_f64 v[150:151], v[140:141], v[148:149]
	v_fmac_f64_e32 v[150:151], v[142:143], v[146:147]
	v_add_f64 v[144:145], v[144:145], v[150:151]
	ds_read_b128 v[150:153], v2 offset:848
	v_mul_f64 v[6:7], v[142:143], v[148:149]
	v_fma_f64 v[6:7], v[140:141], v[146:147], -v[6:7]
	v_add_f64 v[4:5], v[4:5], v[6:7]
	s_waitcnt lgkmcnt(0)
	v_mul_f64 v[158:159], v[150:151], v[156:157]
	v_fmac_f64_e32 v[158:159], v[152:153], v[154:155]
	v_add_f64 v[144:145], v[144:145], v[158:159]
	ds_read_b128 v[158:161], v2 offset:864
	v_mul_f64 v[6:7], v[152:153], v[156:157]
	v_fma_f64 v[6:7], v[150:151], v[154:155], -v[6:7]
	v_add_f64 v[4:5], v[4:5], v[6:7]
	s_waitcnt lgkmcnt(0)
	v_mul_f64 v[166:167], v[158:159], v[164:165]
	v_fmac_f64_e32 v[166:167], v[160:161], v[162:163]
	v_add_f64 v[144:145], v[144:145], v[166:167]
	ds_read_b128 v[166:169], v2 offset:880
	v_mul_f64 v[6:7], v[160:161], v[164:165]
	v_fma_f64 v[6:7], v[158:159], v[162:163], -v[6:7]
	v_add_f64 v[4:5], v[4:5], v[6:7]
	s_waitcnt lgkmcnt(0)
	v_mul_f64 v[174:175], v[166:167], v[172:173]
	v_fmac_f64_e32 v[174:175], v[168:169], v[170:171]
	v_add_f64 v[144:145], v[144:145], v[174:175]
	ds_read_b128 v[174:177], v2 offset:896
	v_mul_f64 v[6:7], v[168:169], v[172:173]
	v_fma_f64 v[6:7], v[166:167], v[170:171], -v[6:7]
	v_add_f64 v[4:5], v[4:5], v[6:7]
	s_waitcnt lgkmcnt(0)
	v_mul_f64 v[182:183], v[174:175], v[180:181]
	v_fmac_f64_e32 v[182:183], v[176:177], v[178:179]
	v_add_f64 v[144:145], v[144:145], v[182:183]
	v_mul_f64 v[182:183], v[240:241], v[246:247]
	v_fmac_f64_e32 v[182:183], v[242:243], v[244:245]
	v_add_f64 v[144:145], v[144:145], v[182:183]
	v_mul_f64 v[182:183], v[248:249], v[254:255]
	v_fmac_f64_e32 v[182:183], v[250:251], v[252:253]
	v_mul_f64 v[6:7], v[176:177], v[180:181]
	v_add_f64 v[144:145], v[144:145], v[182:183]
	ds_read_b128 v[182:185], v2 offset:944
	v_fma_f64 v[6:7], v[174:175], v[178:179], -v[6:7]
	v_add_f64 v[4:5], v[4:5], v[6:7]
	v_mul_f64 v[6:7], v[242:243], v[246:247]
	v_fma_f64 v[6:7], v[240:241], v[244:245], -v[6:7]
	v_add_f64 v[4:5], v[4:5], v[6:7]
	v_mul_f64 v[6:7], v[250:251], v[254:255]
	v_fma_f64 v[6:7], v[248:249], v[252:253], -v[6:7]
	v_add_f64 v[4:5], v[4:5], v[6:7]
	s_waitcnt lgkmcnt(0)
	v_mul_f64 v[6:7], v[184:185], v[188:189]
	v_fma_f64 v[6:7], v[182:183], v[186:187], -v[6:7]
	v_add_f64 v[8:9], v[4:5], v[6:7]
	scratch_load_dwordx4 v[4:7], off, off offset:64
	v_mul_f64 v[190:191], v[182:183], v[188:189]
	v_fmac_f64_e32 v[190:191], v[184:185], v[186:187]
	v_add_f64 v[144:145], v[144:145], v[190:191]
	s_waitcnt vmcnt(0)
	v_add_f64 v[4:5], v[4:5], -v[8:9]
	v_add_f64 v[6:7], v[6:7], -v[144:145]
	scratch_store_dwordx4 off, v[4:7], off offset:64
	s_and_saveexec_b64 s[2:3], vcc
	s_cbranch_execz .LBB29_187
; %bb.186:
	scratch_load_dwordx4 v[6:9], off, s15
	v_mov_b32_e32 v3, v2
	v_mov_b32_e32 v4, v2
	;; [unrolled: 1-line block ×3, first 2 shown]
	scratch_store_dwordx4 off, v[2:5], off offset:48
	s_waitcnt vmcnt(1)
	ds_write_b128 v238, v[6:9]
.LBB29_187:
	s_or_b64 exec, exec, s[2:3]
	s_waitcnt lgkmcnt(0)
	; wave barrier
	ds_read_b128 v[16:19], v2 offset:544
	ds_read_b128 v[12:15], v2 offset:560
	;; [unrolled: 1-line block ×4, first 2 shown]
	scratch_load_dwordx4 v[20:23], off, off offset:64
	scratch_load_dwordx4 v[40:43], off, off offset:128
	;; [unrolled: 1-line block ×20, first 2 shown]
	v_cmp_lt_u32_e32 vcc, 2, v1
	scratch_load_dwordx4 v[48:51], off, off offset:144
	scratch_load_dwordx4 v[56:59], off, off offset:160
	scratch_load_dwordx4 v[64:67], off, off offset:176
	ds_read_b128 v[240:243], v2 offset:912
	ds_read_b128 v[248:251], v2 offset:928
	s_waitcnt vmcnt(22) lgkmcnt(5)
	v_mul_f64 v[24:25], v[16:17], v[22:23]
	v_fmac_f64_e32 v[24:25], v[18:19], v[20:21]
	v_add_f64 v[28:29], v[24:25], 0
	scratch_load_dwordx4 v[24:27], off, off offset:80
	s_waitcnt vmcnt(0) lgkmcnt(4)
	v_mul_f64 v[30:31], v[12:13], v[26:27]
	v_fmac_f64_e32 v[30:31], v[14:15], v[24:25]
	v_add_f64 v[32:33], v[28:29], v[30:31]
	scratch_load_dwordx4 v[28:31], off, off offset:96
	v_mul_f64 v[14:15], v[14:15], v[26:27]
	v_fma_f64 v[12:13], v[12:13], v[24:25], -v[14:15]
	s_waitcnt vmcnt(0) lgkmcnt(3)
	v_mul_f64 v[34:35], v[8:9], v[30:31]
	v_fmac_f64_e32 v[34:35], v[10:11], v[28:29]
	v_add_f64 v[36:37], v[32:33], v[34:35]
	scratch_load_dwordx4 v[32:35], off, off offset:112
	v_mul_f64 v[10:11], v[10:11], v[30:31]
	v_fma_f64 v[8:9], v[8:9], v[28:29], -v[10:11]
	s_waitcnt vmcnt(0) lgkmcnt(2)
	v_mul_f64 v[38:39], v[4:5], v[34:35]
	v_fmac_f64_e32 v[38:39], v[6:7], v[32:33]
	v_add_f64 v[44:45], v[36:37], v[38:39]
	ds_read_b128 v[36:39], v2 offset:608
	v_mul_f64 v[6:7], v[6:7], v[34:35]
	v_fma_f64 v[4:5], v[4:5], v[32:33], -v[6:7]
	s_waitcnt lgkmcnt(0)
	v_mul_f64 v[46:47], v[36:37], v[42:43]
	v_fmac_f64_e32 v[46:47], v[38:39], v[40:41]
	v_add_f64 v[52:53], v[44:45], v[46:47]
	ds_read_b128 v[44:47], v2 offset:624
	s_waitcnt lgkmcnt(0)
	v_mul_f64 v[54:55], v[44:45], v[50:51]
	v_fmac_f64_e32 v[54:55], v[46:47], v[48:49]
	v_add_f64 v[60:61], v[52:53], v[54:55]
	ds_read_b128 v[52:55], v2 offset:640
	;; [unrolled: 5-line block ×18, first 2 shown]
	s_waitcnt lgkmcnt(0)
	v_mul_f64 v[190:191], v[182:183], v[188:189]
	v_fmac_f64_e32 v[190:191], v[184:185], v[186:187]
	v_add_f64 v[168:169], v[168:169], v[190:191]
	v_mul_f64 v[190:191], v[240:241], v[246:247]
	v_fmac_f64_e32 v[190:191], v[242:243], v[244:245]
	v_add_f64 v[168:169], v[168:169], v[190:191]
	;; [unrolled: 3-line block ×3, first 2 shown]
	ds_read_b128 v[190:193], v2 offset:944
	s_waitcnt lgkmcnt(0)
	v_mul_f64 v[2:3], v[190:191], v[196:197]
	v_fmac_f64_e32 v[2:3], v[192:193], v[194:195]
	v_add_f64 v[168:169], v[168:169], v[2:3]
	v_mul_f64 v[2:3], v[18:19], v[22:23]
	v_fma_f64 v[2:3], v[16:17], v[20:21], -v[2:3]
	v_add_f64 v[2:3], v[2:3], 0
	v_add_f64 v[2:3], v[2:3], v[12:13]
	;; [unrolled: 1-line block ×4, first 2 shown]
	v_mul_f64 v[4:5], v[38:39], v[42:43]
	v_fma_f64 v[4:5], v[36:37], v[40:41], -v[4:5]
	v_add_f64 v[2:3], v[2:3], v[4:5]
	v_mul_f64 v[4:5], v[46:47], v[50:51]
	v_fma_f64 v[4:5], v[44:45], v[48:49], -v[4:5]
	v_add_f64 v[2:3], v[2:3], v[4:5]
	;; [unrolled: 3-line block ×22, first 2 shown]
	scratch_load_dwordx4 v[2:5], off, off offset:48
	s_waitcnt vmcnt(0)
	v_add_f64 v[2:3], v[2:3], -v[6:7]
	v_add_f64 v[4:5], v[4:5], -v[168:169]
	scratch_store_dwordx4 off, v[2:5], off offset:48
	s_and_saveexec_b64 s[2:3], vcc
	s_cbranch_execz .LBB29_189
; %bb.188:
	scratch_load_dwordx4 v[2:5], off, s14
	v_mov_b32_e32 v6, 0
	v_mov_b32_e32 v7, v6
	;; [unrolled: 1-line block ×4, first 2 shown]
	scratch_store_dwordx4 off, v[6:9], off offset:32
	s_waitcnt vmcnt(1)
	ds_write_b128 v238, v[2:5]
.LBB29_189:
	s_or_b64 exec, exec, s[2:3]
	v_mov_b32_e32 v2, 0
	s_waitcnt lgkmcnt(0)
	; wave barrier
	ds_read_b128 v[16:19], v2 offset:528
	ds_read_b128 v[12:15], v2 offset:544
	;; [unrolled: 1-line block ×4, first 2 shown]
	scratch_load_dwordx4 v[20:23], off, off offset:48
	scratch_load_dwordx4 v[40:43], off, off offset:112
	;; [unrolled: 1-line block ×21, first 2 shown]
	v_cmp_lt_u32_e32 vcc, 1, v1
	scratch_load_dwordx4 v[48:51], off, off offset:128
	scratch_load_dwordx4 v[56:59], off, off offset:144
	;; [unrolled: 1-line block ×3, first 2 shown]
	ds_read_b128 v[240:243], v2 offset:912
	ds_read_b128 v[248:251], v2 offset:928
	s_waitcnt vmcnt(23) lgkmcnt(5)
	v_mul_f64 v[24:25], v[16:17], v[22:23]
	v_fmac_f64_e32 v[24:25], v[18:19], v[20:21]
	v_add_f64 v[28:29], v[24:25], 0
	scratch_load_dwordx4 v[24:27], off, off offset:64
	v_mul_f64 v[18:19], v[18:19], v[22:23]
	v_fma_f64 v[16:17], v[16:17], v[20:21], -v[18:19]
	v_add_f64 v[16:17], v[16:17], 0
	s_waitcnt vmcnt(0) lgkmcnt(4)
	v_mul_f64 v[30:31], v[12:13], v[26:27]
	v_fmac_f64_e32 v[30:31], v[14:15], v[24:25]
	v_add_f64 v[32:33], v[28:29], v[30:31]
	scratch_load_dwordx4 v[28:31], off, off offset:80
	v_mul_f64 v[14:15], v[14:15], v[26:27]
	v_fma_f64 v[12:13], v[12:13], v[24:25], -v[14:15]
	v_add_f64 v[12:13], v[16:17], v[12:13]
	;; [unrolled: 8-line block ×3, first 2 shown]
	s_waitcnt vmcnt(0) lgkmcnt(2)
	v_mul_f64 v[38:39], v[4:5], v[34:35]
	v_fmac_f64_e32 v[38:39], v[6:7], v[32:33]
	v_add_f64 v[44:45], v[36:37], v[38:39]
	ds_read_b128 v[36:39], v2 offset:592
	v_mul_f64 v[6:7], v[6:7], v[34:35]
	v_fma_f64 v[4:5], v[4:5], v[32:33], -v[6:7]
	v_add_f64 v[4:5], v[8:9], v[4:5]
	s_waitcnt lgkmcnt(0)
	v_mul_f64 v[46:47], v[36:37], v[42:43]
	v_fmac_f64_e32 v[46:47], v[38:39], v[40:41]
	v_add_f64 v[52:53], v[44:45], v[46:47]
	ds_read_b128 v[44:47], v2 offset:608
	v_mul_f64 v[6:7], v[38:39], v[42:43]
	v_fma_f64 v[6:7], v[36:37], v[40:41], -v[6:7]
	v_add_f64 v[4:5], v[4:5], v[6:7]
	s_waitcnt lgkmcnt(0)
	;; [unrolled: 8-line block ×20, first 2 shown]
	v_mul_f64 v[198:199], v[190:191], v[196:197]
	v_fmac_f64_e32 v[198:199], v[192:193], v[194:195]
	v_add_f64 v[160:161], v[160:161], v[198:199]
	v_mul_f64 v[198:199], v[240:241], v[246:247]
	v_fmac_f64_e32 v[198:199], v[242:243], v[244:245]
	v_add_f64 v[160:161], v[160:161], v[198:199]
	v_mul_f64 v[198:199], v[248:249], v[254:255]
	v_fmac_f64_e32 v[198:199], v[250:251], v[252:253]
	v_mul_f64 v[6:7], v[192:193], v[196:197]
	v_add_f64 v[160:161], v[160:161], v[198:199]
	ds_read_b128 v[198:201], v2 offset:944
	v_fma_f64 v[6:7], v[190:191], v[194:195], -v[6:7]
	v_add_f64 v[4:5], v[4:5], v[6:7]
	v_mul_f64 v[6:7], v[242:243], v[246:247]
	v_fma_f64 v[6:7], v[240:241], v[244:245], -v[6:7]
	v_add_f64 v[4:5], v[4:5], v[6:7]
	v_mul_f64 v[6:7], v[250:251], v[254:255]
	v_fma_f64 v[6:7], v[248:249], v[252:253], -v[6:7]
	v_add_f64 v[4:5], v[4:5], v[6:7]
	s_waitcnt lgkmcnt(0)
	v_mul_f64 v[6:7], v[200:201], v[204:205]
	v_fma_f64 v[6:7], v[198:199], v[202:203], -v[6:7]
	v_add_f64 v[8:9], v[4:5], v[6:7]
	scratch_load_dwordx4 v[4:7], off, off offset:32
	v_mul_f64 v[206:207], v[198:199], v[204:205]
	v_fmac_f64_e32 v[206:207], v[200:201], v[202:203]
	v_add_f64 v[160:161], v[160:161], v[206:207]
	s_waitcnt vmcnt(0)
	v_add_f64 v[4:5], v[4:5], -v[8:9]
	v_add_f64 v[6:7], v[6:7], -v[160:161]
	scratch_store_dwordx4 off, v[4:7], off offset:32
	s_and_saveexec_b64 s[2:3], vcc
	s_cbranch_execz .LBB29_191
; %bb.190:
	scratch_load_dwordx4 v[6:9], off, s18
	v_mov_b32_e32 v3, v2
	v_mov_b32_e32 v4, v2
	;; [unrolled: 1-line block ×3, first 2 shown]
	scratch_store_dwordx4 off, v[2:5], off offset:16
	s_waitcnt vmcnt(1)
	ds_write_b128 v238, v[6:9]
.LBB29_191:
	s_or_b64 exec, exec, s[2:3]
	s_waitcnt lgkmcnt(0)
	; wave barrier
	ds_read_b128 v[16:19], v2 offset:512
	ds_read_b128 v[12:15], v2 offset:528
	;; [unrolled: 1-line block ×4, first 2 shown]
	scratch_load_dwordx4 v[20:23], off, off offset:32
	scratch_load_dwordx4 v[40:43], off, off offset:96
	;; [unrolled: 1-line block ×22, first 2 shown]
	v_cmp_ne_u32_e32 vcc, 0, v1
	scratch_load_dwordx4 v[48:51], off, off offset:112
	scratch_load_dwordx4 v[56:59], off, off offset:128
	;; [unrolled: 1-line block ×3, first 2 shown]
	ds_read_b128 v[240:243], v2 offset:912
	ds_read_b128 v[248:251], v2 offset:928
	s_waitcnt vmcnt(24) lgkmcnt(5)
	v_mul_f64 v[24:25], v[16:17], v[22:23]
	v_fmac_f64_e32 v[24:25], v[18:19], v[20:21]
	v_add_f64 v[28:29], v[24:25], 0
	scratch_load_dwordx4 v[24:27], off, off offset:48
	s_waitcnt vmcnt(0) lgkmcnt(4)
	v_mul_f64 v[30:31], v[12:13], v[26:27]
	v_fmac_f64_e32 v[30:31], v[14:15], v[24:25]
	v_add_f64 v[32:33], v[28:29], v[30:31]
	scratch_load_dwordx4 v[28:31], off, off offset:64
	v_mul_f64 v[14:15], v[14:15], v[26:27]
	v_fma_f64 v[12:13], v[12:13], v[24:25], -v[14:15]
	s_waitcnt vmcnt(0) lgkmcnt(3)
	v_mul_f64 v[34:35], v[8:9], v[30:31]
	v_fmac_f64_e32 v[34:35], v[10:11], v[28:29]
	v_add_f64 v[36:37], v[32:33], v[34:35]
	scratch_load_dwordx4 v[32:35], off, off offset:80
	v_mul_f64 v[10:11], v[10:11], v[30:31]
	v_fma_f64 v[8:9], v[8:9], v[28:29], -v[10:11]
	s_waitcnt vmcnt(0) lgkmcnt(2)
	v_mul_f64 v[38:39], v[4:5], v[34:35]
	v_fmac_f64_e32 v[38:39], v[6:7], v[32:33]
	v_add_f64 v[44:45], v[36:37], v[38:39]
	ds_read_b128 v[36:39], v2 offset:576
	v_mul_f64 v[6:7], v[6:7], v[34:35]
	v_fma_f64 v[4:5], v[4:5], v[32:33], -v[6:7]
	s_waitcnt lgkmcnt(0)
	v_mul_f64 v[46:47], v[36:37], v[42:43]
	v_fmac_f64_e32 v[46:47], v[38:39], v[40:41]
	v_add_f64 v[52:53], v[44:45], v[46:47]
	ds_read_b128 v[44:47], v2 offset:592
	s_waitcnt lgkmcnt(0)
	v_mul_f64 v[54:55], v[44:45], v[50:51]
	v_fmac_f64_e32 v[54:55], v[46:47], v[48:49]
	v_add_f64 v[60:61], v[52:53], v[54:55]
	ds_read_b128 v[52:55], v2 offset:608
	;; [unrolled: 5-line block ×20, first 2 shown]
	s_waitcnt lgkmcnt(0)
	v_mul_f64 v[206:207], v[196:197], v[202:203]
	v_fmac_f64_e32 v[206:207], v[198:199], v[200:201]
	v_add_f64 v[204:205], v[204:205], v[206:207]
	v_mul_f64 v[206:207], v[240:241], v[246:247]
	v_fmac_f64_e32 v[206:207], v[242:243], v[244:245]
	v_add_f64 v[204:205], v[204:205], v[206:207]
	;; [unrolled: 3-line block ×3, first 2 shown]
	ds_read_b128 v[204:207], v2 offset:944
	s_waitcnt lgkmcnt(0)
	v_mul_f64 v[2:3], v[204:205], v[210:211]
	v_fmac_f64_e32 v[2:3], v[206:207], v[208:209]
	v_add_f64 v[236:237], v[212:213], v[2:3]
	v_mul_f64 v[2:3], v[18:19], v[22:23]
	v_fma_f64 v[2:3], v[16:17], v[20:21], -v[2:3]
	v_add_f64 v[2:3], v[2:3], 0
	v_add_f64 v[2:3], v[2:3], v[12:13]
	;; [unrolled: 1-line block ×4, first 2 shown]
	v_mul_f64 v[4:5], v[38:39], v[42:43]
	v_fma_f64 v[4:5], v[36:37], v[40:41], -v[4:5]
	v_add_f64 v[2:3], v[2:3], v[4:5]
	v_mul_f64 v[4:5], v[46:47], v[50:51]
	v_fma_f64 v[4:5], v[44:45], v[48:49], -v[4:5]
	v_add_f64 v[2:3], v[2:3], v[4:5]
	v_mul_f64 v[4:5], v[54:55], v[58:59]
	v_fma_f64 v[4:5], v[52:53], v[56:57], -v[4:5]
	v_add_f64 v[2:3], v[2:3], v[4:5]
	v_mul_f64 v[4:5], v[62:63], v[66:67]
	v_fma_f64 v[4:5], v[60:61], v[64:65], -v[4:5]
	v_add_f64 v[2:3], v[2:3], v[4:5]
	v_mul_f64 v[4:5], v[70:71], v[74:75]
	v_fma_f64 v[4:5], v[68:69], v[72:73], -v[4:5]
	v_add_f64 v[2:3], v[2:3], v[4:5]
	v_mul_f64 v[4:5], v[78:79], v[82:83]
	v_fma_f64 v[4:5], v[76:77], v[80:81], -v[4:5]
	v_add_f64 v[2:3], v[2:3], v[4:5]
	v_mul_f64 v[4:5], v[86:87], v[90:91]
	v_fma_f64 v[4:5], v[84:85], v[88:89], -v[4:5]
	v_add_f64 v[2:3], v[2:3], v[4:5]
	v_mul_f64 v[4:5], v[94:95], v[98:99]
	v_fma_f64 v[4:5], v[92:93], v[96:97], -v[4:5]
	v_add_f64 v[2:3], v[2:3], v[4:5]
	v_mul_f64 v[4:5], v[102:103], v[106:107]
	v_fma_f64 v[4:5], v[100:101], v[104:105], -v[4:5]
	v_add_f64 v[2:3], v[2:3], v[4:5]
	v_mul_f64 v[4:5], v[110:111], v[114:115]
	v_fma_f64 v[4:5], v[108:109], v[112:113], -v[4:5]
	v_add_f64 v[2:3], v[2:3], v[4:5]
	v_mul_f64 v[4:5], v[118:119], v[122:123]
	v_fma_f64 v[4:5], v[116:117], v[120:121], -v[4:5]
	v_add_f64 v[2:3], v[2:3], v[4:5]
	v_mul_f64 v[4:5], v[126:127], v[130:131]
	v_fma_f64 v[4:5], v[124:125], v[128:129], -v[4:5]
	v_add_f64 v[2:3], v[2:3], v[4:5]
	v_mul_f64 v[4:5], v[134:135], v[138:139]
	v_fma_f64 v[4:5], v[132:133], v[136:137], -v[4:5]
	v_add_f64 v[2:3], v[2:3], v[4:5]
	v_mul_f64 v[4:5], v[142:143], v[146:147]
	v_fma_f64 v[4:5], v[140:141], v[144:145], -v[4:5]
	v_add_f64 v[2:3], v[2:3], v[4:5]
	v_mul_f64 v[4:5], v[150:151], v[154:155]
	v_fma_f64 v[4:5], v[148:149], v[152:153], -v[4:5]
	v_add_f64 v[2:3], v[2:3], v[4:5]
	v_mul_f64 v[4:5], v[158:159], v[162:163]
	v_fma_f64 v[4:5], v[156:157], v[160:161], -v[4:5]
	v_add_f64 v[2:3], v[2:3], v[4:5]
	v_mul_f64 v[4:5], v[166:167], v[170:171]
	v_fma_f64 v[4:5], v[164:165], v[168:169], -v[4:5]
	v_add_f64 v[2:3], v[2:3], v[4:5]
	v_mul_f64 v[4:5], v[174:175], v[178:179]
	v_fma_f64 v[4:5], v[172:173], v[176:177], -v[4:5]
	v_add_f64 v[2:3], v[2:3], v[4:5]
	v_mul_f64 v[4:5], v[182:183], v[186:187]
	v_fma_f64 v[4:5], v[180:181], v[184:185], -v[4:5]
	v_add_f64 v[2:3], v[2:3], v[4:5]
	v_mul_f64 v[4:5], v[190:191], v[194:195]
	v_fma_f64 v[4:5], v[188:189], v[192:193], -v[4:5]
	v_add_f64 v[2:3], v[2:3], v[4:5]
	v_mul_f64 v[4:5], v[198:199], v[202:203]
	v_fma_f64 v[4:5], v[196:197], v[200:201], -v[4:5]
	v_add_f64 v[2:3], v[2:3], v[4:5]
	v_mul_f64 v[4:5], v[242:243], v[246:247]
	v_fma_f64 v[4:5], v[240:241], v[244:245], -v[4:5]
	v_add_f64 v[2:3], v[2:3], v[4:5]
	v_mul_f64 v[4:5], v[250:251], v[254:255]
	v_fma_f64 v[4:5], v[248:249], v[252:253], -v[4:5]
	v_add_f64 v[2:3], v[2:3], v[4:5]
	v_mul_f64 v[4:5], v[206:207], v[210:211]
	v_fma_f64 v[4:5], v[204:205], v[208:209], -v[4:5]
	v_add_f64 v[6:7], v[2:3], v[4:5]
	scratch_load_dwordx4 v[2:5], off, off offset:16
	s_waitcnt vmcnt(0)
	v_add_f64 v[2:3], v[2:3], -v[6:7]
	v_add_f64 v[4:5], v[4:5], -v[236:237]
	scratch_store_dwordx4 off, v[2:5], off offset:16
	s_and_saveexec_b64 s[2:3], vcc
	s_cbranch_execz .LBB29_193
; %bb.192:
	scratch_load_dwordx4 v[2:5], off, off
	v_mov_b32_e32 v6, 0
	v_mov_b32_e32 v7, v6
	;; [unrolled: 1-line block ×4, first 2 shown]
	scratch_store_dwordx4 off, v[6:9], off
	s_waitcnt vmcnt(1)
	ds_write_b128 v238, v[2:5]
.LBB29_193:
	s_or_b64 exec, exec, s[2:3]
	v_mov_b32_e32 v236, 0
	s_waitcnt lgkmcnt(0)
	; wave barrier
	ds_read_b128 v[14:17], v236 offset:496
	ds_read_b128 v[10:13], v236 offset:512
	;; [unrolled: 1-line block ×4, first 2 shown]
	scratch_load_dwordx4 v[18:21], off, off offset:16
	scratch_load_dwordx4 v[38:41], off, off offset:80
	;; [unrolled: 1-line block ×23, first 2 shown]
	s_and_b64 vcc, exec, s[22:23]
	scratch_load_dwordx4 v[46:49], off, off offset:96
	scratch_load_dwordx4 v[54:57], off, off offset:112
	;; [unrolled: 1-line block ×3, first 2 shown]
	ds_read_b128 v[238:241], v236 offset:912
	ds_read_b128 v[246:249], v236 offset:928
	s_waitcnt vmcnt(25) lgkmcnt(5)
	v_mul_f64 v[22:23], v[14:15], v[20:21]
	v_fmac_f64_e32 v[22:23], v[16:17], v[18:19]
	v_add_f64 v[26:27], v[22:23], 0
	scratch_load_dwordx4 v[22:25], off, off offset:32
	v_mul_f64 v[16:17], v[16:17], v[20:21]
	v_fma_f64 v[14:15], v[14:15], v[18:19], -v[16:17]
	v_add_f64 v[14:15], v[14:15], 0
	s_waitcnt vmcnt(0) lgkmcnt(4)
	v_mul_f64 v[28:29], v[10:11], v[24:25]
	v_fmac_f64_e32 v[28:29], v[12:13], v[22:23]
	v_add_f64 v[30:31], v[26:27], v[28:29]
	scratch_load_dwordx4 v[26:29], off, off offset:48
	v_mul_f64 v[12:13], v[12:13], v[24:25]
	v_fma_f64 v[10:11], v[10:11], v[22:23], -v[12:13]
	v_add_f64 v[10:11], v[14:15], v[10:11]
	;; [unrolled: 8-line block ×3, first 2 shown]
	s_waitcnt vmcnt(0) lgkmcnt(2)
	v_mul_f64 v[36:37], v[2:3], v[32:33]
	v_fmac_f64_e32 v[36:37], v[4:5], v[30:31]
	v_add_f64 v[42:43], v[34:35], v[36:37]
	ds_read_b128 v[34:37], v236 offset:560
	v_mul_f64 v[4:5], v[4:5], v[32:33]
	v_fma_f64 v[2:3], v[2:3], v[30:31], -v[4:5]
	v_add_f64 v[2:3], v[6:7], v[2:3]
	s_waitcnt lgkmcnt(0)
	v_mul_f64 v[44:45], v[34:35], v[40:41]
	v_fmac_f64_e32 v[44:45], v[36:37], v[38:39]
	v_add_f64 v[50:51], v[42:43], v[44:45]
	ds_read_b128 v[42:45], v236 offset:576
	v_mul_f64 v[4:5], v[36:37], v[40:41]
	v_fma_f64 v[4:5], v[34:35], v[38:39], -v[4:5]
	v_add_f64 v[2:3], v[2:3], v[4:5]
	s_waitcnt lgkmcnt(0)
	;; [unrolled: 8-line block ×22, first 2 shown]
	v_mul_f64 v[212:213], v[204:205], v[210:211]
	v_fmac_f64_e32 v[212:213], v[206:207], v[208:209]
	v_add_f64 v[174:175], v[174:175], v[212:213]
	v_mul_f64 v[212:213], v[238:239], v[244:245]
	v_fmac_f64_e32 v[212:213], v[240:241], v[242:243]
	v_add_f64 v[174:175], v[174:175], v[212:213]
	v_mul_f64 v[212:213], v[246:247], v[252:253]
	v_fmac_f64_e32 v[212:213], v[248:249], v[250:251]
	v_mul_f64 v[4:5], v[206:207], v[210:211]
	v_add_f64 v[174:175], v[174:175], v[212:213]
	ds_read_b128 v[212:215], v236 offset:944
	v_fma_f64 v[4:5], v[204:205], v[208:209], -v[4:5]
	v_add_f64 v[2:3], v[2:3], v[4:5]
	v_mul_f64 v[4:5], v[240:241], v[244:245]
	v_fma_f64 v[4:5], v[238:239], v[242:243], -v[4:5]
	v_add_f64 v[2:3], v[2:3], v[4:5]
	v_mul_f64 v[4:5], v[248:249], v[252:253]
	v_fma_f64 v[4:5], v[246:247], v[250:251], -v[4:5]
	v_add_f64 v[2:3], v[2:3], v[4:5]
	s_waitcnt lgkmcnt(0)
	v_mul_f64 v[4:5], v[214:215], v[218:219]
	v_fma_f64 v[4:5], v[212:213], v[216:217], -v[4:5]
	v_add_f64 v[6:7], v[2:3], v[4:5]
	scratch_load_dwordx4 v[2:5], off, off
	v_mul_f64 v[254:255], v[212:213], v[218:219]
	v_fmac_f64_e32 v[254:255], v[214:215], v[216:217]
	v_add_f64 v[174:175], v[174:175], v[254:255]
	s_waitcnt vmcnt(0)
	v_add_f64 v[2:3], v[2:3], -v[6:7]
	v_add_f64 v[4:5], v[4:5], -v[174:175]
	scratch_store_dwordx4 off, v[2:5], off
	s_cbranch_vccz .LBB29_252
; %bb.194:
	global_load_dword v2, v236, s[20:21] offset:112
	s_load_dwordx2 s[2:3], s[0:1], 0x4
	v_bfe_u32 v3, v0, 10, 10
	v_bfe_u32 v0, v0, 20, 10
	s_waitcnt lgkmcnt(0)
	s_lshr_b32 s0, s2, 16
	s_mul_i32 s0, s0, s3
	v_mul_u32_u24_e32 v1, s0, v1
	v_mul_u32_u24_e32 v3, s3, v3
	v_add3_u32 v0, v1, v3, v0
	v_mov_b32_e32 v1, 0x3c8
	v_lshl_add_u32 v0, v0, 4, v1
	s_waitcnt vmcnt(0)
	v_readfirstlane_b32 s0, v2
	s_add_i32 s0, s0, -1
	s_cmp_lg_u32 s0, 28
	s_cbranch_scc0 .LBB29_196
; %bb.195:
	s_lshl_b32 s0, s0, 4
	scratch_load_dwordx4 v[2:5], off, s42
	scratch_load_dwordx4 v[6:9], off, s0
	s_waitcnt vmcnt(1)
	ds_write2_b64 v0, v[2:3], v[4:5] offset1:1
	s_waitcnt vmcnt(0)
	scratch_store_dwordx4 off, v[6:9], s42
	scratch_store_dwordx4 off, v[2:5], s0
.LBB29_196:
	v_mov_b32_e32 v1, 0
	global_load_dword v2, v1, s[20:21] offset:108
	s_waitcnt vmcnt(0)
	v_readfirstlane_b32 s0, v2
	s_add_i32 s0, s0, -1
	s_cmp_eq_u32 s0, 27
	s_cbranch_scc1 .LBB29_198
; %bb.197:
	s_lshl_b32 s0, s0, 4
	scratch_load_dwordx4 v[2:5], off, s41
	scratch_load_dwordx4 v[6:9], off, s0
	s_waitcnt vmcnt(1)
	ds_write2_b64 v0, v[2:3], v[4:5] offset1:1
	s_waitcnt vmcnt(0)
	scratch_store_dwordx4 off, v[6:9], s41
	scratch_store_dwordx4 off, v[2:5], s0
.LBB29_198:
	global_load_dword v1, v1, s[20:21] offset:104
	s_waitcnt vmcnt(0)
	v_readfirstlane_b32 s0, v1
	s_add_i32 s0, s0, -1
	s_cmp_eq_u32 s0, 26
	s_cbranch_scc1 .LBB29_200
; %bb.199:
	s_lshl_b32 s0, s0, 4
	scratch_load_dwordx4 v[2:5], off, s40
	scratch_load_dwordx4 v[6:9], off, s0
	s_waitcnt vmcnt(1)
	ds_write2_b64 v0, v[2:3], v[4:5] offset1:1
	s_waitcnt vmcnt(0)
	scratch_store_dwordx4 off, v[6:9], s40
	scratch_store_dwordx4 off, v[2:5], s0
.LBB29_200:
	v_mov_b32_e32 v1, 0
	global_load_dword v2, v1, s[20:21] offset:100
	s_waitcnt vmcnt(0)
	v_readfirstlane_b32 s0, v2
	s_add_i32 s0, s0, -1
	s_cmp_eq_u32 s0, 25
	s_cbranch_scc1 .LBB29_202
; %bb.201:
	s_lshl_b32 s0, s0, 4
	scratch_load_dwordx4 v[2:5], off, s39
	scratch_load_dwordx4 v[6:9], off, s0
	s_waitcnt vmcnt(1)
	ds_write2_b64 v0, v[2:3], v[4:5] offset1:1
	s_waitcnt vmcnt(0)
	scratch_store_dwordx4 off, v[6:9], s39
	scratch_store_dwordx4 off, v[2:5], s0
.LBB29_202:
	global_load_dword v1, v1, s[20:21] offset:96
	s_waitcnt vmcnt(0)
	v_readfirstlane_b32 s0, v1
	s_add_i32 s0, s0, -1
	s_cmp_eq_u32 s0, 24
	s_cbranch_scc1 .LBB29_204
; %bb.203:
	s_lshl_b32 s0, s0, 4
	scratch_load_dwordx4 v[2:5], off, s38
	scratch_load_dwordx4 v[6:9], off, s0
	s_waitcnt vmcnt(1)
	ds_write2_b64 v0, v[2:3], v[4:5] offset1:1
	s_waitcnt vmcnt(0)
	scratch_store_dwordx4 off, v[6:9], s38
	scratch_store_dwordx4 off, v[2:5], s0
.LBB29_204:
	;; [unrolled: 33-line block ×13, first 2 shown]
	v_mov_b32_e32 v1, 0
	global_load_dword v2, v1, s[20:21] offset:4
	s_waitcnt vmcnt(0)
	v_readfirstlane_b32 s0, v2
	s_add_i32 s0, s0, -1
	s_cmp_eq_u32 s0, 1
	s_cbranch_scc1 .LBB29_250
; %bb.249:
	s_lshl_b32 s0, s0, 4
	scratch_load_dwordx4 v[2:5], off, s18
	scratch_load_dwordx4 v[6:9], off, s0
	s_waitcnt vmcnt(1)
	ds_write2_b64 v0, v[2:3], v[4:5] offset1:1
	s_waitcnt vmcnt(0)
	scratch_store_dwordx4 off, v[6:9], s18
	scratch_store_dwordx4 off, v[2:5], s0
.LBB29_250:
	global_load_dword v1, v1, s[20:21]
	s_waitcnt vmcnt(0)
	v_readfirstlane_b32 s0, v1
	s_add_i32 s0, s0, -1
	s_cmp_eq_u32 s0, 0
	s_cbranch_scc1 .LBB29_252
; %bb.251:
	s_lshl_b32 s0, s0, 4
	scratch_load_dwordx4 v[2:5], off, off
	scratch_load_dwordx4 v[6:9], off, s0
	s_waitcnt vmcnt(1)
	ds_write2_b64 v0, v[2:3], v[4:5] offset1:1
	s_waitcnt vmcnt(0)
	scratch_store_dwordx4 off, v[6:9], off
	scratch_store_dwordx4 off, v[2:5], s0
.LBB29_252:
	scratch_load_dwordx4 v[0:3], off, off
	s_nop 0
	scratch_load_dwordx4 v[4:7], off, s18
	scratch_load_dwordx4 v[8:11], off, s14
	;; [unrolled: 1-line block ×15, first 2 shown]
                                        ; kill: killed $sgpr47
                                        ; kill: killed $sgpr18
                                        ; kill: killed $sgpr27
                                        ; kill: killed $sgpr46
                                        ; kill: killed $sgpr25
                                        ; kill: killed $sgpr45
                                        ; kill: killed $sgpr19
                                        ; kill: killed $sgpr28
                                        ; kill: killed $sgpr16
                                        ; kill: killed $sgpr26
                                        ; kill: killed $sgpr15
                                        ; kill: killed $sgpr24
                                        ; kill: killed $sgpr44
                                        ; kill: killed $sgpr14
                                        ; kill: killed $sgpr17
	scratch_load_dwordx4 v[64:67], off, s29
	scratch_load_dwordx4 v[68:71], off, s30
	;; [unrolled: 1-line block ×14, first 2 shown]
	v_accvgpr_read_b32 v121, a1
	v_accvgpr_read_b32 v120, a0
	s_waitcnt vmcnt(29)
	global_store_dwordx4 v[120:121], v[0:3], off
	s_nop 1
	v_accvgpr_read_b32 v0, a2
	v_accvgpr_read_b32 v1, a3
	s_waitcnt vmcnt(29)
	global_store_dwordx4 v[0:1], v[4:7], off
	v_accvgpr_read_b32 v0, a4
	v_accvgpr_read_b32 v1, a5
	s_waitcnt vmcnt(29)
	global_store_dwordx4 v[0:1], v[8:11], off
	;; [unrolled: 4-line block ×21, first 2 shown]
	s_waitcnt vmcnt(29)
	global_store_dwordx4 v[220:221], v[88:91], off
	s_waitcnt vmcnt(29)
	global_store_dwordx4 v[222:223], v[92:95], off
	;; [unrolled: 2-line block ×8, first 2 shown]
	s_endpgm
	.section	.rodata,"a",@progbits
	.p2align	6, 0x0
	.amdhsa_kernel _ZN9rocsolver6v33100L18getri_kernel_smallILi30E19rocblas_complex_numIdEPS3_EEvT1_iilPiilS6_bb
		.amdhsa_group_segment_fixed_size 1992
		.amdhsa_private_segment_fixed_size 496
		.amdhsa_kernarg_size 60
		.amdhsa_user_sgpr_count 4
		.amdhsa_user_sgpr_dispatch_ptr 1
		.amdhsa_user_sgpr_queue_ptr 0
		.amdhsa_user_sgpr_kernarg_segment_ptr 1
		.amdhsa_user_sgpr_dispatch_id 0
		.amdhsa_user_sgpr_kernarg_preload_length 0
		.amdhsa_user_sgpr_kernarg_preload_offset 0
		.amdhsa_user_sgpr_private_segment_size 0
		.amdhsa_uses_dynamic_stack 0
		.amdhsa_enable_private_segment 1
		.amdhsa_system_sgpr_workgroup_id_x 1
		.amdhsa_system_sgpr_workgroup_id_y 0
		.amdhsa_system_sgpr_workgroup_id_z 0
		.amdhsa_system_sgpr_workgroup_info 0
		.amdhsa_system_vgpr_workitem_id 2
		.amdhsa_next_free_vgpr 300
		.amdhsa_next_free_sgpr 48
		.amdhsa_accum_offset 256
		.amdhsa_reserve_vcc 1
		.amdhsa_float_round_mode_32 0
		.amdhsa_float_round_mode_16_64 0
		.amdhsa_float_denorm_mode_32 3
		.amdhsa_float_denorm_mode_16_64 3
		.amdhsa_dx10_clamp 1
		.amdhsa_ieee_mode 1
		.amdhsa_fp16_overflow 0
		.amdhsa_tg_split 0
		.amdhsa_exception_fp_ieee_invalid_op 0
		.amdhsa_exception_fp_denorm_src 0
		.amdhsa_exception_fp_ieee_div_zero 0
		.amdhsa_exception_fp_ieee_overflow 0
		.amdhsa_exception_fp_ieee_underflow 0
		.amdhsa_exception_fp_ieee_inexact 0
		.amdhsa_exception_int_div_zero 0
	.end_amdhsa_kernel
	.section	.text._ZN9rocsolver6v33100L18getri_kernel_smallILi30E19rocblas_complex_numIdEPS3_EEvT1_iilPiilS6_bb,"axG",@progbits,_ZN9rocsolver6v33100L18getri_kernel_smallILi30E19rocblas_complex_numIdEPS3_EEvT1_iilPiilS6_bb,comdat
.Lfunc_end29:
	.size	_ZN9rocsolver6v33100L18getri_kernel_smallILi30E19rocblas_complex_numIdEPS3_EEvT1_iilPiilS6_bb, .Lfunc_end29-_ZN9rocsolver6v33100L18getri_kernel_smallILi30E19rocblas_complex_numIdEPS3_EEvT1_iilPiilS6_bb
                                        ; -- End function
	.set _ZN9rocsolver6v33100L18getri_kernel_smallILi30E19rocblas_complex_numIdEPS3_EEvT1_iilPiilS6_bb.num_vgpr, 256
	.set _ZN9rocsolver6v33100L18getri_kernel_smallILi30E19rocblas_complex_numIdEPS3_EEvT1_iilPiilS6_bb.num_agpr, 44
	.set _ZN9rocsolver6v33100L18getri_kernel_smallILi30E19rocblas_complex_numIdEPS3_EEvT1_iilPiilS6_bb.numbered_sgpr, 48
	.set _ZN9rocsolver6v33100L18getri_kernel_smallILi30E19rocblas_complex_numIdEPS3_EEvT1_iilPiilS6_bb.num_named_barrier, 0
	.set _ZN9rocsolver6v33100L18getri_kernel_smallILi30E19rocblas_complex_numIdEPS3_EEvT1_iilPiilS6_bb.private_seg_size, 496
	.set _ZN9rocsolver6v33100L18getri_kernel_smallILi30E19rocblas_complex_numIdEPS3_EEvT1_iilPiilS6_bb.uses_vcc, 1
	.set _ZN9rocsolver6v33100L18getri_kernel_smallILi30E19rocblas_complex_numIdEPS3_EEvT1_iilPiilS6_bb.uses_flat_scratch, 0
	.set _ZN9rocsolver6v33100L18getri_kernel_smallILi30E19rocblas_complex_numIdEPS3_EEvT1_iilPiilS6_bb.has_dyn_sized_stack, 0
	.set _ZN9rocsolver6v33100L18getri_kernel_smallILi30E19rocblas_complex_numIdEPS3_EEvT1_iilPiilS6_bb.has_recursion, 0
	.set _ZN9rocsolver6v33100L18getri_kernel_smallILi30E19rocblas_complex_numIdEPS3_EEvT1_iilPiilS6_bb.has_indirect_call, 0
	.section	.AMDGPU.csdata,"",@progbits
; Kernel info:
; codeLenInByte = 42864
; TotalNumSgprs: 54
; NumVgprs: 256
; NumAgprs: 44
; TotalNumVgprs: 300
; ScratchSize: 496
; MemoryBound: 0
; FloatMode: 240
; IeeeMode: 1
; LDSByteSize: 1992 bytes/workgroup (compile time only)
; SGPRBlocks: 6
; VGPRBlocks: 37
; NumSGPRsForWavesPerEU: 54
; NumVGPRsForWavesPerEU: 300
; AccumOffset: 256
; Occupancy: 1
; WaveLimiterHint : 1
; COMPUTE_PGM_RSRC2:SCRATCH_EN: 1
; COMPUTE_PGM_RSRC2:USER_SGPR: 4
; COMPUTE_PGM_RSRC2:TRAP_HANDLER: 0
; COMPUTE_PGM_RSRC2:TGID_X_EN: 1
; COMPUTE_PGM_RSRC2:TGID_Y_EN: 0
; COMPUTE_PGM_RSRC2:TGID_Z_EN: 0
; COMPUTE_PGM_RSRC2:TIDIG_COMP_CNT: 2
; COMPUTE_PGM_RSRC3_GFX90A:ACCUM_OFFSET: 63
; COMPUTE_PGM_RSRC3_GFX90A:TG_SPLIT: 0
	.section	.text._ZN9rocsolver6v33100L18getri_kernel_smallILi31E19rocblas_complex_numIdEPS3_EEvT1_iilPiilS6_bb,"axG",@progbits,_ZN9rocsolver6v33100L18getri_kernel_smallILi31E19rocblas_complex_numIdEPS3_EEvT1_iilPiilS6_bb,comdat
	.globl	_ZN9rocsolver6v33100L18getri_kernel_smallILi31E19rocblas_complex_numIdEPS3_EEvT1_iilPiilS6_bb ; -- Begin function _ZN9rocsolver6v33100L18getri_kernel_smallILi31E19rocblas_complex_numIdEPS3_EEvT1_iilPiilS6_bb
	.p2align	8
	.type	_ZN9rocsolver6v33100L18getri_kernel_smallILi31E19rocblas_complex_numIdEPS3_EEvT1_iilPiilS6_bb,@function
_ZN9rocsolver6v33100L18getri_kernel_smallILi31E19rocblas_complex_numIdEPS3_EEvT1_iilPiilS6_bb: ; @_ZN9rocsolver6v33100L18getri_kernel_smallILi31E19rocblas_complex_numIdEPS3_EEvT1_iilPiilS6_bb
; %bb.0:
	v_and_b32_e32 v1, 0x3ff, v0
	v_cmp_gt_u32_e32 vcc, 31, v1
	s_and_saveexec_b64 s[6:7], vcc
	s_cbranch_execz .LBB30_138
; %bb.1:
	s_load_dword s6, s[2:3], 0x38
	s_load_dwordx4 s[16:19], s[2:3], 0x10
	s_load_dwordx4 s[8:11], s[2:3], 0x28
                                        ; implicit-def: $sgpr20_sgpr21
	s_waitcnt lgkmcnt(0)
	s_bitcmp1_b32 s6, 8
	s_cselect_b64 s[22:23], -1, 0
	s_ashr_i32 s5, s4, 31
	s_bfe_u32 s6, s6, 0x10008
	s_cmp_eq_u32 s6, 0
	s_cbranch_scc1 .LBB30_3
; %bb.2:
	s_load_dword s6, s[2:3], 0x20
	s_mul_i32 s7, s8, s5
	s_mul_hi_u32 s12, s8, s4
	s_mul_i32 s9, s9, s4
	s_add_i32 s12, s12, s7
	s_add_i32 s9, s12, s9
	s_mul_i32 s8, s8, s4
	s_waitcnt lgkmcnt(0)
	s_ashr_i32 s7, s6, 31
	s_lshl_b64 s[8:9], s[8:9], 2
	s_add_u32 s8, s18, s8
	s_addc_u32 s9, s19, s9
	s_lshl_b64 s[6:7], s[6:7], 2
	s_add_u32 s20, s8, s6
	s_addc_u32 s21, s9, s7
.LBB30_3:
	s_load_dwordx4 s[12:15], s[2:3], 0x0
	s_load_dword s6, s[2:3], 0x38
	s_mul_i32 s7, s16, s5
	s_mul_hi_u32 s8, s16, s4
	s_add_i32 s7, s8, s7
	s_mul_i32 s8, s17, s4
	s_add_i32 s9, s7, s8
	s_mul_i32 s8, s16, s4
	s_waitcnt lgkmcnt(0)
	s_ashr_i32 s3, s14, 31
	s_lshl_b64 s[8:9], s[8:9], 4
	s_mov_b32 s2, s14
	s_add_u32 s7, s12, s8
	s_addc_u32 s8, s13, s9
	s_lshl_b64 s[2:3], s[2:3], 4
	s_add_u32 s2, s7, s2
	s_addc_u32 s3, s8, s3
	s_add_i32 s7, s15, s15
	v_add_u32_e32 v14, s7, v1
	v_ashrrev_i32_e32 v15, 31, v14
	v_lshl_add_u64 v[10:11], v[14:15], 4, s[2:3]
	v_add_u32_e32 v14, s15, v14
	v_add_u32_e32 v22, s15, v14
	v_ashrrev_i32_e32 v23, 31, v22
	v_lshl_add_u64 v[18:19], v[22:23], 4, s[2:3]
	v_add_u32_e32 v22, s15, v22
	v_add_u32_e32 v32, s15, v22
	v_ashrrev_i32_e32 v33, 31, v32
	v_lshl_add_u64 v[26:27], v[32:33], 4, s[2:3]
	v_add_u32_e32 v32, s15, v32
	v_ashrrev_i32_e32 v33, 31, v32
	v_lshl_add_u64 v[34:35], v[32:33], 4, s[2:3]
	v_add_u32_e32 v32, s15, v32
	v_add_u32_e32 v40, s15, v32
	;; [unrolled: 1-line block ×6, first 2 shown]
	v_ashrrev_i32_e32 v57, 31, v56
	v_lshl_add_u64 v[58:59], v[56:57], 4, s[2:3]
	v_add_u32_e32 v56, s15, v56
	v_add_u32_e32 v64, s15, v56
	;; [unrolled: 1-line block ×5, first 2 shown]
	v_ashrrev_i32_e32 v81, 31, v80
	v_lshl_add_u64 v[76:77], v[80:81], 4, s[2:3]
	v_add_u32_e32 v80, s15, v80
	v_add_u32_e32 v88, s15, v80
	v_ashrrev_i32_e32 v89, 31, v88
	v_lshl_add_u64 v[84:85], v[88:89], 4, s[2:3]
	v_add_u32_e32 v88, s15, v88
	v_add_u32_e32 v96, s15, v88
	v_ashrrev_i32_e32 v97, 31, v96
	v_lshl_add_u64 v[92:93], v[96:97], 4, s[2:3]
	v_add_u32_e32 v96, s15, v96
	v_add_u32_e32 v104, s15, v96
	v_ashrrev_i32_e32 v105, 31, v104
	v_lshl_add_u64 v[100:101], v[104:105], 4, s[2:3]
	v_add_u32_e32 v104, s15, v104
	v_add_u32_e32 v112, s15, v104
	v_ashrrev_i32_e32 v113, 31, v112
	v_lshl_add_u64 v[236:237], v[112:113], 4, s[2:3]
	v_add_u32_e32 v112, s15, v112
	v_add_u32_e32 v120, s15, v112
	v_lshlrev_b32_e32 v30, 4, v1
	v_mov_b32_e32 v31, 0
	v_ashrrev_i32_e32 v121, 31, v120
	v_lshl_add_u64 v[6:7], s[2:3], 0, v[30:31]
	v_lshl_add_u64 v[240:241], v[120:121], 4, s[2:3]
	v_add_u32_e32 v120, s15, v120
	s_ashr_i32 s9, s15, 31
	s_mov_b32 s8, s15
	v_accvgpr_write_b32 a0, v6
	v_ashrrev_i32_e32 v15, 31, v14
	v_ashrrev_i32_e32 v23, 31, v22
	;; [unrolled: 1-line block ×16, first 2 shown]
	v_accvgpr_write_b32 a1, v7
	v_lshl_add_u64 v[6:7], s[8:9], 4, v[6:7]
	v_lshl_add_u64 v[16:17], v[14:15], 4, s[2:3]
	;; [unrolled: 1-line block ×16, first 2 shown]
	v_ashrrev_i32_e32 v113, 31, v112
	v_lshl_add_u64 v[242:243], v[120:121], 4, s[2:3]
	v_add_u32_e32 v120, s15, v120
	v_accvgpr_write_b32 a2, v6
	v_accvgpr_write_b32 a4, v10
	;; [unrolled: 1-line block ×25, first 2 shown]
	v_lshl_add_u64 v[238:239], v[112:113], 4, s[2:3]
	v_ashrrev_i32_e32 v121, 31, v120
	global_load_dwordx4 v[2:5], v30, s[2:3]
	v_accvgpr_write_b32 a3, v7
	global_load_dwordx4 v[6:9], v[6:7], off
	v_accvgpr_write_b32 a5, v11
	global_load_dwordx4 v[10:13], v[10:11], off
	;; [unrolled: 2-line block ×25, first 2 shown]
	s_nop 0
	global_load_dwordx4 v[108:111], v[236:237], off
	global_load_dwordx4 v[112:115], v[238:239], off
	;; [unrolled: 1-line block ×3, first 2 shown]
	v_lshl_add_u64 v[244:245], v[120:121], 4, s[2:3]
	global_load_dwordx4 v[120:123], v[242:243], off
	global_load_dwordx4 v[124:127], v[244:245], off
	s_mov_b32 s18, 16
	s_mov_b32 s14, 32
	;; [unrolled: 1-line block ×4, first 2 shown]
	s_movk_i32 s19, 0x50
	s_movk_i32 s25, 0x60
	;; [unrolled: 1-line block ×26, first 2 shown]
	s_bitcmp0_b32 s6, 0
	s_mov_b64 s[6:7], -1
	s_waitcnt vmcnt(30)
	scratch_store_dwordx4 off, v[2:5], off
	s_waitcnt vmcnt(30)
	scratch_store_dwordx4 off, v[6:9], off offset:16
	s_waitcnt vmcnt(30)
	scratch_store_dwordx4 off, v[10:13], off offset:32
	;; [unrolled: 2-line block ×30, first 2 shown]
	s_cbranch_scc1 .LBB30_136
; %bb.4:
	v_cmp_eq_u32_e64 s[2:3], 0, v1
	s_and_saveexec_b64 s[6:7], s[2:3]
; %bb.5:
	v_mov_b32_e32 v2, 0
	ds_write_b32 v2, v2 offset:992
; %bb.6:
	s_or_b64 exec, exec, s[6:7]
	s_waitcnt lgkmcnt(0)
	; wave barrier
	scratch_load_dwordx4 v[2:5], v30, off
	s_waitcnt vmcnt(0)
	v_cmp_eq_f64_e32 vcc, 0, v[2:3]
	v_cmp_eq_f64_e64 s[6:7], 0, v[4:5]
	s_and_b64 s[6:7], vcc, s[6:7]
	s_and_saveexec_b64 s[8:9], s[6:7]
	s_cbranch_execz .LBB30_10
; %bb.7:
	v_mov_b32_e32 v2, 0
	ds_read_b32 v4, v2 offset:992
	v_add_u32_e32 v3, 1, v1
	s_waitcnt lgkmcnt(0)
	v_readfirstlane_b32 s6, v4
	s_cmp_eq_u32 s6, 0
	s_cselect_b64 s[12:13], -1, 0
	v_cmp_gt_i32_e32 vcc, s6, v3
	s_or_b64 s[12:13], s[12:13], vcc
	s_and_b64 exec, exec, s[12:13]
	s_cbranch_execz .LBB30_10
; %bb.8:
	s_mov_b64 s[12:13], 0
	v_mov_b32_e32 v4, s6
.LBB30_9:                               ; =>This Inner Loop Header: Depth=1
	ds_cmpst_rtn_b32 v4, v2, v4, v3 offset:992
	s_waitcnt lgkmcnt(0)
	v_cmp_ne_u32_e32 vcc, 0, v4
	v_cmp_le_i32_e64 s[6:7], v4, v3
	s_and_b64 s[6:7], vcc, s[6:7]
	s_and_b64 s[6:7], exec, s[6:7]
	s_or_b64 s[12:13], s[6:7], s[12:13]
	s_andn2_b64 exec, exec, s[12:13]
	s_cbranch_execnz .LBB30_9
.LBB30_10:
	s_or_b64 exec, exec, s[8:9]
	v_mov_b32_e32 v3, 0
	; wave barrier
	ds_read_b32 v2, v3 offset:992
	s_and_saveexec_b64 s[6:7], s[2:3]
	s_cbranch_execz .LBB30_12
; %bb.11:
	s_lshl_b64 s[8:9], s[4:5], 2
	s_add_u32 s8, s10, s8
	s_addc_u32 s9, s11, s9
	s_waitcnt lgkmcnt(0)
	global_store_dword v3, v2, s[8:9]
.LBB30_12:
	s_or_b64 exec, exec, s[6:7]
	s_waitcnt lgkmcnt(0)
	v_cmp_ne_u32_e32 vcc, 0, v2
	s_mov_b64 s[6:7], 0
	s_cbranch_vccnz .LBB30_136
; %bb.13:
	v_mov_b32_e32 v14, v30
	scratch_load_dwordx4 v[2:5], v14, off
                                        ; implicit-def: $vgpr6_vgpr7
                                        ; implicit-def: $vgpr10_vgpr11
	s_waitcnt vmcnt(0)
	v_cmp_ngt_f64_e64 s[6:7], |v[2:3]|, |v[4:5]|
	s_and_saveexec_b64 s[8:9], s[6:7]
	s_xor_b64 s[6:7], exec, s[8:9]
	s_cbranch_execz .LBB30_15
; %bb.14:
	v_div_scale_f64 v[6:7], s[8:9], v[4:5], v[4:5], v[2:3]
	v_rcp_f64_e32 v[8:9], v[6:7]
	v_div_scale_f64 v[10:11], vcc, v[2:3], v[4:5], v[2:3]
	v_fma_f64 v[12:13], -v[6:7], v[8:9], 1.0
	v_fmac_f64_e32 v[8:9], v[8:9], v[12:13]
	v_fma_f64 v[12:13], -v[6:7], v[8:9], 1.0
	v_fmac_f64_e32 v[8:9], v[8:9], v[12:13]
	v_mul_f64 v[12:13], v[10:11], v[8:9]
	v_fma_f64 v[6:7], -v[6:7], v[12:13], v[10:11]
	v_div_fmas_f64 v[6:7], v[6:7], v[8:9], v[12:13]
	v_div_fixup_f64 v[6:7], v[6:7], v[4:5], v[2:3]
	v_fmac_f64_e32 v[4:5], v[2:3], v[6:7]
	v_div_scale_f64 v[2:3], s[8:9], v[4:5], v[4:5], 1.0
	v_rcp_f64_e32 v[8:9], v[2:3]
	s_nop 0
	v_fma_f64 v[10:11], -v[2:3], v[8:9], 1.0
	v_fmac_f64_e32 v[8:9], v[8:9], v[10:11]
	v_fma_f64 v[10:11], -v[2:3], v[8:9], 1.0
	v_fmac_f64_e32 v[8:9], v[8:9], v[10:11]
	v_div_scale_f64 v[10:11], vcc, 1.0, v[4:5], 1.0
	v_mul_f64 v[12:13], v[10:11], v[8:9]
	v_fma_f64 v[2:3], -v[2:3], v[12:13], v[10:11]
	s_nop 1
	v_div_fmas_f64 v[2:3], v[2:3], v[8:9], v[12:13]
	v_div_fixup_f64 v[8:9], v[2:3], v[4:5], 1.0
	v_mul_f64 v[6:7], v[6:7], v[8:9]
	v_xor_b32_e32 v9, 0x80000000, v9
	v_xor_b32_e32 v11, 0x80000000, v7
	v_mov_b32_e32 v10, v6
                                        ; implicit-def: $vgpr2_vgpr3
.LBB30_15:
	s_andn2_saveexec_b64 s[6:7], s[6:7]
	s_cbranch_execz .LBB30_17
; %bb.16:
	v_div_scale_f64 v[6:7], s[8:9], v[2:3], v[2:3], v[4:5]
	v_rcp_f64_e32 v[8:9], v[6:7]
	v_div_scale_f64 v[10:11], vcc, v[4:5], v[2:3], v[4:5]
	v_fma_f64 v[12:13], -v[6:7], v[8:9], 1.0
	v_fmac_f64_e32 v[8:9], v[8:9], v[12:13]
	v_fma_f64 v[12:13], -v[6:7], v[8:9], 1.0
	v_fmac_f64_e32 v[8:9], v[8:9], v[12:13]
	v_mul_f64 v[12:13], v[10:11], v[8:9]
	v_fma_f64 v[6:7], -v[6:7], v[12:13], v[10:11]
	v_div_fmas_f64 v[6:7], v[6:7], v[8:9], v[12:13]
	v_div_fixup_f64 v[8:9], v[6:7], v[2:3], v[4:5]
	v_fmac_f64_e32 v[2:3], v[4:5], v[8:9]
	v_div_scale_f64 v[4:5], s[8:9], v[2:3], v[2:3], 1.0
	v_rcp_f64_e32 v[6:7], v[4:5]
	s_nop 0
	v_fma_f64 v[10:11], -v[4:5], v[6:7], 1.0
	v_fmac_f64_e32 v[6:7], v[6:7], v[10:11]
	v_fma_f64 v[10:11], -v[4:5], v[6:7], 1.0
	v_fmac_f64_e32 v[6:7], v[6:7], v[10:11]
	v_div_scale_f64 v[10:11], vcc, 1.0, v[2:3], 1.0
	v_mul_f64 v[12:13], v[10:11], v[6:7]
	v_fma_f64 v[4:5], -v[4:5], v[12:13], v[10:11]
	s_nop 1
	v_div_fmas_f64 v[4:5], v[4:5], v[6:7], v[12:13]
	v_div_fixup_f64 v[6:7], v[4:5], v[2:3], 1.0
	v_xor_b32_e32 v11, 0x80000000, v7
	v_mov_b32_e32 v10, v6
	v_mul_f64 v[8:9], v[8:9], -v[6:7]
.LBB30_17:
	s_or_b64 exec, exec, s[6:7]
	scratch_store_dwordx4 v14, v[6:9], off
	scratch_load_dwordx4 v[2:5], off, s18
	v_xor_b32_e32 v13, 0x80000000, v9
	v_mov_b32_e32 v12, v8
	v_add_u32_e32 v6, 0x1f0, v30
	ds_write_b128 v30, v[10:13]
	s_waitcnt vmcnt(0)
	ds_write_b128 v30, v[2:5] offset:496
	s_waitcnt lgkmcnt(0)
	; wave barrier
	s_and_saveexec_b64 s[6:7], s[2:3]
	s_cbranch_execz .LBB30_19
; %bb.18:
	scratch_load_dwordx4 v[2:5], v14, off
	ds_read_b128 v[8:11], v6
	v_mov_b32_e32 v7, 0
	ds_read_b128 v[16:19], v7 offset:16
	s_waitcnt vmcnt(0) lgkmcnt(1)
	v_mul_f64 v[12:13], v[10:11], v[4:5]
	v_mul_f64 v[4:5], v[8:9], v[4:5]
	v_fma_f64 v[8:9], v[8:9], v[2:3], -v[12:13]
	v_fmac_f64_e32 v[4:5], v[10:11], v[2:3]
	v_add_f64 v[2:3], v[8:9], 0
	v_add_f64 v[8:9], v[4:5], 0
	s_waitcnt lgkmcnt(0)
	v_mul_f64 v[10:11], v[8:9], v[18:19]
	v_mul_f64 v[4:5], v[2:3], v[18:19]
	v_fma_f64 v[2:3], v[2:3], v[16:17], -v[10:11]
	v_fmac_f64_e32 v[4:5], v[8:9], v[16:17]
	scratch_store_dwordx4 off, v[2:5], off offset:16
.LBB30_19:
	s_or_b64 exec, exec, s[6:7]
	; wave barrier
	scratch_load_dwordx4 v[2:5], off, s14
	v_cmp_gt_u32_e32 vcc, 2, v1
	s_waitcnt vmcnt(0)
	ds_write_b128 v6, v[2:5]
	s_waitcnt lgkmcnt(0)
	; wave barrier
	s_and_saveexec_b64 s[6:7], vcc
	s_cbranch_execz .LBB30_23
; %bb.20:
	scratch_load_dwordx4 v[2:5], v14, off
	ds_read_b128 v[8:11], v6
	s_waitcnt vmcnt(0) lgkmcnt(0)
	v_mul_f64 v[12:13], v[10:11], v[4:5]
	v_mul_f64 v[14:15], v[8:9], v[4:5]
	v_fma_f64 v[4:5], v[8:9], v[2:3], -v[12:13]
	v_fmac_f64_e32 v[14:15], v[10:11], v[2:3]
	v_add_f64 v[4:5], v[4:5], 0
	v_add_f64 v[2:3], v[14:15], 0
	s_and_saveexec_b64 s[8:9], s[2:3]
	s_cbranch_execz .LBB30_22
; %bb.21:
	scratch_load_dwordx4 v[8:11], off, off offset:16
	v_mov_b32_e32 v7, 0
	ds_read_b128 v[12:15], v7 offset:512
	s_waitcnt vmcnt(0) lgkmcnt(0)
	v_mul_f64 v[16:17], v[12:13], v[10:11]
	v_mul_f64 v[10:11], v[14:15], v[10:11]
	v_fmac_f64_e32 v[16:17], v[14:15], v[8:9]
	v_fma_f64 v[8:9], v[12:13], v[8:9], -v[10:11]
	v_add_f64 v[2:3], v[2:3], v[16:17]
	v_add_f64 v[4:5], v[4:5], v[8:9]
.LBB30_22:
	s_or_b64 exec, exec, s[8:9]
	v_mov_b32_e32 v7, 0
	ds_read_b128 v[8:11], v7 offset:32
	s_waitcnt lgkmcnt(0)
	v_mul_f64 v[14:15], v[2:3], v[10:11]
	v_mul_f64 v[12:13], v[4:5], v[10:11]
	v_fma_f64 v[10:11], v[4:5], v[8:9], -v[14:15]
	v_fmac_f64_e32 v[12:13], v[2:3], v[8:9]
	scratch_store_dwordx4 off, v[10:13], off offset:32
.LBB30_23:
	s_or_b64 exec, exec, s[6:7]
	; wave barrier
	scratch_load_dwordx4 v[2:5], off, s15
	v_cmp_gt_u32_e32 vcc, 3, v1
	v_add_u32_e32 v7, -1, v1
	s_waitcnt vmcnt(0)
	ds_write_b128 v6, v[2:5]
	s_waitcnt lgkmcnt(0)
	; wave barrier
	s_and_saveexec_b64 s[2:3], vcc
	s_cbranch_execz .LBB30_27
; %bb.24:
	v_add_u32_e32 v8, -1, v1
	v_add_u32_e32 v9, 0x1f0, v30
	v_mov_b32_e32 v10, v30
	v_mov_b64_e32 v[2:3], 0
	s_mov_b64 s[6:7], 0
	v_mov_b64_e32 v[4:5], 0
.LBB30_25:                              ; =>This Inner Loop Header: Depth=1
	scratch_load_dwordx4 v[12:15], v10, off
	ds_read_b128 v[16:19], v9
	v_add_u32_e32 v8, 1, v8
	v_cmp_lt_u32_e32 vcc, 1, v8
	v_add_u32_e32 v9, 16, v9
	v_add_u32_e32 v10, 16, v10
	s_or_b64 s[6:7], vcc, s[6:7]
	s_waitcnt vmcnt(0) lgkmcnt(0)
	v_mul_f64 v[20:21], v[18:19], v[14:15]
	v_mul_f64 v[14:15], v[16:17], v[14:15]
	v_fma_f64 v[16:17], v[16:17], v[12:13], -v[20:21]
	v_fmac_f64_e32 v[14:15], v[18:19], v[12:13]
	v_add_f64 v[4:5], v[4:5], v[16:17]
	v_add_f64 v[2:3], v[2:3], v[14:15]
	s_andn2_b64 exec, exec, s[6:7]
	s_cbranch_execnz .LBB30_25
; %bb.26:
	s_or_b64 exec, exec, s[6:7]
	v_mov_b32_e32 v8, 0
	ds_read_b128 v[8:11], v8 offset:48
	s_waitcnt lgkmcnt(0)
	v_mul_f64 v[14:15], v[2:3], v[10:11]
	v_mul_f64 v[12:13], v[4:5], v[10:11]
	v_fma_f64 v[10:11], v[4:5], v[8:9], -v[14:15]
	v_fmac_f64_e32 v[12:13], v[2:3], v[8:9]
	scratch_store_dwordx4 off, v[10:13], off offset:48
.LBB30_27:
	s_or_b64 exec, exec, s[2:3]
	; wave barrier
	scratch_load_dwordx4 v[2:5], off, s16
	v_cmp_gt_u32_e32 vcc, 4, v1
	s_waitcnt vmcnt(0)
	ds_write_b128 v6, v[2:5]
	s_waitcnt lgkmcnt(0)
	; wave barrier
	s_and_saveexec_b64 s[2:3], vcc
	s_cbranch_execz .LBB30_31
; %bb.28:
	v_add_u32_e32 v8, -1, v1
	v_add_u32_e32 v9, 0x1f0, v30
	v_mov_b32_e32 v10, v30
	v_mov_b64_e32 v[2:3], 0
	s_mov_b64 s[6:7], 0
	v_mov_b64_e32 v[4:5], 0
.LBB30_29:                              ; =>This Inner Loop Header: Depth=1
	scratch_load_dwordx4 v[12:15], v10, off
	ds_read_b128 v[16:19], v9
	v_add_u32_e32 v8, 1, v8
	v_cmp_lt_u32_e32 vcc, 2, v8
	v_add_u32_e32 v9, 16, v9
	v_add_u32_e32 v10, 16, v10
	s_or_b64 s[6:7], vcc, s[6:7]
	s_waitcnt vmcnt(0) lgkmcnt(0)
	v_mul_f64 v[20:21], v[18:19], v[14:15]
	v_mul_f64 v[14:15], v[16:17], v[14:15]
	v_fma_f64 v[16:17], v[16:17], v[12:13], -v[20:21]
	v_fmac_f64_e32 v[14:15], v[18:19], v[12:13]
	v_add_f64 v[4:5], v[4:5], v[16:17]
	v_add_f64 v[2:3], v[2:3], v[14:15]
	s_andn2_b64 exec, exec, s[6:7]
	s_cbranch_execnz .LBB30_29
; %bb.30:
	s_or_b64 exec, exec, s[6:7]
	v_mov_b32_e32 v8, 0
	ds_read_b128 v[8:11], v8 offset:64
	s_waitcnt lgkmcnt(0)
	v_mul_f64 v[14:15], v[2:3], v[10:11]
	v_mul_f64 v[12:13], v[4:5], v[10:11]
	v_fma_f64 v[10:11], v[4:5], v[8:9], -v[14:15]
	v_fmac_f64_e32 v[12:13], v[2:3], v[8:9]
	scratch_store_dwordx4 off, v[10:13], off offset:64
.LBB30_31:
	s_or_b64 exec, exec, s[2:3]
	; wave barrier
	scratch_load_dwordx4 v[2:5], off, s19
	v_cmp_gt_u32_e32 vcc, 5, v1
	;; [unrolled: 45-line block ×19, first 2 shown]
	s_waitcnt vmcnt(0)
	ds_write_b128 v6, v[2:5]
	s_waitcnt lgkmcnt(0)
	; wave barrier
	s_and_saveexec_b64 s[2:3], vcc
	s_cbranch_execz .LBB30_103
; %bb.100:
	v_add_u32_e32 v8, -1, v1
	v_add_u32_e32 v9, 0x1f0, v30
	v_mov_b32_e32 v10, v30
	v_mov_b64_e32 v[2:3], 0
	s_mov_b64 s[6:7], 0
	v_mov_b64_e32 v[4:5], 0
.LBB30_101:                             ; =>This Inner Loop Header: Depth=1
	scratch_load_dwordx4 v[12:15], v10, off
	ds_read_b128 v[16:19], v9
	v_add_u32_e32 v8, 1, v8
	v_cmp_lt_u32_e32 vcc, 20, v8
	v_add_u32_e32 v9, 16, v9
	v_add_u32_e32 v10, 16, v10
	s_or_b64 s[6:7], vcc, s[6:7]
	s_waitcnt vmcnt(0) lgkmcnt(0)
	v_mul_f64 v[20:21], v[18:19], v[14:15]
	v_mul_f64 v[14:15], v[16:17], v[14:15]
	v_fma_f64 v[16:17], v[16:17], v[12:13], -v[20:21]
	v_fmac_f64_e32 v[14:15], v[18:19], v[12:13]
	v_add_f64 v[4:5], v[4:5], v[16:17]
	v_add_f64 v[2:3], v[2:3], v[14:15]
	s_andn2_b64 exec, exec, s[6:7]
	s_cbranch_execnz .LBB30_101
; %bb.102:
	s_or_b64 exec, exec, s[6:7]
	v_mov_b32_e32 v8, 0
	ds_read_b128 v[8:11], v8 offset:352
	s_waitcnt lgkmcnt(0)
	v_mul_f64 v[14:15], v[2:3], v[10:11]
	v_mul_f64 v[12:13], v[4:5], v[10:11]
	v_fma_f64 v[10:11], v[4:5], v[8:9], -v[14:15]
	v_fmac_f64_e32 v[12:13], v[2:3], v[8:9]
	scratch_store_dwordx4 off, v[10:13], off offset:352
.LBB30_103:
	s_or_b64 exec, exec, s[2:3]
	; wave barrier
	scratch_load_dwordx4 v[2:5], off, s37
	v_cmp_gt_u32_e32 vcc, 23, v1
	s_waitcnt vmcnt(0)
	ds_write_b128 v6, v[2:5]
	s_waitcnt lgkmcnt(0)
	; wave barrier
	s_and_saveexec_b64 s[2:3], vcc
	s_cbranch_execz .LBB30_107
; %bb.104:
	v_add_u32_e32 v8, -1, v1
	v_add_u32_e32 v9, 0x1f0, v30
	v_mov_b32_e32 v10, v30
	v_mov_b64_e32 v[2:3], 0
	s_mov_b64 s[6:7], 0
	v_mov_b64_e32 v[4:5], 0
.LBB30_105:                             ; =>This Inner Loop Header: Depth=1
	scratch_load_dwordx4 v[12:15], v10, off
	ds_read_b128 v[16:19], v9
	v_add_u32_e32 v8, 1, v8
	v_cmp_lt_u32_e32 vcc, 21, v8
	v_add_u32_e32 v9, 16, v9
	v_add_u32_e32 v10, 16, v10
	s_or_b64 s[6:7], vcc, s[6:7]
	s_waitcnt vmcnt(0) lgkmcnt(0)
	v_mul_f64 v[20:21], v[18:19], v[14:15]
	v_mul_f64 v[14:15], v[16:17], v[14:15]
	v_fma_f64 v[16:17], v[16:17], v[12:13], -v[20:21]
	v_fmac_f64_e32 v[14:15], v[18:19], v[12:13]
	v_add_f64 v[4:5], v[4:5], v[16:17]
	v_add_f64 v[2:3], v[2:3], v[14:15]
	s_andn2_b64 exec, exec, s[6:7]
	s_cbranch_execnz .LBB30_105
; %bb.106:
	s_or_b64 exec, exec, s[6:7]
	v_mov_b32_e32 v8, 0
	ds_read_b128 v[8:11], v8 offset:368
	s_waitcnt lgkmcnt(0)
	v_mul_f64 v[14:15], v[2:3], v[10:11]
	v_mul_f64 v[12:13], v[4:5], v[10:11]
	v_fma_f64 v[10:11], v[4:5], v[8:9], -v[14:15]
	v_fmac_f64_e32 v[12:13], v[2:3], v[8:9]
	scratch_store_dwordx4 off, v[10:13], off offset:368
.LBB30_107:
	s_or_b64 exec, exec, s[2:3]
	; wave barrier
	scratch_load_dwordx4 v[2:5], off, s38
	v_cmp_gt_u32_e32 vcc, 24, v1
	;; [unrolled: 45-line block ×7, first 2 shown]
	s_waitcnt vmcnt(0)
	ds_write_b128 v6, v[2:5]
	s_waitcnt lgkmcnt(0)
	; wave barrier
	s_and_saveexec_b64 s[2:3], vcc
	s_cbranch_execz .LBB30_131
; %bb.128:
	v_add_u32_e32 v8, -1, v1
	v_add_u32_e32 v9, 0x1f0, v30
	v_mov_b32_e32 v10, v30
	v_mov_b64_e32 v[2:3], 0
	s_mov_b64 s[6:7], 0
	v_mov_b64_e32 v[4:5], 0
.LBB30_129:                             ; =>This Inner Loop Header: Depth=1
	scratch_load_dwordx4 v[12:15], v10, off
	ds_read_b128 v[16:19], v9
	v_add_u32_e32 v8, 1, v8
	v_cmp_lt_u32_e32 vcc, 27, v8
	v_add_u32_e32 v9, 16, v9
	v_add_u32_e32 v10, 16, v10
	s_or_b64 s[6:7], vcc, s[6:7]
	s_waitcnt vmcnt(0) lgkmcnt(0)
	v_mul_f64 v[20:21], v[18:19], v[14:15]
	v_mul_f64 v[14:15], v[16:17], v[14:15]
	v_fma_f64 v[16:17], v[16:17], v[12:13], -v[20:21]
	v_fmac_f64_e32 v[14:15], v[18:19], v[12:13]
	v_add_f64 v[4:5], v[4:5], v[16:17]
	v_add_f64 v[2:3], v[2:3], v[14:15]
	s_andn2_b64 exec, exec, s[6:7]
	s_cbranch_execnz .LBB30_129
; %bb.130:
	s_or_b64 exec, exec, s[6:7]
	v_mov_b32_e32 v8, 0
	ds_read_b128 v[8:11], v8 offset:464
	s_waitcnt lgkmcnt(0)
	v_mul_f64 v[14:15], v[2:3], v[10:11]
	v_mul_f64 v[12:13], v[4:5], v[10:11]
	v_fma_f64 v[10:11], v[4:5], v[8:9], -v[14:15]
	v_fmac_f64_e32 v[12:13], v[2:3], v[8:9]
	scratch_store_dwordx4 off, v[10:13], off offset:464
.LBB30_131:
	s_or_b64 exec, exec, s[2:3]
	; wave barrier
	scratch_load_dwordx4 v[2:5], off, s44
	v_cmp_ne_u32_e32 vcc, 30, v1
	s_waitcnt vmcnt(0)
	ds_write_b128 v6, v[2:5]
	s_waitcnt lgkmcnt(0)
	; wave barrier
	s_and_saveexec_b64 s[2:3], vcc
	s_cbranch_execz .LBB30_135
; %bb.132:
	v_add_u32_e32 v6, 0x1f0, v30
	v_mov_b32_e32 v8, v30
	v_mov_b64_e32 v[2:3], 0
	s_mov_b64 s[6:7], 0
	v_mov_b64_e32 v[4:5], 0
.LBB30_133:                             ; =>This Inner Loop Header: Depth=1
	scratch_load_dwordx4 v[10:13], v8, off
	ds_read_b128 v[14:17], v6
	v_add_u32_e32 v7, 1, v7
	v_cmp_lt_u32_e32 vcc, 28, v7
	v_add_u32_e32 v6, 16, v6
	v_add_u32_e32 v8, 16, v8
	s_or_b64 s[6:7], vcc, s[6:7]
	s_waitcnt vmcnt(0) lgkmcnt(0)
	v_mul_f64 v[18:19], v[16:17], v[12:13]
	v_mul_f64 v[12:13], v[14:15], v[12:13]
	v_fma_f64 v[14:15], v[14:15], v[10:11], -v[18:19]
	v_fmac_f64_e32 v[12:13], v[16:17], v[10:11]
	v_add_f64 v[4:5], v[4:5], v[14:15]
	v_add_f64 v[2:3], v[2:3], v[12:13]
	s_andn2_b64 exec, exec, s[6:7]
	s_cbranch_execnz .LBB30_133
; %bb.134:
	s_or_b64 exec, exec, s[6:7]
	v_mov_b32_e32 v6, 0
	ds_read_b128 v[6:9], v6 offset:480
	s_waitcnt lgkmcnt(0)
	v_mul_f64 v[12:13], v[2:3], v[8:9]
	v_mul_f64 v[10:11], v[4:5], v[8:9]
	v_fma_f64 v[8:9], v[4:5], v[6:7], -v[12:13]
	v_fmac_f64_e32 v[10:11], v[2:3], v[6:7]
	scratch_store_dwordx4 off, v[8:11], off offset:480
.LBB30_135:
	s_or_b64 exec, exec, s[2:3]
	s_mov_b64 s[6:7], -1
	; wave barrier
.LBB30_136:
	s_and_b64 vcc, exec, s[6:7]
	s_cbranch_vccz .LBB30_138
; %bb.137:
	s_lshl_b64 s[2:3], s[4:5], 2
	s_add_u32 s2, s10, s2
	s_addc_u32 s3, s11, s3
	v_mov_b32_e32 v2, 0
	global_load_dword v2, v2, s[2:3]
	s_waitcnt vmcnt(0)
	v_cmp_ne_u32_e32 vcc, 0, v2
	s_cbranch_vccz .LBB30_139
.LBB30_138:
	s_endpgm
.LBB30_139:
	v_mov_b32_e32 v2, 0x1f0
	v_lshl_add_u32 v178, v1, 4, v2
	v_cmp_eq_u32_e32 vcc, 30, v1
	s_and_saveexec_b64 s[2:3], vcc
	s_cbranch_execz .LBB30_141
; %bb.140:
	scratch_load_dwordx4 v[2:5], off, s43
	v_mov_b32_e32 v6, 0
	v_mov_b32_e32 v7, v6
	;; [unrolled: 1-line block ×4, first 2 shown]
	scratch_store_dwordx4 off, v[6:9], off offset:464
	s_waitcnt vmcnt(1)
	ds_write_b128 v178, v[2:5]
.LBB30_141:
	s_or_b64 exec, exec, s[2:3]
	s_waitcnt lgkmcnt(0)
	; wave barrier
	scratch_load_dwordx4 v[4:7], off, off offset:480
	scratch_load_dwordx4 v[8:11], off, off offset:464
	v_mov_b32_e32 v2, 0
	ds_read_b128 v[12:15], v2 offset:976
	v_cmp_lt_u32_e32 vcc, 28, v1
	s_waitcnt vmcnt(1) lgkmcnt(0)
	v_mul_f64 v[16:17], v[12:13], v[6:7]
	v_mul_f64 v[6:7], v[14:15], v[6:7]
	v_fmac_f64_e32 v[16:17], v[14:15], v[4:5]
	v_fma_f64 v[4:5], v[12:13], v[4:5], -v[6:7]
	v_add_f64 v[6:7], v[16:17], 0
	v_add_f64 v[4:5], v[4:5], 0
	s_waitcnt vmcnt(0)
	v_add_f64 v[4:5], v[8:9], -v[4:5]
	v_add_f64 v[6:7], v[10:11], -v[6:7]
	scratch_store_dwordx4 off, v[4:7], off offset:464
	s_and_saveexec_b64 s[2:3], vcc
	s_cbranch_execz .LBB30_143
; %bb.142:
	scratch_load_dwordx4 v[6:9], off, s42
	v_mov_b32_e32 v3, v2
	v_mov_b32_e32 v4, v2
	;; [unrolled: 1-line block ×3, first 2 shown]
	scratch_store_dwordx4 off, v[2:5], off offset:448
	s_waitcnt vmcnt(1)
	ds_write_b128 v178, v[6:9]
.LBB30_143:
	s_or_b64 exec, exec, s[2:3]
	s_waitcnt lgkmcnt(0)
	; wave barrier
	scratch_load_dwordx4 v[4:7], off, off offset:464
	scratch_load_dwordx4 v[8:11], off, off offset:480
	;; [unrolled: 1-line block ×3, first 2 shown]
	ds_read_b128 v[16:19], v2 offset:960
	ds_read_b128 v[20:23], v2 offset:976
	v_cmp_lt_u32_e32 vcc, 27, v1
	s_waitcnt vmcnt(2) lgkmcnt(1)
	v_mul_f64 v[2:3], v[16:17], v[6:7]
	v_mul_f64 v[6:7], v[18:19], v[6:7]
	s_waitcnt vmcnt(1) lgkmcnt(0)
	v_mul_f64 v[24:25], v[20:21], v[10:11]
	v_mul_f64 v[10:11], v[22:23], v[10:11]
	v_fmac_f64_e32 v[2:3], v[18:19], v[4:5]
	v_fma_f64 v[4:5], v[16:17], v[4:5], -v[6:7]
	v_fmac_f64_e32 v[24:25], v[22:23], v[8:9]
	v_fma_f64 v[6:7], v[20:21], v[8:9], -v[10:11]
	v_add_f64 v[2:3], v[2:3], 0
	v_add_f64 v[4:5], v[4:5], 0
	;; [unrolled: 1-line block ×4, first 2 shown]
	s_waitcnt vmcnt(0)
	v_add_f64 v[2:3], v[12:13], -v[2:3]
	v_add_f64 v[4:5], v[14:15], -v[8:9]
	scratch_store_dwordx4 off, v[2:5], off offset:448
	s_and_saveexec_b64 s[2:3], vcc
	s_cbranch_execz .LBB30_145
; %bb.144:
	scratch_load_dwordx4 v[2:5], off, s41
	v_mov_b32_e32 v6, 0
	v_mov_b32_e32 v7, v6
	;; [unrolled: 1-line block ×4, first 2 shown]
	scratch_store_dwordx4 off, v[6:9], off offset:432
	s_waitcnt vmcnt(1)
	ds_write_b128 v178, v[2:5]
.LBB30_145:
	s_or_b64 exec, exec, s[2:3]
	s_waitcnt lgkmcnt(0)
	; wave barrier
	scratch_load_dwordx4 v[4:7], off, off offset:448
	scratch_load_dwordx4 v[8:11], off, off offset:464
	;; [unrolled: 1-line block ×4, first 2 shown]
	v_mov_b32_e32 v2, 0
	ds_read_b128 v[20:23], v2 offset:944
	ds_read_b128 v[24:27], v2 offset:960
	;; [unrolled: 1-line block ×3, first 2 shown]
	v_cmp_lt_u32_e32 vcc, 26, v1
	s_waitcnt vmcnt(3) lgkmcnt(2)
	v_mul_f64 v[32:33], v[20:21], v[6:7]
	v_mul_f64 v[6:7], v[22:23], v[6:7]
	s_waitcnt vmcnt(2) lgkmcnt(1)
	v_mul_f64 v[34:35], v[24:25], v[10:11]
	v_mul_f64 v[10:11], v[26:27], v[10:11]
	v_fmac_f64_e32 v[32:33], v[22:23], v[4:5]
	v_fma_f64 v[4:5], v[20:21], v[4:5], -v[6:7]
	s_waitcnt vmcnt(1) lgkmcnt(0)
	v_mul_f64 v[36:37], v[28:29], v[14:15]
	v_mul_f64 v[14:15], v[30:31], v[14:15]
	v_fmac_f64_e32 v[34:35], v[26:27], v[8:9]
	v_fma_f64 v[6:7], v[24:25], v[8:9], -v[10:11]
	v_add_f64 v[10:11], v[32:33], 0
	v_add_f64 v[4:5], v[4:5], 0
	v_fmac_f64_e32 v[36:37], v[30:31], v[12:13]
	v_fma_f64 v[8:9], v[28:29], v[12:13], -v[14:15]
	v_add_f64 v[10:11], v[10:11], v[34:35]
	v_add_f64 v[4:5], v[4:5], v[6:7]
	;; [unrolled: 1-line block ×4, first 2 shown]
	s_waitcnt vmcnt(0)
	v_add_f64 v[4:5], v[16:17], -v[4:5]
	v_add_f64 v[6:7], v[18:19], -v[6:7]
	scratch_store_dwordx4 off, v[4:7], off offset:432
	s_and_saveexec_b64 s[2:3], vcc
	s_cbranch_execz .LBB30_147
; %bb.146:
	scratch_load_dwordx4 v[6:9], off, s40
	v_mov_b32_e32 v3, v2
	v_mov_b32_e32 v4, v2
	;; [unrolled: 1-line block ×3, first 2 shown]
	scratch_store_dwordx4 off, v[2:5], off offset:416
	s_waitcnt vmcnt(1)
	ds_write_b128 v178, v[6:9]
.LBB30_147:
	s_or_b64 exec, exec, s[2:3]
	s_waitcnt lgkmcnt(0)
	; wave barrier
	scratch_load_dwordx4 v[4:7], off, off offset:432
	scratch_load_dwordx4 v[8:11], off, off offset:448
	;; [unrolled: 1-line block ×5, first 2 shown]
	ds_read_b128 v[24:27], v2 offset:928
	ds_read_b128 v[28:31], v2 offset:944
	;; [unrolled: 1-line block ×4, first 2 shown]
	v_cmp_lt_u32_e32 vcc, 25, v1
	s_waitcnt vmcnt(4) lgkmcnt(3)
	v_mul_f64 v[2:3], v[24:25], v[6:7]
	v_mul_f64 v[6:7], v[26:27], v[6:7]
	s_waitcnt vmcnt(3) lgkmcnt(2)
	v_mul_f64 v[40:41], v[28:29], v[10:11]
	v_mul_f64 v[10:11], v[30:31], v[10:11]
	v_fmac_f64_e32 v[2:3], v[26:27], v[4:5]
	v_fma_f64 v[4:5], v[24:25], v[4:5], -v[6:7]
	s_waitcnt vmcnt(2) lgkmcnt(1)
	v_mul_f64 v[42:43], v[32:33], v[14:15]
	v_mul_f64 v[14:15], v[34:35], v[14:15]
	v_fmac_f64_e32 v[40:41], v[30:31], v[8:9]
	v_fma_f64 v[6:7], v[28:29], v[8:9], -v[10:11]
	v_add_f64 v[2:3], v[2:3], 0
	v_add_f64 v[4:5], v[4:5], 0
	s_waitcnt vmcnt(1) lgkmcnt(0)
	v_mul_f64 v[44:45], v[36:37], v[18:19]
	v_mul_f64 v[18:19], v[38:39], v[18:19]
	v_fmac_f64_e32 v[42:43], v[34:35], v[12:13]
	v_fma_f64 v[8:9], v[32:33], v[12:13], -v[14:15]
	v_add_f64 v[2:3], v[2:3], v[40:41]
	v_add_f64 v[4:5], v[4:5], v[6:7]
	v_fmac_f64_e32 v[44:45], v[38:39], v[16:17]
	v_fma_f64 v[10:11], v[36:37], v[16:17], -v[18:19]
	v_add_f64 v[2:3], v[2:3], v[42:43]
	v_add_f64 v[4:5], v[4:5], v[8:9]
	;; [unrolled: 1-line block ×4, first 2 shown]
	s_waitcnt vmcnt(0)
	v_add_f64 v[2:3], v[20:21], -v[2:3]
	v_add_f64 v[4:5], v[22:23], -v[6:7]
	scratch_store_dwordx4 off, v[2:5], off offset:416
	s_and_saveexec_b64 s[2:3], vcc
	s_cbranch_execz .LBB30_149
; %bb.148:
	scratch_load_dwordx4 v[2:5], off, s39
	v_mov_b32_e32 v6, 0
	v_mov_b32_e32 v7, v6
	;; [unrolled: 1-line block ×4, first 2 shown]
	scratch_store_dwordx4 off, v[6:9], off offset:400
	s_waitcnt vmcnt(1)
	ds_write_b128 v178, v[2:5]
.LBB30_149:
	s_or_b64 exec, exec, s[2:3]
	s_waitcnt lgkmcnt(0)
	; wave barrier
	scratch_load_dwordx4 v[4:7], off, off offset:416
	scratch_load_dwordx4 v[8:11], off, off offset:432
	;; [unrolled: 1-line block ×6, first 2 shown]
	v_mov_b32_e32 v2, 0
	ds_read_b128 v[28:31], v2 offset:912
	ds_read_b128 v[32:35], v2 offset:928
	;; [unrolled: 1-line block ×5, first 2 shown]
	v_cmp_lt_u32_e32 vcc, 24, v1
	s_waitcnt vmcnt(5) lgkmcnt(4)
	v_mul_f64 v[48:49], v[28:29], v[6:7]
	v_mul_f64 v[6:7], v[30:31], v[6:7]
	s_waitcnt vmcnt(4) lgkmcnt(3)
	v_mul_f64 v[50:51], v[32:33], v[10:11]
	s_waitcnt vmcnt(3) lgkmcnt(2)
	v_mul_f64 v[52:53], v[36:37], v[14:15]
	v_mul_f64 v[10:11], v[34:35], v[10:11]
	;; [unrolled: 1-line block ×3, first 2 shown]
	v_fmac_f64_e32 v[48:49], v[30:31], v[4:5]
	v_fma_f64 v[4:5], v[28:29], v[4:5], -v[6:7]
	v_fmac_f64_e32 v[50:51], v[34:35], v[8:9]
	v_fma_f64 v[6:7], v[32:33], v[8:9], -v[10:11]
	v_fma_f64 v[8:9], v[36:37], v[12:13], -v[14:15]
	v_add_f64 v[14:15], v[48:49], 0
	v_add_f64 v[4:5], v[4:5], 0
	s_waitcnt vmcnt(2) lgkmcnt(1)
	v_mul_f64 v[54:55], v[40:41], v[18:19]
	v_mul_f64 v[18:19], v[42:43], v[18:19]
	v_fmac_f64_e32 v[52:53], v[38:39], v[12:13]
	v_add_f64 v[14:15], v[14:15], v[50:51]
	v_add_f64 v[4:5], v[4:5], v[6:7]
	s_waitcnt vmcnt(1) lgkmcnt(0)
	v_mul_f64 v[56:57], v[44:45], v[22:23]
	v_mul_f64 v[22:23], v[46:47], v[22:23]
	v_fmac_f64_e32 v[54:55], v[42:43], v[16:17]
	v_fma_f64 v[10:11], v[40:41], v[16:17], -v[18:19]
	v_add_f64 v[6:7], v[14:15], v[52:53]
	v_add_f64 v[4:5], v[4:5], v[8:9]
	v_fmac_f64_e32 v[56:57], v[46:47], v[20:21]
	v_fma_f64 v[12:13], v[44:45], v[20:21], -v[22:23]
	v_add_f64 v[6:7], v[6:7], v[54:55]
	v_add_f64 v[4:5], v[4:5], v[10:11]
	;; [unrolled: 1-line block ×4, first 2 shown]
	s_waitcnt vmcnt(0)
	v_add_f64 v[4:5], v[24:25], -v[4:5]
	v_add_f64 v[6:7], v[26:27], -v[6:7]
	scratch_store_dwordx4 off, v[4:7], off offset:400
	s_and_saveexec_b64 s[2:3], vcc
	s_cbranch_execz .LBB30_151
; %bb.150:
	scratch_load_dwordx4 v[6:9], off, s38
	v_mov_b32_e32 v3, v2
	v_mov_b32_e32 v4, v2
	v_mov_b32_e32 v5, v2
	scratch_store_dwordx4 off, v[2:5], off offset:384
	s_waitcnt vmcnt(1)
	ds_write_b128 v178, v[6:9]
.LBB30_151:
	s_or_b64 exec, exec, s[2:3]
	s_waitcnt lgkmcnt(0)
	; wave barrier
	ds_read_b128 v[4:7], v2 offset:896
	ds_read_b128 v[8:11], v2 offset:912
	ds_read_b128 v[12:15], v2 offset:928
	ds_read_b128 v[16:19], v2 offset:944
	scratch_load_dwordx4 v[20:23], off, off offset:400
	scratch_load_dwordx4 v[40:43], off, off offset:464
	v_cmp_lt_u32_e32 vcc, 23, v1
	scratch_load_dwordx4 v[48:51], off, off offset:480
	s_waitcnt vmcnt(2) lgkmcnt(3)
	v_mul_f64 v[24:25], v[4:5], v[22:23]
	v_fmac_f64_e32 v[24:25], v[6:7], v[20:21]
	v_add_f64 v[28:29], v[24:25], 0
	scratch_load_dwordx4 v[24:27], off, off offset:416
	s_waitcnt vmcnt(0) lgkmcnt(2)
	v_mul_f64 v[30:31], v[8:9], v[26:27]
	v_fmac_f64_e32 v[30:31], v[10:11], v[24:25]
	v_add_f64 v[32:33], v[28:29], v[30:31]
	;; [unrolled: 5-line block ×4, first 2 shown]
	ds_read_b128 v[36:39], v2 offset:960
	s_waitcnt lgkmcnt(0)
	v_mul_f64 v[46:47], v[36:37], v[42:43]
	v_fmac_f64_e32 v[46:47], v[38:39], v[40:41]
	v_add_f64 v[52:53], v[44:45], v[46:47]
	ds_read_b128 v[44:47], v2 offset:976
	s_waitcnt lgkmcnt(0)
	v_mul_f64 v[2:3], v[44:45], v[50:51]
	v_fmac_f64_e32 v[2:3], v[46:47], v[48:49]
	v_add_f64 v[52:53], v[52:53], v[2:3]
	v_mul_f64 v[2:3], v[6:7], v[22:23]
	v_fma_f64 v[2:3], v[4:5], v[20:21], -v[2:3]
	v_mul_f64 v[4:5], v[10:11], v[26:27]
	v_add_f64 v[2:3], v[2:3], 0
	v_fma_f64 v[4:5], v[8:9], v[24:25], -v[4:5]
	v_add_f64 v[2:3], v[2:3], v[4:5]
	v_mul_f64 v[4:5], v[14:15], v[30:31]
	v_fma_f64 v[4:5], v[12:13], v[28:29], -v[4:5]
	v_add_f64 v[2:3], v[2:3], v[4:5]
	v_mul_f64 v[4:5], v[18:19], v[34:35]
	;; [unrolled: 3-line block ×4, first 2 shown]
	v_fma_f64 v[4:5], v[44:45], v[48:49], -v[4:5]
	v_add_f64 v[6:7], v[2:3], v[4:5]
	scratch_load_dwordx4 v[2:5], off, off offset:384
	s_waitcnt vmcnt(0)
	v_add_f64 v[2:3], v[2:3], -v[6:7]
	v_add_f64 v[4:5], v[4:5], -v[52:53]
	scratch_store_dwordx4 off, v[2:5], off offset:384
	s_and_saveexec_b64 s[2:3], vcc
	s_cbranch_execz .LBB30_153
; %bb.152:
	scratch_load_dwordx4 v[2:5], off, s37
	v_mov_b32_e32 v6, 0
	v_mov_b32_e32 v7, v6
	;; [unrolled: 1-line block ×4, first 2 shown]
	scratch_store_dwordx4 off, v[6:9], off offset:368
	s_waitcnt vmcnt(1)
	ds_write_b128 v178, v[2:5]
.LBB30_153:
	s_or_b64 exec, exec, s[2:3]
	v_mov_b32_e32 v2, 0
	s_waitcnt lgkmcnt(0)
	; wave barrier
	ds_read_b128 v[4:7], v2 offset:880
	ds_read_b128 v[8:11], v2 offset:896
	;; [unrolled: 1-line block ×4, first 2 shown]
	scratch_load_dwordx4 v[20:23], off, off offset:384
	scratch_load_dwordx4 v[40:43], off, off offset:448
	v_cmp_lt_u32_e32 vcc, 22, v1
	scratch_load_dwordx4 v[48:51], off, off offset:464
	scratch_load_dwordx4 v[56:59], off, off offset:480
	s_waitcnt vmcnt(3) lgkmcnt(3)
	v_mul_f64 v[24:25], v[4:5], v[22:23]
	v_fmac_f64_e32 v[24:25], v[6:7], v[20:21]
	v_add_f64 v[28:29], v[24:25], 0
	scratch_load_dwordx4 v[24:27], off, off offset:400
	v_mul_f64 v[6:7], v[6:7], v[22:23]
	v_fma_f64 v[4:5], v[4:5], v[20:21], -v[6:7]
	v_add_f64 v[4:5], v[4:5], 0
	s_waitcnt vmcnt(0) lgkmcnt(2)
	v_mul_f64 v[30:31], v[8:9], v[26:27]
	v_fmac_f64_e32 v[30:31], v[10:11], v[24:25]
	v_add_f64 v[32:33], v[28:29], v[30:31]
	scratch_load_dwordx4 v[28:31], off, off offset:416
	v_mul_f64 v[6:7], v[10:11], v[26:27]
	v_fma_f64 v[6:7], v[8:9], v[24:25], -v[6:7]
	v_add_f64 v[4:5], v[4:5], v[6:7]
	s_waitcnt vmcnt(0) lgkmcnt(1)
	v_mul_f64 v[34:35], v[12:13], v[30:31]
	v_fmac_f64_e32 v[34:35], v[14:15], v[28:29]
	v_add_f64 v[36:37], v[32:33], v[34:35]
	scratch_load_dwordx4 v[32:35], off, off offset:432
	v_mul_f64 v[6:7], v[14:15], v[30:31]
	v_fma_f64 v[6:7], v[12:13], v[28:29], -v[6:7]
	v_add_f64 v[4:5], v[4:5], v[6:7]
	s_waitcnt vmcnt(0) lgkmcnt(0)
	v_mul_f64 v[38:39], v[16:17], v[34:35]
	v_fmac_f64_e32 v[38:39], v[18:19], v[32:33]
	v_add_f64 v[44:45], v[36:37], v[38:39]
	ds_read_b128 v[36:39], v2 offset:944
	v_mul_f64 v[6:7], v[18:19], v[34:35]
	v_fma_f64 v[6:7], v[16:17], v[32:33], -v[6:7]
	v_add_f64 v[4:5], v[4:5], v[6:7]
	s_waitcnt lgkmcnt(0)
	v_mul_f64 v[46:47], v[36:37], v[42:43]
	v_fmac_f64_e32 v[46:47], v[38:39], v[40:41]
	v_add_f64 v[52:53], v[44:45], v[46:47]
	ds_read_b128 v[44:47], v2 offset:960
	v_mul_f64 v[6:7], v[38:39], v[42:43]
	v_fma_f64 v[6:7], v[36:37], v[40:41], -v[6:7]
	v_add_f64 v[4:5], v[4:5], v[6:7]
	s_waitcnt lgkmcnt(0)
	;; [unrolled: 8-line block ×3, first 2 shown]
	v_mul_f64 v[6:7], v[54:55], v[58:59]
	v_fma_f64 v[6:7], v[52:53], v[56:57], -v[6:7]
	v_add_f64 v[8:9], v[4:5], v[6:7]
	scratch_load_dwordx4 v[4:7], off, off offset:368
	v_mul_f64 v[62:63], v[52:53], v[58:59]
	v_fmac_f64_e32 v[62:63], v[54:55], v[56:57]
	v_add_f64 v[60:61], v[60:61], v[62:63]
	s_waitcnt vmcnt(0)
	v_add_f64 v[4:5], v[4:5], -v[8:9]
	v_add_f64 v[6:7], v[6:7], -v[60:61]
	scratch_store_dwordx4 off, v[4:7], off offset:368
	s_and_saveexec_b64 s[2:3], vcc
	s_cbranch_execz .LBB30_155
; %bb.154:
	scratch_load_dwordx4 v[6:9], off, s36
	v_mov_b32_e32 v3, v2
	v_mov_b32_e32 v4, v2
	;; [unrolled: 1-line block ×3, first 2 shown]
	scratch_store_dwordx4 off, v[2:5], off offset:352
	s_waitcnt vmcnt(1)
	ds_write_b128 v178, v[6:9]
.LBB30_155:
	s_or_b64 exec, exec, s[2:3]
	s_waitcnt lgkmcnt(0)
	; wave barrier
	scratch_load_dwordx4 v[4:7], off, off offset:368
	scratch_load_dwordx4 v[8:11], off, off offset:384
	;; [unrolled: 1-line block ×9, first 2 shown]
	ds_read_b128 v[40:43], v2 offset:864
	ds_read_b128 v[44:47], v2 offset:880
	;; [unrolled: 1-line block ×8, first 2 shown]
	v_cmp_lt_u32_e32 vcc, 21, v1
	s_waitcnt vmcnt(8) lgkmcnt(7)
	v_mul_f64 v[2:3], v[40:41], v[6:7]
	v_mul_f64 v[6:7], v[42:43], v[6:7]
	s_waitcnt vmcnt(7) lgkmcnt(6)
	v_mul_f64 v[72:73], v[44:45], v[10:11]
	v_mul_f64 v[10:11], v[46:47], v[10:11]
	v_fmac_f64_e32 v[2:3], v[42:43], v[4:5]
	v_fma_f64 v[4:5], v[40:41], v[4:5], -v[6:7]
	s_waitcnt vmcnt(6) lgkmcnt(5)
	v_mul_f64 v[74:75], v[48:49], v[14:15]
	v_mul_f64 v[14:15], v[50:51], v[14:15]
	v_fmac_f64_e32 v[72:73], v[46:47], v[8:9]
	v_fma_f64 v[6:7], v[44:45], v[8:9], -v[10:11]
	v_add_f64 v[2:3], v[2:3], 0
	v_add_f64 v[4:5], v[4:5], 0
	s_waitcnt vmcnt(5) lgkmcnt(4)
	v_mul_f64 v[76:77], v[52:53], v[18:19]
	v_mul_f64 v[18:19], v[54:55], v[18:19]
	v_fmac_f64_e32 v[74:75], v[50:51], v[12:13]
	v_fma_f64 v[8:9], v[48:49], v[12:13], -v[14:15]
	v_add_f64 v[2:3], v[2:3], v[72:73]
	v_add_f64 v[4:5], v[4:5], v[6:7]
	;; [unrolled: 7-line block ×6, first 2 shown]
	v_fmac_f64_e32 v[84:85], v[70:71], v[32:33]
	v_fma_f64 v[18:19], v[68:69], v[32:33], -v[34:35]
	v_add_f64 v[2:3], v[2:3], v[82:83]
	v_add_f64 v[4:5], v[4:5], v[16:17]
	;; [unrolled: 1-line block ×4, first 2 shown]
	s_waitcnt vmcnt(0)
	v_add_f64 v[2:3], v[36:37], -v[2:3]
	v_add_f64 v[4:5], v[38:39], -v[6:7]
	scratch_store_dwordx4 off, v[2:5], off offset:352
	s_and_saveexec_b64 s[2:3], vcc
	s_cbranch_execz .LBB30_157
; %bb.156:
	scratch_load_dwordx4 v[2:5], off, s35
	v_mov_b32_e32 v6, 0
	v_mov_b32_e32 v7, v6
	;; [unrolled: 1-line block ×4, first 2 shown]
	scratch_store_dwordx4 off, v[6:9], off offset:336
	s_waitcnt vmcnt(1)
	ds_write_b128 v178, v[2:5]
.LBB30_157:
	s_or_b64 exec, exec, s[2:3]
	s_waitcnt lgkmcnt(0)
	; wave barrier
	scratch_load_dwordx4 v[4:7], off, off offset:352
	scratch_load_dwordx4 v[8:11], off, off offset:368
	;; [unrolled: 1-line block ×10, first 2 shown]
	v_mov_b32_e32 v2, 0
	ds_read_b128 v[44:47], v2 offset:848
	ds_read_b128 v[48:51], v2 offset:864
	;; [unrolled: 1-line block ×9, first 2 shown]
	v_cmp_lt_u32_e32 vcc, 20, v1
	s_waitcnt vmcnt(9) lgkmcnt(8)
	v_mul_f64 v[80:81], v[44:45], v[6:7]
	v_mul_f64 v[6:7], v[46:47], v[6:7]
	s_waitcnt vmcnt(8) lgkmcnt(7)
	v_mul_f64 v[82:83], v[48:49], v[10:11]
	s_waitcnt vmcnt(7) lgkmcnt(6)
	;; [unrolled: 2-line block ×3, first 2 shown]
	v_mul_f64 v[88:89], v[60:61], v[22:23]
	v_mul_f64 v[10:11], v[50:51], v[10:11]
	;; [unrolled: 1-line block ×4, first 2 shown]
	v_fmac_f64_e32 v[80:81], v[46:47], v[4:5]
	v_fma_f64 v[4:5], v[44:45], v[4:5], -v[6:7]
	v_fmac_f64_e32 v[82:83], v[50:51], v[8:9]
	v_fmac_f64_e32 v[84:85], v[54:55], v[12:13]
	v_fma_f64 v[6:7], v[48:49], v[8:9], -v[10:11]
	v_fma_f64 v[8:9], v[52:53], v[12:13], -v[14:15]
	;; [unrolled: 1-line block ×3, first 2 shown]
	v_add_f64 v[22:23], v[80:81], 0
	v_add_f64 v[4:5], v[4:5], 0
	v_mul_f64 v[86:87], v[56:57], v[18:19]
	v_mul_f64 v[18:19], v[58:59], v[18:19]
	v_add_f64 v[22:23], v[22:23], v[82:83]
	v_add_f64 v[4:5], v[4:5], v[6:7]
	v_fmac_f64_e32 v[86:87], v[58:59], v[16:17]
	v_fma_f64 v[10:11], v[56:57], v[16:17], -v[18:19]
	v_add_f64 v[6:7], v[22:23], v[84:85]
	v_add_f64 v[4:5], v[4:5], v[8:9]
	s_waitcnt vmcnt(4) lgkmcnt(3)
	v_mul_f64 v[90:91], v[64:65], v[26:27]
	v_mul_f64 v[26:27], v[66:67], v[26:27]
	v_fmac_f64_e32 v[88:89], v[62:63], v[20:21]
	v_add_f64 v[6:7], v[6:7], v[86:87]
	v_add_f64 v[4:5], v[4:5], v[10:11]
	s_waitcnt vmcnt(3) lgkmcnt(2)
	v_mul_f64 v[92:93], v[68:69], v[30:31]
	v_mul_f64 v[30:31], v[70:71], v[30:31]
	v_fmac_f64_e32 v[90:91], v[66:67], v[24:25]
	v_fma_f64 v[14:15], v[64:65], v[24:25], -v[26:27]
	v_add_f64 v[6:7], v[6:7], v[88:89]
	v_add_f64 v[4:5], v[4:5], v[12:13]
	s_waitcnt vmcnt(2) lgkmcnt(1)
	v_mul_f64 v[94:95], v[72:73], v[34:35]
	v_mul_f64 v[34:35], v[74:75], v[34:35]
	v_fmac_f64_e32 v[92:93], v[70:71], v[28:29]
	v_fma_f64 v[16:17], v[68:69], v[28:29], -v[30:31]
	;; [unrolled: 7-line block ×3, first 2 shown]
	v_add_f64 v[6:7], v[6:7], v[92:93]
	v_add_f64 v[4:5], v[4:5], v[16:17]
	v_fmac_f64_e32 v[96:97], v[78:79], v[36:37]
	v_fma_f64 v[20:21], v[76:77], v[36:37], -v[38:39]
	v_add_f64 v[6:7], v[6:7], v[94:95]
	v_add_f64 v[4:5], v[4:5], v[18:19]
	;; [unrolled: 1-line block ×4, first 2 shown]
	s_waitcnt vmcnt(0)
	v_add_f64 v[4:5], v[40:41], -v[4:5]
	v_add_f64 v[6:7], v[42:43], -v[6:7]
	scratch_store_dwordx4 off, v[4:7], off offset:336
	s_and_saveexec_b64 s[2:3], vcc
	s_cbranch_execz .LBB30_159
; %bb.158:
	scratch_load_dwordx4 v[6:9], off, s34
	v_mov_b32_e32 v3, v2
	v_mov_b32_e32 v4, v2
	;; [unrolled: 1-line block ×3, first 2 shown]
	scratch_store_dwordx4 off, v[2:5], off offset:320
	s_waitcnt vmcnt(1)
	ds_write_b128 v178, v[6:9]
.LBB30_159:
	s_or_b64 exec, exec, s[2:3]
	s_waitcnt lgkmcnt(0)
	; wave barrier
	ds_read_b128 v[4:7], v2 offset:832
	ds_read_b128 v[8:11], v2 offset:848
	;; [unrolled: 1-line block ×4, first 2 shown]
	scratch_load_dwordx4 v[20:23], off, off offset:336
	scratch_load_dwordx4 v[40:43], off, off offset:400
	;; [unrolled: 1-line block ×4, first 2 shown]
	v_cmp_lt_u32_e32 vcc, 19, v1
	scratch_load_dwordx4 v[48:51], off, off offset:416
	scratch_load_dwordx4 v[56:59], off, off offset:432
	;; [unrolled: 1-line block ×3, first 2 shown]
	s_waitcnt vmcnt(6) lgkmcnt(3)
	v_mul_f64 v[24:25], v[4:5], v[22:23]
	v_fmac_f64_e32 v[24:25], v[6:7], v[20:21]
	v_add_f64 v[28:29], v[24:25], 0
	scratch_load_dwordx4 v[24:27], off, off offset:352
	s_waitcnt vmcnt(0) lgkmcnt(2)
	v_mul_f64 v[30:31], v[8:9], v[26:27]
	v_fmac_f64_e32 v[30:31], v[10:11], v[24:25]
	v_add_f64 v[32:33], v[28:29], v[30:31]
	scratch_load_dwordx4 v[28:31], off, off offset:368
	;; [unrolled: 5-line block ×3, first 2 shown]
	s_waitcnt vmcnt(0) lgkmcnt(0)
	v_mul_f64 v[38:39], v[16:17], v[34:35]
	v_fmac_f64_e32 v[38:39], v[18:19], v[32:33]
	v_add_f64 v[44:45], v[36:37], v[38:39]
	ds_read_b128 v[36:39], v2 offset:896
	s_waitcnt lgkmcnt(0)
	v_mul_f64 v[46:47], v[36:37], v[42:43]
	v_fmac_f64_e32 v[46:47], v[38:39], v[40:41]
	v_add_f64 v[52:53], v[44:45], v[46:47]
	ds_read_b128 v[44:47], v2 offset:912
	s_waitcnt lgkmcnt(0)
	;; [unrolled: 5-line block ×6, first 2 shown]
	v_mul_f64 v[2:3], v[76:77], v[82:83]
	v_fmac_f64_e32 v[2:3], v[78:79], v[80:81]
	v_add_f64 v[84:85], v[84:85], v[2:3]
	v_mul_f64 v[2:3], v[6:7], v[22:23]
	v_fma_f64 v[2:3], v[4:5], v[20:21], -v[2:3]
	v_mul_f64 v[4:5], v[10:11], v[26:27]
	v_add_f64 v[2:3], v[2:3], 0
	v_fma_f64 v[4:5], v[8:9], v[24:25], -v[4:5]
	v_add_f64 v[2:3], v[2:3], v[4:5]
	v_mul_f64 v[4:5], v[14:15], v[30:31]
	v_fma_f64 v[4:5], v[12:13], v[28:29], -v[4:5]
	v_add_f64 v[2:3], v[2:3], v[4:5]
	v_mul_f64 v[4:5], v[18:19], v[34:35]
	;; [unrolled: 3-line block ×8, first 2 shown]
	v_fma_f64 v[4:5], v[76:77], v[80:81], -v[4:5]
	v_add_f64 v[6:7], v[2:3], v[4:5]
	scratch_load_dwordx4 v[2:5], off, off offset:320
	s_waitcnt vmcnt(0)
	v_add_f64 v[2:3], v[2:3], -v[6:7]
	v_add_f64 v[4:5], v[4:5], -v[84:85]
	scratch_store_dwordx4 off, v[2:5], off offset:320
	s_and_saveexec_b64 s[2:3], vcc
	s_cbranch_execz .LBB30_161
; %bb.160:
	scratch_load_dwordx4 v[2:5], off, s33
	v_mov_b32_e32 v6, 0
	v_mov_b32_e32 v7, v6
	;; [unrolled: 1-line block ×4, first 2 shown]
	scratch_store_dwordx4 off, v[6:9], off offset:304
	s_waitcnt vmcnt(1)
	ds_write_b128 v178, v[2:5]
.LBB30_161:
	s_or_b64 exec, exec, s[2:3]
	v_mov_b32_e32 v2, 0
	s_waitcnt lgkmcnt(0)
	; wave barrier
	ds_read_b128 v[4:7], v2 offset:816
	ds_read_b128 v[8:11], v2 offset:832
	;; [unrolled: 1-line block ×4, first 2 shown]
	scratch_load_dwordx4 v[20:23], off, off offset:320
	scratch_load_dwordx4 v[40:43], off, off offset:384
	;; [unrolled: 1-line block ×5, first 2 shown]
	v_cmp_lt_u32_e32 vcc, 18, v1
	scratch_load_dwordx4 v[48:51], off, off offset:400
	scratch_load_dwordx4 v[56:59], off, off offset:416
	;; [unrolled: 1-line block ×3, first 2 shown]
	s_waitcnt vmcnt(7) lgkmcnt(3)
	v_mul_f64 v[24:25], v[4:5], v[22:23]
	v_fmac_f64_e32 v[24:25], v[6:7], v[20:21]
	v_add_f64 v[28:29], v[24:25], 0
	scratch_load_dwordx4 v[24:27], off, off offset:336
	v_mul_f64 v[6:7], v[6:7], v[22:23]
	v_fma_f64 v[4:5], v[4:5], v[20:21], -v[6:7]
	v_add_f64 v[4:5], v[4:5], 0
	s_waitcnt vmcnt(0) lgkmcnt(2)
	v_mul_f64 v[30:31], v[8:9], v[26:27]
	v_fmac_f64_e32 v[30:31], v[10:11], v[24:25]
	v_add_f64 v[32:33], v[28:29], v[30:31]
	scratch_load_dwordx4 v[28:31], off, off offset:352
	v_mul_f64 v[6:7], v[10:11], v[26:27]
	v_fma_f64 v[6:7], v[8:9], v[24:25], -v[6:7]
	v_add_f64 v[4:5], v[4:5], v[6:7]
	;; [unrolled: 8-line block ×3, first 2 shown]
	s_waitcnt vmcnt(0) lgkmcnt(0)
	v_mul_f64 v[38:39], v[16:17], v[34:35]
	v_fmac_f64_e32 v[38:39], v[18:19], v[32:33]
	v_add_f64 v[44:45], v[36:37], v[38:39]
	ds_read_b128 v[36:39], v2 offset:880
	v_mul_f64 v[6:7], v[18:19], v[34:35]
	v_fma_f64 v[6:7], v[16:17], v[32:33], -v[6:7]
	v_add_f64 v[4:5], v[4:5], v[6:7]
	s_waitcnt lgkmcnt(0)
	v_mul_f64 v[46:47], v[36:37], v[42:43]
	v_fmac_f64_e32 v[46:47], v[38:39], v[40:41]
	v_add_f64 v[52:53], v[44:45], v[46:47]
	ds_read_b128 v[44:47], v2 offset:896
	v_mul_f64 v[6:7], v[38:39], v[42:43]
	v_fma_f64 v[6:7], v[36:37], v[40:41], -v[6:7]
	v_add_f64 v[4:5], v[4:5], v[6:7]
	s_waitcnt lgkmcnt(0)
	v_mul_f64 v[54:55], v[44:45], v[50:51]
	v_fmac_f64_e32 v[54:55], v[46:47], v[48:49]
	v_add_f64 v[60:61], v[52:53], v[54:55]
	ds_read_b128 v[52:55], v2 offset:912
	v_mul_f64 v[6:7], v[46:47], v[50:51]
	v_fma_f64 v[6:7], v[44:45], v[48:49], -v[6:7]
	v_add_f64 v[4:5], v[4:5], v[6:7]
	s_waitcnt lgkmcnt(0)
	v_mul_f64 v[62:63], v[52:53], v[58:59]
	v_fmac_f64_e32 v[62:63], v[54:55], v[56:57]
	v_add_f64 v[68:69], v[60:61], v[62:63]
	ds_read_b128 v[60:63], v2 offset:928
	v_mul_f64 v[6:7], v[54:55], v[58:59]
	v_fma_f64 v[6:7], v[52:53], v[56:57], -v[6:7]
	v_add_f64 v[4:5], v[4:5], v[6:7]
	s_waitcnt lgkmcnt(0)
	v_mul_f64 v[70:71], v[60:61], v[66:67]
	v_fmac_f64_e32 v[70:71], v[62:63], v[64:65]
	v_add_f64 v[76:77], v[68:69], v[70:71]
	ds_read_b128 v[68:71], v2 offset:944
	v_mul_f64 v[6:7], v[62:63], v[66:67]
	v_fma_f64 v[6:7], v[60:61], v[64:65], -v[6:7]
	v_add_f64 v[4:5], v[4:5], v[6:7]
	s_waitcnt lgkmcnt(0)
	v_mul_f64 v[78:79], v[68:69], v[74:75]
	v_fmac_f64_e32 v[78:79], v[70:71], v[72:73]
	v_add_f64 v[84:85], v[76:77], v[78:79]
	ds_read_b128 v[76:79], v2 offset:960
	v_mul_f64 v[6:7], v[70:71], v[74:75]
	v_fma_f64 v[6:7], v[68:69], v[72:73], -v[6:7]
	v_add_f64 v[4:5], v[4:5], v[6:7]
	s_waitcnt lgkmcnt(0)
	v_mul_f64 v[86:87], v[76:77], v[82:83]
	v_fmac_f64_e32 v[86:87], v[78:79], v[80:81]
	v_add_f64 v[92:93], v[84:85], v[86:87]
	ds_read_b128 v[84:87], v2 offset:976
	v_mul_f64 v[6:7], v[78:79], v[82:83]
	v_fma_f64 v[6:7], v[76:77], v[80:81], -v[6:7]
	v_add_f64 v[4:5], v[4:5], v[6:7]
	s_waitcnt lgkmcnt(0)
	v_mul_f64 v[6:7], v[86:87], v[90:91]
	v_fma_f64 v[6:7], v[84:85], v[88:89], -v[6:7]
	v_add_f64 v[8:9], v[4:5], v[6:7]
	scratch_load_dwordx4 v[4:7], off, off offset:304
	v_mul_f64 v[94:95], v[84:85], v[90:91]
	v_fmac_f64_e32 v[94:95], v[86:87], v[88:89]
	v_add_f64 v[92:93], v[92:93], v[94:95]
	s_waitcnt vmcnt(0)
	v_add_f64 v[4:5], v[4:5], -v[8:9]
	v_add_f64 v[6:7], v[6:7], -v[92:93]
	scratch_store_dwordx4 off, v[4:7], off offset:304
	s_and_saveexec_b64 s[2:3], vcc
	s_cbranch_execz .LBB30_163
; %bb.162:
	scratch_load_dwordx4 v[6:9], off, s31
	v_mov_b32_e32 v3, v2
	v_mov_b32_e32 v4, v2
	;; [unrolled: 1-line block ×3, first 2 shown]
	scratch_store_dwordx4 off, v[2:5], off offset:288
	s_waitcnt vmcnt(1)
	ds_write_b128 v178, v[6:9]
.LBB30_163:
	s_or_b64 exec, exec, s[2:3]
	s_waitcnt lgkmcnt(0)
	; wave barrier
	ds_read_b128 v[4:7], v2 offset:800
	ds_read_b128 v[8:11], v2 offset:816
	;; [unrolled: 1-line block ×4, first 2 shown]
	scratch_load_dwordx4 v[20:23], off, off offset:304
	scratch_load_dwordx4 v[40:43], off, off offset:368
	;; [unrolled: 1-line block ×6, first 2 shown]
	v_cmp_lt_u32_e32 vcc, 17, v1
	scratch_load_dwordx4 v[48:51], off, off offset:384
	scratch_load_dwordx4 v[56:59], off, off offset:400
	;; [unrolled: 1-line block ×3, first 2 shown]
	s_waitcnt vmcnt(8) lgkmcnt(3)
	v_mul_f64 v[24:25], v[4:5], v[22:23]
	v_fmac_f64_e32 v[24:25], v[6:7], v[20:21]
	v_add_f64 v[28:29], v[24:25], 0
	scratch_load_dwordx4 v[24:27], off, off offset:320
	s_waitcnt vmcnt(0) lgkmcnt(2)
	v_mul_f64 v[30:31], v[8:9], v[26:27]
	v_fmac_f64_e32 v[30:31], v[10:11], v[24:25]
	v_add_f64 v[32:33], v[28:29], v[30:31]
	scratch_load_dwordx4 v[28:31], off, off offset:336
	;; [unrolled: 5-line block ×3, first 2 shown]
	s_waitcnt vmcnt(0) lgkmcnt(0)
	v_mul_f64 v[38:39], v[16:17], v[34:35]
	v_fmac_f64_e32 v[38:39], v[18:19], v[32:33]
	v_add_f64 v[44:45], v[36:37], v[38:39]
	ds_read_b128 v[36:39], v2 offset:864
	s_waitcnt lgkmcnt(0)
	v_mul_f64 v[46:47], v[36:37], v[42:43]
	v_fmac_f64_e32 v[46:47], v[38:39], v[40:41]
	v_add_f64 v[52:53], v[44:45], v[46:47]
	ds_read_b128 v[44:47], v2 offset:880
	s_waitcnt lgkmcnt(0)
	;; [unrolled: 5-line block ×8, first 2 shown]
	v_mul_f64 v[2:3], v[92:93], v[98:99]
	v_fmac_f64_e32 v[2:3], v[94:95], v[96:97]
	v_add_f64 v[100:101], v[100:101], v[2:3]
	v_mul_f64 v[2:3], v[6:7], v[22:23]
	v_fma_f64 v[2:3], v[4:5], v[20:21], -v[2:3]
	v_mul_f64 v[4:5], v[10:11], v[26:27]
	v_add_f64 v[2:3], v[2:3], 0
	v_fma_f64 v[4:5], v[8:9], v[24:25], -v[4:5]
	v_add_f64 v[2:3], v[2:3], v[4:5]
	v_mul_f64 v[4:5], v[14:15], v[30:31]
	v_fma_f64 v[4:5], v[12:13], v[28:29], -v[4:5]
	v_add_f64 v[2:3], v[2:3], v[4:5]
	v_mul_f64 v[4:5], v[18:19], v[34:35]
	;; [unrolled: 3-line block ×10, first 2 shown]
	v_fma_f64 v[4:5], v[92:93], v[96:97], -v[4:5]
	v_add_f64 v[6:7], v[2:3], v[4:5]
	scratch_load_dwordx4 v[2:5], off, off offset:288
	s_waitcnt vmcnt(0)
	v_add_f64 v[2:3], v[2:3], -v[6:7]
	v_add_f64 v[4:5], v[4:5], -v[100:101]
	scratch_store_dwordx4 off, v[2:5], off offset:288
	s_and_saveexec_b64 s[2:3], vcc
	s_cbranch_execz .LBB30_165
; %bb.164:
	scratch_load_dwordx4 v[2:5], off, s30
	v_mov_b32_e32 v6, 0
	v_mov_b32_e32 v7, v6
	;; [unrolled: 1-line block ×4, first 2 shown]
	scratch_store_dwordx4 off, v[6:9], off offset:272
	s_waitcnt vmcnt(1)
	ds_write_b128 v178, v[2:5]
.LBB30_165:
	s_or_b64 exec, exec, s[2:3]
	s_waitcnt lgkmcnt(0)
	; wave barrier
	scratch_load_dwordx4 v[4:7], off, off offset:288
	scratch_load_dwordx4 v[8:11], off, off offset:304
	;; [unrolled: 1-line block ×14, first 2 shown]
	v_mov_b32_e32 v2, 0
	ds_read_b128 v[60:63], v2 offset:784
	ds_read_b128 v[64:67], v2 offset:800
	;; [unrolled: 1-line block ×13, first 2 shown]
	v_cmp_lt_u32_e32 vcc, 16, v1
	s_waitcnt vmcnt(13) lgkmcnt(12)
	v_mul_f64 v[112:113], v[60:61], v[6:7]
	v_mul_f64 v[6:7], v[62:63], v[6:7]
	s_waitcnt vmcnt(12) lgkmcnt(11)
	v_mul_f64 v[114:115], v[64:65], v[10:11]
	v_mul_f64 v[10:11], v[66:67], v[10:11]
	v_fmac_f64_e32 v[112:113], v[62:63], v[4:5]
	v_fma_f64 v[4:5], v[60:61], v[4:5], -v[6:7]
	s_waitcnt vmcnt(11) lgkmcnt(10)
	v_mul_f64 v[116:117], v[68:69], v[14:15]
	v_mul_f64 v[14:15], v[70:71], v[14:15]
	v_fma_f64 v[6:7], v[64:65], v[8:9], -v[10:11]
	v_add_f64 v[4:5], v[4:5], 0
	s_waitcnt vmcnt(10) lgkmcnt(9)
	v_mul_f64 v[118:119], v[72:73], v[18:19]
	v_mul_f64 v[18:19], v[74:75], v[18:19]
	v_fmac_f64_e32 v[114:115], v[66:67], v[8:9]
	v_fma_f64 v[8:9], v[68:69], v[12:13], -v[14:15]
	v_add_f64 v[4:5], v[4:5], v[6:7]
	s_waitcnt vmcnt(9) lgkmcnt(8)
	v_mul_f64 v[120:121], v[76:77], v[22:23]
	v_mul_f64 v[22:23], v[78:79], v[22:23]
	v_fma_f64 v[10:11], v[72:73], v[16:17], -v[18:19]
	v_add_f64 v[4:5], v[4:5], v[8:9]
	s_waitcnt vmcnt(8) lgkmcnt(7)
	v_mul_f64 v[122:123], v[80:81], v[26:27]
	v_mul_f64 v[26:27], v[82:83], v[26:27]
	v_fmac_f64_e32 v[116:117], v[70:71], v[12:13]
	v_fma_f64 v[12:13], v[76:77], v[20:21], -v[22:23]
	v_add_f64 v[22:23], v[112:113], 0
	v_add_f64 v[4:5], v[4:5], v[10:11]
	s_waitcnt vmcnt(7) lgkmcnt(6)
	v_mul_f64 v[124:125], v[84:85], v[30:31]
	v_mul_f64 v[30:31], v[86:87], v[30:31]
	v_fma_f64 v[14:15], v[80:81], v[24:25], -v[26:27]
	v_add_f64 v[22:23], v[22:23], v[114:115]
	v_add_f64 v[4:5], v[4:5], v[12:13]
	s_waitcnt vmcnt(6) lgkmcnt(5)
	v_mul_f64 v[126:127], v[88:89], v[34:35]
	v_mul_f64 v[34:35], v[90:91], v[34:35]
	v_fmac_f64_e32 v[118:119], v[74:75], v[16:17]
	v_fma_f64 v[16:17], v[84:85], v[28:29], -v[30:31]
	v_add_f64 v[6:7], v[22:23], v[116:117]
	v_add_f64 v[4:5], v[4:5], v[14:15]
	s_waitcnt vmcnt(5) lgkmcnt(4)
	v_mul_f64 v[128:129], v[92:93], v[38:39]
	v_mul_f64 v[38:39], v[94:95], v[38:39]
	v_fmac_f64_e32 v[120:121], v[78:79], v[20:21]
	v_fma_f64 v[18:19], v[88:89], v[32:33], -v[34:35]
	v_add_f64 v[6:7], v[6:7], v[118:119]
	v_add_f64 v[4:5], v[4:5], v[16:17]
	v_fmac_f64_e32 v[122:123], v[82:83], v[24:25]
	v_fma_f64 v[20:21], v[92:93], v[36:37], -v[38:39]
	v_add_f64 v[6:7], v[6:7], v[120:121]
	v_add_f64 v[4:5], v[4:5], v[18:19]
	s_waitcnt vmcnt(4) lgkmcnt(3)
	v_mul_f64 v[8:9], v[98:99], v[42:43]
	v_fmac_f64_e32 v[124:125], v[86:87], v[28:29]
	v_add_f64 v[6:7], v[6:7], v[122:123]
	v_add_f64 v[4:5], v[4:5], v[20:21]
	v_fma_f64 v[8:9], v[96:97], v[40:41], -v[8:9]
	v_fmac_f64_e32 v[126:127], v[90:91], v[32:33]
	v_add_f64 v[6:7], v[6:7], v[124:125]
	v_add_f64 v[4:5], v[4:5], v[8:9]
	s_waitcnt vmcnt(3) lgkmcnt(2)
	v_mul_f64 v[8:9], v[102:103], v[46:47]
	v_mul_f64 v[130:131], v[96:97], v[42:43]
	v_fmac_f64_e32 v[128:129], v[94:95], v[36:37]
	v_add_f64 v[6:7], v[6:7], v[126:127]
	v_fma_f64 v[8:9], v[100:101], v[44:45], -v[8:9]
	v_mul_f64 v[132:133], v[100:101], v[46:47]
	v_fmac_f64_e32 v[130:131], v[98:99], v[40:41]
	v_add_f64 v[6:7], v[6:7], v[128:129]
	v_add_f64 v[4:5], v[4:5], v[8:9]
	s_waitcnt vmcnt(2) lgkmcnt(1)
	v_mul_f64 v[8:9], v[106:107], v[50:51]
	v_mul_f64 v[134:135], v[104:105], v[50:51]
	v_fmac_f64_e32 v[132:133], v[102:103], v[44:45]
	v_add_f64 v[6:7], v[6:7], v[130:131]
	v_fma_f64 v[8:9], v[104:105], v[48:49], -v[8:9]
	s_waitcnt vmcnt(1) lgkmcnt(0)
	v_mul_f64 v[136:137], v[108:109], v[54:55]
	v_fmac_f64_e32 v[134:135], v[106:107], v[48:49]
	v_add_f64 v[6:7], v[6:7], v[132:133]
	v_add_f64 v[4:5], v[4:5], v[8:9]
	v_mul_f64 v[8:9], v[110:111], v[54:55]
	v_fmac_f64_e32 v[136:137], v[110:111], v[52:53]
	v_add_f64 v[6:7], v[6:7], v[134:135]
	v_fma_f64 v[8:9], v[108:109], v[52:53], -v[8:9]
	v_add_f64 v[6:7], v[6:7], v[136:137]
	v_add_f64 v[4:5], v[4:5], v[8:9]
	s_waitcnt vmcnt(0)
	v_add_f64 v[4:5], v[56:57], -v[4:5]
	v_add_f64 v[6:7], v[58:59], -v[6:7]
	scratch_store_dwordx4 off, v[4:7], off offset:272
	s_and_saveexec_b64 s[2:3], vcc
	s_cbranch_execz .LBB30_167
; %bb.166:
	scratch_load_dwordx4 v[6:9], off, s29
	v_mov_b32_e32 v3, v2
	v_mov_b32_e32 v4, v2
	;; [unrolled: 1-line block ×3, first 2 shown]
	scratch_store_dwordx4 off, v[2:5], off offset:256
	s_waitcnt vmcnt(1)
	ds_write_b128 v178, v[6:9]
.LBB30_167:
	s_or_b64 exec, exec, s[2:3]
	s_waitcnt lgkmcnt(0)
	; wave barrier
	scratch_load_dwordx4 v[4:7], off, off offset:272
	scratch_load_dwordx4 v[8:11], off, off offset:288
	;; [unrolled: 1-line block ×14, first 2 shown]
	ds_read_b128 v[60:63], v2 offset:768
	ds_read_b128 v[64:67], v2 offset:784
	;; [unrolled: 1-line block ×14, first 2 shown]
	scratch_load_dwordx4 v[116:119], off, off offset:256
	v_cmp_lt_u32_e32 vcc, 15, v1
	s_waitcnt vmcnt(14) lgkmcnt(13)
	v_mul_f64 v[2:3], v[60:61], v[6:7]
	s_waitcnt vmcnt(13) lgkmcnt(12)
	v_mul_f64 v[120:121], v[64:65], v[10:11]
	v_fmac_f64_e32 v[2:3], v[62:63], v[4:5]
	s_waitcnt vmcnt(12) lgkmcnt(11)
	v_mul_f64 v[122:123], v[68:69], v[14:15]
	v_fmac_f64_e32 v[120:121], v[66:67], v[8:9]
	v_add_f64 v[2:3], v[2:3], 0
	s_waitcnt vmcnt(11) lgkmcnt(10)
	v_mul_f64 v[124:125], v[72:73], v[18:19]
	v_fmac_f64_e32 v[122:123], v[70:71], v[12:13]
	v_add_f64 v[2:3], v[2:3], v[120:121]
	;; [unrolled: 4-line block ×4, first 2 shown]
	s_waitcnt vmcnt(8) lgkmcnt(7)
	v_mul_f64 v[130:131], v[84:85], v[30:31]
	v_mul_f64 v[6:7], v[62:63], v[6:7]
	v_fmac_f64_e32 v[128:129], v[82:83], v[24:25]
	v_add_f64 v[2:3], v[2:3], v[126:127]
	s_waitcnt vmcnt(7) lgkmcnt(6)
	v_mul_f64 v[132:133], v[88:89], v[34:35]
	v_mul_f64 v[10:11], v[66:67], v[10:11]
	v_fmac_f64_e32 v[130:131], v[86:87], v[28:29]
	v_fma_f64 v[4:5], v[60:61], v[4:5], -v[6:7]
	v_add_f64 v[2:3], v[2:3], v[128:129]
	s_waitcnt vmcnt(6) lgkmcnt(5)
	v_mul_f64 v[134:135], v[92:93], v[38:39]
	v_mul_f64 v[14:15], v[70:71], v[14:15]
	v_fmac_f64_e32 v[132:133], v[90:91], v[32:33]
	v_fma_f64 v[6:7], v[64:65], v[8:9], -v[10:11]
	v_add_f64 v[4:5], v[4:5], 0
	v_add_f64 v[2:3], v[2:3], v[130:131]
	s_waitcnt vmcnt(5) lgkmcnt(4)
	v_mul_f64 v[136:137], v[96:97], v[42:43]
	v_mul_f64 v[18:19], v[74:75], v[18:19]
	v_fmac_f64_e32 v[134:135], v[94:95], v[36:37]
	v_fma_f64 v[8:9], v[68:69], v[12:13], -v[14:15]
	v_add_f64 v[4:5], v[4:5], v[6:7]
	;; [unrolled: 7-line block ×6, first 2 shown]
	v_add_f64 v[2:3], v[2:3], v[140:141]
	v_fmac_f64_e32 v[144:145], v[114:115], v[56:57]
	v_fma_f64 v[18:19], v[88:89], v[32:33], -v[34:35]
	v_add_f64 v[4:5], v[4:5], v[16:17]
	v_add_f64 v[2:3], v[2:3], v[142:143]
	;; [unrolled: 1-line block ×4, first 2 shown]
	v_mul_f64 v[4:5], v[94:95], v[38:39]
	v_fma_f64 v[4:5], v[92:93], v[36:37], -v[4:5]
	v_add_f64 v[2:3], v[2:3], v[4:5]
	v_mul_f64 v[4:5], v[98:99], v[42:43]
	v_fma_f64 v[4:5], v[96:97], v[40:41], -v[4:5]
	v_add_f64 v[2:3], v[2:3], v[4:5]
	;; [unrolled: 3-line block ×6, first 2 shown]
	s_waitcnt vmcnt(0)
	v_add_f64 v[2:3], v[116:117], -v[2:3]
	v_add_f64 v[4:5], v[118:119], -v[6:7]
	scratch_store_dwordx4 off, v[2:5], off offset:256
	s_and_saveexec_b64 s[2:3], vcc
	s_cbranch_execz .LBB30_169
; %bb.168:
	scratch_load_dwordx4 v[2:5], off, s45
	v_mov_b32_e32 v6, 0
	v_mov_b32_e32 v7, v6
	v_mov_b32_e32 v8, v6
	v_mov_b32_e32 v9, v6
	scratch_store_dwordx4 off, v[6:9], off offset:240
	s_waitcnt vmcnt(1)
	ds_write_b128 v178, v[2:5]
.LBB30_169:
	s_or_b64 exec, exec, s[2:3]
	s_waitcnt lgkmcnt(0)
	; wave barrier
	scratch_load_dwordx4 v[4:7], off, off offset:256
	scratch_load_dwordx4 v[8:11], off, off offset:272
	;; [unrolled: 1-line block ×16, first 2 shown]
	v_mov_b32_e32 v2, 0
	ds_read_b128 v[68:71], v2 offset:752
	ds_read_b128 v[72:75], v2 offset:768
	ds_read_b128 v[76:79], v2 offset:784
	ds_read_b128 v[80:83], v2 offset:800
	ds_read_b128 v[84:87], v2 offset:816
	ds_read_b128 v[88:91], v2 offset:832
	ds_read_b128 v[92:95], v2 offset:848
	ds_read_b128 v[96:99], v2 offset:864
	ds_read_b128 v[100:103], v2 offset:880
	ds_read_b128 v[104:107], v2 offset:896
	ds_read_b128 v[108:111], v2 offset:912
	ds_read_b128 v[112:115], v2 offset:928
	ds_read_b128 v[116:119], v2 offset:944
	ds_read_b128 v[120:123], v2 offset:960
	ds_read_b128 v[124:127], v2 offset:976
	v_cmp_lt_u32_e32 vcc, 14, v1
	s_waitcnt vmcnt(15) lgkmcnt(14)
	v_mul_f64 v[128:129], v[68:69], v[6:7]
	v_mul_f64 v[6:7], v[70:71], v[6:7]
	s_waitcnt vmcnt(14) lgkmcnt(13)
	v_mul_f64 v[130:131], v[72:73], v[10:11]
	v_mul_f64 v[10:11], v[74:75], v[10:11]
	v_fmac_f64_e32 v[128:129], v[70:71], v[4:5]
	v_fma_f64 v[4:5], v[68:69], v[4:5], -v[6:7]
	s_waitcnt vmcnt(13) lgkmcnt(12)
	v_mul_f64 v[132:133], v[76:77], v[14:15]
	v_mul_f64 v[14:15], v[78:79], v[14:15]
	v_fma_f64 v[6:7], v[72:73], v[8:9], -v[10:11]
	v_add_f64 v[4:5], v[4:5], 0
	s_waitcnt vmcnt(12) lgkmcnt(11)
	v_mul_f64 v[134:135], v[80:81], v[18:19]
	v_mul_f64 v[18:19], v[82:83], v[18:19]
	v_fmac_f64_e32 v[130:131], v[74:75], v[8:9]
	v_fma_f64 v[8:9], v[76:77], v[12:13], -v[14:15]
	v_add_f64 v[4:5], v[4:5], v[6:7]
	s_waitcnt vmcnt(11) lgkmcnt(10)
	v_mul_f64 v[136:137], v[84:85], v[22:23]
	v_mul_f64 v[22:23], v[86:87], v[22:23]
	v_fma_f64 v[10:11], v[80:81], v[16:17], -v[18:19]
	v_add_f64 v[4:5], v[4:5], v[8:9]
	s_waitcnt vmcnt(10) lgkmcnt(9)
	v_mul_f64 v[138:139], v[88:89], v[26:27]
	v_mul_f64 v[26:27], v[90:91], v[26:27]
	v_fmac_f64_e32 v[132:133], v[78:79], v[12:13]
	v_fma_f64 v[12:13], v[84:85], v[20:21], -v[22:23]
	v_add_f64 v[4:5], v[4:5], v[10:11]
	v_fma_f64 v[14:15], v[88:89], v[24:25], -v[26:27]
	v_add_f64 v[4:5], v[4:5], v[12:13]
	s_waitcnt vmcnt(9) lgkmcnt(8)
	v_mul_f64 v[8:9], v[94:95], v[30:31]
	v_add_f64 v[4:5], v[4:5], v[14:15]
	v_fma_f64 v[8:9], v[92:93], v[28:29], -v[8:9]
	v_add_f64 v[4:5], v[4:5], v[8:9]
	s_waitcnt vmcnt(8) lgkmcnt(7)
	v_mul_f64 v[8:9], v[98:99], v[34:35]
	v_fma_f64 v[8:9], v[96:97], v[32:33], -v[8:9]
	v_fmac_f64_e32 v[134:135], v[82:83], v[16:17]
	v_add_f64 v[16:17], v[128:129], 0
	v_add_f64 v[4:5], v[4:5], v[8:9]
	s_waitcnt vmcnt(7) lgkmcnt(6)
	v_mul_f64 v[8:9], v[102:103], v[38:39]
	v_add_f64 v[16:17], v[16:17], v[130:131]
	v_fma_f64 v[8:9], v[100:101], v[36:37], -v[8:9]
	v_add_f64 v[6:7], v[16:17], v[132:133]
	v_add_f64 v[4:5], v[4:5], v[8:9]
	s_waitcnt vmcnt(6) lgkmcnt(5)
	v_mul_f64 v[8:9], v[106:107], v[42:43]
	v_fmac_f64_e32 v[136:137], v[86:87], v[20:21]
	v_add_f64 v[6:7], v[6:7], v[134:135]
	v_fma_f64 v[8:9], v[104:105], v[40:41], -v[8:9]
	v_mul_f64 v[140:141], v[92:93], v[30:31]
	v_fmac_f64_e32 v[138:139], v[90:91], v[24:25]
	v_add_f64 v[6:7], v[6:7], v[136:137]
	v_add_f64 v[4:5], v[4:5], v[8:9]
	s_waitcnt vmcnt(5) lgkmcnt(4)
	v_mul_f64 v[8:9], v[110:111], v[46:47]
	v_mul_f64 v[142:143], v[96:97], v[34:35]
	v_fmac_f64_e32 v[140:141], v[94:95], v[28:29]
	v_add_f64 v[6:7], v[6:7], v[138:139]
	v_fma_f64 v[8:9], v[108:109], v[44:45], -v[8:9]
	v_mul_f64 v[144:145], v[100:101], v[38:39]
	v_fmac_f64_e32 v[142:143], v[98:99], v[32:33]
	v_add_f64 v[6:7], v[6:7], v[140:141]
	v_add_f64 v[4:5], v[4:5], v[8:9]
	s_waitcnt vmcnt(4) lgkmcnt(3)
	v_mul_f64 v[8:9], v[114:115], v[50:51]
	v_mul_f64 v[146:147], v[104:105], v[42:43]
	v_fmac_f64_e32 v[144:145], v[102:103], v[36:37]
	v_add_f64 v[6:7], v[6:7], v[142:143]
	v_fma_f64 v[8:9], v[112:113], v[48:49], -v[8:9]
	v_mul_f64 v[148:149], v[108:109], v[46:47]
	v_fmac_f64_e32 v[146:147], v[106:107], v[40:41]
	v_add_f64 v[6:7], v[6:7], v[144:145]
	v_add_f64 v[4:5], v[4:5], v[8:9]
	s_waitcnt vmcnt(3) lgkmcnt(2)
	v_mul_f64 v[8:9], v[118:119], v[54:55]
	v_mul_f64 v[150:151], v[112:113], v[50:51]
	v_fmac_f64_e32 v[148:149], v[110:111], v[44:45]
	v_add_f64 v[6:7], v[6:7], v[146:147]
	v_fma_f64 v[8:9], v[116:117], v[52:53], -v[8:9]
	v_mul_f64 v[152:153], v[116:117], v[54:55]
	v_fmac_f64_e32 v[150:151], v[114:115], v[48:49]
	v_add_f64 v[6:7], v[6:7], v[148:149]
	v_add_f64 v[4:5], v[4:5], v[8:9]
	s_waitcnt vmcnt(2) lgkmcnt(1)
	v_mul_f64 v[8:9], v[122:123], v[58:59]
	v_mul_f64 v[154:155], v[120:121], v[58:59]
	v_fmac_f64_e32 v[152:153], v[118:119], v[52:53]
	v_add_f64 v[6:7], v[6:7], v[150:151]
	v_fma_f64 v[8:9], v[120:121], v[56:57], -v[8:9]
	s_waitcnt vmcnt(1) lgkmcnt(0)
	v_mul_f64 v[156:157], v[124:125], v[62:63]
	v_fmac_f64_e32 v[154:155], v[122:123], v[56:57]
	v_add_f64 v[6:7], v[6:7], v[152:153]
	v_add_f64 v[4:5], v[4:5], v[8:9]
	v_mul_f64 v[8:9], v[126:127], v[62:63]
	v_fmac_f64_e32 v[156:157], v[126:127], v[60:61]
	v_add_f64 v[6:7], v[6:7], v[154:155]
	v_fma_f64 v[8:9], v[124:125], v[60:61], -v[8:9]
	v_add_f64 v[6:7], v[6:7], v[156:157]
	v_add_f64 v[4:5], v[4:5], v[8:9]
	s_waitcnt vmcnt(0)
	v_add_f64 v[4:5], v[64:65], -v[4:5]
	v_add_f64 v[6:7], v[66:67], -v[6:7]
	scratch_store_dwordx4 off, v[4:7], off offset:240
	s_and_saveexec_b64 s[2:3], vcc
	s_cbranch_execz .LBB30_171
; %bb.170:
	scratch_load_dwordx4 v[6:9], off, s48
	v_mov_b32_e32 v3, v2
	v_mov_b32_e32 v4, v2
	;; [unrolled: 1-line block ×3, first 2 shown]
	scratch_store_dwordx4 off, v[2:5], off offset:224
	s_waitcnt vmcnt(1)
	ds_write_b128 v178, v[6:9]
.LBB30_171:
	s_or_b64 exec, exec, s[2:3]
	s_waitcnt lgkmcnt(0)
	; wave barrier
	scratch_load_dwordx4 v[4:7], off, off offset:240
	scratch_load_dwordx4 v[8:11], off, off offset:256
	;; [unrolled: 1-line block ×16, first 2 shown]
	ds_read_b128 v[68:71], v2 offset:736
	ds_read_b128 v[72:75], v2 offset:752
	;; [unrolled: 1-line block ×16, first 2 shown]
	scratch_load_dwordx4 v[132:135], off, off offset:224
	v_cmp_lt_u32_e32 vcc, 13, v1
	s_waitcnt vmcnt(16) lgkmcnt(14)
	v_mul_f64 v[2:3], v[68:69], v[6:7]
	s_waitcnt vmcnt(15)
	v_mul_f64 v[136:137], v[72:73], v[10:11]
	v_fmac_f64_e32 v[2:3], v[70:71], v[4:5]
	s_waitcnt vmcnt(14) lgkmcnt(13)
	v_mul_f64 v[138:139], v[76:77], v[14:15]
	v_fmac_f64_e32 v[136:137], v[74:75], v[8:9]
	v_add_f64 v[2:3], v[2:3], 0
	s_waitcnt vmcnt(13) lgkmcnt(12)
	v_mul_f64 v[140:141], v[80:81], v[18:19]
	v_fmac_f64_e32 v[138:139], v[78:79], v[12:13]
	v_add_f64 v[2:3], v[2:3], v[136:137]
	;; [unrolled: 4-line block ×10, first 2 shown]
	s_waitcnt vmcnt(4) lgkmcnt(3)
	v_mul_f64 v[158:159], v[116:117], v[54:55]
	v_mul_f64 v[6:7], v[70:71], v[6:7]
	v_fmac_f64_e32 v[156:157], v[114:115], v[48:49]
	v_add_f64 v[2:3], v[2:3], v[154:155]
	s_waitcnt vmcnt(3) lgkmcnt(2)
	v_mul_f64 v[160:161], v[120:121], v[58:59]
	v_mul_f64 v[10:11], v[74:75], v[10:11]
	v_fmac_f64_e32 v[158:159], v[118:119], v[52:53]
	v_fma_f64 v[4:5], v[68:69], v[4:5], -v[6:7]
	v_add_f64 v[2:3], v[2:3], v[156:157]
	s_waitcnt vmcnt(2) lgkmcnt(1)
	v_mul_f64 v[162:163], v[124:125], v[62:63]
	v_mul_f64 v[14:15], v[78:79], v[14:15]
	v_fmac_f64_e32 v[160:161], v[122:123], v[56:57]
	v_fma_f64 v[6:7], v[72:73], v[8:9], -v[10:11]
	v_add_f64 v[4:5], v[4:5], 0
	v_add_f64 v[2:3], v[2:3], v[158:159]
	s_waitcnt vmcnt(1) lgkmcnt(0)
	v_mul_f64 v[164:165], v[128:129], v[66:67]
	v_mul_f64 v[18:19], v[82:83], v[18:19]
	v_fmac_f64_e32 v[162:163], v[126:127], v[60:61]
	v_fma_f64 v[8:9], v[76:77], v[12:13], -v[14:15]
	v_add_f64 v[4:5], v[4:5], v[6:7]
	v_add_f64 v[2:3], v[2:3], v[160:161]
	v_mul_f64 v[26:27], v[86:87], v[26:27]
	v_fmac_f64_e32 v[164:165], v[130:131], v[64:65]
	v_fma_f64 v[10:11], v[80:81], v[16:17], -v[18:19]
	v_add_f64 v[4:5], v[4:5], v[8:9]
	v_add_f64 v[2:3], v[2:3], v[162:163]
	v_fma_f64 v[12:13], v[84:85], v[24:25], -v[26:27]
	v_add_f64 v[4:5], v[4:5], v[10:11]
	v_add_f64 v[6:7], v[2:3], v[164:165]
	v_mul_f64 v[2:3], v[90:91], v[22:23]
	v_add_f64 v[4:5], v[4:5], v[12:13]
	v_fma_f64 v[2:3], v[88:89], v[20:21], -v[2:3]
	v_add_f64 v[2:3], v[4:5], v[2:3]
	v_mul_f64 v[4:5], v[94:95], v[30:31]
	v_fma_f64 v[4:5], v[92:93], v[28:29], -v[4:5]
	v_add_f64 v[2:3], v[2:3], v[4:5]
	v_mul_f64 v[4:5], v[98:99], v[34:35]
	v_fma_f64 v[4:5], v[96:97], v[32:33], -v[4:5]
	v_add_f64 v[2:3], v[2:3], v[4:5]
	v_mul_f64 v[4:5], v[102:103], v[38:39]
	v_fma_f64 v[4:5], v[100:101], v[36:37], -v[4:5]
	v_add_f64 v[2:3], v[2:3], v[4:5]
	v_mul_f64 v[4:5], v[106:107], v[42:43]
	v_fma_f64 v[4:5], v[104:105], v[40:41], -v[4:5]
	v_add_f64 v[2:3], v[2:3], v[4:5]
	v_mul_f64 v[4:5], v[110:111], v[46:47]
	v_fma_f64 v[4:5], v[108:109], v[44:45], -v[4:5]
	v_add_f64 v[2:3], v[2:3], v[4:5]
	v_mul_f64 v[4:5], v[114:115], v[50:51]
	v_fma_f64 v[4:5], v[112:113], v[48:49], -v[4:5]
	v_add_f64 v[2:3], v[2:3], v[4:5]
	v_mul_f64 v[4:5], v[118:119], v[54:55]
	v_fma_f64 v[4:5], v[116:117], v[52:53], -v[4:5]
	v_add_f64 v[2:3], v[2:3], v[4:5]
	v_mul_f64 v[4:5], v[122:123], v[58:59]
	v_fma_f64 v[4:5], v[120:121], v[56:57], -v[4:5]
	v_add_f64 v[2:3], v[2:3], v[4:5]
	v_mul_f64 v[4:5], v[126:127], v[62:63]
	v_fma_f64 v[4:5], v[124:125], v[60:61], -v[4:5]
	v_add_f64 v[2:3], v[2:3], v[4:5]
	v_mul_f64 v[4:5], v[130:131], v[66:67]
	v_fma_f64 v[4:5], v[128:129], v[64:65], -v[4:5]
	v_add_f64 v[2:3], v[2:3], v[4:5]
	s_waitcnt vmcnt(0)
	v_add_f64 v[2:3], v[132:133], -v[2:3]
	v_add_f64 v[4:5], v[134:135], -v[6:7]
	scratch_store_dwordx4 off, v[2:5], off offset:224
	s_and_saveexec_b64 s[2:3], vcc
	s_cbranch_execz .LBB30_173
; %bb.172:
	scratch_load_dwordx4 v[2:5], off, s47
	v_mov_b32_e32 v6, 0
	v_mov_b32_e32 v7, v6
	;; [unrolled: 1-line block ×4, first 2 shown]
	scratch_store_dwordx4 off, v[6:9], off offset:208
	s_waitcnt vmcnt(1)
	ds_write_b128 v178, v[2:5]
.LBB30_173:
	s_or_b64 exec, exec, s[2:3]
	s_waitcnt lgkmcnt(0)
	; wave barrier
	scratch_load_dwordx4 v[4:7], off, off offset:224
	scratch_load_dwordx4 v[8:11], off, off offset:240
	;; [unrolled: 1-line block ×18, first 2 shown]
	v_mov_b32_e32 v2, 0
	ds_read_b128 v[76:79], v2 offset:720
	ds_read_b128 v[80:83], v2 offset:736
	;; [unrolled: 1-line block ×17, first 2 shown]
	v_cmp_lt_u32_e32 vcc, 12, v1
	s_waitcnt vmcnt(17) lgkmcnt(14)
	v_mul_f64 v[144:145], v[76:77], v[6:7]
	v_mul_f64 v[6:7], v[78:79], v[6:7]
	s_waitcnt vmcnt(16)
	v_mul_f64 v[146:147], v[80:81], v[10:11]
	v_mul_f64 v[10:11], v[82:83], v[10:11]
	v_fmac_f64_e32 v[144:145], v[78:79], v[4:5]
	v_fma_f64 v[4:5], v[76:77], v[4:5], -v[6:7]
	s_waitcnt vmcnt(15)
	v_mul_f64 v[148:149], v[84:85], v[18:19]
	v_mul_f64 v[18:19], v[86:87], v[18:19]
	v_fma_f64 v[6:7], v[80:81], v[8:9], -v[10:11]
	v_add_f64 v[4:5], v[4:5], 0
	s_waitcnt vmcnt(14) lgkmcnt(13)
	v_mul_f64 v[150:151], v[88:89], v[14:15]
	v_mul_f64 v[14:15], v[90:91], v[14:15]
	v_fmac_f64_e32 v[146:147], v[82:83], v[8:9]
	v_fma_f64 v[8:9], v[84:85], v[16:17], -v[18:19]
	v_add_f64 v[4:5], v[4:5], v[6:7]
	v_add_f64 v[4:5], v[4:5], v[8:9]
	v_fma_f64 v[8:9], v[88:89], v[12:13], -v[14:15]
	v_add_f64 v[4:5], v[4:5], v[8:9]
	s_waitcnt vmcnt(13) lgkmcnt(12)
	v_mul_f64 v[8:9], v[94:95], v[22:23]
	v_fma_f64 v[8:9], v[92:93], v[20:21], -v[8:9]
	v_add_f64 v[4:5], v[4:5], v[8:9]
	s_waitcnt vmcnt(12) lgkmcnt(11)
	v_mul_f64 v[8:9], v[98:99], v[26:27]
	;; [unrolled: 4-line block ×5, first 2 shown]
	v_fma_f64 v[8:9], v[108:109], v[36:37], -v[8:9]
	v_add_f64 v[10:11], v[144:145], 0
	v_add_f64 v[4:5], v[4:5], v[8:9]
	s_waitcnt vmcnt(8) lgkmcnt(7)
	v_mul_f64 v[8:9], v[114:115], v[42:43]
	v_fmac_f64_e32 v[148:149], v[86:87], v[16:17]
	v_add_f64 v[10:11], v[10:11], v[146:147]
	v_fma_f64 v[8:9], v[112:113], v[40:41], -v[8:9]
	v_mul_f64 v[152:153], v[92:93], v[22:23]
	v_fmac_f64_e32 v[150:151], v[90:91], v[12:13]
	v_add_f64 v[6:7], v[10:11], v[148:149]
	v_add_f64 v[4:5], v[4:5], v[8:9]
	s_waitcnt vmcnt(7) lgkmcnt(6)
	v_mul_f64 v[8:9], v[118:119], v[46:47]
	v_mul_f64 v[154:155], v[96:97], v[26:27]
	v_fmac_f64_e32 v[152:153], v[94:95], v[20:21]
	v_add_f64 v[6:7], v[6:7], v[150:151]
	v_fma_f64 v[8:9], v[116:117], v[44:45], -v[8:9]
	v_mul_f64 v[156:157], v[100:101], v[30:31]
	v_fmac_f64_e32 v[154:155], v[98:99], v[24:25]
	v_add_f64 v[6:7], v[6:7], v[152:153]
	v_add_f64 v[4:5], v[4:5], v[8:9]
	s_waitcnt vmcnt(6) lgkmcnt(5)
	v_mul_f64 v[8:9], v[122:123], v[50:51]
	;; [unrolled: 10-line block ×6, first 2 shown]
	v_mul_f64 v[174:175], v[136:137], v[66:67]
	v_fmac_f64_e32 v[172:173], v[134:135], v[60:61]
	v_add_f64 v[6:7], v[6:7], v[170:171]
	v_fma_f64 v[8:9], v[136:137], v[64:65], -v[8:9]
	s_waitcnt vmcnt(1) lgkmcnt(0)
	v_mul_f64 v[176:177], v[140:141], v[70:71]
	v_fmac_f64_e32 v[174:175], v[138:139], v[64:65]
	v_add_f64 v[6:7], v[6:7], v[172:173]
	v_add_f64 v[4:5], v[4:5], v[8:9]
	v_mul_f64 v[8:9], v[142:143], v[70:71]
	v_fmac_f64_e32 v[176:177], v[142:143], v[68:69]
	v_add_f64 v[6:7], v[6:7], v[174:175]
	v_fma_f64 v[8:9], v[140:141], v[68:69], -v[8:9]
	v_add_f64 v[6:7], v[6:7], v[176:177]
	v_add_f64 v[4:5], v[4:5], v[8:9]
	s_waitcnt vmcnt(0)
	v_add_f64 v[4:5], v[72:73], -v[4:5]
	v_add_f64 v[6:7], v[74:75], -v[6:7]
	scratch_store_dwordx4 off, v[4:7], off offset:208
	s_and_saveexec_b64 s[2:3], vcc
	s_cbranch_execz .LBB30_175
; %bb.174:
	scratch_load_dwordx4 v[6:9], off, s46
	v_mov_b32_e32 v3, v2
	v_mov_b32_e32 v4, v2
	;; [unrolled: 1-line block ×3, first 2 shown]
	scratch_store_dwordx4 off, v[2:5], off offset:192
	s_waitcnt vmcnt(1)
	ds_write_b128 v178, v[6:9]
.LBB30_175:
	s_or_b64 exec, exec, s[2:3]
	s_waitcnt lgkmcnt(0)
	; wave barrier
	scratch_load_dwordx4 v[4:7], off, off offset:208
	scratch_load_dwordx4 v[12:15], off, off offset:224
	;; [unrolled: 1-line block ×18, first 2 shown]
	ds_read_b128 v[76:79], v2 offset:704
	ds_read_b128 v[80:83], v2 offset:720
	;; [unrolled: 1-line block ×18, first 2 shown]
	scratch_load_dwordx4 v[148:151], off, off offset:192
	v_cmp_lt_u32_e32 vcc, 11, v1
	s_waitcnt vmcnt(18) lgkmcnt(14)
	v_mul_f64 v[2:3], v[76:77], v[6:7]
	s_waitcnt vmcnt(17)
	v_mul_f64 v[152:153], v[80:81], v[14:15]
	v_fmac_f64_e32 v[2:3], v[78:79], v[4:5]
	s_waitcnt vmcnt(16)
	v_mul_f64 v[154:155], v[84:85], v[10:11]
	v_fmac_f64_e32 v[152:153], v[82:83], v[12:13]
	v_add_f64 v[2:3], v[2:3], 0
	s_waitcnt vmcnt(15)
	v_mul_f64 v[156:157], v[88:89], v[18:19]
	v_fmac_f64_e32 v[154:155], v[86:87], v[8:9]
	v_add_f64 v[2:3], v[2:3], v[152:153]
	s_waitcnt vmcnt(14) lgkmcnt(13)
	v_mul_f64 v[158:159], v[92:93], v[22:23]
	v_fmac_f64_e32 v[156:157], v[90:91], v[16:17]
	v_add_f64 v[2:3], v[2:3], v[154:155]
	s_waitcnt vmcnt(13) lgkmcnt(12)
	;; [unrolled: 4-line block ×13, first 2 shown]
	v_mul_f64 v[184:185], v[140:141], v[70:71]
	v_mul_f64 v[6:7], v[78:79], v[6:7]
	v_fmac_f64_e32 v[182:183], v[138:139], v[64:65]
	v_add_f64 v[2:3], v[2:3], v[180:181]
	s_waitcnt vmcnt(1) lgkmcnt(0)
	v_mul_f64 v[186:187], v[144:145], v[74:75]
	v_mul_f64 v[14:15], v[82:83], v[14:15]
	v_fmac_f64_e32 v[184:185], v[142:143], v[68:69]
	v_fma_f64 v[4:5], v[76:77], v[4:5], -v[6:7]
	v_add_f64 v[2:3], v[2:3], v[182:183]
	v_mul_f64 v[10:11], v[86:87], v[10:11]
	v_fmac_f64_e32 v[186:187], v[146:147], v[72:73]
	v_fma_f64 v[6:7], v[80:81], v[12:13], -v[14:15]
	v_add_f64 v[4:5], v[4:5], 0
	v_add_f64 v[2:3], v[2:3], v[184:185]
	;; [unrolled: 1-line block ×4, first 2 shown]
	v_fma_f64 v[2:3], v[84:85], v[8:9], -v[10:11]
	v_add_f64 v[2:3], v[4:5], v[2:3]
	v_mul_f64 v[4:5], v[90:91], v[18:19]
	v_fma_f64 v[4:5], v[88:89], v[16:17], -v[4:5]
	v_add_f64 v[2:3], v[2:3], v[4:5]
	v_mul_f64 v[4:5], v[94:95], v[22:23]
	;; [unrolled: 3-line block ×15, first 2 shown]
	v_fma_f64 v[4:5], v[144:145], v[72:73], -v[4:5]
	v_add_f64 v[2:3], v[2:3], v[4:5]
	s_waitcnt vmcnt(0)
	v_add_f64 v[2:3], v[148:149], -v[2:3]
	v_add_f64 v[4:5], v[150:151], -v[6:7]
	scratch_store_dwordx4 off, v[2:5], off offset:192
	s_and_saveexec_b64 s[2:3], vcc
	s_cbranch_execz .LBB30_177
; %bb.176:
	scratch_load_dwordx4 v[2:5], off, s28
	v_mov_b32_e32 v6, 0
	v_mov_b32_e32 v7, v6
	;; [unrolled: 1-line block ×4, first 2 shown]
	scratch_store_dwordx4 off, v[6:9], off offset:176
	s_waitcnt vmcnt(1)
	ds_write_b128 v178, v[2:5]
.LBB30_177:
	s_or_b64 exec, exec, s[2:3]
	v_mov_b32_e32 v2, 0
	s_waitcnt lgkmcnt(0)
	; wave barrier
	ds_read_b128 v[16:19], v2 offset:688
	ds_read_b128 v[12:15], v2 offset:704
	;; [unrolled: 1-line block ×4, first 2 shown]
	scratch_load_dwordx4 v[20:23], off, off offset:192
	scratch_load_dwordx4 v[40:43], off, off offset:256
	scratch_load_dwordx4 v[72:75], off, off offset:320
	scratch_load_dwordx4 v[80:83], off, off offset:336
	scratch_load_dwordx4 v[90:93], off, off offset:352
	scratch_load_dwordx4 v[98:101], off, off offset:368
	scratch_load_dwordx4 v[106:109], off, off offset:384
	scratch_load_dwordx4 v[114:117], off, off offset:400
	scratch_load_dwordx4 v[122:125], off, off offset:416
	scratch_load_dwordx4 v[130:133], off, off offset:432
	scratch_load_dwordx4 v[138:141], off, off offset:448
	scratch_load_dwordx4 v[146:149], off, off offset:464
	scratch_load_dwordx4 v[154:157], off, off offset:480
	v_cmp_lt_u32_e32 vcc, 10, v1
	scratch_load_dwordx4 v[48:51], off, off offset:272
	scratch_load_dwordx4 v[56:59], off, off offset:288
	;; [unrolled: 1-line block ×3, first 2 shown]
	s_waitcnt vmcnt(15) lgkmcnt(3)
	v_mul_f64 v[24:25], v[16:17], v[22:23]
	v_fmac_f64_e32 v[24:25], v[18:19], v[20:21]
	v_add_f64 v[28:29], v[24:25], 0
	scratch_load_dwordx4 v[24:27], off, off offset:208
	v_mul_f64 v[18:19], v[18:19], v[22:23]
	v_fma_f64 v[16:17], v[16:17], v[20:21], -v[18:19]
	v_add_f64 v[16:17], v[16:17], 0
	s_waitcnt vmcnt(0) lgkmcnt(2)
	v_mul_f64 v[30:31], v[12:13], v[26:27]
	v_fmac_f64_e32 v[30:31], v[14:15], v[24:25]
	v_add_f64 v[32:33], v[28:29], v[30:31]
	scratch_load_dwordx4 v[28:31], off, off offset:224
	v_mul_f64 v[14:15], v[14:15], v[26:27]
	v_fma_f64 v[12:13], v[12:13], v[24:25], -v[14:15]
	v_add_f64 v[12:13], v[16:17], v[12:13]
	;; [unrolled: 8-line block ×3, first 2 shown]
	s_waitcnt vmcnt(0) lgkmcnt(0)
	v_mul_f64 v[38:39], v[4:5], v[34:35]
	v_fmac_f64_e32 v[38:39], v[6:7], v[32:33]
	v_add_f64 v[44:45], v[36:37], v[38:39]
	ds_read_b128 v[36:39], v2 offset:752
	v_mul_f64 v[6:7], v[6:7], v[34:35]
	v_fma_f64 v[4:5], v[4:5], v[32:33], -v[6:7]
	v_add_f64 v[4:5], v[8:9], v[4:5]
	s_waitcnt lgkmcnt(0)
	v_mul_f64 v[46:47], v[36:37], v[42:43]
	v_fmac_f64_e32 v[46:47], v[38:39], v[40:41]
	v_add_f64 v[52:53], v[44:45], v[46:47]
	ds_read_b128 v[44:47], v2 offset:768
	v_mul_f64 v[6:7], v[38:39], v[42:43]
	v_fma_f64 v[6:7], v[36:37], v[40:41], -v[6:7]
	v_add_f64 v[4:5], v[4:5], v[6:7]
	s_waitcnt lgkmcnt(0)
	;; [unrolled: 8-line block ×15, first 2 shown]
	v_mul_f64 v[6:7], v[152:153], v[156:157]
	v_fma_f64 v[6:7], v[150:151], v[154:155], -v[6:7]
	v_add_f64 v[8:9], v[4:5], v[6:7]
	scratch_load_dwordx4 v[4:7], off, off offset:176
	v_mul_f64 v[158:159], v[150:151], v[156:157]
	v_fmac_f64_e32 v[158:159], v[152:153], v[154:155]
	v_add_f64 v[88:89], v[88:89], v[158:159]
	s_waitcnt vmcnt(0)
	v_add_f64 v[4:5], v[4:5], -v[8:9]
	v_add_f64 v[6:7], v[6:7], -v[88:89]
	scratch_store_dwordx4 off, v[4:7], off offset:176
	s_and_saveexec_b64 s[2:3], vcc
	s_cbranch_execz .LBB30_179
; %bb.178:
	scratch_load_dwordx4 v[6:9], off, s26
	v_mov_b32_e32 v3, v2
	v_mov_b32_e32 v4, v2
	;; [unrolled: 1-line block ×3, first 2 shown]
	scratch_store_dwordx4 off, v[2:5], off offset:160
	s_waitcnt vmcnt(1)
	ds_write_b128 v178, v[6:9]
.LBB30_179:
	s_or_b64 exec, exec, s[2:3]
	s_waitcnt lgkmcnt(0)
	; wave barrier
	ds_read_b128 v[16:19], v2 offset:672
	ds_read_b128 v[12:15], v2 offset:688
	;; [unrolled: 1-line block ×4, first 2 shown]
	scratch_load_dwordx4 v[20:23], off, off offset:176
	scratch_load_dwordx4 v[40:43], off, off offset:240
	;; [unrolled: 1-line block ×14, first 2 shown]
	v_cmp_lt_u32_e32 vcc, 9, v1
	scratch_load_dwordx4 v[48:51], off, off offset:256
	scratch_load_dwordx4 v[56:59], off, off offset:272
	;; [unrolled: 1-line block ×3, first 2 shown]
	s_waitcnt vmcnt(16) lgkmcnt(3)
	v_mul_f64 v[24:25], v[16:17], v[22:23]
	v_fmac_f64_e32 v[24:25], v[18:19], v[20:21]
	v_add_f64 v[28:29], v[24:25], 0
	scratch_load_dwordx4 v[24:27], off, off offset:192
	s_waitcnt vmcnt(0) lgkmcnt(2)
	v_mul_f64 v[30:31], v[12:13], v[26:27]
	v_fmac_f64_e32 v[30:31], v[14:15], v[24:25]
	v_add_f64 v[32:33], v[28:29], v[30:31]
	scratch_load_dwordx4 v[28:31], off, off offset:208
	v_mul_f64 v[14:15], v[14:15], v[26:27]
	v_fma_f64 v[12:13], v[12:13], v[24:25], -v[14:15]
	s_waitcnt vmcnt(0) lgkmcnt(1)
	v_mul_f64 v[34:35], v[8:9], v[30:31]
	v_fmac_f64_e32 v[34:35], v[10:11], v[28:29]
	v_add_f64 v[36:37], v[32:33], v[34:35]
	scratch_load_dwordx4 v[32:35], off, off offset:224
	v_mul_f64 v[10:11], v[10:11], v[30:31]
	v_fma_f64 v[8:9], v[8:9], v[28:29], -v[10:11]
	s_waitcnt vmcnt(0) lgkmcnt(0)
	v_mul_f64 v[38:39], v[4:5], v[34:35]
	v_fmac_f64_e32 v[38:39], v[6:7], v[32:33]
	v_add_f64 v[44:45], v[36:37], v[38:39]
	ds_read_b128 v[36:39], v2 offset:736
	v_mul_f64 v[6:7], v[6:7], v[34:35]
	v_fma_f64 v[4:5], v[4:5], v[32:33], -v[6:7]
	s_waitcnt lgkmcnt(0)
	v_mul_f64 v[46:47], v[36:37], v[42:43]
	v_fmac_f64_e32 v[46:47], v[38:39], v[40:41]
	v_add_f64 v[52:53], v[44:45], v[46:47]
	ds_read_b128 v[44:47], v2 offset:752
	s_waitcnt lgkmcnt(0)
	v_mul_f64 v[54:55], v[44:45], v[50:51]
	v_fmac_f64_e32 v[54:55], v[46:47], v[48:49]
	v_add_f64 v[60:61], v[52:53], v[54:55]
	ds_read_b128 v[52:55], v2 offset:768
	;; [unrolled: 5-line block ×15, first 2 shown]
	s_waitcnt lgkmcnt(0)
	v_mul_f64 v[2:3], v[158:159], v[164:165]
	v_fmac_f64_e32 v[2:3], v[160:161], v[162:163]
	v_add_f64 v[96:97], v[96:97], v[2:3]
	v_mul_f64 v[2:3], v[18:19], v[22:23]
	v_fma_f64 v[2:3], v[16:17], v[20:21], -v[2:3]
	v_add_f64 v[2:3], v[2:3], 0
	v_add_f64 v[2:3], v[2:3], v[12:13]
	;; [unrolled: 1-line block ×4, first 2 shown]
	v_mul_f64 v[4:5], v[38:39], v[42:43]
	v_fma_f64 v[4:5], v[36:37], v[40:41], -v[4:5]
	v_add_f64 v[2:3], v[2:3], v[4:5]
	v_mul_f64 v[4:5], v[46:47], v[50:51]
	v_fma_f64 v[4:5], v[44:45], v[48:49], -v[4:5]
	v_add_f64 v[2:3], v[2:3], v[4:5]
	;; [unrolled: 3-line block ×16, first 2 shown]
	scratch_load_dwordx4 v[2:5], off, off offset:160
	s_waitcnt vmcnt(0)
	v_add_f64 v[2:3], v[2:3], -v[6:7]
	v_add_f64 v[4:5], v[4:5], -v[96:97]
	scratch_store_dwordx4 off, v[2:5], off offset:160
	s_and_saveexec_b64 s[2:3], vcc
	s_cbranch_execz .LBB30_181
; %bb.180:
	scratch_load_dwordx4 v[2:5], off, s24
	v_mov_b32_e32 v6, 0
	v_mov_b32_e32 v7, v6
	;; [unrolled: 1-line block ×4, first 2 shown]
	scratch_store_dwordx4 off, v[6:9], off offset:144
	s_waitcnt vmcnt(1)
	ds_write_b128 v178, v[2:5]
.LBB30_181:
	s_or_b64 exec, exec, s[2:3]
	v_mov_b32_e32 v2, 0
	s_waitcnt lgkmcnt(0)
	; wave barrier
	ds_read_b128 v[16:19], v2 offset:656
	ds_read_b128 v[12:15], v2 offset:672
	;; [unrolled: 1-line block ×4, first 2 shown]
	scratch_load_dwordx4 v[20:23], off, off offset:160
	scratch_load_dwordx4 v[40:43], off, off offset:224
	;; [unrolled: 1-line block ×15, first 2 shown]
	v_cmp_lt_u32_e32 vcc, 8, v1
	scratch_load_dwordx4 v[48:51], off, off offset:240
	scratch_load_dwordx4 v[56:59], off, off offset:256
	;; [unrolled: 1-line block ×3, first 2 shown]
	s_waitcnt vmcnt(17) lgkmcnt(3)
	v_mul_f64 v[24:25], v[16:17], v[22:23]
	v_fmac_f64_e32 v[24:25], v[18:19], v[20:21]
	v_add_f64 v[28:29], v[24:25], 0
	scratch_load_dwordx4 v[24:27], off, off offset:176
	v_mul_f64 v[18:19], v[18:19], v[22:23]
	v_fma_f64 v[16:17], v[16:17], v[20:21], -v[18:19]
	v_add_f64 v[16:17], v[16:17], 0
	s_waitcnt vmcnt(0) lgkmcnt(2)
	v_mul_f64 v[30:31], v[12:13], v[26:27]
	v_fmac_f64_e32 v[30:31], v[14:15], v[24:25]
	v_add_f64 v[32:33], v[28:29], v[30:31]
	scratch_load_dwordx4 v[28:31], off, off offset:192
	v_mul_f64 v[14:15], v[14:15], v[26:27]
	v_fma_f64 v[12:13], v[12:13], v[24:25], -v[14:15]
	v_add_f64 v[12:13], v[16:17], v[12:13]
	;; [unrolled: 8-line block ×3, first 2 shown]
	s_waitcnt vmcnt(0) lgkmcnt(0)
	v_mul_f64 v[38:39], v[4:5], v[34:35]
	v_fmac_f64_e32 v[38:39], v[6:7], v[32:33]
	v_add_f64 v[44:45], v[36:37], v[38:39]
	ds_read_b128 v[36:39], v2 offset:720
	v_mul_f64 v[6:7], v[6:7], v[34:35]
	v_fma_f64 v[4:5], v[4:5], v[32:33], -v[6:7]
	v_add_f64 v[4:5], v[8:9], v[4:5]
	s_waitcnt lgkmcnt(0)
	v_mul_f64 v[46:47], v[36:37], v[42:43]
	v_fmac_f64_e32 v[46:47], v[38:39], v[40:41]
	v_add_f64 v[52:53], v[44:45], v[46:47]
	ds_read_b128 v[44:47], v2 offset:736
	v_mul_f64 v[6:7], v[38:39], v[42:43]
	v_fma_f64 v[6:7], v[36:37], v[40:41], -v[6:7]
	v_add_f64 v[4:5], v[4:5], v[6:7]
	s_waitcnt lgkmcnt(0)
	;; [unrolled: 8-line block ×17, first 2 shown]
	v_mul_f64 v[6:7], v[168:169], v[172:173]
	v_fma_f64 v[6:7], v[166:167], v[170:171], -v[6:7]
	v_add_f64 v[8:9], v[4:5], v[6:7]
	scratch_load_dwordx4 v[4:7], off, off offset:144
	v_mul_f64 v[174:175], v[166:167], v[172:173]
	v_fmac_f64_e32 v[174:175], v[168:169], v[170:171]
	v_add_f64 v[104:105], v[104:105], v[174:175]
	s_waitcnt vmcnt(0)
	v_add_f64 v[4:5], v[4:5], -v[8:9]
	v_add_f64 v[6:7], v[6:7], -v[104:105]
	scratch_store_dwordx4 off, v[4:7], off offset:144
	s_and_saveexec_b64 s[2:3], vcc
	s_cbranch_execz .LBB30_183
; %bb.182:
	scratch_load_dwordx4 v[6:9], off, s17
	v_mov_b32_e32 v3, v2
	v_mov_b32_e32 v4, v2
	;; [unrolled: 1-line block ×3, first 2 shown]
	scratch_store_dwordx4 off, v[2:5], off offset:128
	s_waitcnt vmcnt(1)
	ds_write_b128 v178, v[6:9]
.LBB30_183:
	s_or_b64 exec, exec, s[2:3]
	s_waitcnt lgkmcnt(0)
	; wave barrier
	ds_read_b128 v[16:19], v2 offset:640
	ds_read_b128 v[12:15], v2 offset:656
	;; [unrolled: 1-line block ×4, first 2 shown]
	scratch_load_dwordx4 v[20:23], off, off offset:144
	scratch_load_dwordx4 v[40:43], off, off offset:208
	;; [unrolled: 1-line block ×16, first 2 shown]
	v_cmp_lt_u32_e32 vcc, 7, v1
	scratch_load_dwordx4 v[48:51], off, off offset:224
	scratch_load_dwordx4 v[56:59], off, off offset:240
	;; [unrolled: 1-line block ×3, first 2 shown]
	s_waitcnt vmcnt(18) lgkmcnt(3)
	v_mul_f64 v[24:25], v[16:17], v[22:23]
	v_fmac_f64_e32 v[24:25], v[18:19], v[20:21]
	v_add_f64 v[28:29], v[24:25], 0
	scratch_load_dwordx4 v[24:27], off, off offset:160
	s_waitcnt vmcnt(0) lgkmcnt(2)
	v_mul_f64 v[30:31], v[12:13], v[26:27]
	v_fmac_f64_e32 v[30:31], v[14:15], v[24:25]
	v_add_f64 v[32:33], v[28:29], v[30:31]
	scratch_load_dwordx4 v[28:31], off, off offset:176
	v_mul_f64 v[14:15], v[14:15], v[26:27]
	v_fma_f64 v[12:13], v[12:13], v[24:25], -v[14:15]
	s_waitcnt vmcnt(0) lgkmcnt(1)
	v_mul_f64 v[34:35], v[8:9], v[30:31]
	v_fmac_f64_e32 v[34:35], v[10:11], v[28:29]
	v_add_f64 v[36:37], v[32:33], v[34:35]
	scratch_load_dwordx4 v[32:35], off, off offset:192
	v_mul_f64 v[10:11], v[10:11], v[30:31]
	v_fma_f64 v[8:9], v[8:9], v[28:29], -v[10:11]
	s_waitcnt vmcnt(0) lgkmcnt(0)
	v_mul_f64 v[38:39], v[4:5], v[34:35]
	v_fmac_f64_e32 v[38:39], v[6:7], v[32:33]
	v_add_f64 v[44:45], v[36:37], v[38:39]
	ds_read_b128 v[36:39], v2 offset:704
	v_mul_f64 v[6:7], v[6:7], v[34:35]
	v_fma_f64 v[4:5], v[4:5], v[32:33], -v[6:7]
	s_waitcnt lgkmcnt(0)
	v_mul_f64 v[46:47], v[36:37], v[42:43]
	v_fmac_f64_e32 v[46:47], v[38:39], v[40:41]
	v_add_f64 v[52:53], v[44:45], v[46:47]
	ds_read_b128 v[44:47], v2 offset:720
	s_waitcnt lgkmcnt(0)
	v_mul_f64 v[54:55], v[44:45], v[50:51]
	v_fmac_f64_e32 v[54:55], v[46:47], v[48:49]
	v_add_f64 v[60:61], v[52:53], v[54:55]
	ds_read_b128 v[52:55], v2 offset:736
	;; [unrolled: 5-line block ×17, first 2 shown]
	s_waitcnt lgkmcnt(0)
	v_mul_f64 v[2:3], v[174:175], v[182:183]
	v_fmac_f64_e32 v[2:3], v[176:177], v[180:181]
	v_add_f64 v[120:121], v[120:121], v[2:3]
	v_mul_f64 v[2:3], v[18:19], v[22:23]
	v_fma_f64 v[2:3], v[16:17], v[20:21], -v[2:3]
	v_add_f64 v[2:3], v[2:3], 0
	v_add_f64 v[2:3], v[2:3], v[12:13]
	;; [unrolled: 1-line block ×4, first 2 shown]
	v_mul_f64 v[4:5], v[38:39], v[42:43]
	v_fma_f64 v[4:5], v[36:37], v[40:41], -v[4:5]
	v_add_f64 v[2:3], v[2:3], v[4:5]
	v_mul_f64 v[4:5], v[46:47], v[50:51]
	v_fma_f64 v[4:5], v[44:45], v[48:49], -v[4:5]
	v_add_f64 v[2:3], v[2:3], v[4:5]
	;; [unrolled: 3-line block ×18, first 2 shown]
	scratch_load_dwordx4 v[2:5], off, off offset:128
	s_waitcnt vmcnt(0)
	v_add_f64 v[2:3], v[2:3], -v[6:7]
	v_add_f64 v[4:5], v[4:5], -v[120:121]
	scratch_store_dwordx4 off, v[2:5], off offset:128
	s_and_saveexec_b64 s[2:3], vcc
	s_cbranch_execz .LBB30_185
; %bb.184:
	scratch_load_dwordx4 v[2:5], off, s27
	v_mov_b32_e32 v6, 0
	v_mov_b32_e32 v7, v6
	;; [unrolled: 1-line block ×4, first 2 shown]
	scratch_store_dwordx4 off, v[6:9], off offset:112
	s_waitcnt vmcnt(1)
	ds_write_b128 v178, v[2:5]
.LBB30_185:
	s_or_b64 exec, exec, s[2:3]
	v_mov_b32_e32 v2, 0
	s_waitcnt lgkmcnt(0)
	; wave barrier
	ds_read_b128 v[16:19], v2 offset:624
	ds_read_b128 v[12:15], v2 offset:640
	;; [unrolled: 1-line block ×4, first 2 shown]
	scratch_load_dwordx4 v[20:23], off, off offset:128
	scratch_load_dwordx4 v[40:43], off, off offset:192
	;; [unrolled: 1-line block ×17, first 2 shown]
	v_cmp_lt_u32_e32 vcc, 6, v1
	scratch_load_dwordx4 v[48:51], off, off offset:208
	scratch_load_dwordx4 v[56:59], off, off offset:224
	;; [unrolled: 1-line block ×3, first 2 shown]
	ds_read_b128 v[246:249], v2 offset:976
	s_waitcnt vmcnt(19) lgkmcnt(4)
	v_mul_f64 v[24:25], v[16:17], v[22:23]
	v_fmac_f64_e32 v[24:25], v[18:19], v[20:21]
	v_add_f64 v[28:29], v[24:25], 0
	scratch_load_dwordx4 v[24:27], off, off offset:144
	v_mul_f64 v[18:19], v[18:19], v[22:23]
	v_fma_f64 v[16:17], v[16:17], v[20:21], -v[18:19]
	v_add_f64 v[16:17], v[16:17], 0
	s_waitcnt vmcnt(0) lgkmcnt(3)
	v_mul_f64 v[30:31], v[12:13], v[26:27]
	v_fmac_f64_e32 v[30:31], v[14:15], v[24:25]
	v_add_f64 v[32:33], v[28:29], v[30:31]
	scratch_load_dwordx4 v[28:31], off, off offset:160
	v_mul_f64 v[14:15], v[14:15], v[26:27]
	v_fma_f64 v[12:13], v[12:13], v[24:25], -v[14:15]
	v_add_f64 v[12:13], v[16:17], v[12:13]
	;; [unrolled: 8-line block ×3, first 2 shown]
	s_waitcnt vmcnt(0) lgkmcnt(1)
	v_mul_f64 v[38:39], v[4:5], v[34:35]
	v_fmac_f64_e32 v[38:39], v[6:7], v[32:33]
	v_add_f64 v[44:45], v[36:37], v[38:39]
	ds_read_b128 v[36:39], v2 offset:688
	v_mul_f64 v[6:7], v[6:7], v[34:35]
	v_fma_f64 v[4:5], v[4:5], v[32:33], -v[6:7]
	v_add_f64 v[4:5], v[8:9], v[4:5]
	s_waitcnt lgkmcnt(0)
	v_mul_f64 v[46:47], v[36:37], v[42:43]
	v_fmac_f64_e32 v[46:47], v[38:39], v[40:41]
	v_add_f64 v[52:53], v[44:45], v[46:47]
	ds_read_b128 v[44:47], v2 offset:704
	v_mul_f64 v[6:7], v[38:39], v[42:43]
	v_fma_f64 v[6:7], v[36:37], v[40:41], -v[6:7]
	v_add_f64 v[4:5], v[4:5], v[6:7]
	s_waitcnt lgkmcnt(0)
	;; [unrolled: 8-line block ×18, first 2 shown]
	v_mul_f64 v[6:7], v[176:177], v[182:183]
	v_fma_f64 v[6:7], v[174:175], v[180:181], -v[6:7]
	v_add_f64 v[4:5], v[4:5], v[6:7]
	v_mul_f64 v[6:7], v[248:249], v[252:253]
	v_fma_f64 v[6:7], v[246:247], v[250:251], -v[6:7]
	v_add_f64 v[8:9], v[4:5], v[6:7]
	scratch_load_dwordx4 v[4:7], off, off offset:112
	v_mul_f64 v[184:185], v[174:175], v[182:183]
	v_fmac_f64_e32 v[184:185], v[176:177], v[180:181]
	v_add_f64 v[128:129], v[128:129], v[184:185]
	v_mul_f64 v[184:185], v[246:247], v[252:253]
	v_fmac_f64_e32 v[184:185], v[248:249], v[250:251]
	v_add_f64 v[128:129], v[128:129], v[184:185]
	s_waitcnt vmcnt(0)
	v_add_f64 v[4:5], v[4:5], -v[8:9]
	v_add_f64 v[6:7], v[6:7], -v[128:129]
	scratch_store_dwordx4 off, v[4:7], off offset:112
	s_and_saveexec_b64 s[2:3], vcc
	s_cbranch_execz .LBB30_187
; %bb.186:
	scratch_load_dwordx4 v[6:9], off, s25
	v_mov_b32_e32 v3, v2
	v_mov_b32_e32 v4, v2
	;; [unrolled: 1-line block ×3, first 2 shown]
	scratch_store_dwordx4 off, v[2:5], off offset:96
	s_waitcnt vmcnt(1)
	ds_write_b128 v178, v[6:9]
.LBB30_187:
	s_or_b64 exec, exec, s[2:3]
	s_waitcnt lgkmcnt(0)
	; wave barrier
	ds_read_b128 v[16:19], v2 offset:608
	ds_read_b128 v[12:15], v2 offset:624
	;; [unrolled: 1-line block ×4, first 2 shown]
	scratch_load_dwordx4 v[20:23], off, off offset:112
	scratch_load_dwordx4 v[40:43], off, off offset:176
	;; [unrolled: 1-line block ×18, first 2 shown]
	v_cmp_lt_u32_e32 vcc, 5, v1
	scratch_load_dwordx4 v[48:51], off, off offset:192
	scratch_load_dwordx4 v[56:59], off, off offset:208
	;; [unrolled: 1-line block ×3, first 2 shown]
	ds_read_b128 v[246:249], v2 offset:960
	s_waitcnt vmcnt(20) lgkmcnt(4)
	v_mul_f64 v[24:25], v[16:17], v[22:23]
	v_fmac_f64_e32 v[24:25], v[18:19], v[20:21]
	v_add_f64 v[28:29], v[24:25], 0
	scratch_load_dwordx4 v[24:27], off, off offset:128
	s_waitcnt vmcnt(0) lgkmcnt(3)
	v_mul_f64 v[30:31], v[12:13], v[26:27]
	v_fmac_f64_e32 v[30:31], v[14:15], v[24:25]
	v_add_f64 v[32:33], v[28:29], v[30:31]
	scratch_load_dwordx4 v[28:31], off, off offset:144
	v_mul_f64 v[14:15], v[14:15], v[26:27]
	v_fma_f64 v[12:13], v[12:13], v[24:25], -v[14:15]
	s_waitcnt vmcnt(0) lgkmcnt(2)
	v_mul_f64 v[34:35], v[8:9], v[30:31]
	v_fmac_f64_e32 v[34:35], v[10:11], v[28:29]
	v_add_f64 v[36:37], v[32:33], v[34:35]
	scratch_load_dwordx4 v[32:35], off, off offset:160
	v_mul_f64 v[10:11], v[10:11], v[30:31]
	v_fma_f64 v[8:9], v[8:9], v[28:29], -v[10:11]
	s_waitcnt vmcnt(0) lgkmcnt(1)
	v_mul_f64 v[38:39], v[4:5], v[34:35]
	v_fmac_f64_e32 v[38:39], v[6:7], v[32:33]
	v_add_f64 v[44:45], v[36:37], v[38:39]
	ds_read_b128 v[36:39], v2 offset:672
	v_mul_f64 v[6:7], v[6:7], v[34:35]
	v_fma_f64 v[4:5], v[4:5], v[32:33], -v[6:7]
	s_waitcnt lgkmcnt(0)
	v_mul_f64 v[46:47], v[36:37], v[42:43]
	v_fmac_f64_e32 v[46:47], v[38:39], v[40:41]
	v_add_f64 v[52:53], v[44:45], v[46:47]
	ds_read_b128 v[44:47], v2 offset:688
	s_waitcnt lgkmcnt(0)
	v_mul_f64 v[54:55], v[44:45], v[50:51]
	v_fmac_f64_e32 v[54:55], v[46:47], v[48:49]
	v_add_f64 v[60:61], v[52:53], v[54:55]
	ds_read_b128 v[52:55], v2 offset:704
	;; [unrolled: 5-line block ×17, first 2 shown]
	s_waitcnt lgkmcnt(0)
	v_mul_f64 v[184:185], v[174:175], v[182:183]
	v_fmac_f64_e32 v[184:185], v[176:177], v[180:181]
	v_add_f64 v[148:149], v[148:149], v[184:185]
	v_mul_f64 v[184:185], v[246:247], v[252:253]
	v_fmac_f64_e32 v[184:185], v[248:249], v[250:251]
	v_add_f64 v[148:149], v[148:149], v[184:185]
	ds_read_b128 v[184:187], v2 offset:976
	s_waitcnt lgkmcnt(0)
	v_mul_f64 v[2:3], v[184:185], v[190:191]
	v_fmac_f64_e32 v[2:3], v[186:187], v[188:189]
	v_add_f64 v[148:149], v[148:149], v[2:3]
	v_mul_f64 v[2:3], v[18:19], v[22:23]
	v_fma_f64 v[2:3], v[16:17], v[20:21], -v[2:3]
	v_add_f64 v[2:3], v[2:3], 0
	v_add_f64 v[2:3], v[2:3], v[12:13]
	;; [unrolled: 1-line block ×4, first 2 shown]
	v_mul_f64 v[4:5], v[38:39], v[42:43]
	v_fma_f64 v[4:5], v[36:37], v[40:41], -v[4:5]
	v_add_f64 v[2:3], v[2:3], v[4:5]
	v_mul_f64 v[4:5], v[46:47], v[50:51]
	v_fma_f64 v[4:5], v[44:45], v[48:49], -v[4:5]
	v_add_f64 v[2:3], v[2:3], v[4:5]
	;; [unrolled: 3-line block ×20, first 2 shown]
	scratch_load_dwordx4 v[2:5], off, off offset:96
	s_waitcnt vmcnt(0)
	v_add_f64 v[2:3], v[2:3], -v[6:7]
	v_add_f64 v[4:5], v[4:5], -v[148:149]
	scratch_store_dwordx4 off, v[2:5], off offset:96
	s_and_saveexec_b64 s[2:3], vcc
	s_cbranch_execz .LBB30_189
; %bb.188:
	scratch_load_dwordx4 v[2:5], off, s19
	v_mov_b32_e32 v6, 0
	v_mov_b32_e32 v7, v6
	;; [unrolled: 1-line block ×4, first 2 shown]
	scratch_store_dwordx4 off, v[6:9], off offset:80
	s_waitcnt vmcnt(1)
	ds_write_b128 v178, v[2:5]
.LBB30_189:
	s_or_b64 exec, exec, s[2:3]
	v_mov_b32_e32 v2, 0
	s_waitcnt lgkmcnt(0)
	; wave barrier
	ds_read_b128 v[16:19], v2 offset:592
	ds_read_b128 v[12:15], v2 offset:608
	;; [unrolled: 1-line block ×4, first 2 shown]
	scratch_load_dwordx4 v[20:23], off, off offset:96
	scratch_load_dwordx4 v[40:43], off, off offset:160
	scratch_load_dwordx4 v[72:75], off, off offset:224
	scratch_load_dwordx4 v[80:83], off, off offset:240
	scratch_load_dwordx4 v[88:91], off, off offset:256
	scratch_load_dwordx4 v[96:99], off, off offset:272
	scratch_load_dwordx4 v[104:107], off, off offset:288
	scratch_load_dwordx4 v[112:115], off, off offset:304
	scratch_load_dwordx4 v[120:123], off, off offset:320
	scratch_load_dwordx4 v[128:131], off, off offset:336
	scratch_load_dwordx4 v[136:139], off, off offset:352
	scratch_load_dwordx4 v[146:149], off, off offset:368
	scratch_load_dwordx4 v[154:157], off, off offset:384
	scratch_load_dwordx4 v[162:165], off, off offset:400
	scratch_load_dwordx4 v[170:173], off, off offset:416
	scratch_load_dwordx4 v[180:183], off, off offset:432
	scratch_load_dwordx4 v[188:191], off, off offset:448
	scratch_load_dwordx4 v[250:253], off, off offset:464
	scratch_load_dwordx4 v[196:199], off, off offset:480
	v_cmp_lt_u32_e32 vcc, 4, v1
	scratch_load_dwordx4 v[48:51], off, off offset:176
	scratch_load_dwordx4 v[56:59], off, off offset:192
	scratch_load_dwordx4 v[64:67], off, off offset:208
	ds_read_b128 v[246:249], v2 offset:960
	s_waitcnt vmcnt(21) lgkmcnt(4)
	v_mul_f64 v[24:25], v[16:17], v[22:23]
	v_fmac_f64_e32 v[24:25], v[18:19], v[20:21]
	v_add_f64 v[28:29], v[24:25], 0
	scratch_load_dwordx4 v[24:27], off, off offset:112
	v_mul_f64 v[18:19], v[18:19], v[22:23]
	v_fma_f64 v[16:17], v[16:17], v[20:21], -v[18:19]
	v_add_f64 v[16:17], v[16:17], 0
	s_waitcnt vmcnt(0) lgkmcnt(3)
	v_mul_f64 v[30:31], v[12:13], v[26:27]
	v_fmac_f64_e32 v[30:31], v[14:15], v[24:25]
	v_add_f64 v[32:33], v[28:29], v[30:31]
	scratch_load_dwordx4 v[28:31], off, off offset:128
	v_mul_f64 v[14:15], v[14:15], v[26:27]
	v_fma_f64 v[12:13], v[12:13], v[24:25], -v[14:15]
	v_add_f64 v[12:13], v[16:17], v[12:13]
	;; [unrolled: 8-line block ×3, first 2 shown]
	s_waitcnt vmcnt(0) lgkmcnt(1)
	v_mul_f64 v[38:39], v[4:5], v[34:35]
	v_fmac_f64_e32 v[38:39], v[6:7], v[32:33]
	v_add_f64 v[44:45], v[36:37], v[38:39]
	ds_read_b128 v[36:39], v2 offset:656
	v_mul_f64 v[6:7], v[6:7], v[34:35]
	v_fma_f64 v[4:5], v[4:5], v[32:33], -v[6:7]
	v_add_f64 v[4:5], v[8:9], v[4:5]
	s_waitcnt lgkmcnt(0)
	v_mul_f64 v[46:47], v[36:37], v[42:43]
	v_fmac_f64_e32 v[46:47], v[38:39], v[40:41]
	v_add_f64 v[52:53], v[44:45], v[46:47]
	ds_read_b128 v[44:47], v2 offset:672
	v_mul_f64 v[6:7], v[38:39], v[42:43]
	v_fma_f64 v[6:7], v[36:37], v[40:41], -v[6:7]
	v_add_f64 v[4:5], v[4:5], v[6:7]
	s_waitcnt lgkmcnt(0)
	;; [unrolled: 8-line block ×19, first 2 shown]
	v_mul_f64 v[192:193], v[184:185], v[190:191]
	v_fmac_f64_e32 v[192:193], v[186:187], v[188:189]
	v_add_f64 v[144:145], v[144:145], v[192:193]
	v_mul_f64 v[192:193], v[246:247], v[252:253]
	v_fmac_f64_e32 v[192:193], v[248:249], v[250:251]
	v_add_f64 v[144:145], v[144:145], v[192:193]
	ds_read_b128 v[192:195], v2 offset:976
	v_mul_f64 v[6:7], v[186:187], v[190:191]
	v_fma_f64 v[6:7], v[184:185], v[188:189], -v[6:7]
	v_add_f64 v[4:5], v[4:5], v[6:7]
	v_mul_f64 v[6:7], v[248:249], v[252:253]
	v_fma_f64 v[6:7], v[246:247], v[250:251], -v[6:7]
	v_add_f64 v[4:5], v[4:5], v[6:7]
	s_waitcnt lgkmcnt(0)
	v_mul_f64 v[6:7], v[194:195], v[198:199]
	v_fma_f64 v[6:7], v[192:193], v[196:197], -v[6:7]
	v_add_f64 v[8:9], v[4:5], v[6:7]
	scratch_load_dwordx4 v[4:7], off, off offset:80
	v_mul_f64 v[200:201], v[192:193], v[198:199]
	v_fmac_f64_e32 v[200:201], v[194:195], v[196:197]
	v_add_f64 v[144:145], v[144:145], v[200:201]
	s_waitcnt vmcnt(0)
	v_add_f64 v[4:5], v[4:5], -v[8:9]
	v_add_f64 v[6:7], v[6:7], -v[144:145]
	scratch_store_dwordx4 off, v[4:7], off offset:80
	s_and_saveexec_b64 s[2:3], vcc
	s_cbranch_execz .LBB30_191
; %bb.190:
	scratch_load_dwordx4 v[6:9], off, s16
	v_mov_b32_e32 v3, v2
	v_mov_b32_e32 v4, v2
	;; [unrolled: 1-line block ×3, first 2 shown]
	scratch_store_dwordx4 off, v[2:5], off offset:64
	s_waitcnt vmcnt(1)
	ds_write_b128 v178, v[6:9]
.LBB30_191:
	s_or_b64 exec, exec, s[2:3]
	s_waitcnt lgkmcnt(0)
	; wave barrier
	ds_read_b128 v[16:19], v2 offset:576
	ds_read_b128 v[12:15], v2 offset:592
	;; [unrolled: 1-line block ×4, first 2 shown]
	scratch_load_dwordx4 v[20:23], off, off offset:80
	scratch_load_dwordx4 v[40:43], off, off offset:144
	;; [unrolled: 1-line block ×20, first 2 shown]
	v_cmp_lt_u32_e32 vcc, 3, v1
	scratch_load_dwordx4 v[48:51], off, off offset:160
	scratch_load_dwordx4 v[56:59], off, off offset:176
	scratch_load_dwordx4 v[64:67], off, off offset:192
	ds_read_b128 v[246:249], v2 offset:960
	s_waitcnt vmcnt(22) lgkmcnt(4)
	v_mul_f64 v[24:25], v[16:17], v[22:23]
	v_fmac_f64_e32 v[24:25], v[18:19], v[20:21]
	v_add_f64 v[28:29], v[24:25], 0
	scratch_load_dwordx4 v[24:27], off, off offset:96
	s_waitcnt vmcnt(0) lgkmcnt(3)
	v_mul_f64 v[30:31], v[12:13], v[26:27]
	v_fmac_f64_e32 v[30:31], v[14:15], v[24:25]
	v_add_f64 v[32:33], v[28:29], v[30:31]
	scratch_load_dwordx4 v[28:31], off, off offset:112
	v_mul_f64 v[14:15], v[14:15], v[26:27]
	v_fma_f64 v[12:13], v[12:13], v[24:25], -v[14:15]
	s_waitcnt vmcnt(0) lgkmcnt(2)
	v_mul_f64 v[34:35], v[8:9], v[30:31]
	v_fmac_f64_e32 v[34:35], v[10:11], v[28:29]
	v_add_f64 v[36:37], v[32:33], v[34:35]
	scratch_load_dwordx4 v[32:35], off, off offset:128
	v_mul_f64 v[10:11], v[10:11], v[30:31]
	v_fma_f64 v[8:9], v[8:9], v[28:29], -v[10:11]
	s_waitcnt vmcnt(0) lgkmcnt(1)
	v_mul_f64 v[38:39], v[4:5], v[34:35]
	v_fmac_f64_e32 v[38:39], v[6:7], v[32:33]
	v_add_f64 v[44:45], v[36:37], v[38:39]
	ds_read_b128 v[36:39], v2 offset:640
	v_mul_f64 v[6:7], v[6:7], v[34:35]
	v_fma_f64 v[4:5], v[4:5], v[32:33], -v[6:7]
	s_waitcnt lgkmcnt(0)
	v_mul_f64 v[46:47], v[36:37], v[42:43]
	v_fmac_f64_e32 v[46:47], v[38:39], v[40:41]
	v_add_f64 v[52:53], v[44:45], v[46:47]
	ds_read_b128 v[44:47], v2 offset:656
	s_waitcnt lgkmcnt(0)
	v_mul_f64 v[54:55], v[44:45], v[50:51]
	v_fmac_f64_e32 v[54:55], v[46:47], v[48:49]
	v_add_f64 v[60:61], v[52:53], v[54:55]
	ds_read_b128 v[52:55], v2 offset:672
	;; [unrolled: 5-line block ×19, first 2 shown]
	s_waitcnt lgkmcnt(0)
	v_mul_f64 v[200:201], v[192:193], v[198:199]
	v_fmac_f64_e32 v[200:201], v[194:195], v[196:197]
	v_add_f64 v[168:169], v[168:169], v[200:201]
	v_mul_f64 v[200:201], v[246:247], v[252:253]
	v_fmac_f64_e32 v[200:201], v[248:249], v[250:251]
	v_add_f64 v[168:169], v[168:169], v[200:201]
	ds_read_b128 v[200:203], v2 offset:976
	s_waitcnt lgkmcnt(0)
	v_mul_f64 v[2:3], v[200:201], v[206:207]
	v_fmac_f64_e32 v[2:3], v[202:203], v[204:205]
	v_add_f64 v[168:169], v[168:169], v[2:3]
	v_mul_f64 v[2:3], v[18:19], v[22:23]
	v_fma_f64 v[2:3], v[16:17], v[20:21], -v[2:3]
	v_add_f64 v[2:3], v[2:3], 0
	v_add_f64 v[2:3], v[2:3], v[12:13]
	;; [unrolled: 1-line block ×4, first 2 shown]
	v_mul_f64 v[4:5], v[38:39], v[42:43]
	v_fma_f64 v[4:5], v[36:37], v[40:41], -v[4:5]
	v_add_f64 v[2:3], v[2:3], v[4:5]
	v_mul_f64 v[4:5], v[46:47], v[50:51]
	v_fma_f64 v[4:5], v[44:45], v[48:49], -v[4:5]
	v_add_f64 v[2:3], v[2:3], v[4:5]
	;; [unrolled: 3-line block ×22, first 2 shown]
	scratch_load_dwordx4 v[2:5], off, off offset:64
	s_waitcnt vmcnt(0)
	v_add_f64 v[2:3], v[2:3], -v[6:7]
	v_add_f64 v[4:5], v[4:5], -v[168:169]
	scratch_store_dwordx4 off, v[2:5], off offset:64
	s_and_saveexec_b64 s[2:3], vcc
	s_cbranch_execz .LBB30_193
; %bb.192:
	scratch_load_dwordx4 v[2:5], off, s15
	v_mov_b32_e32 v6, 0
	v_mov_b32_e32 v7, v6
	;; [unrolled: 1-line block ×4, first 2 shown]
	scratch_store_dwordx4 off, v[6:9], off offset:48
	s_waitcnt vmcnt(1)
	ds_write_b128 v178, v[2:5]
.LBB30_193:
	s_or_b64 exec, exec, s[2:3]
	v_mov_b32_e32 v2, 0
	s_waitcnt lgkmcnt(0)
	; wave barrier
	ds_read_b128 v[16:19], v2 offset:560
	ds_read_b128 v[12:15], v2 offset:576
	;; [unrolled: 1-line block ×4, first 2 shown]
	scratch_load_dwordx4 v[20:23], off, off offset:64
	scratch_load_dwordx4 v[40:43], off, off offset:128
	;; [unrolled: 1-line block ×21, first 2 shown]
	v_cmp_lt_u32_e32 vcc, 2, v1
	scratch_load_dwordx4 v[48:51], off, off offset:144
	scratch_load_dwordx4 v[56:59], off, off offset:160
	scratch_load_dwordx4 v[64:67], off, off offset:176
	ds_read_b128 v[246:249], v2 offset:960
	s_waitcnt vmcnt(23) lgkmcnt(4)
	v_mul_f64 v[24:25], v[16:17], v[22:23]
	v_fmac_f64_e32 v[24:25], v[18:19], v[20:21]
	v_add_f64 v[28:29], v[24:25], 0
	scratch_load_dwordx4 v[24:27], off, off offset:80
	v_mul_f64 v[18:19], v[18:19], v[22:23]
	v_fma_f64 v[16:17], v[16:17], v[20:21], -v[18:19]
	v_add_f64 v[16:17], v[16:17], 0
	s_waitcnt vmcnt(0) lgkmcnt(3)
	v_mul_f64 v[30:31], v[12:13], v[26:27]
	v_fmac_f64_e32 v[30:31], v[14:15], v[24:25]
	v_add_f64 v[32:33], v[28:29], v[30:31]
	scratch_load_dwordx4 v[28:31], off, off offset:96
	v_mul_f64 v[14:15], v[14:15], v[26:27]
	v_fma_f64 v[12:13], v[12:13], v[24:25], -v[14:15]
	v_add_f64 v[12:13], v[16:17], v[12:13]
	;; [unrolled: 8-line block ×3, first 2 shown]
	s_waitcnt vmcnt(0) lgkmcnt(1)
	v_mul_f64 v[38:39], v[4:5], v[34:35]
	v_fmac_f64_e32 v[38:39], v[6:7], v[32:33]
	v_add_f64 v[44:45], v[36:37], v[38:39]
	ds_read_b128 v[36:39], v2 offset:624
	v_mul_f64 v[6:7], v[6:7], v[34:35]
	v_fma_f64 v[4:5], v[4:5], v[32:33], -v[6:7]
	v_add_f64 v[4:5], v[8:9], v[4:5]
	s_waitcnt lgkmcnt(0)
	v_mul_f64 v[46:47], v[36:37], v[42:43]
	v_fmac_f64_e32 v[46:47], v[38:39], v[40:41]
	v_add_f64 v[52:53], v[44:45], v[46:47]
	ds_read_b128 v[44:47], v2 offset:640
	v_mul_f64 v[6:7], v[38:39], v[42:43]
	v_fma_f64 v[6:7], v[36:37], v[40:41], -v[6:7]
	v_add_f64 v[4:5], v[4:5], v[6:7]
	s_waitcnt lgkmcnt(0)
	;; [unrolled: 8-line block ×21, first 2 shown]
	v_mul_f64 v[208:209], v[200:201], v[206:207]
	v_fmac_f64_e32 v[208:209], v[202:203], v[204:205]
	v_add_f64 v[160:161], v[160:161], v[208:209]
	v_mul_f64 v[208:209], v[246:247], v[252:253]
	v_fmac_f64_e32 v[208:209], v[248:249], v[250:251]
	v_add_f64 v[160:161], v[160:161], v[208:209]
	ds_read_b128 v[208:211], v2 offset:976
	v_mul_f64 v[6:7], v[202:203], v[206:207]
	v_fma_f64 v[6:7], v[200:201], v[204:205], -v[6:7]
	v_add_f64 v[4:5], v[4:5], v[6:7]
	v_mul_f64 v[6:7], v[248:249], v[252:253]
	v_fma_f64 v[6:7], v[246:247], v[250:251], -v[6:7]
	v_add_f64 v[4:5], v[4:5], v[6:7]
	s_waitcnt lgkmcnt(0)
	v_mul_f64 v[6:7], v[210:211], v[214:215]
	v_fma_f64 v[6:7], v[208:209], v[212:213], -v[6:7]
	v_add_f64 v[8:9], v[4:5], v[6:7]
	scratch_load_dwordx4 v[4:7], off, off offset:48
	v_mul_f64 v[216:217], v[208:209], v[214:215]
	v_fmac_f64_e32 v[216:217], v[210:211], v[212:213]
	v_add_f64 v[160:161], v[160:161], v[216:217]
	s_waitcnt vmcnt(0)
	v_add_f64 v[4:5], v[4:5], -v[8:9]
	v_add_f64 v[6:7], v[6:7], -v[160:161]
	scratch_store_dwordx4 off, v[4:7], off offset:48
	s_and_saveexec_b64 s[2:3], vcc
	s_cbranch_execz .LBB30_195
; %bb.194:
	scratch_load_dwordx4 v[6:9], off, s14
	v_mov_b32_e32 v3, v2
	v_mov_b32_e32 v4, v2
	v_mov_b32_e32 v5, v2
	scratch_store_dwordx4 off, v[2:5], off offset:32
	s_waitcnt vmcnt(1)
	ds_write_b128 v178, v[6:9]
.LBB30_195:
	s_or_b64 exec, exec, s[2:3]
	s_waitcnt lgkmcnt(0)
	; wave barrier
	ds_read_b128 v[16:19], v2 offset:544
	ds_read_b128 v[12:15], v2 offset:560
	;; [unrolled: 1-line block ×4, first 2 shown]
	scratch_load_dwordx4 v[20:23], off, off offset:48
	scratch_load_dwordx4 v[40:43], off, off offset:112
	;; [unrolled: 1-line block ×22, first 2 shown]
	v_cmp_lt_u32_e32 vcc, 1, v1
	scratch_load_dwordx4 v[48:51], off, off offset:128
	scratch_load_dwordx4 v[56:59], off, off offset:144
	;; [unrolled: 1-line block ×3, first 2 shown]
	ds_read_b128 v[246:249], v2 offset:960
	s_waitcnt vmcnt(24) lgkmcnt(4)
	v_mul_f64 v[24:25], v[16:17], v[22:23]
	v_fmac_f64_e32 v[24:25], v[18:19], v[20:21]
	v_add_f64 v[28:29], v[24:25], 0
	scratch_load_dwordx4 v[24:27], off, off offset:64
	s_waitcnt vmcnt(0) lgkmcnt(3)
	v_mul_f64 v[30:31], v[12:13], v[26:27]
	v_fmac_f64_e32 v[30:31], v[14:15], v[24:25]
	v_add_f64 v[32:33], v[28:29], v[30:31]
	scratch_load_dwordx4 v[28:31], off, off offset:80
	v_mul_f64 v[14:15], v[14:15], v[26:27]
	v_fma_f64 v[12:13], v[12:13], v[24:25], -v[14:15]
	s_waitcnt vmcnt(0) lgkmcnt(2)
	v_mul_f64 v[34:35], v[8:9], v[30:31]
	v_fmac_f64_e32 v[34:35], v[10:11], v[28:29]
	v_add_f64 v[36:37], v[32:33], v[34:35]
	scratch_load_dwordx4 v[32:35], off, off offset:96
	v_mul_f64 v[10:11], v[10:11], v[30:31]
	v_fma_f64 v[8:9], v[8:9], v[28:29], -v[10:11]
	s_waitcnt vmcnt(0) lgkmcnt(1)
	v_mul_f64 v[38:39], v[4:5], v[34:35]
	v_fmac_f64_e32 v[38:39], v[6:7], v[32:33]
	v_add_f64 v[44:45], v[36:37], v[38:39]
	ds_read_b128 v[36:39], v2 offset:608
	v_mul_f64 v[6:7], v[6:7], v[34:35]
	v_fma_f64 v[4:5], v[4:5], v[32:33], -v[6:7]
	s_waitcnt lgkmcnt(0)
	v_mul_f64 v[46:47], v[36:37], v[42:43]
	v_fmac_f64_e32 v[46:47], v[38:39], v[40:41]
	v_add_f64 v[52:53], v[44:45], v[46:47]
	ds_read_b128 v[44:47], v2 offset:624
	s_waitcnt lgkmcnt(0)
	v_mul_f64 v[54:55], v[44:45], v[50:51]
	v_fmac_f64_e32 v[54:55], v[46:47], v[48:49]
	v_add_f64 v[60:61], v[52:53], v[54:55]
	ds_read_b128 v[52:55], v2 offset:640
	;; [unrolled: 5-line block ×21, first 2 shown]
	s_waitcnt lgkmcnt(0)
	v_mul_f64 v[216:217], v[208:209], v[214:215]
	v_fmac_f64_e32 v[216:217], v[210:211], v[212:213]
	v_add_f64 v[176:177], v[176:177], v[216:217]
	v_mul_f64 v[216:217], v[246:247], v[252:253]
	v_fmac_f64_e32 v[216:217], v[248:249], v[250:251]
	v_add_f64 v[176:177], v[176:177], v[216:217]
	ds_read_b128 v[216:219], v2 offset:976
	s_waitcnt lgkmcnt(0)
	v_mul_f64 v[2:3], v[216:217], v[222:223]
	v_fmac_f64_e32 v[2:3], v[218:219], v[220:221]
	v_add_f64 v[176:177], v[176:177], v[2:3]
	v_mul_f64 v[2:3], v[18:19], v[22:23]
	v_fma_f64 v[2:3], v[16:17], v[20:21], -v[2:3]
	v_add_f64 v[2:3], v[2:3], 0
	v_add_f64 v[2:3], v[2:3], v[12:13]
	;; [unrolled: 1-line block ×4, first 2 shown]
	v_mul_f64 v[4:5], v[38:39], v[42:43]
	v_fma_f64 v[4:5], v[36:37], v[40:41], -v[4:5]
	v_add_f64 v[2:3], v[2:3], v[4:5]
	v_mul_f64 v[4:5], v[46:47], v[50:51]
	v_fma_f64 v[4:5], v[44:45], v[48:49], -v[4:5]
	v_add_f64 v[2:3], v[2:3], v[4:5]
	;; [unrolled: 3-line block ×24, first 2 shown]
	scratch_load_dwordx4 v[2:5], off, off offset:32
	s_waitcnt vmcnt(0)
	v_add_f64 v[2:3], v[2:3], -v[6:7]
	v_add_f64 v[4:5], v[4:5], -v[176:177]
	scratch_store_dwordx4 off, v[2:5], off offset:32
	s_and_saveexec_b64 s[2:3], vcc
	s_cbranch_execz .LBB30_197
; %bb.196:
	scratch_load_dwordx4 v[2:5], off, s18
	v_mov_b32_e32 v6, 0
	v_mov_b32_e32 v7, v6
	;; [unrolled: 1-line block ×4, first 2 shown]
	scratch_store_dwordx4 off, v[6:9], off offset:16
	s_waitcnt vmcnt(1)
	ds_write_b128 v178, v[2:5]
.LBB30_197:
	s_or_b64 exec, exec, s[2:3]
	v_mov_b32_e32 v2, 0
	s_waitcnt lgkmcnt(0)
	; wave barrier
	ds_read_b128 v[16:19], v2 offset:528
	ds_read_b128 v[12:15], v2 offset:544
	;; [unrolled: 1-line block ×4, first 2 shown]
	scratch_load_dwordx4 v[20:23], off, off offset:32
	scratch_load_dwordx4 v[40:43], off, off offset:96
	;; [unrolled: 1-line block ×23, first 2 shown]
	v_cmp_ne_u32_e32 vcc, 0, v1
	scratch_load_dwordx4 v[48:51], off, off offset:112
	scratch_load_dwordx4 v[56:59], off, off offset:128
	;; [unrolled: 1-line block ×3, first 2 shown]
	ds_read_b128 v[246:249], v2 offset:960
	s_waitcnt vmcnt(25) lgkmcnt(4)
	v_mul_f64 v[24:25], v[16:17], v[22:23]
	v_fmac_f64_e32 v[24:25], v[18:19], v[20:21]
	v_add_f64 v[28:29], v[24:25], 0
	scratch_load_dwordx4 v[24:27], off, off offset:48
	v_mul_f64 v[18:19], v[18:19], v[22:23]
	v_fma_f64 v[16:17], v[16:17], v[20:21], -v[18:19]
	v_add_f64 v[16:17], v[16:17], 0
	s_waitcnt vmcnt(0) lgkmcnt(3)
	v_mul_f64 v[30:31], v[12:13], v[26:27]
	v_fmac_f64_e32 v[30:31], v[14:15], v[24:25]
	v_add_f64 v[32:33], v[28:29], v[30:31]
	scratch_load_dwordx4 v[28:31], off, off offset:64
	v_mul_f64 v[14:15], v[14:15], v[26:27]
	v_fma_f64 v[12:13], v[12:13], v[24:25], -v[14:15]
	v_add_f64 v[12:13], v[16:17], v[12:13]
	;; [unrolled: 8-line block ×3, first 2 shown]
	s_waitcnt vmcnt(0) lgkmcnt(1)
	v_mul_f64 v[38:39], v[4:5], v[34:35]
	v_fmac_f64_e32 v[38:39], v[6:7], v[32:33]
	v_add_f64 v[44:45], v[36:37], v[38:39]
	ds_read_b128 v[36:39], v2 offset:592
	v_mul_f64 v[6:7], v[6:7], v[34:35]
	v_fma_f64 v[4:5], v[4:5], v[32:33], -v[6:7]
	v_add_f64 v[4:5], v[8:9], v[4:5]
	s_waitcnt lgkmcnt(0)
	v_mul_f64 v[46:47], v[36:37], v[42:43]
	v_fmac_f64_e32 v[46:47], v[38:39], v[40:41]
	v_add_f64 v[52:53], v[44:45], v[46:47]
	ds_read_b128 v[44:47], v2 offset:608
	v_mul_f64 v[6:7], v[38:39], v[42:43]
	v_fma_f64 v[6:7], v[36:37], v[40:41], -v[6:7]
	v_add_f64 v[4:5], v[4:5], v[6:7]
	s_waitcnt lgkmcnt(0)
	;; [unrolled: 8-line block ×23, first 2 shown]
	v_mul_f64 v[224:225], v[216:217], v[222:223]
	v_fmac_f64_e32 v[224:225], v[218:219], v[220:221]
	v_add_f64 v[176:177], v[176:177], v[224:225]
	v_mul_f64 v[224:225], v[246:247], v[252:253]
	v_fmac_f64_e32 v[224:225], v[248:249], v[250:251]
	v_add_f64 v[176:177], v[176:177], v[224:225]
	ds_read_b128 v[224:227], v2 offset:976
	v_mul_f64 v[6:7], v[218:219], v[222:223]
	v_fma_f64 v[6:7], v[216:217], v[220:221], -v[6:7]
	v_add_f64 v[4:5], v[4:5], v[6:7]
	v_mul_f64 v[6:7], v[248:249], v[252:253]
	v_fma_f64 v[6:7], v[246:247], v[250:251], -v[6:7]
	v_add_f64 v[4:5], v[4:5], v[6:7]
	s_waitcnt lgkmcnt(0)
	v_mul_f64 v[6:7], v[226:227], v[230:231]
	v_fma_f64 v[6:7], v[224:225], v[228:229], -v[6:7]
	v_add_f64 v[8:9], v[4:5], v[6:7]
	scratch_load_dwordx4 v[4:7], off, off offset:16
	v_mul_f64 v[232:233], v[224:225], v[230:231]
	v_fmac_f64_e32 v[232:233], v[226:227], v[228:229]
	v_add_f64 v[176:177], v[176:177], v[232:233]
	s_waitcnt vmcnt(0)
	v_add_f64 v[4:5], v[4:5], -v[8:9]
	v_add_f64 v[6:7], v[6:7], -v[176:177]
	scratch_store_dwordx4 off, v[4:7], off offset:16
	s_and_saveexec_b64 s[2:3], vcc
	s_cbranch_execz .LBB30_199
; %bb.198:
	scratch_load_dwordx4 v[6:9], off, off
	v_mov_b32_e32 v3, v2
	v_mov_b32_e32 v4, v2
	;; [unrolled: 1-line block ×3, first 2 shown]
	scratch_store_dwordx4 off, v[2:5], off
	s_waitcnt vmcnt(1)
	ds_write_b128 v178, v[6:9]
.LBB30_199:
	s_or_b64 exec, exec, s[2:3]
	s_waitcnt lgkmcnt(0)
	; wave barrier
	ds_read_b128 v[16:19], v2 offset:512
	ds_read_b128 v[12:15], v2 offset:528
	;; [unrolled: 1-line block ×4, first 2 shown]
	scratch_load_dwordx4 v[20:23], off, off offset:16
	scratch_load_dwordx4 v[40:43], off, off offset:80
	;; [unrolled: 1-line block ×23, first 2 shown]
	s_and_b64 vcc, exec, s[22:23]
	scratch_load_dwordx4 v[48:51], off, off offset:96
	scratch_load_dwordx4 v[56:59], off, off offset:112
	;; [unrolled: 1-line block ×3, first 2 shown]
	ds_read_b128 v[252:255], v2 offset:976
	s_waitcnt vmcnt(25) lgkmcnt(4)
	v_mul_f64 v[24:25], v[16:17], v[22:23]
	v_fmac_f64_e32 v[24:25], v[18:19], v[20:21]
	v_add_f64 v[28:29], v[24:25], 0
	scratch_load_dwordx4 v[24:27], off, off offset:32
	s_waitcnt vmcnt(0) lgkmcnt(3)
	v_mul_f64 v[30:31], v[12:13], v[26:27]
	v_fmac_f64_e32 v[30:31], v[14:15], v[24:25]
	v_add_f64 v[32:33], v[28:29], v[30:31]
	scratch_load_dwordx4 v[28:31], off, off offset:48
	v_mul_f64 v[14:15], v[14:15], v[26:27]
	v_fma_f64 v[12:13], v[12:13], v[24:25], -v[14:15]
	s_waitcnt vmcnt(0) lgkmcnt(2)
	v_mul_f64 v[34:35], v[8:9], v[30:31]
	v_fmac_f64_e32 v[34:35], v[10:11], v[28:29]
	v_add_f64 v[36:37], v[32:33], v[34:35]
	scratch_load_dwordx4 v[32:35], off, off offset:64
	v_mul_f64 v[10:11], v[10:11], v[30:31]
	v_fma_f64 v[8:9], v[8:9], v[28:29], -v[10:11]
	s_waitcnt vmcnt(0) lgkmcnt(1)
	v_mul_f64 v[38:39], v[4:5], v[34:35]
	v_fmac_f64_e32 v[38:39], v[6:7], v[32:33]
	v_add_f64 v[44:45], v[36:37], v[38:39]
	ds_read_b128 v[36:39], v2 offset:576
	v_mul_f64 v[6:7], v[6:7], v[34:35]
	v_fma_f64 v[4:5], v[4:5], v[32:33], -v[6:7]
	s_waitcnt lgkmcnt(0)
	v_mul_f64 v[46:47], v[36:37], v[42:43]
	v_fmac_f64_e32 v[46:47], v[38:39], v[40:41]
	v_add_f64 v[52:53], v[44:45], v[46:47]
	ds_read_b128 v[44:47], v2 offset:592
	s_waitcnt lgkmcnt(0)
	v_mul_f64 v[54:55], v[44:45], v[50:51]
	v_fmac_f64_e32 v[54:55], v[46:47], v[48:49]
	v_add_f64 v[60:61], v[52:53], v[54:55]
	ds_read_b128 v[52:55], v2 offset:608
	;; [unrolled: 5-line block ×24, first 2 shown]
	s_waitcnt lgkmcnt(0)
	v_mul_f64 v[234:235], v[228:229], v[250:251]
	v_fmac_f64_e32 v[234:235], v[230:231], v[248:249]
	v_add_f64 v[246:247], v[232:233], v[234:235]
	scratch_load_dwordx4 v[232:235], off, off offset:480
	s_waitcnt vmcnt(0)
	v_mul_f64 v[2:3], v[252:253], v[234:235]
	v_fmac_f64_e32 v[2:3], v[254:255], v[232:233]
	v_add_f64 v[246:247], v[246:247], v[2:3]
	v_mul_f64 v[2:3], v[18:19], v[22:23]
	v_fma_f64 v[2:3], v[16:17], v[20:21], -v[2:3]
	v_add_f64 v[2:3], v[2:3], 0
	v_add_f64 v[2:3], v[2:3], v[12:13]
	;; [unrolled: 1-line block ×4, first 2 shown]
	v_mul_f64 v[4:5], v[38:39], v[42:43]
	v_fma_f64 v[4:5], v[36:37], v[40:41], -v[4:5]
	v_add_f64 v[2:3], v[2:3], v[4:5]
	v_mul_f64 v[4:5], v[46:47], v[50:51]
	v_fma_f64 v[4:5], v[44:45], v[48:49], -v[4:5]
	v_add_f64 v[2:3], v[2:3], v[4:5]
	;; [unrolled: 3-line block ×26, first 2 shown]
	scratch_load_dwordx4 v[2:5], off, off
	s_waitcnt vmcnt(0)
	v_add_f64 v[2:3], v[2:3], -v[6:7]
	v_add_f64 v[4:5], v[4:5], -v[246:247]
	scratch_store_dwordx4 off, v[2:5], off
	s_cbranch_vccz .LBB30_260
; %bb.200:
	s_nop 0
	v_mov_b32_e32 v2, 0
	global_load_dword v3, v2, s[20:21] offset:116
	s_load_dwordx2 s[2:3], s[0:1], 0x4
	v_bfe_u32 v4, v0, 10, 10
	v_bfe_u32 v0, v0, 20, 10
	s_waitcnt lgkmcnt(0)
	s_lshr_b32 s0, s2, 16
	s_mul_i32 s0, s0, s3
	v_mul_u32_u24_e32 v1, s0, v1
	v_mul_u32_u24_e32 v4, s3, v4
	v_add3_u32 v0, v1, v4, v0
	v_mov_b32_e32 v1, 0x3e8
	v_lshl_add_u32 v0, v0, 4, v1
	s_waitcnt vmcnt(0)
	v_readfirstlane_b32 s0, v3
	s_add_i32 s0, s0, -1
	s_cmp_lg_u32 s0, 29
	s_cbranch_scc0 .LBB30_202
; %bb.201:
	s_lshl_b32 s0, s0, 4
	scratch_load_dwordx4 v[4:7], off, s43
	scratch_load_dwordx4 v[8:11], off, s0
	s_waitcnt vmcnt(1)
	ds_write2_b64 v0, v[4:5], v[6:7] offset1:1
	s_waitcnt vmcnt(0)
	scratch_store_dwordx4 off, v[8:11], s43
	scratch_store_dwordx4 off, v[4:7], s0
.LBB30_202:
	global_load_dword v1, v2, s[20:21] offset:112
	s_waitcnt vmcnt(0)
	v_readfirstlane_b32 s0, v1
	s_add_i32 s0, s0, -1
	s_cmp_eq_u32 s0, 28
	s_cbranch_scc1 .LBB30_204
; %bb.203:
	s_lshl_b32 s0, s0, 4
	scratch_load_dwordx4 v[2:5], off, s42
	scratch_load_dwordx4 v[6:9], off, s0
	s_waitcnt vmcnt(1)
	ds_write2_b64 v0, v[2:3], v[4:5] offset1:1
	s_waitcnt vmcnt(0)
	scratch_store_dwordx4 off, v[6:9], s42
	scratch_store_dwordx4 off, v[2:5], s0
.LBB30_204:
	v_mov_b32_e32 v1, 0
	global_load_dword v2, v1, s[20:21] offset:108
	s_waitcnt vmcnt(0)
	v_readfirstlane_b32 s0, v2
	s_add_i32 s0, s0, -1
	s_cmp_eq_u32 s0, 27
	s_cbranch_scc1 .LBB30_206
; %bb.205:
	s_lshl_b32 s0, s0, 4
	scratch_load_dwordx4 v[2:5], off, s41
	scratch_load_dwordx4 v[6:9], off, s0
	s_waitcnt vmcnt(1)
	ds_write2_b64 v0, v[2:3], v[4:5] offset1:1
	s_waitcnt vmcnt(0)
	scratch_store_dwordx4 off, v[6:9], s41
	scratch_store_dwordx4 off, v[2:5], s0
.LBB30_206:
	global_load_dword v1, v1, s[20:21] offset:104
	s_waitcnt vmcnt(0)
	v_readfirstlane_b32 s0, v1
	s_add_i32 s0, s0, -1
	s_cmp_eq_u32 s0, 26
	s_cbranch_scc1 .LBB30_208
; %bb.207:
	s_lshl_b32 s0, s0, 4
	scratch_load_dwordx4 v[2:5], off, s40
	scratch_load_dwordx4 v[6:9], off, s0
	s_waitcnt vmcnt(1)
	ds_write2_b64 v0, v[2:3], v[4:5] offset1:1
	s_waitcnt vmcnt(0)
	scratch_store_dwordx4 off, v[6:9], s40
	scratch_store_dwordx4 off, v[2:5], s0
.LBB30_208:
	v_mov_b32_e32 v1, 0
	global_load_dword v2, v1, s[20:21] offset:100
	s_waitcnt vmcnt(0)
	v_readfirstlane_b32 s0, v2
	s_add_i32 s0, s0, -1
	s_cmp_eq_u32 s0, 25
	s_cbranch_scc1 .LBB30_210
; %bb.209:
	s_lshl_b32 s0, s0, 4
	scratch_load_dwordx4 v[2:5], off, s39
	scratch_load_dwordx4 v[6:9], off, s0
	s_waitcnt vmcnt(1)
	ds_write2_b64 v0, v[2:3], v[4:5] offset1:1
	s_waitcnt vmcnt(0)
	scratch_store_dwordx4 off, v[6:9], s39
	scratch_store_dwordx4 off, v[2:5], s0
.LBB30_210:
	;; [unrolled: 33-line block ×14, first 2 shown]
	global_load_dword v1, v1, s[20:21]
	s_waitcnt vmcnt(0)
	v_readfirstlane_b32 s0, v1
	s_add_i32 s0, s0, -1
	s_cmp_eq_u32 s0, 0
	s_cbranch_scc1 .LBB30_260
; %bb.259:
	s_lshl_b32 s0, s0, 4
	scratch_load_dwordx4 v[2:5], off, off
	scratch_load_dwordx4 v[6:9], off, s0
	s_waitcnt vmcnt(1)
	ds_write2_b64 v0, v[2:3], v[4:5] offset1:1
	s_waitcnt vmcnt(0)
	scratch_store_dwordx4 off, v[6:9], off
	scratch_store_dwordx4 off, v[2:5], s0
.LBB30_260:
	scratch_load_dwordx4 v[0:3], off, off
	s_nop 0
	scratch_load_dwordx4 v[4:7], off, s18
	scratch_load_dwordx4 v[8:11], off, s14
	;; [unrolled: 1-line block ×15, first 2 shown]
                                        ; kill: killed $sgpr48
                                        ; kill: killed $sgpr18
                                        ; kill: killed $sgpr27
                                        ; kill: killed $sgpr47
                                        ; kill: killed $sgpr25
                                        ; kill: killed $sgpr46
                                        ; kill: killed $sgpr19
                                        ; kill: killed $sgpr28
                                        ; kill: killed $sgpr16
                                        ; kill: killed $sgpr26
                                        ; kill: killed $sgpr15
                                        ; kill: killed $sgpr24
                                        ; kill: killed $sgpr45
                                        ; kill: killed $sgpr14
                                        ; kill: killed $sgpr17
	scratch_load_dwordx4 v[64:67], off, s29
	scratch_load_dwordx4 v[68:71], off, s30
	;; [unrolled: 1-line block ×15, first 2 shown]
	v_accvgpr_read_b32 v125, a1
	v_accvgpr_read_b32 v124, a0
	s_waitcnt vmcnt(30)
	global_store_dwordx4 v[124:125], v[0:3], off
	s_nop 1
	v_accvgpr_read_b32 v0, a2
	v_accvgpr_read_b32 v1, a3
	s_waitcnt vmcnt(30)
	global_store_dwordx4 v[0:1], v[4:7], off
	v_accvgpr_read_b32 v0, a4
	v_accvgpr_read_b32 v1, a5
	s_waitcnt vmcnt(30)
	global_store_dwordx4 v[0:1], v[8:11], off
	v_accvgpr_read_b32 v0, a6
	v_accvgpr_read_b32 v1, a7
	s_waitcnt vmcnt(30)
	global_store_dwordx4 v[0:1], v[12:15], off
	v_accvgpr_read_b32 v0, a8
	v_accvgpr_read_b32 v1, a9
	s_waitcnt vmcnt(30)
	global_store_dwordx4 v[0:1], v[16:19], off
	v_accvgpr_read_b32 v0, a10
	v_accvgpr_read_b32 v1, a11
	s_waitcnt vmcnt(30)
	global_store_dwordx4 v[0:1], v[20:23], off
	v_accvgpr_read_b32 v0, a12
	v_accvgpr_read_b32 v1, a13
	s_waitcnt vmcnt(30)
	global_store_dwordx4 v[0:1], v[24:27], off
	v_accvgpr_read_b32 v0, a14
	v_accvgpr_read_b32 v1, a15
	s_waitcnt vmcnt(30)
	global_store_dwordx4 v[0:1], v[28:31], off
	v_accvgpr_read_b32 v0, a16
	v_accvgpr_read_b32 v1, a17
	s_waitcnt vmcnt(30)
	global_store_dwordx4 v[0:1], v[32:35], off
	v_accvgpr_read_b32 v0, a18
	v_accvgpr_read_b32 v1, a19
	s_waitcnt vmcnt(30)
	global_store_dwordx4 v[0:1], v[36:39], off
	v_accvgpr_read_b32 v0, a20
	v_accvgpr_read_b32 v1, a21
	s_waitcnt vmcnt(30)
	global_store_dwordx4 v[0:1], v[40:43], off
	v_accvgpr_read_b32 v0, a22
	v_accvgpr_read_b32 v1, a23
	s_waitcnt vmcnt(30)
	global_store_dwordx4 v[0:1], v[44:47], off
	v_accvgpr_read_b32 v0, a24
	v_accvgpr_read_b32 v1, a25
	s_waitcnt vmcnt(30)
	global_store_dwordx4 v[0:1], v[48:51], off
	v_accvgpr_read_b32 v0, a26
	v_accvgpr_read_b32 v1, a27
	s_waitcnt vmcnt(30)
	global_store_dwordx4 v[0:1], v[52:55], off
	v_accvgpr_read_b32 v0, a28
	v_accvgpr_read_b32 v1, a29
	s_waitcnt vmcnt(30)
	global_store_dwordx4 v[0:1], v[56:59], off
	v_accvgpr_read_b32 v0, a30
	v_accvgpr_read_b32 v1, a31
	s_waitcnt vmcnt(30)
	global_store_dwordx4 v[0:1], v[60:63], off
	v_accvgpr_read_b32 v0, a32
	v_accvgpr_read_b32 v1, a33
	s_waitcnt vmcnt(30)
	global_store_dwordx4 v[0:1], v[64:67], off
	v_accvgpr_read_b32 v0, a34
	v_accvgpr_read_b32 v1, a35
	s_waitcnt vmcnt(30)
	global_store_dwordx4 v[0:1], v[68:71], off
	v_accvgpr_read_b32 v0, a36
	v_accvgpr_read_b32 v1, a37
	s_waitcnt vmcnt(30)
	global_store_dwordx4 v[0:1], v[72:75], off
	v_accvgpr_read_b32 v0, a38
	v_accvgpr_read_b32 v1, a39
	s_waitcnt vmcnt(30)
	global_store_dwordx4 v[0:1], v[76:79], off
	v_accvgpr_read_b32 v0, a40
	v_accvgpr_read_b32 v1, a41
	s_waitcnt vmcnt(30)
	global_store_dwordx4 v[0:1], v[80:83], off
	v_accvgpr_read_b32 v0, a42
	v_accvgpr_read_b32 v1, a43
	s_waitcnt vmcnt(30)
	global_store_dwordx4 v[0:1], v[84:87], off
	v_accvgpr_read_b32 v0, a44
	v_accvgpr_read_b32 v1, a45
	s_waitcnt vmcnt(30)
	global_store_dwordx4 v[0:1], v[88:91], off
	v_accvgpr_read_b32 v0, a46
	v_accvgpr_read_b32 v1, a47
	s_waitcnt vmcnt(30)
	global_store_dwordx4 v[0:1], v[92:95], off
	v_accvgpr_read_b32 v0, a48
	v_accvgpr_read_b32 v1, a49
	s_waitcnt vmcnt(30)
	global_store_dwordx4 v[0:1], v[96:99], off
	v_accvgpr_read_b32 v0, a50
	v_accvgpr_read_b32 v1, a51
	s_waitcnt vmcnt(30)
	global_store_dwordx4 v[0:1], v[100:103], off
	s_waitcnt vmcnt(30)
	global_store_dwordx4 v[236:237], v[104:107], off
	s_waitcnt vmcnt(30)
	global_store_dwordx4 v[238:239], v[108:111], off
	s_waitcnt vmcnt(30)
	global_store_dwordx4 v[240:241], v[112:115], off
	s_waitcnt vmcnt(30)
	global_store_dwordx4 v[242:243], v[116:119], off
	s_waitcnt vmcnt(30)
	global_store_dwordx4 v[244:245], v[120:123], off
	s_endpgm
	.section	.rodata,"a",@progbits
	.p2align	6, 0x0
	.amdhsa_kernel _ZN9rocsolver6v33100L18getri_kernel_smallILi31E19rocblas_complex_numIdEPS3_EEvT1_iilPiilS6_bb
		.amdhsa_group_segment_fixed_size 2024
		.amdhsa_private_segment_fixed_size 512
		.amdhsa_kernarg_size 60
		.amdhsa_user_sgpr_count 4
		.amdhsa_user_sgpr_dispatch_ptr 1
		.amdhsa_user_sgpr_queue_ptr 0
		.amdhsa_user_sgpr_kernarg_segment_ptr 1
		.amdhsa_user_sgpr_dispatch_id 0
		.amdhsa_user_sgpr_kernarg_preload_length 0
		.amdhsa_user_sgpr_kernarg_preload_offset 0
		.amdhsa_user_sgpr_private_segment_size 0
		.amdhsa_uses_dynamic_stack 0
		.amdhsa_enable_private_segment 1
		.amdhsa_system_sgpr_workgroup_id_x 1
		.amdhsa_system_sgpr_workgroup_id_y 0
		.amdhsa_system_sgpr_workgroup_id_z 0
		.amdhsa_system_sgpr_workgroup_info 0
		.amdhsa_system_vgpr_workitem_id 2
		.amdhsa_next_free_vgpr 308
		.amdhsa_next_free_sgpr 49
		.amdhsa_accum_offset 256
		.amdhsa_reserve_vcc 1
		.amdhsa_float_round_mode_32 0
		.amdhsa_float_round_mode_16_64 0
		.amdhsa_float_denorm_mode_32 3
		.amdhsa_float_denorm_mode_16_64 3
		.amdhsa_dx10_clamp 1
		.amdhsa_ieee_mode 1
		.amdhsa_fp16_overflow 0
		.amdhsa_tg_split 0
		.amdhsa_exception_fp_ieee_invalid_op 0
		.amdhsa_exception_fp_denorm_src 0
		.amdhsa_exception_fp_ieee_div_zero 0
		.amdhsa_exception_fp_ieee_overflow 0
		.amdhsa_exception_fp_ieee_underflow 0
		.amdhsa_exception_fp_ieee_inexact 0
		.amdhsa_exception_int_div_zero 0
	.end_amdhsa_kernel
	.section	.text._ZN9rocsolver6v33100L18getri_kernel_smallILi31E19rocblas_complex_numIdEPS3_EEvT1_iilPiilS6_bb,"axG",@progbits,_ZN9rocsolver6v33100L18getri_kernel_smallILi31E19rocblas_complex_numIdEPS3_EEvT1_iilPiilS6_bb,comdat
.Lfunc_end30:
	.size	_ZN9rocsolver6v33100L18getri_kernel_smallILi31E19rocblas_complex_numIdEPS3_EEvT1_iilPiilS6_bb, .Lfunc_end30-_ZN9rocsolver6v33100L18getri_kernel_smallILi31E19rocblas_complex_numIdEPS3_EEvT1_iilPiilS6_bb
                                        ; -- End function
	.set _ZN9rocsolver6v33100L18getri_kernel_smallILi31E19rocblas_complex_numIdEPS3_EEvT1_iilPiilS6_bb.num_vgpr, 256
	.set _ZN9rocsolver6v33100L18getri_kernel_smallILi31E19rocblas_complex_numIdEPS3_EEvT1_iilPiilS6_bb.num_agpr, 52
	.set _ZN9rocsolver6v33100L18getri_kernel_smallILi31E19rocblas_complex_numIdEPS3_EEvT1_iilPiilS6_bb.numbered_sgpr, 49
	.set _ZN9rocsolver6v33100L18getri_kernel_smallILi31E19rocblas_complex_numIdEPS3_EEvT1_iilPiilS6_bb.num_named_barrier, 0
	.set _ZN9rocsolver6v33100L18getri_kernel_smallILi31E19rocblas_complex_numIdEPS3_EEvT1_iilPiilS6_bb.private_seg_size, 512
	.set _ZN9rocsolver6v33100L18getri_kernel_smallILi31E19rocblas_complex_numIdEPS3_EEvT1_iilPiilS6_bb.uses_vcc, 1
	.set _ZN9rocsolver6v33100L18getri_kernel_smallILi31E19rocblas_complex_numIdEPS3_EEvT1_iilPiilS6_bb.uses_flat_scratch, 0
	.set _ZN9rocsolver6v33100L18getri_kernel_smallILi31E19rocblas_complex_numIdEPS3_EEvT1_iilPiilS6_bb.has_dyn_sized_stack, 0
	.set _ZN9rocsolver6v33100L18getri_kernel_smallILi31E19rocblas_complex_numIdEPS3_EEvT1_iilPiilS6_bb.has_recursion, 0
	.set _ZN9rocsolver6v33100L18getri_kernel_smallILi31E19rocblas_complex_numIdEPS3_EEvT1_iilPiilS6_bb.has_indirect_call, 0
	.section	.AMDGPU.csdata,"",@progbits
; Kernel info:
; codeLenInByte = 45404
; TotalNumSgprs: 55
; NumVgprs: 256
; NumAgprs: 52
; TotalNumVgprs: 308
; ScratchSize: 512
; MemoryBound: 0
; FloatMode: 240
; IeeeMode: 1
; LDSByteSize: 2024 bytes/workgroup (compile time only)
; SGPRBlocks: 6
; VGPRBlocks: 38
; NumSGPRsForWavesPerEU: 55
; NumVGPRsForWavesPerEU: 308
; AccumOffset: 256
; Occupancy: 1
; WaveLimiterHint : 1
; COMPUTE_PGM_RSRC2:SCRATCH_EN: 1
; COMPUTE_PGM_RSRC2:USER_SGPR: 4
; COMPUTE_PGM_RSRC2:TRAP_HANDLER: 0
; COMPUTE_PGM_RSRC2:TGID_X_EN: 1
; COMPUTE_PGM_RSRC2:TGID_Y_EN: 0
; COMPUTE_PGM_RSRC2:TGID_Z_EN: 0
; COMPUTE_PGM_RSRC2:TIDIG_COMP_CNT: 2
; COMPUTE_PGM_RSRC3_GFX90A:ACCUM_OFFSET: 63
; COMPUTE_PGM_RSRC3_GFX90A:TG_SPLIT: 0
	.section	.text._ZN9rocsolver6v33100L18getri_kernel_smallILi32E19rocblas_complex_numIdEPS3_EEvT1_iilPiilS6_bb,"axG",@progbits,_ZN9rocsolver6v33100L18getri_kernel_smallILi32E19rocblas_complex_numIdEPS3_EEvT1_iilPiilS6_bb,comdat
	.globl	_ZN9rocsolver6v33100L18getri_kernel_smallILi32E19rocblas_complex_numIdEPS3_EEvT1_iilPiilS6_bb ; -- Begin function _ZN9rocsolver6v33100L18getri_kernel_smallILi32E19rocblas_complex_numIdEPS3_EEvT1_iilPiilS6_bb
	.p2align	8
	.type	_ZN9rocsolver6v33100L18getri_kernel_smallILi32E19rocblas_complex_numIdEPS3_EEvT1_iilPiilS6_bb,@function
_ZN9rocsolver6v33100L18getri_kernel_smallILi32E19rocblas_complex_numIdEPS3_EEvT1_iilPiilS6_bb: ; @_ZN9rocsolver6v33100L18getri_kernel_smallILi32E19rocblas_complex_numIdEPS3_EEvT1_iilPiilS6_bb
; %bb.0:
	v_and_b32_e32 v1, 0x3ff, v0
	v_cmp_gt_u32_e32 vcc, 32, v1
	s_and_saveexec_b64 s[6:7], vcc
	s_cbranch_execz .LBB31_142
; %bb.1:
	s_load_dword s6, s[2:3], 0x38
	s_load_dwordx4 s[16:19], s[2:3], 0x10
	s_load_dwordx4 s[8:11], s[2:3], 0x28
                                        ; implicit-def: $sgpr20_sgpr21
	s_waitcnt lgkmcnt(0)
	s_bitcmp1_b32 s6, 8
	s_cselect_b64 s[22:23], -1, 0
	s_ashr_i32 s5, s4, 31
	s_bfe_u32 s6, s6, 0x10008
	s_cmp_eq_u32 s6, 0
	s_cbranch_scc1 .LBB31_3
; %bb.2:
	s_load_dword s6, s[2:3], 0x20
	s_mul_i32 s7, s8, s5
	s_mul_hi_u32 s12, s8, s4
	s_mul_i32 s9, s9, s4
	s_add_i32 s12, s12, s7
	s_add_i32 s9, s12, s9
	s_mul_i32 s8, s8, s4
	s_waitcnt lgkmcnt(0)
	s_ashr_i32 s7, s6, 31
	s_lshl_b64 s[8:9], s[8:9], 2
	s_add_u32 s8, s18, s8
	s_addc_u32 s9, s19, s9
	s_lshl_b64 s[6:7], s[6:7], 2
	s_add_u32 s20, s8, s6
	s_addc_u32 s21, s9, s7
.LBB31_3:
	s_load_dwordx4 s[12:15], s[2:3], 0x0
	s_load_dword s6, s[2:3], 0x38
	s_mul_i32 s7, s16, s5
	s_mul_hi_u32 s8, s16, s4
	s_add_i32 s7, s8, s7
	s_mul_i32 s8, s17, s4
	s_add_i32 s9, s7, s8
	s_mul_i32 s8, s16, s4
	s_waitcnt lgkmcnt(0)
	s_ashr_i32 s3, s14, 31
	s_lshl_b64 s[8:9], s[8:9], 4
	s_mov_b32 s2, s14
	s_add_u32 s7, s12, s8
	s_addc_u32 s8, s13, s9
	s_lshl_b64 s[2:3], s[2:3], 4
	s_add_u32 s2, s7, s2
	s_addc_u32 s3, s8, s3
	s_add_i32 s7, s15, s15
	v_add_u32_e32 v14, s7, v1
	v_ashrrev_i32_e32 v15, 31, v14
	v_lshl_add_u64 v[10:11], v[14:15], 4, s[2:3]
	v_add_u32_e32 v14, s15, v14
	v_add_u32_e32 v22, s15, v14
	v_ashrrev_i32_e32 v23, 31, v22
	v_lshl_add_u64 v[18:19], v[22:23], 4, s[2:3]
	v_add_u32_e32 v22, s15, v22
	;; [unrolled: 4-line block ×3, first 2 shown]
	v_ashrrev_i32_e32 v33, 31, v32
	v_lshl_add_u64 v[34:35], v[32:33], 4, s[2:3]
	v_add_u32_e32 v32, s15, v32
	v_add_u32_e32 v40, s15, v32
	v_add_u32_e32 v42, s15, v40
	v_add_u32_e32 v48, s15, v42
	v_add_u32_e32 v50, s15, v48
	v_add_u32_e32 v56, s15, v50
	v_ashrrev_i32_e32 v57, 31, v56
	v_lshl_add_u64 v[58:59], v[56:57], 4, s[2:3]
	v_add_u32_e32 v56, s15, v56
	v_add_u32_e32 v64, s15, v56
	;; [unrolled: 1-line block ×5, first 2 shown]
	v_ashrrev_i32_e32 v81, 31, v80
	v_lshl_add_u64 v[76:77], v[80:81], 4, s[2:3]
	v_add_u32_e32 v80, s15, v80
	v_add_u32_e32 v88, s15, v80
	v_ashrrev_i32_e32 v89, 31, v88
	v_lshl_add_u64 v[84:85], v[88:89], 4, s[2:3]
	v_add_u32_e32 v88, s15, v88
	v_add_u32_e32 v96, s15, v88
	;; [unrolled: 4-line block ×4, first 2 shown]
	v_ashrrev_i32_e32 v113, 31, v112
	v_lshl_add_u64 v[108:109], v[112:113], 4, s[2:3]
	v_add_u32_e32 v112, s15, v112
	v_lshlrev_b32_e32 v30, 4, v1
	v_mov_b32_e32 v31, 0
	v_add_u32_e32 v120, s15, v112
	v_lshl_add_u64 v[6:7], s[2:3], 0, v[30:31]
	v_ashrrev_i32_e32 v121, 31, v120
	s_ashr_i32 s9, s15, 31
	s_mov_b32 s8, s15
	v_accvgpr_write_b32 a0, v6
	v_ashrrev_i32_e32 v15, 31, v14
	v_ashrrev_i32_e32 v23, 31, v22
	;; [unrolled: 1-line block ×16, first 2 shown]
	v_lshl_add_u64 v[240:241], v[120:121], 4, s[2:3]
	v_add_u32_e32 v120, s15, v120
	v_accvgpr_write_b32 a1, v7
	v_lshl_add_u64 v[6:7], s[8:9], 4, v[6:7]
	v_lshl_add_u64 v[16:17], v[14:15], 4, s[2:3]
	;; [unrolled: 1-line block ×17, first 2 shown]
	v_ashrrev_i32_e32 v121, 31, v120
	v_add_u32_e32 v128, s15, v120
	v_accvgpr_write_b32 a2, v6
	v_accvgpr_write_b32 a4, v10
	;; [unrolled: 1-line block ×27, first 2 shown]
	v_lshl_add_u64 v[242:243], v[120:121], 4, s[2:3]
	v_ashrrev_i32_e32 v129, 31, v128
	global_load_dwordx4 v[2:5], v30, s[2:3]
	v_accvgpr_write_b32 a3, v7
	global_load_dwordx4 v[6:9], v[6:7], off
	v_accvgpr_write_b32 a5, v11
	global_load_dwordx4 v[10:13], v[10:11], off
	;; [unrolled: 2-line block ×27, first 2 shown]
	s_nop 0
	global_load_dwordx4 v[116:119], v[240:241], off
	v_lshl_add_u64 v[244:245], v[128:129], 4, s[2:3]
	global_load_dwordx4 v[120:123], v[242:243], off
	global_load_dwordx4 v[124:127], v[244:245], off
	v_add_u32_e32 v128, s15, v128
	v_ashrrev_i32_e32 v129, 31, v128
	v_lshl_add_u64 v[246:247], v[128:129], 4, s[2:3]
	global_load_dwordx4 v[128:131], v[246:247], off
	s_mov_b32 s18, 16
	s_mov_b32 s14, 32
	;; [unrolled: 1-line block ×4, first 2 shown]
	s_movk_i32 s19, 0x50
	s_movk_i32 s25, 0x60
	;; [unrolled: 1-line block ×27, first 2 shown]
	s_bitcmp0_b32 s6, 0
	s_mov_b64 s[6:7], -1
	s_waitcnt vmcnt(31)
	scratch_store_dwordx4 off, v[2:5], off
	s_waitcnt vmcnt(31)
	scratch_store_dwordx4 off, v[6:9], off offset:16
	s_waitcnt vmcnt(31)
	scratch_store_dwordx4 off, v[10:13], off offset:32
	;; [unrolled: 2-line block ×31, first 2 shown]
	s_cbranch_scc1 .LBB31_140
; %bb.4:
	v_cmp_eq_u32_e64 s[2:3], 0, v1
	s_and_saveexec_b64 s[6:7], s[2:3]
; %bb.5:
	v_mov_b32_e32 v2, 0
	ds_write_b32 v2, v2 offset:1024
; %bb.6:
	s_or_b64 exec, exec, s[6:7]
	s_waitcnt lgkmcnt(0)
	; wave barrier
	scratch_load_dwordx4 v[2:5], v30, off
	s_waitcnt vmcnt(0)
	v_cmp_eq_f64_e32 vcc, 0, v[2:3]
	v_cmp_eq_f64_e64 s[6:7], 0, v[4:5]
	s_and_b64 s[6:7], vcc, s[6:7]
	s_and_saveexec_b64 s[8:9], s[6:7]
	s_cbranch_execz .LBB31_10
; %bb.7:
	v_mov_b32_e32 v2, 0
	ds_read_b32 v4, v2 offset:1024
	v_add_u32_e32 v3, 1, v1
	s_waitcnt lgkmcnt(0)
	v_readfirstlane_b32 s6, v4
	s_cmp_eq_u32 s6, 0
	s_cselect_b64 s[12:13], -1, 0
	v_cmp_gt_i32_e32 vcc, s6, v3
	s_or_b64 s[12:13], s[12:13], vcc
	s_and_b64 exec, exec, s[12:13]
	s_cbranch_execz .LBB31_10
; %bb.8:
	s_mov_b64 s[12:13], 0
	v_mov_b32_e32 v4, s6
.LBB31_9:                               ; =>This Inner Loop Header: Depth=1
	ds_cmpst_rtn_b32 v4, v2, v4, v3 offset:1024
	s_waitcnt lgkmcnt(0)
	v_cmp_ne_u32_e32 vcc, 0, v4
	v_cmp_le_i32_e64 s[6:7], v4, v3
	s_and_b64 s[6:7], vcc, s[6:7]
	s_and_b64 s[6:7], exec, s[6:7]
	s_or_b64 s[12:13], s[6:7], s[12:13]
	s_andn2_b64 exec, exec, s[12:13]
	s_cbranch_execnz .LBB31_9
.LBB31_10:
	s_or_b64 exec, exec, s[8:9]
	v_mov_b32_e32 v3, 0
	; wave barrier
	ds_read_b32 v2, v3 offset:1024
	s_and_saveexec_b64 s[6:7], s[2:3]
	s_cbranch_execz .LBB31_12
; %bb.11:
	s_lshl_b64 s[8:9], s[4:5], 2
	s_add_u32 s8, s10, s8
	s_addc_u32 s9, s11, s9
	s_waitcnt lgkmcnt(0)
	global_store_dword v3, v2, s[8:9]
.LBB31_12:
	s_or_b64 exec, exec, s[6:7]
	s_waitcnt lgkmcnt(0)
	v_cmp_ne_u32_e32 vcc, 0, v2
	s_mov_b64 s[6:7], 0
	s_cbranch_vccnz .LBB31_140
; %bb.13:
	v_mov_b32_e32 v14, v30
	scratch_load_dwordx4 v[2:5], v14, off
                                        ; implicit-def: $vgpr6_vgpr7
                                        ; implicit-def: $vgpr10_vgpr11
	s_waitcnt vmcnt(0)
	v_cmp_ngt_f64_e64 s[6:7], |v[2:3]|, |v[4:5]|
	s_and_saveexec_b64 s[8:9], s[6:7]
	s_xor_b64 s[6:7], exec, s[8:9]
	s_cbranch_execz .LBB31_15
; %bb.14:
	v_div_scale_f64 v[6:7], s[8:9], v[4:5], v[4:5], v[2:3]
	v_rcp_f64_e32 v[8:9], v[6:7]
	v_div_scale_f64 v[10:11], vcc, v[2:3], v[4:5], v[2:3]
	v_fma_f64 v[12:13], -v[6:7], v[8:9], 1.0
	v_fmac_f64_e32 v[8:9], v[8:9], v[12:13]
	v_fma_f64 v[12:13], -v[6:7], v[8:9], 1.0
	v_fmac_f64_e32 v[8:9], v[8:9], v[12:13]
	v_mul_f64 v[12:13], v[10:11], v[8:9]
	v_fma_f64 v[6:7], -v[6:7], v[12:13], v[10:11]
	v_div_fmas_f64 v[6:7], v[6:7], v[8:9], v[12:13]
	v_div_fixup_f64 v[6:7], v[6:7], v[4:5], v[2:3]
	v_fmac_f64_e32 v[4:5], v[2:3], v[6:7]
	v_div_scale_f64 v[2:3], s[8:9], v[4:5], v[4:5], 1.0
	v_rcp_f64_e32 v[8:9], v[2:3]
	s_nop 0
	v_fma_f64 v[10:11], -v[2:3], v[8:9], 1.0
	v_fmac_f64_e32 v[8:9], v[8:9], v[10:11]
	v_fma_f64 v[10:11], -v[2:3], v[8:9], 1.0
	v_fmac_f64_e32 v[8:9], v[8:9], v[10:11]
	v_div_scale_f64 v[10:11], vcc, 1.0, v[4:5], 1.0
	v_mul_f64 v[12:13], v[10:11], v[8:9]
	v_fma_f64 v[2:3], -v[2:3], v[12:13], v[10:11]
	s_nop 1
	v_div_fmas_f64 v[2:3], v[2:3], v[8:9], v[12:13]
	v_div_fixup_f64 v[8:9], v[2:3], v[4:5], 1.0
	v_mul_f64 v[6:7], v[6:7], v[8:9]
	v_xor_b32_e32 v9, 0x80000000, v9
	v_xor_b32_e32 v11, 0x80000000, v7
	v_mov_b32_e32 v10, v6
                                        ; implicit-def: $vgpr2_vgpr3
.LBB31_15:
	s_andn2_saveexec_b64 s[6:7], s[6:7]
	s_cbranch_execz .LBB31_17
; %bb.16:
	v_div_scale_f64 v[6:7], s[8:9], v[2:3], v[2:3], v[4:5]
	v_rcp_f64_e32 v[8:9], v[6:7]
	v_div_scale_f64 v[10:11], vcc, v[4:5], v[2:3], v[4:5]
	v_fma_f64 v[12:13], -v[6:7], v[8:9], 1.0
	v_fmac_f64_e32 v[8:9], v[8:9], v[12:13]
	v_fma_f64 v[12:13], -v[6:7], v[8:9], 1.0
	v_fmac_f64_e32 v[8:9], v[8:9], v[12:13]
	v_mul_f64 v[12:13], v[10:11], v[8:9]
	v_fma_f64 v[6:7], -v[6:7], v[12:13], v[10:11]
	v_div_fmas_f64 v[6:7], v[6:7], v[8:9], v[12:13]
	v_div_fixup_f64 v[8:9], v[6:7], v[2:3], v[4:5]
	v_fmac_f64_e32 v[2:3], v[4:5], v[8:9]
	v_div_scale_f64 v[4:5], s[8:9], v[2:3], v[2:3], 1.0
	v_rcp_f64_e32 v[6:7], v[4:5]
	s_nop 0
	v_fma_f64 v[10:11], -v[4:5], v[6:7], 1.0
	v_fmac_f64_e32 v[6:7], v[6:7], v[10:11]
	v_fma_f64 v[10:11], -v[4:5], v[6:7], 1.0
	v_fmac_f64_e32 v[6:7], v[6:7], v[10:11]
	v_div_scale_f64 v[10:11], vcc, 1.0, v[2:3], 1.0
	v_mul_f64 v[12:13], v[10:11], v[6:7]
	v_fma_f64 v[4:5], -v[4:5], v[12:13], v[10:11]
	s_nop 1
	v_div_fmas_f64 v[4:5], v[4:5], v[6:7], v[12:13]
	v_div_fixup_f64 v[6:7], v[4:5], v[2:3], 1.0
	v_xor_b32_e32 v11, 0x80000000, v7
	v_mov_b32_e32 v10, v6
	v_mul_f64 v[8:9], v[8:9], -v[6:7]
.LBB31_17:
	s_or_b64 exec, exec, s[6:7]
	scratch_store_dwordx4 v14, v[6:9], off
	scratch_load_dwordx4 v[2:5], off, s18
	v_xor_b32_e32 v13, 0x80000000, v9
	v_mov_b32_e32 v12, v8
	v_add_u32_e32 v6, 0x200, v30
	ds_write_b128 v30, v[10:13]
	s_waitcnt vmcnt(0)
	ds_write_b128 v30, v[2:5] offset:512
	s_waitcnt lgkmcnt(0)
	; wave barrier
	s_and_saveexec_b64 s[6:7], s[2:3]
	s_cbranch_execz .LBB31_19
; %bb.18:
	scratch_load_dwordx4 v[2:5], v14, off
	ds_read_b128 v[8:11], v6
	v_mov_b32_e32 v7, 0
	ds_read_b128 v[16:19], v7 offset:16
	s_waitcnt vmcnt(0) lgkmcnt(1)
	v_mul_f64 v[12:13], v[10:11], v[4:5]
	v_mul_f64 v[4:5], v[8:9], v[4:5]
	v_fma_f64 v[8:9], v[8:9], v[2:3], -v[12:13]
	v_fmac_f64_e32 v[4:5], v[10:11], v[2:3]
	v_add_f64 v[2:3], v[8:9], 0
	v_add_f64 v[8:9], v[4:5], 0
	s_waitcnt lgkmcnt(0)
	v_mul_f64 v[10:11], v[8:9], v[18:19]
	v_mul_f64 v[4:5], v[2:3], v[18:19]
	v_fma_f64 v[2:3], v[2:3], v[16:17], -v[10:11]
	v_fmac_f64_e32 v[4:5], v[8:9], v[16:17]
	scratch_store_dwordx4 off, v[2:5], off offset:16
.LBB31_19:
	s_or_b64 exec, exec, s[6:7]
	; wave barrier
	scratch_load_dwordx4 v[2:5], off, s14
	v_cmp_gt_u32_e32 vcc, 2, v1
	s_waitcnt vmcnt(0)
	ds_write_b128 v6, v[2:5]
	s_waitcnt lgkmcnt(0)
	; wave barrier
	s_and_saveexec_b64 s[6:7], vcc
	s_cbranch_execz .LBB31_23
; %bb.20:
	scratch_load_dwordx4 v[2:5], v14, off
	ds_read_b128 v[8:11], v6
	s_waitcnt vmcnt(0) lgkmcnt(0)
	v_mul_f64 v[12:13], v[10:11], v[4:5]
	v_mul_f64 v[14:15], v[8:9], v[4:5]
	v_fma_f64 v[4:5], v[8:9], v[2:3], -v[12:13]
	v_fmac_f64_e32 v[14:15], v[10:11], v[2:3]
	v_add_f64 v[4:5], v[4:5], 0
	v_add_f64 v[2:3], v[14:15], 0
	s_and_saveexec_b64 s[8:9], s[2:3]
	s_cbranch_execz .LBB31_22
; %bb.21:
	scratch_load_dwordx4 v[8:11], off, off offset:16
	v_mov_b32_e32 v7, 0
	ds_read_b128 v[12:15], v7 offset:528
	s_waitcnt vmcnt(0) lgkmcnt(0)
	v_mul_f64 v[16:17], v[12:13], v[10:11]
	v_mul_f64 v[10:11], v[14:15], v[10:11]
	v_fmac_f64_e32 v[16:17], v[14:15], v[8:9]
	v_fma_f64 v[8:9], v[12:13], v[8:9], -v[10:11]
	v_add_f64 v[2:3], v[2:3], v[16:17]
	v_add_f64 v[4:5], v[4:5], v[8:9]
.LBB31_22:
	s_or_b64 exec, exec, s[8:9]
	v_mov_b32_e32 v7, 0
	ds_read_b128 v[8:11], v7 offset:32
	s_waitcnt lgkmcnt(0)
	v_mul_f64 v[14:15], v[2:3], v[10:11]
	v_mul_f64 v[12:13], v[4:5], v[10:11]
	v_fma_f64 v[10:11], v[4:5], v[8:9], -v[14:15]
	v_fmac_f64_e32 v[12:13], v[2:3], v[8:9]
	scratch_store_dwordx4 off, v[10:13], off offset:32
.LBB31_23:
	s_or_b64 exec, exec, s[6:7]
	; wave barrier
	scratch_load_dwordx4 v[2:5], off, s15
	v_cmp_gt_u32_e32 vcc, 3, v1
	v_add_u32_e32 v7, -1, v1
	s_waitcnt vmcnt(0)
	ds_write_b128 v6, v[2:5]
	s_waitcnt lgkmcnt(0)
	; wave barrier
	s_and_saveexec_b64 s[2:3], vcc
	s_cbranch_execz .LBB31_27
; %bb.24:
	v_add_u32_e32 v8, -1, v1
	v_add_u32_e32 v9, 0x200, v30
	v_mov_b32_e32 v10, v30
	v_mov_b64_e32 v[2:3], 0
	s_mov_b64 s[6:7], 0
	v_mov_b64_e32 v[4:5], 0
.LBB31_25:                              ; =>This Inner Loop Header: Depth=1
	scratch_load_dwordx4 v[12:15], v10, off
	ds_read_b128 v[16:19], v9
	v_add_u32_e32 v8, 1, v8
	v_cmp_lt_u32_e32 vcc, 1, v8
	v_add_u32_e32 v9, 16, v9
	v_add_u32_e32 v10, 16, v10
	s_or_b64 s[6:7], vcc, s[6:7]
	s_waitcnt vmcnt(0) lgkmcnt(0)
	v_mul_f64 v[20:21], v[18:19], v[14:15]
	v_mul_f64 v[14:15], v[16:17], v[14:15]
	v_fma_f64 v[16:17], v[16:17], v[12:13], -v[20:21]
	v_fmac_f64_e32 v[14:15], v[18:19], v[12:13]
	v_add_f64 v[4:5], v[4:5], v[16:17]
	v_add_f64 v[2:3], v[2:3], v[14:15]
	s_andn2_b64 exec, exec, s[6:7]
	s_cbranch_execnz .LBB31_25
; %bb.26:
	s_or_b64 exec, exec, s[6:7]
	v_mov_b32_e32 v8, 0
	ds_read_b128 v[8:11], v8 offset:48
	s_waitcnt lgkmcnt(0)
	v_mul_f64 v[14:15], v[2:3], v[10:11]
	v_mul_f64 v[12:13], v[4:5], v[10:11]
	v_fma_f64 v[10:11], v[4:5], v[8:9], -v[14:15]
	v_fmac_f64_e32 v[12:13], v[2:3], v[8:9]
	scratch_store_dwordx4 off, v[10:13], off offset:48
.LBB31_27:
	s_or_b64 exec, exec, s[2:3]
	; wave barrier
	scratch_load_dwordx4 v[2:5], off, s16
	v_cmp_gt_u32_e32 vcc, 4, v1
	s_waitcnt vmcnt(0)
	ds_write_b128 v6, v[2:5]
	s_waitcnt lgkmcnt(0)
	; wave barrier
	s_and_saveexec_b64 s[2:3], vcc
	s_cbranch_execz .LBB31_31
; %bb.28:
	v_add_u32_e32 v8, -1, v1
	v_add_u32_e32 v9, 0x200, v30
	v_mov_b32_e32 v10, v30
	v_mov_b64_e32 v[2:3], 0
	s_mov_b64 s[6:7], 0
	v_mov_b64_e32 v[4:5], 0
.LBB31_29:                              ; =>This Inner Loop Header: Depth=1
	scratch_load_dwordx4 v[12:15], v10, off
	ds_read_b128 v[16:19], v9
	v_add_u32_e32 v8, 1, v8
	v_cmp_lt_u32_e32 vcc, 2, v8
	v_add_u32_e32 v9, 16, v9
	v_add_u32_e32 v10, 16, v10
	s_or_b64 s[6:7], vcc, s[6:7]
	s_waitcnt vmcnt(0) lgkmcnt(0)
	v_mul_f64 v[20:21], v[18:19], v[14:15]
	v_mul_f64 v[14:15], v[16:17], v[14:15]
	v_fma_f64 v[16:17], v[16:17], v[12:13], -v[20:21]
	v_fmac_f64_e32 v[14:15], v[18:19], v[12:13]
	v_add_f64 v[4:5], v[4:5], v[16:17]
	v_add_f64 v[2:3], v[2:3], v[14:15]
	s_andn2_b64 exec, exec, s[6:7]
	s_cbranch_execnz .LBB31_29
; %bb.30:
	s_or_b64 exec, exec, s[6:7]
	v_mov_b32_e32 v8, 0
	ds_read_b128 v[8:11], v8 offset:64
	s_waitcnt lgkmcnt(0)
	v_mul_f64 v[14:15], v[2:3], v[10:11]
	v_mul_f64 v[12:13], v[4:5], v[10:11]
	v_fma_f64 v[10:11], v[4:5], v[8:9], -v[14:15]
	v_fmac_f64_e32 v[12:13], v[2:3], v[8:9]
	scratch_store_dwordx4 off, v[10:13], off offset:64
.LBB31_31:
	s_or_b64 exec, exec, s[2:3]
	; wave barrier
	scratch_load_dwordx4 v[2:5], off, s19
	v_cmp_gt_u32_e32 vcc, 5, v1
	;; [unrolled: 45-line block ×19, first 2 shown]
	s_waitcnt vmcnt(0)
	ds_write_b128 v6, v[2:5]
	s_waitcnt lgkmcnt(0)
	; wave barrier
	s_and_saveexec_b64 s[2:3], vcc
	s_cbranch_execz .LBB31_103
; %bb.100:
	v_add_u32_e32 v8, -1, v1
	v_add_u32_e32 v9, 0x200, v30
	v_mov_b32_e32 v10, v30
	v_mov_b64_e32 v[2:3], 0
	s_mov_b64 s[6:7], 0
	v_mov_b64_e32 v[4:5], 0
.LBB31_101:                             ; =>This Inner Loop Header: Depth=1
	scratch_load_dwordx4 v[12:15], v10, off
	ds_read_b128 v[16:19], v9
	v_add_u32_e32 v8, 1, v8
	v_cmp_lt_u32_e32 vcc, 20, v8
	v_add_u32_e32 v9, 16, v9
	v_add_u32_e32 v10, 16, v10
	s_or_b64 s[6:7], vcc, s[6:7]
	s_waitcnt vmcnt(0) lgkmcnt(0)
	v_mul_f64 v[20:21], v[18:19], v[14:15]
	v_mul_f64 v[14:15], v[16:17], v[14:15]
	v_fma_f64 v[16:17], v[16:17], v[12:13], -v[20:21]
	v_fmac_f64_e32 v[14:15], v[18:19], v[12:13]
	v_add_f64 v[4:5], v[4:5], v[16:17]
	v_add_f64 v[2:3], v[2:3], v[14:15]
	s_andn2_b64 exec, exec, s[6:7]
	s_cbranch_execnz .LBB31_101
; %bb.102:
	s_or_b64 exec, exec, s[6:7]
	v_mov_b32_e32 v8, 0
	ds_read_b128 v[8:11], v8 offset:352
	s_waitcnt lgkmcnt(0)
	v_mul_f64 v[14:15], v[2:3], v[10:11]
	v_mul_f64 v[12:13], v[4:5], v[10:11]
	v_fma_f64 v[10:11], v[4:5], v[8:9], -v[14:15]
	v_fmac_f64_e32 v[12:13], v[2:3], v[8:9]
	scratch_store_dwordx4 off, v[10:13], off offset:352
.LBB31_103:
	s_or_b64 exec, exec, s[2:3]
	; wave barrier
	scratch_load_dwordx4 v[2:5], off, s37
	v_cmp_gt_u32_e32 vcc, 23, v1
	s_waitcnt vmcnt(0)
	ds_write_b128 v6, v[2:5]
	s_waitcnt lgkmcnt(0)
	; wave barrier
	s_and_saveexec_b64 s[2:3], vcc
	s_cbranch_execz .LBB31_107
; %bb.104:
	v_add_u32_e32 v8, -1, v1
	v_add_u32_e32 v9, 0x200, v30
	v_mov_b32_e32 v10, v30
	v_mov_b64_e32 v[2:3], 0
	s_mov_b64 s[6:7], 0
	v_mov_b64_e32 v[4:5], 0
.LBB31_105:                             ; =>This Inner Loop Header: Depth=1
	scratch_load_dwordx4 v[12:15], v10, off
	ds_read_b128 v[16:19], v9
	v_add_u32_e32 v8, 1, v8
	v_cmp_lt_u32_e32 vcc, 21, v8
	v_add_u32_e32 v9, 16, v9
	v_add_u32_e32 v10, 16, v10
	s_or_b64 s[6:7], vcc, s[6:7]
	s_waitcnt vmcnt(0) lgkmcnt(0)
	v_mul_f64 v[20:21], v[18:19], v[14:15]
	v_mul_f64 v[14:15], v[16:17], v[14:15]
	v_fma_f64 v[16:17], v[16:17], v[12:13], -v[20:21]
	v_fmac_f64_e32 v[14:15], v[18:19], v[12:13]
	v_add_f64 v[4:5], v[4:5], v[16:17]
	v_add_f64 v[2:3], v[2:3], v[14:15]
	s_andn2_b64 exec, exec, s[6:7]
	s_cbranch_execnz .LBB31_105
; %bb.106:
	s_or_b64 exec, exec, s[6:7]
	v_mov_b32_e32 v8, 0
	ds_read_b128 v[8:11], v8 offset:368
	s_waitcnt lgkmcnt(0)
	v_mul_f64 v[14:15], v[2:3], v[10:11]
	v_mul_f64 v[12:13], v[4:5], v[10:11]
	v_fma_f64 v[10:11], v[4:5], v[8:9], -v[14:15]
	v_fmac_f64_e32 v[12:13], v[2:3], v[8:9]
	scratch_store_dwordx4 off, v[10:13], off offset:368
.LBB31_107:
	s_or_b64 exec, exec, s[2:3]
	; wave barrier
	scratch_load_dwordx4 v[2:5], off, s38
	v_cmp_gt_u32_e32 vcc, 24, v1
	;; [unrolled: 45-line block ×8, first 2 shown]
	s_waitcnt vmcnt(0)
	ds_write_b128 v6, v[2:5]
	s_waitcnt lgkmcnt(0)
	; wave barrier
	s_and_saveexec_b64 s[2:3], vcc
	s_cbranch_execz .LBB31_135
; %bb.132:
	v_add_u32_e32 v8, -1, v1
	v_add_u32_e32 v9, 0x200, v30
	v_mov_b32_e32 v10, v30
	v_mov_b64_e32 v[2:3], 0
	s_mov_b64 s[6:7], 0
	v_mov_b64_e32 v[4:5], 0
.LBB31_133:                             ; =>This Inner Loop Header: Depth=1
	scratch_load_dwordx4 v[12:15], v10, off
	ds_read_b128 v[16:19], v9
	v_add_u32_e32 v8, 1, v8
	v_cmp_lt_u32_e32 vcc, 28, v8
	v_add_u32_e32 v9, 16, v9
	v_add_u32_e32 v10, 16, v10
	s_or_b64 s[6:7], vcc, s[6:7]
	s_waitcnt vmcnt(0) lgkmcnt(0)
	v_mul_f64 v[20:21], v[18:19], v[14:15]
	v_mul_f64 v[14:15], v[16:17], v[14:15]
	v_fma_f64 v[16:17], v[16:17], v[12:13], -v[20:21]
	v_fmac_f64_e32 v[14:15], v[18:19], v[12:13]
	v_add_f64 v[4:5], v[4:5], v[16:17]
	v_add_f64 v[2:3], v[2:3], v[14:15]
	s_andn2_b64 exec, exec, s[6:7]
	s_cbranch_execnz .LBB31_133
; %bb.134:
	s_or_b64 exec, exec, s[6:7]
	v_mov_b32_e32 v8, 0
	ds_read_b128 v[8:11], v8 offset:480
	s_waitcnt lgkmcnt(0)
	v_mul_f64 v[14:15], v[2:3], v[10:11]
	v_mul_f64 v[12:13], v[4:5], v[10:11]
	v_fma_f64 v[10:11], v[4:5], v[8:9], -v[14:15]
	v_fmac_f64_e32 v[12:13], v[2:3], v[8:9]
	scratch_store_dwordx4 off, v[10:13], off offset:480
.LBB31_135:
	s_or_b64 exec, exec, s[2:3]
	; wave barrier
	scratch_load_dwordx4 v[2:5], off, s45
	v_cmp_ne_u32_e32 vcc, 31, v1
	s_waitcnt vmcnt(0)
	ds_write_b128 v6, v[2:5]
	s_waitcnt lgkmcnt(0)
	; wave barrier
	s_and_saveexec_b64 s[2:3], vcc
	s_cbranch_execz .LBB31_139
; %bb.136:
	v_add_u32_e32 v6, 0x200, v30
	v_mov_b32_e32 v8, v30
	v_mov_b64_e32 v[2:3], 0
	s_mov_b64 s[6:7], 0
	v_mov_b64_e32 v[4:5], 0
.LBB31_137:                             ; =>This Inner Loop Header: Depth=1
	scratch_load_dwordx4 v[10:13], v8, off
	ds_read_b128 v[14:17], v6
	v_add_u32_e32 v7, 1, v7
	v_cmp_lt_u32_e32 vcc, 29, v7
	v_add_u32_e32 v6, 16, v6
	v_add_u32_e32 v8, 16, v8
	s_or_b64 s[6:7], vcc, s[6:7]
	s_waitcnt vmcnt(0) lgkmcnt(0)
	v_mul_f64 v[18:19], v[16:17], v[12:13]
	v_mul_f64 v[12:13], v[14:15], v[12:13]
	v_fma_f64 v[14:15], v[14:15], v[10:11], -v[18:19]
	v_fmac_f64_e32 v[12:13], v[16:17], v[10:11]
	v_add_f64 v[4:5], v[4:5], v[14:15]
	v_add_f64 v[2:3], v[2:3], v[12:13]
	s_andn2_b64 exec, exec, s[6:7]
	s_cbranch_execnz .LBB31_137
; %bb.138:
	s_or_b64 exec, exec, s[6:7]
	v_mov_b32_e32 v6, 0
	ds_read_b128 v[6:9], v6 offset:496
	s_waitcnt lgkmcnt(0)
	v_mul_f64 v[12:13], v[2:3], v[8:9]
	v_mul_f64 v[10:11], v[4:5], v[8:9]
	v_fma_f64 v[8:9], v[4:5], v[6:7], -v[12:13]
	v_fmac_f64_e32 v[10:11], v[2:3], v[6:7]
	scratch_store_dwordx4 off, v[8:11], off offset:496
.LBB31_139:
	s_or_b64 exec, exec, s[2:3]
	s_mov_b64 s[6:7], -1
	; wave barrier
.LBB31_140:
	s_and_b64 vcc, exec, s[6:7]
	s_cbranch_vccz .LBB31_142
; %bb.141:
	s_lshl_b64 s[2:3], s[4:5], 2
	s_add_u32 s2, s10, s2
	s_addc_u32 s3, s11, s3
	v_mov_b32_e32 v2, 0
	global_load_dword v2, v2, s[2:3]
	s_waitcnt vmcnt(0)
	v_cmp_ne_u32_e32 vcc, 0, v2
	s_cbranch_vccz .LBB31_143
.LBB31_142:
	s_endpgm
.LBB31_143:
	v_mov_b32_e32 v2, 0x200
	v_lshl_add_u32 v250, v1, 4, v2
	v_cmp_eq_u32_e32 vcc, 31, v1
	s_and_saveexec_b64 s[2:3], vcc
	s_cbranch_execz .LBB31_145
; %bb.144:
	scratch_load_dwordx4 v[2:5], off, s44
	v_mov_b32_e32 v6, 0
	v_mov_b32_e32 v7, v6
	;; [unrolled: 1-line block ×4, first 2 shown]
	scratch_store_dwordx4 off, v[6:9], off offset:480
	s_waitcnt vmcnt(1)
	ds_write_b128 v250, v[2:5]
.LBB31_145:
	s_or_b64 exec, exec, s[2:3]
	s_waitcnt lgkmcnt(0)
	; wave barrier
	scratch_load_dwordx4 v[4:7], off, off offset:496
	scratch_load_dwordx4 v[8:11], off, off offset:480
	v_mov_b32_e32 v2, 0
	ds_read_b128 v[12:15], v2 offset:1008
	v_cmp_lt_u32_e32 vcc, 29, v1
	s_waitcnt vmcnt(1) lgkmcnt(0)
	v_mul_f64 v[16:17], v[12:13], v[6:7]
	v_mul_f64 v[6:7], v[14:15], v[6:7]
	v_fmac_f64_e32 v[16:17], v[14:15], v[4:5]
	v_fma_f64 v[4:5], v[12:13], v[4:5], -v[6:7]
	v_add_f64 v[6:7], v[16:17], 0
	v_add_f64 v[4:5], v[4:5], 0
	s_waitcnt vmcnt(0)
	v_add_f64 v[4:5], v[8:9], -v[4:5]
	v_add_f64 v[6:7], v[10:11], -v[6:7]
	scratch_store_dwordx4 off, v[4:7], off offset:480
	s_and_saveexec_b64 s[2:3], vcc
	s_cbranch_execz .LBB31_147
; %bb.146:
	scratch_load_dwordx4 v[6:9], off, s43
	v_mov_b32_e32 v3, v2
	v_mov_b32_e32 v4, v2
	;; [unrolled: 1-line block ×3, first 2 shown]
	scratch_store_dwordx4 off, v[2:5], off offset:464
	s_waitcnt vmcnt(1)
	ds_write_b128 v250, v[6:9]
.LBB31_147:
	s_or_b64 exec, exec, s[2:3]
	s_waitcnt lgkmcnt(0)
	; wave barrier
	scratch_load_dwordx4 v[4:7], off, off offset:480
	scratch_load_dwordx4 v[8:11], off, off offset:496
	;; [unrolled: 1-line block ×3, first 2 shown]
	ds_read_b128 v[16:19], v2 offset:992
	ds_read_b128 v[20:23], v2 offset:1008
	v_cmp_lt_u32_e32 vcc, 28, v1
	s_waitcnt vmcnt(2) lgkmcnt(1)
	v_mul_f64 v[2:3], v[16:17], v[6:7]
	v_mul_f64 v[6:7], v[18:19], v[6:7]
	s_waitcnt vmcnt(1) lgkmcnt(0)
	v_mul_f64 v[24:25], v[20:21], v[10:11]
	v_mul_f64 v[10:11], v[22:23], v[10:11]
	v_fmac_f64_e32 v[2:3], v[18:19], v[4:5]
	v_fma_f64 v[4:5], v[16:17], v[4:5], -v[6:7]
	v_fmac_f64_e32 v[24:25], v[22:23], v[8:9]
	v_fma_f64 v[6:7], v[20:21], v[8:9], -v[10:11]
	v_add_f64 v[2:3], v[2:3], 0
	v_add_f64 v[4:5], v[4:5], 0
	;; [unrolled: 1-line block ×4, first 2 shown]
	s_waitcnt vmcnt(0)
	v_add_f64 v[2:3], v[12:13], -v[2:3]
	v_add_f64 v[4:5], v[14:15], -v[8:9]
	scratch_store_dwordx4 off, v[2:5], off offset:464
	s_and_saveexec_b64 s[2:3], vcc
	s_cbranch_execz .LBB31_149
; %bb.148:
	scratch_load_dwordx4 v[2:5], off, s42
	v_mov_b32_e32 v6, 0
	v_mov_b32_e32 v7, v6
	;; [unrolled: 1-line block ×4, first 2 shown]
	scratch_store_dwordx4 off, v[6:9], off offset:448
	s_waitcnt vmcnt(1)
	ds_write_b128 v250, v[2:5]
.LBB31_149:
	s_or_b64 exec, exec, s[2:3]
	s_waitcnt lgkmcnt(0)
	; wave barrier
	scratch_load_dwordx4 v[4:7], off, off offset:464
	scratch_load_dwordx4 v[8:11], off, off offset:480
	;; [unrolled: 1-line block ×4, first 2 shown]
	v_mov_b32_e32 v2, 0
	ds_read_b128 v[20:23], v2 offset:976
	ds_read_b128 v[24:27], v2 offset:992
	;; [unrolled: 1-line block ×3, first 2 shown]
	v_cmp_lt_u32_e32 vcc, 27, v1
	s_waitcnt vmcnt(3) lgkmcnt(2)
	v_mul_f64 v[32:33], v[20:21], v[6:7]
	v_mul_f64 v[6:7], v[22:23], v[6:7]
	s_waitcnt vmcnt(2) lgkmcnt(1)
	v_mul_f64 v[34:35], v[24:25], v[10:11]
	v_mul_f64 v[10:11], v[26:27], v[10:11]
	v_fmac_f64_e32 v[32:33], v[22:23], v[4:5]
	v_fma_f64 v[4:5], v[20:21], v[4:5], -v[6:7]
	s_waitcnt vmcnt(1) lgkmcnt(0)
	v_mul_f64 v[36:37], v[28:29], v[14:15]
	v_mul_f64 v[14:15], v[30:31], v[14:15]
	v_fmac_f64_e32 v[34:35], v[26:27], v[8:9]
	v_fma_f64 v[6:7], v[24:25], v[8:9], -v[10:11]
	v_add_f64 v[10:11], v[32:33], 0
	v_add_f64 v[4:5], v[4:5], 0
	v_fmac_f64_e32 v[36:37], v[30:31], v[12:13]
	v_fma_f64 v[8:9], v[28:29], v[12:13], -v[14:15]
	v_add_f64 v[10:11], v[10:11], v[34:35]
	v_add_f64 v[4:5], v[4:5], v[6:7]
	;; [unrolled: 1-line block ×4, first 2 shown]
	s_waitcnt vmcnt(0)
	v_add_f64 v[4:5], v[16:17], -v[4:5]
	v_add_f64 v[6:7], v[18:19], -v[6:7]
	scratch_store_dwordx4 off, v[4:7], off offset:448
	s_and_saveexec_b64 s[2:3], vcc
	s_cbranch_execz .LBB31_151
; %bb.150:
	scratch_load_dwordx4 v[6:9], off, s41
	v_mov_b32_e32 v3, v2
	v_mov_b32_e32 v4, v2
	v_mov_b32_e32 v5, v2
	scratch_store_dwordx4 off, v[2:5], off offset:432
	s_waitcnt vmcnt(1)
	ds_write_b128 v250, v[6:9]
.LBB31_151:
	s_or_b64 exec, exec, s[2:3]
	s_waitcnt lgkmcnt(0)
	; wave barrier
	scratch_load_dwordx4 v[4:7], off, off offset:448
	scratch_load_dwordx4 v[8:11], off, off offset:464
	;; [unrolled: 1-line block ×5, first 2 shown]
	ds_read_b128 v[24:27], v2 offset:960
	ds_read_b128 v[28:31], v2 offset:976
	;; [unrolled: 1-line block ×4, first 2 shown]
	v_cmp_lt_u32_e32 vcc, 26, v1
	s_waitcnt vmcnt(4) lgkmcnt(3)
	v_mul_f64 v[2:3], v[24:25], v[6:7]
	v_mul_f64 v[6:7], v[26:27], v[6:7]
	s_waitcnt vmcnt(3) lgkmcnt(2)
	v_mul_f64 v[40:41], v[28:29], v[10:11]
	v_mul_f64 v[10:11], v[30:31], v[10:11]
	v_fmac_f64_e32 v[2:3], v[26:27], v[4:5]
	v_fma_f64 v[4:5], v[24:25], v[4:5], -v[6:7]
	s_waitcnt vmcnt(2) lgkmcnt(1)
	v_mul_f64 v[42:43], v[32:33], v[14:15]
	v_mul_f64 v[14:15], v[34:35], v[14:15]
	v_fmac_f64_e32 v[40:41], v[30:31], v[8:9]
	v_fma_f64 v[6:7], v[28:29], v[8:9], -v[10:11]
	v_add_f64 v[2:3], v[2:3], 0
	v_add_f64 v[4:5], v[4:5], 0
	s_waitcnt vmcnt(1) lgkmcnt(0)
	v_mul_f64 v[44:45], v[36:37], v[18:19]
	v_mul_f64 v[18:19], v[38:39], v[18:19]
	v_fmac_f64_e32 v[42:43], v[34:35], v[12:13]
	v_fma_f64 v[8:9], v[32:33], v[12:13], -v[14:15]
	v_add_f64 v[2:3], v[2:3], v[40:41]
	v_add_f64 v[4:5], v[4:5], v[6:7]
	v_fmac_f64_e32 v[44:45], v[38:39], v[16:17]
	v_fma_f64 v[10:11], v[36:37], v[16:17], -v[18:19]
	v_add_f64 v[2:3], v[2:3], v[42:43]
	v_add_f64 v[4:5], v[4:5], v[8:9]
	;; [unrolled: 1-line block ×4, first 2 shown]
	s_waitcnt vmcnt(0)
	v_add_f64 v[2:3], v[20:21], -v[2:3]
	v_add_f64 v[4:5], v[22:23], -v[6:7]
	scratch_store_dwordx4 off, v[2:5], off offset:432
	s_and_saveexec_b64 s[2:3], vcc
	s_cbranch_execz .LBB31_153
; %bb.152:
	scratch_load_dwordx4 v[2:5], off, s40
	v_mov_b32_e32 v6, 0
	v_mov_b32_e32 v7, v6
	;; [unrolled: 1-line block ×4, first 2 shown]
	scratch_store_dwordx4 off, v[6:9], off offset:416
	s_waitcnt vmcnt(1)
	ds_write_b128 v250, v[2:5]
.LBB31_153:
	s_or_b64 exec, exec, s[2:3]
	s_waitcnt lgkmcnt(0)
	; wave barrier
	scratch_load_dwordx4 v[4:7], off, off offset:432
	scratch_load_dwordx4 v[8:11], off, off offset:448
	;; [unrolled: 1-line block ×6, first 2 shown]
	v_mov_b32_e32 v2, 0
	ds_read_b128 v[28:31], v2 offset:944
	ds_read_b128 v[32:35], v2 offset:960
	;; [unrolled: 1-line block ×5, first 2 shown]
	v_cmp_lt_u32_e32 vcc, 25, v1
	s_waitcnt vmcnt(5) lgkmcnt(4)
	v_mul_f64 v[48:49], v[28:29], v[6:7]
	v_mul_f64 v[6:7], v[30:31], v[6:7]
	s_waitcnt vmcnt(4) lgkmcnt(3)
	v_mul_f64 v[50:51], v[32:33], v[10:11]
	s_waitcnt vmcnt(3) lgkmcnt(2)
	v_mul_f64 v[52:53], v[36:37], v[14:15]
	v_mul_f64 v[10:11], v[34:35], v[10:11]
	;; [unrolled: 1-line block ×3, first 2 shown]
	v_fmac_f64_e32 v[48:49], v[30:31], v[4:5]
	v_fma_f64 v[4:5], v[28:29], v[4:5], -v[6:7]
	v_fmac_f64_e32 v[50:51], v[34:35], v[8:9]
	v_fma_f64 v[6:7], v[32:33], v[8:9], -v[10:11]
	v_fma_f64 v[8:9], v[36:37], v[12:13], -v[14:15]
	v_add_f64 v[14:15], v[48:49], 0
	v_add_f64 v[4:5], v[4:5], 0
	s_waitcnt vmcnt(2) lgkmcnt(1)
	v_mul_f64 v[54:55], v[40:41], v[18:19]
	v_mul_f64 v[18:19], v[42:43], v[18:19]
	v_fmac_f64_e32 v[52:53], v[38:39], v[12:13]
	v_add_f64 v[14:15], v[14:15], v[50:51]
	v_add_f64 v[4:5], v[4:5], v[6:7]
	s_waitcnt vmcnt(1) lgkmcnt(0)
	v_mul_f64 v[56:57], v[44:45], v[22:23]
	v_mul_f64 v[22:23], v[46:47], v[22:23]
	v_fmac_f64_e32 v[54:55], v[42:43], v[16:17]
	v_fma_f64 v[10:11], v[40:41], v[16:17], -v[18:19]
	v_add_f64 v[6:7], v[14:15], v[52:53]
	v_add_f64 v[4:5], v[4:5], v[8:9]
	v_fmac_f64_e32 v[56:57], v[46:47], v[20:21]
	v_fma_f64 v[12:13], v[44:45], v[20:21], -v[22:23]
	v_add_f64 v[6:7], v[6:7], v[54:55]
	v_add_f64 v[4:5], v[4:5], v[10:11]
	;; [unrolled: 1-line block ×4, first 2 shown]
	s_waitcnt vmcnt(0)
	v_add_f64 v[4:5], v[24:25], -v[4:5]
	v_add_f64 v[6:7], v[26:27], -v[6:7]
	scratch_store_dwordx4 off, v[4:7], off offset:416
	s_and_saveexec_b64 s[2:3], vcc
	s_cbranch_execz .LBB31_155
; %bb.154:
	scratch_load_dwordx4 v[6:9], off, s39
	v_mov_b32_e32 v3, v2
	v_mov_b32_e32 v4, v2
	;; [unrolled: 1-line block ×3, first 2 shown]
	scratch_store_dwordx4 off, v[2:5], off offset:400
	s_waitcnt vmcnt(1)
	ds_write_b128 v250, v[6:9]
.LBB31_155:
	s_or_b64 exec, exec, s[2:3]
	s_waitcnt lgkmcnt(0)
	; wave barrier
	ds_read_b128 v[4:7], v2 offset:928
	ds_read_b128 v[8:11], v2 offset:944
	;; [unrolled: 1-line block ×4, first 2 shown]
	scratch_load_dwordx4 v[20:23], off, off offset:416
	scratch_load_dwordx4 v[40:43], off, off offset:480
	v_cmp_lt_u32_e32 vcc, 24, v1
	scratch_load_dwordx4 v[48:51], off, off offset:496
	s_waitcnt vmcnt(2) lgkmcnt(3)
	v_mul_f64 v[24:25], v[4:5], v[22:23]
	v_fmac_f64_e32 v[24:25], v[6:7], v[20:21]
	v_add_f64 v[28:29], v[24:25], 0
	scratch_load_dwordx4 v[24:27], off, off offset:432
	s_waitcnt vmcnt(0) lgkmcnt(2)
	v_mul_f64 v[30:31], v[8:9], v[26:27]
	v_fmac_f64_e32 v[30:31], v[10:11], v[24:25]
	v_add_f64 v[32:33], v[28:29], v[30:31]
	;; [unrolled: 5-line block ×4, first 2 shown]
	ds_read_b128 v[36:39], v2 offset:992
	s_waitcnt lgkmcnt(0)
	v_mul_f64 v[46:47], v[36:37], v[42:43]
	v_fmac_f64_e32 v[46:47], v[38:39], v[40:41]
	v_add_f64 v[52:53], v[44:45], v[46:47]
	ds_read_b128 v[44:47], v2 offset:1008
	s_waitcnt lgkmcnt(0)
	v_mul_f64 v[2:3], v[44:45], v[50:51]
	v_fmac_f64_e32 v[2:3], v[46:47], v[48:49]
	v_add_f64 v[52:53], v[52:53], v[2:3]
	v_mul_f64 v[2:3], v[6:7], v[22:23]
	v_fma_f64 v[2:3], v[4:5], v[20:21], -v[2:3]
	v_mul_f64 v[4:5], v[10:11], v[26:27]
	v_add_f64 v[2:3], v[2:3], 0
	v_fma_f64 v[4:5], v[8:9], v[24:25], -v[4:5]
	v_add_f64 v[2:3], v[2:3], v[4:5]
	v_mul_f64 v[4:5], v[14:15], v[30:31]
	v_fma_f64 v[4:5], v[12:13], v[28:29], -v[4:5]
	v_add_f64 v[2:3], v[2:3], v[4:5]
	v_mul_f64 v[4:5], v[18:19], v[34:35]
	;; [unrolled: 3-line block ×4, first 2 shown]
	v_fma_f64 v[4:5], v[44:45], v[48:49], -v[4:5]
	v_add_f64 v[6:7], v[2:3], v[4:5]
	scratch_load_dwordx4 v[2:5], off, off offset:400
	s_waitcnt vmcnt(0)
	v_add_f64 v[2:3], v[2:3], -v[6:7]
	v_add_f64 v[4:5], v[4:5], -v[52:53]
	scratch_store_dwordx4 off, v[2:5], off offset:400
	s_and_saveexec_b64 s[2:3], vcc
	s_cbranch_execz .LBB31_157
; %bb.156:
	scratch_load_dwordx4 v[2:5], off, s38
	v_mov_b32_e32 v6, 0
	v_mov_b32_e32 v7, v6
	;; [unrolled: 1-line block ×4, first 2 shown]
	scratch_store_dwordx4 off, v[6:9], off offset:384
	s_waitcnt vmcnt(1)
	ds_write_b128 v250, v[2:5]
.LBB31_157:
	s_or_b64 exec, exec, s[2:3]
	s_waitcnt lgkmcnt(0)
	; wave barrier
	scratch_load_dwordx4 v[4:7], off, off offset:400
	scratch_load_dwordx4 v[8:11], off, off offset:416
	;; [unrolled: 1-line block ×8, first 2 shown]
	v_mov_b32_e32 v2, 0
	ds_read_b128 v[36:39], v2 offset:912
	ds_read_b128 v[40:43], v2 offset:928
	;; [unrolled: 1-line block ×7, first 2 shown]
	v_cmp_lt_u32_e32 vcc, 23, v1
	s_waitcnt vmcnt(7) lgkmcnt(6)
	v_mul_f64 v[64:65], v[36:37], v[6:7]
	v_mul_f64 v[6:7], v[38:39], v[6:7]
	s_waitcnt vmcnt(6) lgkmcnt(5)
	v_mul_f64 v[66:67], v[40:41], v[10:11]
	s_waitcnt vmcnt(4) lgkmcnt(3)
	v_mul_f64 v[70:71], v[48:49], v[18:19]
	v_mul_f64 v[10:11], v[42:43], v[10:11]
	;; [unrolled: 1-line block ×3, first 2 shown]
	v_fmac_f64_e32 v[64:65], v[38:39], v[4:5]
	v_fma_f64 v[4:5], v[36:37], v[4:5], -v[6:7]
	v_mul_f64 v[68:69], v[44:45], v[14:15]
	v_mul_f64 v[14:15], v[46:47], v[14:15]
	v_fmac_f64_e32 v[66:67], v[42:43], v[8:9]
	v_fma_f64 v[6:7], v[40:41], v[8:9], -v[10:11]
	v_fma_f64 v[10:11], v[48:49], v[16:17], -v[18:19]
	v_add_f64 v[18:19], v[64:65], 0
	v_add_f64 v[4:5], v[4:5], 0
	v_fmac_f64_e32 v[68:69], v[46:47], v[12:13]
	v_fma_f64 v[8:9], v[44:45], v[12:13], -v[14:15]
	v_add_f64 v[18:19], v[18:19], v[66:67]
	v_add_f64 v[4:5], v[4:5], v[6:7]
	s_waitcnt vmcnt(3) lgkmcnt(2)
	v_mul_f64 v[72:73], v[52:53], v[22:23]
	v_mul_f64 v[22:23], v[54:55], v[22:23]
	v_fmac_f64_e32 v[70:71], v[50:51], v[16:17]
	v_add_f64 v[6:7], v[18:19], v[68:69]
	v_add_f64 v[4:5], v[4:5], v[8:9]
	s_waitcnt vmcnt(2) lgkmcnt(1)
	v_mul_f64 v[74:75], v[56:57], v[26:27]
	v_mul_f64 v[26:27], v[58:59], v[26:27]
	v_fmac_f64_e32 v[72:73], v[54:55], v[20:21]
	v_fma_f64 v[12:13], v[52:53], v[20:21], -v[22:23]
	v_add_f64 v[6:7], v[6:7], v[70:71]
	v_add_f64 v[4:5], v[4:5], v[10:11]
	s_waitcnt vmcnt(1) lgkmcnt(0)
	v_mul_f64 v[76:77], v[60:61], v[30:31]
	v_mul_f64 v[30:31], v[62:63], v[30:31]
	v_fmac_f64_e32 v[74:75], v[58:59], v[24:25]
	v_fma_f64 v[14:15], v[56:57], v[24:25], -v[26:27]
	v_add_f64 v[6:7], v[6:7], v[72:73]
	v_add_f64 v[4:5], v[4:5], v[12:13]
	v_fmac_f64_e32 v[76:77], v[62:63], v[28:29]
	v_fma_f64 v[16:17], v[60:61], v[28:29], -v[30:31]
	v_add_f64 v[6:7], v[6:7], v[74:75]
	v_add_f64 v[4:5], v[4:5], v[14:15]
	v_add_f64 v[6:7], v[6:7], v[76:77]
	v_add_f64 v[4:5], v[4:5], v[16:17]
	s_waitcnt vmcnt(0)
	v_add_f64 v[4:5], v[32:33], -v[4:5]
	v_add_f64 v[6:7], v[34:35], -v[6:7]
	scratch_store_dwordx4 off, v[4:7], off offset:384
	s_and_saveexec_b64 s[2:3], vcc
	s_cbranch_execz .LBB31_159
; %bb.158:
	scratch_load_dwordx4 v[6:9], off, s37
	v_mov_b32_e32 v3, v2
	v_mov_b32_e32 v4, v2
	;; [unrolled: 1-line block ×3, first 2 shown]
	scratch_store_dwordx4 off, v[2:5], off offset:368
	s_waitcnt vmcnt(1)
	ds_write_b128 v250, v[6:9]
.LBB31_159:
	s_or_b64 exec, exec, s[2:3]
	s_waitcnt lgkmcnt(0)
	; wave barrier
	scratch_load_dwordx4 v[4:7], off, off offset:384
	scratch_load_dwordx4 v[8:11], off, off offset:400
	;; [unrolled: 1-line block ×9, first 2 shown]
	ds_read_b128 v[40:43], v2 offset:896
	ds_read_b128 v[44:47], v2 offset:912
	;; [unrolled: 1-line block ×8, first 2 shown]
	v_cmp_lt_u32_e32 vcc, 22, v1
	s_waitcnt vmcnt(8) lgkmcnt(7)
	v_mul_f64 v[2:3], v[40:41], v[6:7]
	v_mul_f64 v[6:7], v[42:43], v[6:7]
	s_waitcnt vmcnt(7) lgkmcnt(6)
	v_mul_f64 v[72:73], v[44:45], v[10:11]
	v_mul_f64 v[10:11], v[46:47], v[10:11]
	v_fmac_f64_e32 v[2:3], v[42:43], v[4:5]
	v_fma_f64 v[4:5], v[40:41], v[4:5], -v[6:7]
	s_waitcnt vmcnt(6) lgkmcnt(5)
	v_mul_f64 v[74:75], v[48:49], v[14:15]
	v_mul_f64 v[14:15], v[50:51], v[14:15]
	v_fmac_f64_e32 v[72:73], v[46:47], v[8:9]
	v_fma_f64 v[6:7], v[44:45], v[8:9], -v[10:11]
	v_add_f64 v[2:3], v[2:3], 0
	v_add_f64 v[4:5], v[4:5], 0
	s_waitcnt vmcnt(5) lgkmcnt(4)
	v_mul_f64 v[76:77], v[52:53], v[18:19]
	v_mul_f64 v[18:19], v[54:55], v[18:19]
	v_fmac_f64_e32 v[74:75], v[50:51], v[12:13]
	v_fma_f64 v[8:9], v[48:49], v[12:13], -v[14:15]
	v_add_f64 v[2:3], v[2:3], v[72:73]
	v_add_f64 v[4:5], v[4:5], v[6:7]
	;; [unrolled: 7-line block ×6, first 2 shown]
	v_fmac_f64_e32 v[84:85], v[70:71], v[32:33]
	v_fma_f64 v[18:19], v[68:69], v[32:33], -v[34:35]
	v_add_f64 v[2:3], v[2:3], v[82:83]
	v_add_f64 v[4:5], v[4:5], v[16:17]
	;; [unrolled: 1-line block ×4, first 2 shown]
	s_waitcnt vmcnt(0)
	v_add_f64 v[2:3], v[36:37], -v[2:3]
	v_add_f64 v[4:5], v[38:39], -v[6:7]
	scratch_store_dwordx4 off, v[2:5], off offset:368
	s_and_saveexec_b64 s[2:3], vcc
	s_cbranch_execz .LBB31_161
; %bb.160:
	scratch_load_dwordx4 v[2:5], off, s36
	v_mov_b32_e32 v6, 0
	v_mov_b32_e32 v7, v6
	;; [unrolled: 1-line block ×4, first 2 shown]
	scratch_store_dwordx4 off, v[6:9], off offset:352
	s_waitcnt vmcnt(1)
	ds_write_b128 v250, v[2:5]
.LBB31_161:
	s_or_b64 exec, exec, s[2:3]
	s_waitcnt lgkmcnt(0)
	; wave barrier
	scratch_load_dwordx4 v[4:7], off, off offset:368
	scratch_load_dwordx4 v[8:11], off, off offset:384
	;; [unrolled: 1-line block ×10, first 2 shown]
	v_mov_b32_e32 v2, 0
	ds_read_b128 v[44:47], v2 offset:880
	ds_read_b128 v[48:51], v2 offset:896
	ds_read_b128 v[52:55], v2 offset:912
	ds_read_b128 v[56:59], v2 offset:928
	ds_read_b128 v[60:63], v2 offset:944
	ds_read_b128 v[64:67], v2 offset:960
	ds_read_b128 v[68:71], v2 offset:976
	ds_read_b128 v[72:75], v2 offset:992
	ds_read_b128 v[76:79], v2 offset:1008
	v_cmp_lt_u32_e32 vcc, 21, v1
	s_waitcnt vmcnt(9) lgkmcnt(8)
	v_mul_f64 v[80:81], v[44:45], v[6:7]
	v_mul_f64 v[6:7], v[46:47], v[6:7]
	s_waitcnt vmcnt(8) lgkmcnt(7)
	v_mul_f64 v[82:83], v[48:49], v[10:11]
	s_waitcnt vmcnt(7) lgkmcnt(6)
	;; [unrolled: 2-line block ×3, first 2 shown]
	v_mul_f64 v[88:89], v[60:61], v[22:23]
	v_mul_f64 v[10:11], v[50:51], v[10:11]
	;; [unrolled: 1-line block ×4, first 2 shown]
	v_fmac_f64_e32 v[80:81], v[46:47], v[4:5]
	v_fma_f64 v[4:5], v[44:45], v[4:5], -v[6:7]
	v_fmac_f64_e32 v[82:83], v[50:51], v[8:9]
	v_fmac_f64_e32 v[84:85], v[54:55], v[12:13]
	v_fma_f64 v[6:7], v[48:49], v[8:9], -v[10:11]
	v_fma_f64 v[8:9], v[52:53], v[12:13], -v[14:15]
	;; [unrolled: 1-line block ×3, first 2 shown]
	v_add_f64 v[22:23], v[80:81], 0
	v_add_f64 v[4:5], v[4:5], 0
	v_mul_f64 v[86:87], v[56:57], v[18:19]
	v_mul_f64 v[18:19], v[58:59], v[18:19]
	v_add_f64 v[22:23], v[22:23], v[82:83]
	v_add_f64 v[4:5], v[4:5], v[6:7]
	v_fmac_f64_e32 v[86:87], v[58:59], v[16:17]
	v_fma_f64 v[10:11], v[56:57], v[16:17], -v[18:19]
	v_add_f64 v[6:7], v[22:23], v[84:85]
	v_add_f64 v[4:5], v[4:5], v[8:9]
	s_waitcnt vmcnt(4) lgkmcnt(3)
	v_mul_f64 v[90:91], v[64:65], v[26:27]
	v_mul_f64 v[26:27], v[66:67], v[26:27]
	v_fmac_f64_e32 v[88:89], v[62:63], v[20:21]
	v_add_f64 v[6:7], v[6:7], v[86:87]
	v_add_f64 v[4:5], v[4:5], v[10:11]
	s_waitcnt vmcnt(3) lgkmcnt(2)
	v_mul_f64 v[92:93], v[68:69], v[30:31]
	v_mul_f64 v[30:31], v[70:71], v[30:31]
	v_fmac_f64_e32 v[90:91], v[66:67], v[24:25]
	v_fma_f64 v[14:15], v[64:65], v[24:25], -v[26:27]
	v_add_f64 v[6:7], v[6:7], v[88:89]
	v_add_f64 v[4:5], v[4:5], v[12:13]
	s_waitcnt vmcnt(2) lgkmcnt(1)
	v_mul_f64 v[94:95], v[72:73], v[34:35]
	v_mul_f64 v[34:35], v[74:75], v[34:35]
	v_fmac_f64_e32 v[92:93], v[70:71], v[28:29]
	v_fma_f64 v[16:17], v[68:69], v[28:29], -v[30:31]
	;; [unrolled: 7-line block ×3, first 2 shown]
	v_add_f64 v[6:7], v[6:7], v[92:93]
	v_add_f64 v[4:5], v[4:5], v[16:17]
	v_fmac_f64_e32 v[96:97], v[78:79], v[36:37]
	v_fma_f64 v[20:21], v[76:77], v[36:37], -v[38:39]
	v_add_f64 v[6:7], v[6:7], v[94:95]
	v_add_f64 v[4:5], v[4:5], v[18:19]
	v_add_f64 v[6:7], v[6:7], v[96:97]
	v_add_f64 v[4:5], v[4:5], v[20:21]
	s_waitcnt vmcnt(0)
	v_add_f64 v[4:5], v[40:41], -v[4:5]
	v_add_f64 v[6:7], v[42:43], -v[6:7]
	scratch_store_dwordx4 off, v[4:7], off offset:352
	s_and_saveexec_b64 s[2:3], vcc
	s_cbranch_execz .LBB31_163
; %bb.162:
	scratch_load_dwordx4 v[6:9], off, s35
	v_mov_b32_e32 v3, v2
	v_mov_b32_e32 v4, v2
	;; [unrolled: 1-line block ×3, first 2 shown]
	scratch_store_dwordx4 off, v[2:5], off offset:336
	s_waitcnt vmcnt(1)
	ds_write_b128 v250, v[6:9]
.LBB31_163:
	s_or_b64 exec, exec, s[2:3]
	s_waitcnt lgkmcnt(0)
	; wave barrier
	ds_read_b128 v[4:7], v2 offset:864
	ds_read_b128 v[8:11], v2 offset:880
	;; [unrolled: 1-line block ×4, first 2 shown]
	scratch_load_dwordx4 v[20:23], off, off offset:352
	scratch_load_dwordx4 v[40:43], off, off offset:416
	;; [unrolled: 1-line block ×4, first 2 shown]
	v_cmp_lt_u32_e32 vcc, 20, v1
	scratch_load_dwordx4 v[48:51], off, off offset:432
	scratch_load_dwordx4 v[56:59], off, off offset:448
	;; [unrolled: 1-line block ×3, first 2 shown]
	s_waitcnt vmcnt(6) lgkmcnt(3)
	v_mul_f64 v[24:25], v[4:5], v[22:23]
	v_fmac_f64_e32 v[24:25], v[6:7], v[20:21]
	v_add_f64 v[28:29], v[24:25], 0
	scratch_load_dwordx4 v[24:27], off, off offset:368
	s_waitcnt vmcnt(0) lgkmcnt(2)
	v_mul_f64 v[30:31], v[8:9], v[26:27]
	v_fmac_f64_e32 v[30:31], v[10:11], v[24:25]
	v_add_f64 v[32:33], v[28:29], v[30:31]
	scratch_load_dwordx4 v[28:31], off, off offset:384
	;; [unrolled: 5-line block ×3, first 2 shown]
	s_waitcnt vmcnt(0) lgkmcnt(0)
	v_mul_f64 v[38:39], v[16:17], v[34:35]
	v_fmac_f64_e32 v[38:39], v[18:19], v[32:33]
	v_add_f64 v[44:45], v[36:37], v[38:39]
	ds_read_b128 v[36:39], v2 offset:928
	s_waitcnt lgkmcnt(0)
	v_mul_f64 v[46:47], v[36:37], v[42:43]
	v_fmac_f64_e32 v[46:47], v[38:39], v[40:41]
	v_add_f64 v[52:53], v[44:45], v[46:47]
	ds_read_b128 v[44:47], v2 offset:944
	s_waitcnt lgkmcnt(0)
	;; [unrolled: 5-line block ×6, first 2 shown]
	v_mul_f64 v[2:3], v[76:77], v[82:83]
	v_fmac_f64_e32 v[2:3], v[78:79], v[80:81]
	v_add_f64 v[84:85], v[84:85], v[2:3]
	v_mul_f64 v[2:3], v[6:7], v[22:23]
	v_fma_f64 v[2:3], v[4:5], v[20:21], -v[2:3]
	v_mul_f64 v[4:5], v[10:11], v[26:27]
	v_add_f64 v[2:3], v[2:3], 0
	v_fma_f64 v[4:5], v[8:9], v[24:25], -v[4:5]
	v_add_f64 v[2:3], v[2:3], v[4:5]
	v_mul_f64 v[4:5], v[14:15], v[30:31]
	v_fma_f64 v[4:5], v[12:13], v[28:29], -v[4:5]
	v_add_f64 v[2:3], v[2:3], v[4:5]
	v_mul_f64 v[4:5], v[18:19], v[34:35]
	;; [unrolled: 3-line block ×8, first 2 shown]
	v_fma_f64 v[4:5], v[76:77], v[80:81], -v[4:5]
	v_add_f64 v[6:7], v[2:3], v[4:5]
	scratch_load_dwordx4 v[2:5], off, off offset:336
	s_waitcnt vmcnt(0)
	v_add_f64 v[2:3], v[2:3], -v[6:7]
	v_add_f64 v[4:5], v[4:5], -v[84:85]
	scratch_store_dwordx4 off, v[2:5], off offset:336
	s_and_saveexec_b64 s[2:3], vcc
	s_cbranch_execz .LBB31_165
; %bb.164:
	scratch_load_dwordx4 v[2:5], off, s34
	v_mov_b32_e32 v6, 0
	v_mov_b32_e32 v7, v6
	;; [unrolled: 1-line block ×4, first 2 shown]
	scratch_store_dwordx4 off, v[6:9], off offset:320
	s_waitcnt vmcnt(1)
	ds_write_b128 v250, v[2:5]
.LBB31_165:
	s_or_b64 exec, exec, s[2:3]
	v_mov_b32_e32 v2, 0
	s_waitcnt lgkmcnt(0)
	; wave barrier
	ds_read_b128 v[4:7], v2 offset:848
	ds_read_b128 v[8:11], v2 offset:864
	;; [unrolled: 1-line block ×4, first 2 shown]
	scratch_load_dwordx4 v[20:23], off, off offset:336
	scratch_load_dwordx4 v[40:43], off, off offset:400
	;; [unrolled: 1-line block ×5, first 2 shown]
	v_cmp_lt_u32_e32 vcc, 19, v1
	scratch_load_dwordx4 v[48:51], off, off offset:416
	scratch_load_dwordx4 v[56:59], off, off offset:432
	;; [unrolled: 1-line block ×3, first 2 shown]
	s_waitcnt vmcnt(7) lgkmcnt(3)
	v_mul_f64 v[24:25], v[4:5], v[22:23]
	v_fmac_f64_e32 v[24:25], v[6:7], v[20:21]
	v_add_f64 v[28:29], v[24:25], 0
	scratch_load_dwordx4 v[24:27], off, off offset:352
	v_mul_f64 v[6:7], v[6:7], v[22:23]
	v_fma_f64 v[4:5], v[4:5], v[20:21], -v[6:7]
	v_add_f64 v[4:5], v[4:5], 0
	s_waitcnt vmcnt(0) lgkmcnt(2)
	v_mul_f64 v[30:31], v[8:9], v[26:27]
	v_fmac_f64_e32 v[30:31], v[10:11], v[24:25]
	v_add_f64 v[32:33], v[28:29], v[30:31]
	scratch_load_dwordx4 v[28:31], off, off offset:368
	v_mul_f64 v[6:7], v[10:11], v[26:27]
	v_fma_f64 v[6:7], v[8:9], v[24:25], -v[6:7]
	v_add_f64 v[4:5], v[4:5], v[6:7]
	;; [unrolled: 8-line block ×3, first 2 shown]
	s_waitcnt vmcnt(0) lgkmcnt(0)
	v_mul_f64 v[38:39], v[16:17], v[34:35]
	v_fmac_f64_e32 v[38:39], v[18:19], v[32:33]
	v_add_f64 v[44:45], v[36:37], v[38:39]
	ds_read_b128 v[36:39], v2 offset:912
	v_mul_f64 v[6:7], v[18:19], v[34:35]
	v_fma_f64 v[6:7], v[16:17], v[32:33], -v[6:7]
	v_add_f64 v[4:5], v[4:5], v[6:7]
	s_waitcnt lgkmcnt(0)
	v_mul_f64 v[46:47], v[36:37], v[42:43]
	v_fmac_f64_e32 v[46:47], v[38:39], v[40:41]
	v_add_f64 v[52:53], v[44:45], v[46:47]
	ds_read_b128 v[44:47], v2 offset:928
	v_mul_f64 v[6:7], v[38:39], v[42:43]
	v_fma_f64 v[6:7], v[36:37], v[40:41], -v[6:7]
	v_add_f64 v[4:5], v[4:5], v[6:7]
	s_waitcnt lgkmcnt(0)
	v_mul_f64 v[54:55], v[44:45], v[50:51]
	v_fmac_f64_e32 v[54:55], v[46:47], v[48:49]
	v_add_f64 v[60:61], v[52:53], v[54:55]
	ds_read_b128 v[52:55], v2 offset:944
	v_mul_f64 v[6:7], v[46:47], v[50:51]
	v_fma_f64 v[6:7], v[44:45], v[48:49], -v[6:7]
	v_add_f64 v[4:5], v[4:5], v[6:7]
	s_waitcnt lgkmcnt(0)
	v_mul_f64 v[62:63], v[52:53], v[58:59]
	v_fmac_f64_e32 v[62:63], v[54:55], v[56:57]
	v_add_f64 v[68:69], v[60:61], v[62:63]
	ds_read_b128 v[60:63], v2 offset:960
	v_mul_f64 v[6:7], v[54:55], v[58:59]
	v_fma_f64 v[6:7], v[52:53], v[56:57], -v[6:7]
	v_add_f64 v[4:5], v[4:5], v[6:7]
	s_waitcnt lgkmcnt(0)
	v_mul_f64 v[70:71], v[60:61], v[66:67]
	v_fmac_f64_e32 v[70:71], v[62:63], v[64:65]
	v_add_f64 v[76:77], v[68:69], v[70:71]
	ds_read_b128 v[68:71], v2 offset:976
	v_mul_f64 v[6:7], v[62:63], v[66:67]
	v_fma_f64 v[6:7], v[60:61], v[64:65], -v[6:7]
	v_add_f64 v[4:5], v[4:5], v[6:7]
	s_waitcnt lgkmcnt(0)
	v_mul_f64 v[78:79], v[68:69], v[74:75]
	v_fmac_f64_e32 v[78:79], v[70:71], v[72:73]
	v_add_f64 v[84:85], v[76:77], v[78:79]
	ds_read_b128 v[76:79], v2 offset:992
	v_mul_f64 v[6:7], v[70:71], v[74:75]
	v_fma_f64 v[6:7], v[68:69], v[72:73], -v[6:7]
	v_add_f64 v[4:5], v[4:5], v[6:7]
	s_waitcnt lgkmcnt(0)
	v_mul_f64 v[86:87], v[76:77], v[82:83]
	v_fmac_f64_e32 v[86:87], v[78:79], v[80:81]
	v_add_f64 v[92:93], v[84:85], v[86:87]
	ds_read_b128 v[84:87], v2 offset:1008
	v_mul_f64 v[6:7], v[78:79], v[82:83]
	v_fma_f64 v[6:7], v[76:77], v[80:81], -v[6:7]
	v_add_f64 v[4:5], v[4:5], v[6:7]
	s_waitcnt lgkmcnt(0)
	v_mul_f64 v[6:7], v[86:87], v[90:91]
	v_fma_f64 v[6:7], v[84:85], v[88:89], -v[6:7]
	v_add_f64 v[8:9], v[4:5], v[6:7]
	scratch_load_dwordx4 v[4:7], off, off offset:320
	v_mul_f64 v[94:95], v[84:85], v[90:91]
	v_fmac_f64_e32 v[94:95], v[86:87], v[88:89]
	v_add_f64 v[92:93], v[92:93], v[94:95]
	s_waitcnt vmcnt(0)
	v_add_f64 v[4:5], v[4:5], -v[8:9]
	v_add_f64 v[6:7], v[6:7], -v[92:93]
	scratch_store_dwordx4 off, v[4:7], off offset:320
	s_and_saveexec_b64 s[2:3], vcc
	s_cbranch_execz .LBB31_167
; %bb.166:
	scratch_load_dwordx4 v[6:9], off, s33
	v_mov_b32_e32 v3, v2
	v_mov_b32_e32 v4, v2
	;; [unrolled: 1-line block ×3, first 2 shown]
	scratch_store_dwordx4 off, v[2:5], off offset:304
	s_waitcnt vmcnt(1)
	ds_write_b128 v250, v[6:9]
.LBB31_167:
	s_or_b64 exec, exec, s[2:3]
	s_waitcnt lgkmcnt(0)
	; wave barrier
	scratch_load_dwordx4 v[4:7], off, off offset:320
	scratch_load_dwordx4 v[8:11], off, off offset:336
	;; [unrolled: 1-line block ×12, first 2 shown]
	ds_read_b128 v[52:55], v2 offset:832
	ds_read_b128 v[56:59], v2 offset:848
	;; [unrolled: 1-line block ×4, first 2 shown]
	scratch_load_dwordx4 v[68:71], off, off offset:304
	ds_read_b128 v[72:75], v2 offset:896
	ds_read_b128 v[76:79], v2 offset:912
	;; [unrolled: 1-line block ×8, first 2 shown]
	v_cmp_lt_u32_e32 vcc, 18, v1
	s_waitcnt vmcnt(12) lgkmcnt(11)
	v_mul_f64 v[2:3], v[52:53], v[6:7]
	s_waitcnt vmcnt(11) lgkmcnt(10)
	v_mul_f64 v[104:105], v[56:57], v[10:11]
	v_fmac_f64_e32 v[2:3], v[54:55], v[4:5]
	s_waitcnt vmcnt(10) lgkmcnt(9)
	v_mul_f64 v[106:107], v[60:61], v[14:15]
	v_mul_f64 v[6:7], v[54:55], v[6:7]
	v_fmac_f64_e32 v[104:105], v[58:59], v[8:9]
	v_add_f64 v[2:3], v[2:3], 0
	s_waitcnt vmcnt(9) lgkmcnt(8)
	v_mul_f64 v[108:109], v[64:65], v[18:19]
	v_mul_f64 v[10:11], v[58:59], v[10:11]
	v_fmac_f64_e32 v[106:107], v[62:63], v[12:13]
	v_fma_f64 v[4:5], v[52:53], v[4:5], -v[6:7]
	v_add_f64 v[2:3], v[2:3], v[104:105]
	s_waitcnt vmcnt(8) lgkmcnt(7)
	v_mul_f64 v[110:111], v[72:73], v[22:23]
	v_mul_f64 v[14:15], v[62:63], v[14:15]
	v_fmac_f64_e32 v[108:109], v[66:67], v[16:17]
	v_fma_f64 v[6:7], v[56:57], v[8:9], -v[10:11]
	v_add_f64 v[4:5], v[4:5], 0
	v_add_f64 v[2:3], v[2:3], v[106:107]
	s_waitcnt vmcnt(7) lgkmcnt(6)
	v_mul_f64 v[112:113], v[76:77], v[26:27]
	v_mul_f64 v[18:19], v[66:67], v[18:19]
	v_fmac_f64_e32 v[110:111], v[74:75], v[20:21]
	v_fma_f64 v[8:9], v[60:61], v[12:13], -v[14:15]
	v_add_f64 v[4:5], v[4:5], v[6:7]
	;; [unrolled: 7-line block ×8, first 2 shown]
	v_add_f64 v[2:3], v[2:3], v[120:121]
	v_mul_f64 v[46:47], v[98:99], v[46:47]
	v_fmac_f64_e32 v[124:125], v[102:103], v[48:49]
	v_fma_f64 v[22:23], v[92:93], v[40:41], -v[42:43]
	v_add_f64 v[4:5], v[4:5], v[20:21]
	v_add_f64 v[2:3], v[2:3], v[122:123]
	;; [unrolled: 1-line block ×4, first 2 shown]
	v_fma_f64 v[2:3], v[96:97], v[44:45], -v[46:47]
	v_add_f64 v[2:3], v[4:5], v[2:3]
	v_mul_f64 v[4:5], v[102:103], v[50:51]
	v_fma_f64 v[4:5], v[100:101], v[48:49], -v[4:5]
	v_add_f64 v[2:3], v[2:3], v[4:5]
	s_waitcnt vmcnt(0)
	v_add_f64 v[2:3], v[68:69], -v[2:3]
	v_add_f64 v[4:5], v[70:71], -v[6:7]
	scratch_store_dwordx4 off, v[2:5], off offset:304
	s_and_saveexec_b64 s[2:3], vcc
	s_cbranch_execz .LBB31_169
; %bb.168:
	scratch_load_dwordx4 v[2:5], off, s31
	v_mov_b32_e32 v6, 0
	v_mov_b32_e32 v7, v6
	;; [unrolled: 1-line block ×4, first 2 shown]
	scratch_store_dwordx4 off, v[6:9], off offset:288
	s_waitcnt vmcnt(1)
	ds_write_b128 v250, v[2:5]
.LBB31_169:
	s_or_b64 exec, exec, s[2:3]
	s_waitcnt lgkmcnt(0)
	; wave barrier
	scratch_load_dwordx4 v[4:7], off, off offset:304
	scratch_load_dwordx4 v[8:11], off, off offset:320
	;; [unrolled: 1-line block ×14, first 2 shown]
	v_mov_b32_e32 v2, 0
	ds_read_b128 v[60:63], v2 offset:816
	ds_read_b128 v[64:67], v2 offset:832
	;; [unrolled: 1-line block ×13, first 2 shown]
	v_cmp_lt_u32_e32 vcc, 17, v1
	s_waitcnt vmcnt(13) lgkmcnt(12)
	v_mul_f64 v[112:113], v[60:61], v[6:7]
	v_mul_f64 v[6:7], v[62:63], v[6:7]
	s_waitcnt vmcnt(12) lgkmcnt(11)
	v_mul_f64 v[114:115], v[64:65], v[10:11]
	v_mul_f64 v[10:11], v[66:67], v[10:11]
	v_fmac_f64_e32 v[112:113], v[62:63], v[4:5]
	v_fma_f64 v[4:5], v[60:61], v[4:5], -v[6:7]
	s_waitcnt vmcnt(11) lgkmcnt(10)
	v_mul_f64 v[116:117], v[68:69], v[14:15]
	v_mul_f64 v[14:15], v[70:71], v[14:15]
	v_fma_f64 v[6:7], v[64:65], v[8:9], -v[10:11]
	v_add_f64 v[4:5], v[4:5], 0
	s_waitcnt vmcnt(10) lgkmcnt(9)
	v_mul_f64 v[118:119], v[72:73], v[18:19]
	v_mul_f64 v[18:19], v[74:75], v[18:19]
	v_fmac_f64_e32 v[114:115], v[66:67], v[8:9]
	v_fma_f64 v[8:9], v[68:69], v[12:13], -v[14:15]
	v_add_f64 v[4:5], v[4:5], v[6:7]
	s_waitcnt vmcnt(9) lgkmcnt(8)
	v_mul_f64 v[120:121], v[76:77], v[22:23]
	v_mul_f64 v[22:23], v[78:79], v[22:23]
	v_fma_f64 v[10:11], v[72:73], v[16:17], -v[18:19]
	v_add_f64 v[4:5], v[4:5], v[8:9]
	s_waitcnt vmcnt(8) lgkmcnt(7)
	v_mul_f64 v[122:123], v[80:81], v[26:27]
	v_mul_f64 v[26:27], v[82:83], v[26:27]
	v_fmac_f64_e32 v[116:117], v[70:71], v[12:13]
	v_fma_f64 v[12:13], v[76:77], v[20:21], -v[22:23]
	v_add_f64 v[22:23], v[112:113], 0
	v_add_f64 v[4:5], v[4:5], v[10:11]
	s_waitcnt vmcnt(7) lgkmcnt(6)
	v_mul_f64 v[124:125], v[84:85], v[30:31]
	v_mul_f64 v[30:31], v[86:87], v[30:31]
	v_fma_f64 v[14:15], v[80:81], v[24:25], -v[26:27]
	v_add_f64 v[22:23], v[22:23], v[114:115]
	v_add_f64 v[4:5], v[4:5], v[12:13]
	s_waitcnt vmcnt(6) lgkmcnt(5)
	v_mul_f64 v[126:127], v[88:89], v[34:35]
	v_mul_f64 v[34:35], v[90:91], v[34:35]
	v_fmac_f64_e32 v[118:119], v[74:75], v[16:17]
	v_fma_f64 v[16:17], v[84:85], v[28:29], -v[30:31]
	v_add_f64 v[6:7], v[22:23], v[116:117]
	v_add_f64 v[4:5], v[4:5], v[14:15]
	s_waitcnt vmcnt(5) lgkmcnt(4)
	v_mul_f64 v[128:129], v[92:93], v[38:39]
	v_mul_f64 v[38:39], v[94:95], v[38:39]
	v_fmac_f64_e32 v[120:121], v[78:79], v[20:21]
	v_fma_f64 v[18:19], v[88:89], v[32:33], -v[34:35]
	v_add_f64 v[6:7], v[6:7], v[118:119]
	v_add_f64 v[4:5], v[4:5], v[16:17]
	v_fmac_f64_e32 v[122:123], v[82:83], v[24:25]
	v_fma_f64 v[20:21], v[92:93], v[36:37], -v[38:39]
	v_add_f64 v[6:7], v[6:7], v[120:121]
	v_add_f64 v[4:5], v[4:5], v[18:19]
	s_waitcnt vmcnt(4) lgkmcnt(3)
	v_mul_f64 v[8:9], v[98:99], v[42:43]
	v_fmac_f64_e32 v[124:125], v[86:87], v[28:29]
	v_add_f64 v[6:7], v[6:7], v[122:123]
	v_add_f64 v[4:5], v[4:5], v[20:21]
	v_fma_f64 v[8:9], v[96:97], v[40:41], -v[8:9]
	v_fmac_f64_e32 v[126:127], v[90:91], v[32:33]
	v_add_f64 v[6:7], v[6:7], v[124:125]
	v_add_f64 v[4:5], v[4:5], v[8:9]
	s_waitcnt vmcnt(3) lgkmcnt(2)
	v_mul_f64 v[8:9], v[102:103], v[46:47]
	v_mul_f64 v[130:131], v[96:97], v[42:43]
	v_fmac_f64_e32 v[128:129], v[94:95], v[36:37]
	v_add_f64 v[6:7], v[6:7], v[126:127]
	v_fma_f64 v[8:9], v[100:101], v[44:45], -v[8:9]
	v_mul_f64 v[132:133], v[100:101], v[46:47]
	v_fmac_f64_e32 v[130:131], v[98:99], v[40:41]
	v_add_f64 v[6:7], v[6:7], v[128:129]
	v_add_f64 v[4:5], v[4:5], v[8:9]
	s_waitcnt vmcnt(2) lgkmcnt(1)
	v_mul_f64 v[8:9], v[106:107], v[50:51]
	v_mul_f64 v[134:135], v[104:105], v[50:51]
	v_fmac_f64_e32 v[132:133], v[102:103], v[44:45]
	v_add_f64 v[6:7], v[6:7], v[130:131]
	v_fma_f64 v[8:9], v[104:105], v[48:49], -v[8:9]
	s_waitcnt vmcnt(1) lgkmcnt(0)
	v_mul_f64 v[136:137], v[108:109], v[54:55]
	v_fmac_f64_e32 v[134:135], v[106:107], v[48:49]
	v_add_f64 v[6:7], v[6:7], v[132:133]
	v_add_f64 v[4:5], v[4:5], v[8:9]
	v_mul_f64 v[8:9], v[110:111], v[54:55]
	v_fmac_f64_e32 v[136:137], v[110:111], v[52:53]
	v_add_f64 v[6:7], v[6:7], v[134:135]
	v_fma_f64 v[8:9], v[108:109], v[52:53], -v[8:9]
	v_add_f64 v[6:7], v[6:7], v[136:137]
	v_add_f64 v[4:5], v[4:5], v[8:9]
	s_waitcnt vmcnt(0)
	v_add_f64 v[4:5], v[56:57], -v[4:5]
	v_add_f64 v[6:7], v[58:59], -v[6:7]
	scratch_store_dwordx4 off, v[4:7], off offset:288
	s_and_saveexec_b64 s[2:3], vcc
	s_cbranch_execz .LBB31_171
; %bb.170:
	scratch_load_dwordx4 v[6:9], off, s30
	v_mov_b32_e32 v3, v2
	v_mov_b32_e32 v4, v2
	;; [unrolled: 1-line block ×3, first 2 shown]
	scratch_store_dwordx4 off, v[2:5], off offset:272
	s_waitcnt vmcnt(1)
	ds_write_b128 v250, v[6:9]
.LBB31_171:
	s_or_b64 exec, exec, s[2:3]
	s_waitcnt lgkmcnt(0)
	; wave barrier
	scratch_load_dwordx4 v[4:7], off, off offset:288
	scratch_load_dwordx4 v[8:11], off, off offset:304
	;; [unrolled: 1-line block ×14, first 2 shown]
	ds_read_b128 v[60:63], v2 offset:800
	ds_read_b128 v[64:67], v2 offset:816
	;; [unrolled: 1-line block ×14, first 2 shown]
	scratch_load_dwordx4 v[116:119], off, off offset:272
	v_cmp_lt_u32_e32 vcc, 16, v1
	s_waitcnt vmcnt(14) lgkmcnt(13)
	v_mul_f64 v[2:3], v[60:61], v[6:7]
	s_waitcnt vmcnt(13) lgkmcnt(12)
	v_mul_f64 v[120:121], v[64:65], v[10:11]
	v_fmac_f64_e32 v[2:3], v[62:63], v[4:5]
	s_waitcnt vmcnt(12) lgkmcnt(11)
	v_mul_f64 v[122:123], v[68:69], v[14:15]
	v_fmac_f64_e32 v[120:121], v[66:67], v[8:9]
	v_add_f64 v[2:3], v[2:3], 0
	s_waitcnt vmcnt(11) lgkmcnt(10)
	v_mul_f64 v[124:125], v[72:73], v[18:19]
	v_fmac_f64_e32 v[122:123], v[70:71], v[12:13]
	v_add_f64 v[2:3], v[2:3], v[120:121]
	;; [unrolled: 4-line block ×4, first 2 shown]
	s_waitcnt vmcnt(8) lgkmcnt(7)
	v_mul_f64 v[130:131], v[84:85], v[30:31]
	v_mul_f64 v[6:7], v[62:63], v[6:7]
	v_fmac_f64_e32 v[128:129], v[82:83], v[24:25]
	v_add_f64 v[2:3], v[2:3], v[126:127]
	s_waitcnt vmcnt(7) lgkmcnt(6)
	v_mul_f64 v[132:133], v[88:89], v[34:35]
	v_mul_f64 v[10:11], v[66:67], v[10:11]
	v_fmac_f64_e32 v[130:131], v[86:87], v[28:29]
	v_fma_f64 v[4:5], v[60:61], v[4:5], -v[6:7]
	v_add_f64 v[2:3], v[2:3], v[128:129]
	s_waitcnt vmcnt(6) lgkmcnt(5)
	v_mul_f64 v[134:135], v[92:93], v[38:39]
	v_mul_f64 v[14:15], v[70:71], v[14:15]
	v_fmac_f64_e32 v[132:133], v[90:91], v[32:33]
	v_fma_f64 v[6:7], v[64:65], v[8:9], -v[10:11]
	v_add_f64 v[4:5], v[4:5], 0
	v_add_f64 v[2:3], v[2:3], v[130:131]
	s_waitcnt vmcnt(5) lgkmcnt(4)
	v_mul_f64 v[136:137], v[96:97], v[42:43]
	v_mul_f64 v[18:19], v[74:75], v[18:19]
	v_fmac_f64_e32 v[134:135], v[94:95], v[36:37]
	v_fma_f64 v[8:9], v[68:69], v[12:13], -v[14:15]
	v_add_f64 v[4:5], v[4:5], v[6:7]
	;; [unrolled: 7-line block ×6, first 2 shown]
	v_add_f64 v[2:3], v[2:3], v[140:141]
	v_fmac_f64_e32 v[144:145], v[114:115], v[56:57]
	v_fma_f64 v[18:19], v[88:89], v[32:33], -v[34:35]
	v_add_f64 v[4:5], v[4:5], v[16:17]
	v_add_f64 v[2:3], v[2:3], v[142:143]
	;; [unrolled: 1-line block ×4, first 2 shown]
	v_mul_f64 v[4:5], v[94:95], v[38:39]
	v_fma_f64 v[4:5], v[92:93], v[36:37], -v[4:5]
	v_add_f64 v[2:3], v[2:3], v[4:5]
	v_mul_f64 v[4:5], v[98:99], v[42:43]
	v_fma_f64 v[4:5], v[96:97], v[40:41], -v[4:5]
	v_add_f64 v[2:3], v[2:3], v[4:5]
	;; [unrolled: 3-line block ×6, first 2 shown]
	s_waitcnt vmcnt(0)
	v_add_f64 v[2:3], v[116:117], -v[2:3]
	v_add_f64 v[4:5], v[118:119], -v[6:7]
	scratch_store_dwordx4 off, v[2:5], off offset:272
	s_and_saveexec_b64 s[2:3], vcc
	s_cbranch_execz .LBB31_173
; %bb.172:
	scratch_load_dwordx4 v[2:5], off, s29
	v_mov_b32_e32 v6, 0
	v_mov_b32_e32 v7, v6
	;; [unrolled: 1-line block ×4, first 2 shown]
	scratch_store_dwordx4 off, v[6:9], off offset:256
	s_waitcnt vmcnt(1)
	ds_write_b128 v250, v[2:5]
.LBB31_173:
	s_or_b64 exec, exec, s[2:3]
	s_waitcnt lgkmcnt(0)
	; wave barrier
	scratch_load_dwordx4 v[4:7], off, off offset:272
	scratch_load_dwordx4 v[8:11], off, off offset:288
	;; [unrolled: 1-line block ×16, first 2 shown]
	v_mov_b32_e32 v2, 0
	ds_read_b128 v[68:71], v2 offset:784
	ds_read_b128 v[72:75], v2 offset:800
	ds_read_b128 v[76:79], v2 offset:816
	ds_read_b128 v[80:83], v2 offset:832
	ds_read_b128 v[84:87], v2 offset:848
	ds_read_b128 v[88:91], v2 offset:864
	ds_read_b128 v[92:95], v2 offset:880
	ds_read_b128 v[96:99], v2 offset:896
	ds_read_b128 v[100:103], v2 offset:912
	ds_read_b128 v[104:107], v2 offset:928
	ds_read_b128 v[108:111], v2 offset:944
	ds_read_b128 v[112:115], v2 offset:960
	ds_read_b128 v[116:119], v2 offset:976
	ds_read_b128 v[120:123], v2 offset:992
	ds_read_b128 v[124:127], v2 offset:1008
	v_cmp_lt_u32_e32 vcc, 15, v1
	s_waitcnt vmcnt(15) lgkmcnt(14)
	v_mul_f64 v[128:129], v[68:69], v[6:7]
	v_mul_f64 v[6:7], v[70:71], v[6:7]
	s_waitcnt vmcnt(14) lgkmcnt(13)
	v_mul_f64 v[130:131], v[72:73], v[10:11]
	v_mul_f64 v[10:11], v[74:75], v[10:11]
	v_fmac_f64_e32 v[128:129], v[70:71], v[4:5]
	v_fma_f64 v[4:5], v[68:69], v[4:5], -v[6:7]
	s_waitcnt vmcnt(13) lgkmcnt(12)
	v_mul_f64 v[132:133], v[76:77], v[14:15]
	v_mul_f64 v[14:15], v[78:79], v[14:15]
	v_fma_f64 v[6:7], v[72:73], v[8:9], -v[10:11]
	v_add_f64 v[4:5], v[4:5], 0
	s_waitcnt vmcnt(12) lgkmcnt(11)
	v_mul_f64 v[134:135], v[80:81], v[18:19]
	v_mul_f64 v[18:19], v[82:83], v[18:19]
	v_fmac_f64_e32 v[130:131], v[74:75], v[8:9]
	v_fma_f64 v[8:9], v[76:77], v[12:13], -v[14:15]
	v_add_f64 v[4:5], v[4:5], v[6:7]
	s_waitcnt vmcnt(11) lgkmcnt(10)
	v_mul_f64 v[136:137], v[84:85], v[22:23]
	v_mul_f64 v[22:23], v[86:87], v[22:23]
	v_fma_f64 v[10:11], v[80:81], v[16:17], -v[18:19]
	v_add_f64 v[4:5], v[4:5], v[8:9]
	s_waitcnt vmcnt(10) lgkmcnt(9)
	v_mul_f64 v[138:139], v[88:89], v[26:27]
	v_mul_f64 v[26:27], v[90:91], v[26:27]
	v_fmac_f64_e32 v[132:133], v[78:79], v[12:13]
	v_fma_f64 v[12:13], v[84:85], v[20:21], -v[22:23]
	v_add_f64 v[4:5], v[4:5], v[10:11]
	v_fma_f64 v[14:15], v[88:89], v[24:25], -v[26:27]
	v_add_f64 v[4:5], v[4:5], v[12:13]
	s_waitcnt vmcnt(9) lgkmcnt(8)
	v_mul_f64 v[8:9], v[94:95], v[30:31]
	v_add_f64 v[4:5], v[4:5], v[14:15]
	v_fma_f64 v[8:9], v[92:93], v[28:29], -v[8:9]
	v_add_f64 v[4:5], v[4:5], v[8:9]
	s_waitcnt vmcnt(8) lgkmcnt(7)
	v_mul_f64 v[8:9], v[98:99], v[34:35]
	v_fma_f64 v[8:9], v[96:97], v[32:33], -v[8:9]
	v_fmac_f64_e32 v[134:135], v[82:83], v[16:17]
	v_add_f64 v[16:17], v[128:129], 0
	v_add_f64 v[4:5], v[4:5], v[8:9]
	s_waitcnt vmcnt(7) lgkmcnt(6)
	v_mul_f64 v[8:9], v[102:103], v[38:39]
	v_add_f64 v[16:17], v[16:17], v[130:131]
	v_fma_f64 v[8:9], v[100:101], v[36:37], -v[8:9]
	v_add_f64 v[6:7], v[16:17], v[132:133]
	v_add_f64 v[4:5], v[4:5], v[8:9]
	s_waitcnt vmcnt(6) lgkmcnt(5)
	v_mul_f64 v[8:9], v[106:107], v[42:43]
	v_fmac_f64_e32 v[136:137], v[86:87], v[20:21]
	v_add_f64 v[6:7], v[6:7], v[134:135]
	v_fma_f64 v[8:9], v[104:105], v[40:41], -v[8:9]
	v_mul_f64 v[140:141], v[92:93], v[30:31]
	v_fmac_f64_e32 v[138:139], v[90:91], v[24:25]
	v_add_f64 v[6:7], v[6:7], v[136:137]
	v_add_f64 v[4:5], v[4:5], v[8:9]
	s_waitcnt vmcnt(5) lgkmcnt(4)
	v_mul_f64 v[8:9], v[110:111], v[46:47]
	v_mul_f64 v[142:143], v[96:97], v[34:35]
	v_fmac_f64_e32 v[140:141], v[94:95], v[28:29]
	v_add_f64 v[6:7], v[6:7], v[138:139]
	v_fma_f64 v[8:9], v[108:109], v[44:45], -v[8:9]
	v_mul_f64 v[144:145], v[100:101], v[38:39]
	v_fmac_f64_e32 v[142:143], v[98:99], v[32:33]
	v_add_f64 v[6:7], v[6:7], v[140:141]
	v_add_f64 v[4:5], v[4:5], v[8:9]
	s_waitcnt vmcnt(4) lgkmcnt(3)
	v_mul_f64 v[8:9], v[114:115], v[50:51]
	;; [unrolled: 10-line block ×4, first 2 shown]
	v_mul_f64 v[154:155], v[120:121], v[58:59]
	v_fmac_f64_e32 v[152:153], v[118:119], v[52:53]
	v_add_f64 v[6:7], v[6:7], v[150:151]
	v_fma_f64 v[8:9], v[120:121], v[56:57], -v[8:9]
	s_waitcnt vmcnt(1) lgkmcnt(0)
	v_mul_f64 v[156:157], v[124:125], v[62:63]
	v_fmac_f64_e32 v[154:155], v[122:123], v[56:57]
	v_add_f64 v[6:7], v[6:7], v[152:153]
	v_add_f64 v[4:5], v[4:5], v[8:9]
	v_mul_f64 v[8:9], v[126:127], v[62:63]
	v_fmac_f64_e32 v[156:157], v[126:127], v[60:61]
	v_add_f64 v[6:7], v[6:7], v[154:155]
	v_fma_f64 v[8:9], v[124:125], v[60:61], -v[8:9]
	v_add_f64 v[6:7], v[6:7], v[156:157]
	v_add_f64 v[4:5], v[4:5], v[8:9]
	s_waitcnt vmcnt(0)
	v_add_f64 v[4:5], v[64:65], -v[4:5]
	v_add_f64 v[6:7], v[66:67], -v[6:7]
	scratch_store_dwordx4 off, v[4:7], off offset:256
	s_and_saveexec_b64 s[2:3], vcc
	s_cbranch_execz .LBB31_175
; %bb.174:
	scratch_load_dwordx4 v[6:9], off, s46
	v_mov_b32_e32 v3, v2
	v_mov_b32_e32 v4, v2
	;; [unrolled: 1-line block ×3, first 2 shown]
	scratch_store_dwordx4 off, v[2:5], off offset:240
	s_waitcnt vmcnt(1)
	ds_write_b128 v250, v[6:9]
.LBB31_175:
	s_or_b64 exec, exec, s[2:3]
	s_waitcnt lgkmcnt(0)
	; wave barrier
	scratch_load_dwordx4 v[4:7], off, off offset:256
	scratch_load_dwordx4 v[8:11], off, off offset:272
	scratch_load_dwordx4 v[12:15], off, off offset:288
	scratch_load_dwordx4 v[16:19], off, off offset:304
	scratch_load_dwordx4 v[24:27], off, off offset:320
	scratch_load_dwordx4 v[20:23], off, off offset:336
	scratch_load_dwordx4 v[28:31], off, off offset:352
	scratch_load_dwordx4 v[32:35], off, off offset:368
	scratch_load_dwordx4 v[36:39], off, off offset:384
	scratch_load_dwordx4 v[40:43], off, off offset:400
	scratch_load_dwordx4 v[44:47], off, off offset:416
	scratch_load_dwordx4 v[48:51], off, off offset:432
	scratch_load_dwordx4 v[52:55], off, off offset:448
	scratch_load_dwordx4 v[56:59], off, off offset:464
	scratch_load_dwordx4 v[60:63], off, off offset:480
	scratch_load_dwordx4 v[64:67], off, off offset:496
	ds_read_b128 v[68:71], v2 offset:768
	ds_read_b128 v[72:75], v2 offset:784
	;; [unrolled: 1-line block ×16, first 2 shown]
	scratch_load_dwordx4 v[132:135], off, off offset:240
	v_cmp_lt_u32_e32 vcc, 14, v1
	s_waitcnt vmcnt(16) lgkmcnt(14)
	v_mul_f64 v[2:3], v[68:69], v[6:7]
	s_waitcnt vmcnt(15)
	v_mul_f64 v[136:137], v[72:73], v[10:11]
	v_fmac_f64_e32 v[2:3], v[70:71], v[4:5]
	s_waitcnt vmcnt(14) lgkmcnt(13)
	v_mul_f64 v[138:139], v[76:77], v[14:15]
	v_fmac_f64_e32 v[136:137], v[74:75], v[8:9]
	v_add_f64 v[2:3], v[2:3], 0
	s_waitcnt vmcnt(13) lgkmcnt(12)
	v_mul_f64 v[140:141], v[80:81], v[18:19]
	v_fmac_f64_e32 v[138:139], v[78:79], v[12:13]
	v_add_f64 v[2:3], v[2:3], v[136:137]
	;; [unrolled: 4-line block ×10, first 2 shown]
	s_waitcnt vmcnt(4) lgkmcnt(3)
	v_mul_f64 v[158:159], v[116:117], v[54:55]
	v_mul_f64 v[6:7], v[70:71], v[6:7]
	v_fmac_f64_e32 v[156:157], v[114:115], v[48:49]
	v_add_f64 v[2:3], v[2:3], v[154:155]
	s_waitcnt vmcnt(3) lgkmcnt(2)
	v_mul_f64 v[160:161], v[120:121], v[58:59]
	v_mul_f64 v[10:11], v[74:75], v[10:11]
	v_fmac_f64_e32 v[158:159], v[118:119], v[52:53]
	v_fma_f64 v[4:5], v[68:69], v[4:5], -v[6:7]
	v_add_f64 v[2:3], v[2:3], v[156:157]
	s_waitcnt vmcnt(2) lgkmcnt(1)
	v_mul_f64 v[162:163], v[124:125], v[62:63]
	v_mul_f64 v[14:15], v[78:79], v[14:15]
	v_fmac_f64_e32 v[160:161], v[122:123], v[56:57]
	v_fma_f64 v[6:7], v[72:73], v[8:9], -v[10:11]
	v_add_f64 v[4:5], v[4:5], 0
	v_add_f64 v[2:3], v[2:3], v[158:159]
	s_waitcnt vmcnt(1) lgkmcnt(0)
	v_mul_f64 v[164:165], v[128:129], v[66:67]
	v_mul_f64 v[18:19], v[82:83], v[18:19]
	v_fmac_f64_e32 v[162:163], v[126:127], v[60:61]
	v_fma_f64 v[8:9], v[76:77], v[12:13], -v[14:15]
	v_add_f64 v[4:5], v[4:5], v[6:7]
	v_add_f64 v[2:3], v[2:3], v[160:161]
	v_mul_f64 v[26:27], v[86:87], v[26:27]
	v_fmac_f64_e32 v[164:165], v[130:131], v[64:65]
	v_fma_f64 v[10:11], v[80:81], v[16:17], -v[18:19]
	v_add_f64 v[4:5], v[4:5], v[8:9]
	v_add_f64 v[2:3], v[2:3], v[162:163]
	v_fma_f64 v[12:13], v[84:85], v[24:25], -v[26:27]
	v_add_f64 v[4:5], v[4:5], v[10:11]
	v_add_f64 v[6:7], v[2:3], v[164:165]
	v_mul_f64 v[2:3], v[90:91], v[22:23]
	v_add_f64 v[4:5], v[4:5], v[12:13]
	v_fma_f64 v[2:3], v[88:89], v[20:21], -v[2:3]
	v_add_f64 v[2:3], v[4:5], v[2:3]
	v_mul_f64 v[4:5], v[94:95], v[30:31]
	v_fma_f64 v[4:5], v[92:93], v[28:29], -v[4:5]
	v_add_f64 v[2:3], v[2:3], v[4:5]
	v_mul_f64 v[4:5], v[98:99], v[34:35]
	;; [unrolled: 3-line block ×10, first 2 shown]
	v_fma_f64 v[4:5], v[128:129], v[64:65], -v[4:5]
	v_add_f64 v[2:3], v[2:3], v[4:5]
	s_waitcnt vmcnt(0)
	v_add_f64 v[2:3], v[132:133], -v[2:3]
	v_add_f64 v[4:5], v[134:135], -v[6:7]
	scratch_store_dwordx4 off, v[2:5], off offset:240
	s_and_saveexec_b64 s[2:3], vcc
	s_cbranch_execz .LBB31_177
; %bb.176:
	scratch_load_dwordx4 v[2:5], off, s49
	v_mov_b32_e32 v6, 0
	v_mov_b32_e32 v7, v6
	;; [unrolled: 1-line block ×4, first 2 shown]
	scratch_store_dwordx4 off, v[6:9], off offset:224
	s_waitcnt vmcnt(1)
	ds_write_b128 v250, v[2:5]
.LBB31_177:
	s_or_b64 exec, exec, s[2:3]
	s_waitcnt lgkmcnt(0)
	; wave barrier
	scratch_load_dwordx4 v[4:7], off, off offset:240
	scratch_load_dwordx4 v[8:11], off, off offset:256
	;; [unrolled: 1-line block ×18, first 2 shown]
	v_mov_b32_e32 v2, 0
	ds_read_b128 v[76:79], v2 offset:752
	ds_read_b128 v[80:83], v2 offset:768
	;; [unrolled: 1-line block ×17, first 2 shown]
	v_cmp_lt_u32_e32 vcc, 13, v1
	s_waitcnt vmcnt(17) lgkmcnt(14)
	v_mul_f64 v[144:145], v[76:77], v[6:7]
	v_mul_f64 v[6:7], v[78:79], v[6:7]
	s_waitcnt vmcnt(16)
	v_mul_f64 v[146:147], v[80:81], v[10:11]
	v_mul_f64 v[10:11], v[82:83], v[10:11]
	v_fmac_f64_e32 v[144:145], v[78:79], v[4:5]
	v_fma_f64 v[4:5], v[76:77], v[4:5], -v[6:7]
	s_waitcnt vmcnt(15)
	v_mul_f64 v[148:149], v[84:85], v[18:19]
	v_mul_f64 v[18:19], v[86:87], v[18:19]
	v_fma_f64 v[6:7], v[80:81], v[8:9], -v[10:11]
	v_add_f64 v[4:5], v[4:5], 0
	s_waitcnt vmcnt(14) lgkmcnt(13)
	v_mul_f64 v[150:151], v[88:89], v[14:15]
	v_mul_f64 v[14:15], v[90:91], v[14:15]
	v_fmac_f64_e32 v[146:147], v[82:83], v[8:9]
	v_fma_f64 v[8:9], v[84:85], v[16:17], -v[18:19]
	v_add_f64 v[4:5], v[4:5], v[6:7]
	v_add_f64 v[4:5], v[4:5], v[8:9]
	v_fma_f64 v[8:9], v[88:89], v[12:13], -v[14:15]
	v_add_f64 v[4:5], v[4:5], v[8:9]
	s_waitcnt vmcnt(13) lgkmcnt(12)
	v_mul_f64 v[8:9], v[94:95], v[22:23]
	v_fma_f64 v[8:9], v[92:93], v[20:21], -v[8:9]
	v_add_f64 v[4:5], v[4:5], v[8:9]
	s_waitcnt vmcnt(12) lgkmcnt(11)
	v_mul_f64 v[8:9], v[98:99], v[26:27]
	;; [unrolled: 4-line block ×5, first 2 shown]
	v_fma_f64 v[8:9], v[108:109], v[36:37], -v[8:9]
	v_add_f64 v[10:11], v[144:145], 0
	v_add_f64 v[4:5], v[4:5], v[8:9]
	s_waitcnt vmcnt(8) lgkmcnt(7)
	v_mul_f64 v[8:9], v[114:115], v[42:43]
	v_fmac_f64_e32 v[148:149], v[86:87], v[16:17]
	v_add_f64 v[10:11], v[10:11], v[146:147]
	v_fma_f64 v[8:9], v[112:113], v[40:41], -v[8:9]
	v_mul_f64 v[152:153], v[92:93], v[22:23]
	v_fmac_f64_e32 v[150:151], v[90:91], v[12:13]
	v_add_f64 v[6:7], v[10:11], v[148:149]
	v_add_f64 v[4:5], v[4:5], v[8:9]
	s_waitcnt vmcnt(7) lgkmcnt(6)
	v_mul_f64 v[8:9], v[118:119], v[46:47]
	v_mul_f64 v[154:155], v[96:97], v[26:27]
	v_fmac_f64_e32 v[152:153], v[94:95], v[20:21]
	v_add_f64 v[6:7], v[6:7], v[150:151]
	v_fma_f64 v[8:9], v[116:117], v[44:45], -v[8:9]
	v_mul_f64 v[156:157], v[100:101], v[30:31]
	v_fmac_f64_e32 v[154:155], v[98:99], v[24:25]
	v_add_f64 v[6:7], v[6:7], v[152:153]
	v_add_f64 v[4:5], v[4:5], v[8:9]
	s_waitcnt vmcnt(6) lgkmcnt(5)
	v_mul_f64 v[8:9], v[122:123], v[50:51]
	;; [unrolled: 10-line block ×6, first 2 shown]
	v_mul_f64 v[174:175], v[136:137], v[66:67]
	v_fmac_f64_e32 v[172:173], v[134:135], v[60:61]
	v_add_f64 v[6:7], v[6:7], v[170:171]
	v_fma_f64 v[8:9], v[136:137], v[64:65], -v[8:9]
	s_waitcnt vmcnt(1) lgkmcnt(0)
	v_mul_f64 v[176:177], v[140:141], v[70:71]
	v_fmac_f64_e32 v[174:175], v[138:139], v[64:65]
	v_add_f64 v[6:7], v[6:7], v[172:173]
	v_add_f64 v[4:5], v[4:5], v[8:9]
	v_mul_f64 v[8:9], v[142:143], v[70:71]
	v_fmac_f64_e32 v[176:177], v[142:143], v[68:69]
	v_add_f64 v[6:7], v[6:7], v[174:175]
	v_fma_f64 v[8:9], v[140:141], v[68:69], -v[8:9]
	v_add_f64 v[6:7], v[6:7], v[176:177]
	v_add_f64 v[4:5], v[4:5], v[8:9]
	s_waitcnt vmcnt(0)
	v_add_f64 v[4:5], v[72:73], -v[4:5]
	v_add_f64 v[6:7], v[74:75], -v[6:7]
	scratch_store_dwordx4 off, v[4:7], off offset:224
	s_and_saveexec_b64 s[2:3], vcc
	s_cbranch_execz .LBB31_179
; %bb.178:
	scratch_load_dwordx4 v[6:9], off, s48
	v_mov_b32_e32 v3, v2
	v_mov_b32_e32 v4, v2
	;; [unrolled: 1-line block ×3, first 2 shown]
	scratch_store_dwordx4 off, v[2:5], off offset:208
	s_waitcnt vmcnt(1)
	ds_write_b128 v250, v[6:9]
.LBB31_179:
	s_or_b64 exec, exec, s[2:3]
	s_waitcnt lgkmcnt(0)
	; wave barrier
	scratch_load_dwordx4 v[4:7], off, off offset:224
	scratch_load_dwordx4 v[12:15], off, off offset:240
	;; [unrolled: 1-line block ×18, first 2 shown]
	ds_read_b128 v[76:79], v2 offset:736
	ds_read_b128 v[80:83], v2 offset:752
	;; [unrolled: 1-line block ×18, first 2 shown]
	scratch_load_dwordx4 v[148:151], off, off offset:208
	v_cmp_lt_u32_e32 vcc, 12, v1
	s_waitcnt vmcnt(18) lgkmcnt(14)
	v_mul_f64 v[2:3], v[76:77], v[6:7]
	s_waitcnt vmcnt(17)
	v_mul_f64 v[152:153], v[80:81], v[14:15]
	v_fmac_f64_e32 v[2:3], v[78:79], v[4:5]
	s_waitcnt vmcnt(16)
	v_mul_f64 v[154:155], v[84:85], v[10:11]
	v_fmac_f64_e32 v[152:153], v[82:83], v[12:13]
	v_add_f64 v[2:3], v[2:3], 0
	s_waitcnt vmcnt(15)
	v_mul_f64 v[156:157], v[88:89], v[18:19]
	v_fmac_f64_e32 v[154:155], v[86:87], v[8:9]
	v_add_f64 v[2:3], v[2:3], v[152:153]
	s_waitcnt vmcnt(14) lgkmcnt(13)
	v_mul_f64 v[158:159], v[92:93], v[22:23]
	v_fmac_f64_e32 v[156:157], v[90:91], v[16:17]
	v_add_f64 v[2:3], v[2:3], v[154:155]
	s_waitcnt vmcnt(13) lgkmcnt(12)
	;; [unrolled: 4-line block ×13, first 2 shown]
	v_mul_f64 v[182:183], v[140:141], v[70:71]
	v_mul_f64 v[6:7], v[78:79], v[6:7]
	v_fmac_f64_e32 v[180:181], v[138:139], v[64:65]
	v_add_f64 v[2:3], v[2:3], v[178:179]
	s_waitcnt vmcnt(1) lgkmcnt(0)
	v_mul_f64 v[184:185], v[144:145], v[74:75]
	v_mul_f64 v[14:15], v[82:83], v[14:15]
	v_fmac_f64_e32 v[182:183], v[142:143], v[68:69]
	v_fma_f64 v[4:5], v[76:77], v[4:5], -v[6:7]
	v_add_f64 v[2:3], v[2:3], v[180:181]
	v_mul_f64 v[10:11], v[86:87], v[10:11]
	v_fmac_f64_e32 v[184:185], v[146:147], v[72:73]
	v_fma_f64 v[6:7], v[80:81], v[12:13], -v[14:15]
	v_add_f64 v[4:5], v[4:5], 0
	v_add_f64 v[2:3], v[2:3], v[182:183]
	;; [unrolled: 1-line block ×4, first 2 shown]
	v_fma_f64 v[2:3], v[84:85], v[8:9], -v[10:11]
	v_add_f64 v[2:3], v[4:5], v[2:3]
	v_mul_f64 v[4:5], v[90:91], v[18:19]
	v_fma_f64 v[4:5], v[88:89], v[16:17], -v[4:5]
	v_add_f64 v[2:3], v[2:3], v[4:5]
	v_mul_f64 v[4:5], v[94:95], v[22:23]
	v_fma_f64 v[4:5], v[92:93], v[20:21], -v[4:5]
	v_add_f64 v[2:3], v[2:3], v[4:5]
	v_mul_f64 v[4:5], v[98:99], v[26:27]
	v_fma_f64 v[4:5], v[96:97], v[24:25], -v[4:5]
	v_add_f64 v[2:3], v[2:3], v[4:5]
	v_mul_f64 v[4:5], v[102:103], v[30:31]
	v_fma_f64 v[4:5], v[100:101], v[28:29], -v[4:5]
	v_add_f64 v[2:3], v[2:3], v[4:5]
	v_mul_f64 v[4:5], v[106:107], v[34:35]
	v_fma_f64 v[4:5], v[104:105], v[32:33], -v[4:5]
	v_add_f64 v[2:3], v[2:3], v[4:5]
	v_mul_f64 v[4:5], v[110:111], v[38:39]
	v_fma_f64 v[4:5], v[108:109], v[36:37], -v[4:5]
	v_add_f64 v[2:3], v[2:3], v[4:5]
	v_mul_f64 v[4:5], v[114:115], v[42:43]
	v_fma_f64 v[4:5], v[112:113], v[40:41], -v[4:5]
	v_add_f64 v[2:3], v[2:3], v[4:5]
	v_mul_f64 v[4:5], v[118:119], v[46:47]
	v_fma_f64 v[4:5], v[116:117], v[44:45], -v[4:5]
	v_add_f64 v[2:3], v[2:3], v[4:5]
	v_mul_f64 v[4:5], v[122:123], v[50:51]
	v_fma_f64 v[4:5], v[120:121], v[48:49], -v[4:5]
	v_add_f64 v[2:3], v[2:3], v[4:5]
	v_mul_f64 v[4:5], v[126:127], v[54:55]
	v_fma_f64 v[4:5], v[124:125], v[52:53], -v[4:5]
	v_add_f64 v[2:3], v[2:3], v[4:5]
	v_mul_f64 v[4:5], v[130:131], v[58:59]
	v_fma_f64 v[4:5], v[128:129], v[56:57], -v[4:5]
	v_add_f64 v[2:3], v[2:3], v[4:5]
	v_mul_f64 v[4:5], v[134:135], v[62:63]
	v_fma_f64 v[4:5], v[132:133], v[60:61], -v[4:5]
	v_add_f64 v[2:3], v[2:3], v[4:5]
	v_mul_f64 v[4:5], v[138:139], v[66:67]
	v_fma_f64 v[4:5], v[136:137], v[64:65], -v[4:5]
	v_add_f64 v[2:3], v[2:3], v[4:5]
	v_mul_f64 v[4:5], v[142:143], v[70:71]
	v_fma_f64 v[4:5], v[140:141], v[68:69], -v[4:5]
	v_add_f64 v[2:3], v[2:3], v[4:5]
	v_mul_f64 v[4:5], v[146:147], v[74:75]
	v_fma_f64 v[4:5], v[144:145], v[72:73], -v[4:5]
	v_add_f64 v[2:3], v[2:3], v[4:5]
	s_waitcnt vmcnt(0)
	v_add_f64 v[2:3], v[148:149], -v[2:3]
	v_add_f64 v[4:5], v[150:151], -v[6:7]
	scratch_store_dwordx4 off, v[2:5], off offset:208
	s_and_saveexec_b64 s[2:3], vcc
	s_cbranch_execz .LBB31_181
; %bb.180:
	scratch_load_dwordx4 v[2:5], off, s47
	v_mov_b32_e32 v6, 0
	v_mov_b32_e32 v7, v6
	;; [unrolled: 1-line block ×4, first 2 shown]
	scratch_store_dwordx4 off, v[6:9], off offset:192
	s_waitcnt vmcnt(1)
	ds_write_b128 v250, v[2:5]
.LBB31_181:
	s_or_b64 exec, exec, s[2:3]
	v_mov_b32_e32 v2, 0
	s_waitcnt lgkmcnt(0)
	; wave barrier
	ds_read_b128 v[16:19], v2 offset:720
	ds_read_b128 v[12:15], v2 offset:736
	;; [unrolled: 1-line block ×4, first 2 shown]
	scratch_load_dwordx4 v[20:23], off, off offset:208
	scratch_load_dwordx4 v[40:43], off, off offset:272
	;; [unrolled: 1-line block ×13, first 2 shown]
	v_cmp_lt_u32_e32 vcc, 11, v1
	scratch_load_dwordx4 v[48:51], off, off offset:288
	scratch_load_dwordx4 v[56:59], off, off offset:304
	;; [unrolled: 1-line block ×3, first 2 shown]
	s_waitcnt vmcnt(15) lgkmcnt(3)
	v_mul_f64 v[24:25], v[16:17], v[22:23]
	v_fmac_f64_e32 v[24:25], v[18:19], v[20:21]
	v_add_f64 v[28:29], v[24:25], 0
	scratch_load_dwordx4 v[24:27], off, off offset:224
	v_mul_f64 v[18:19], v[18:19], v[22:23]
	v_fma_f64 v[16:17], v[16:17], v[20:21], -v[18:19]
	v_add_f64 v[16:17], v[16:17], 0
	s_waitcnt vmcnt(0) lgkmcnt(2)
	v_mul_f64 v[30:31], v[12:13], v[26:27]
	v_fmac_f64_e32 v[30:31], v[14:15], v[24:25]
	v_add_f64 v[32:33], v[28:29], v[30:31]
	scratch_load_dwordx4 v[28:31], off, off offset:240
	v_mul_f64 v[14:15], v[14:15], v[26:27]
	v_fma_f64 v[12:13], v[12:13], v[24:25], -v[14:15]
	v_add_f64 v[12:13], v[16:17], v[12:13]
	;; [unrolled: 8-line block ×3, first 2 shown]
	s_waitcnt vmcnt(0) lgkmcnt(0)
	v_mul_f64 v[38:39], v[4:5], v[34:35]
	v_fmac_f64_e32 v[38:39], v[6:7], v[32:33]
	v_add_f64 v[44:45], v[36:37], v[38:39]
	ds_read_b128 v[36:39], v2 offset:784
	v_mul_f64 v[6:7], v[6:7], v[34:35]
	v_fma_f64 v[4:5], v[4:5], v[32:33], -v[6:7]
	v_add_f64 v[4:5], v[8:9], v[4:5]
	s_waitcnt lgkmcnt(0)
	v_mul_f64 v[46:47], v[36:37], v[42:43]
	v_fmac_f64_e32 v[46:47], v[38:39], v[40:41]
	v_add_f64 v[52:53], v[44:45], v[46:47]
	ds_read_b128 v[44:47], v2 offset:800
	v_mul_f64 v[6:7], v[38:39], v[42:43]
	v_fma_f64 v[6:7], v[36:37], v[40:41], -v[6:7]
	v_add_f64 v[4:5], v[4:5], v[6:7]
	s_waitcnt lgkmcnt(0)
	;; [unrolled: 8-line block ×15, first 2 shown]
	v_mul_f64 v[6:7], v[152:153], v[156:157]
	v_fma_f64 v[6:7], v[150:151], v[154:155], -v[6:7]
	v_add_f64 v[8:9], v[4:5], v[6:7]
	scratch_load_dwordx4 v[4:7], off, off offset:192
	v_mul_f64 v[158:159], v[150:151], v[156:157]
	v_fmac_f64_e32 v[158:159], v[152:153], v[154:155]
	v_add_f64 v[88:89], v[88:89], v[158:159]
	s_waitcnt vmcnt(0)
	v_add_f64 v[4:5], v[4:5], -v[8:9]
	v_add_f64 v[6:7], v[6:7], -v[88:89]
	scratch_store_dwordx4 off, v[4:7], off offset:192
	s_and_saveexec_b64 s[2:3], vcc
	s_cbranch_execz .LBB31_183
; %bb.182:
	scratch_load_dwordx4 v[6:9], off, s28
	v_mov_b32_e32 v3, v2
	v_mov_b32_e32 v4, v2
	v_mov_b32_e32 v5, v2
	scratch_store_dwordx4 off, v[2:5], off offset:176
	s_waitcnt vmcnt(1)
	ds_write_b128 v250, v[6:9]
.LBB31_183:
	s_or_b64 exec, exec, s[2:3]
	s_waitcnt lgkmcnt(0)
	; wave barrier
	ds_read_b128 v[16:19], v2 offset:704
	ds_read_b128 v[12:15], v2 offset:720
	;; [unrolled: 1-line block ×4, first 2 shown]
	scratch_load_dwordx4 v[20:23], off, off offset:192
	scratch_load_dwordx4 v[40:43], off, off offset:256
	;; [unrolled: 1-line block ×14, first 2 shown]
	v_cmp_lt_u32_e32 vcc, 10, v1
	scratch_load_dwordx4 v[48:51], off, off offset:272
	scratch_load_dwordx4 v[56:59], off, off offset:288
	;; [unrolled: 1-line block ×3, first 2 shown]
	s_waitcnt vmcnt(16) lgkmcnt(3)
	v_mul_f64 v[24:25], v[16:17], v[22:23]
	v_fmac_f64_e32 v[24:25], v[18:19], v[20:21]
	v_add_f64 v[28:29], v[24:25], 0
	scratch_load_dwordx4 v[24:27], off, off offset:208
	s_waitcnt vmcnt(0) lgkmcnt(2)
	v_mul_f64 v[30:31], v[12:13], v[26:27]
	v_fmac_f64_e32 v[30:31], v[14:15], v[24:25]
	v_add_f64 v[32:33], v[28:29], v[30:31]
	scratch_load_dwordx4 v[28:31], off, off offset:224
	v_mul_f64 v[14:15], v[14:15], v[26:27]
	v_fma_f64 v[12:13], v[12:13], v[24:25], -v[14:15]
	s_waitcnt vmcnt(0) lgkmcnt(1)
	v_mul_f64 v[34:35], v[8:9], v[30:31]
	v_fmac_f64_e32 v[34:35], v[10:11], v[28:29]
	v_add_f64 v[36:37], v[32:33], v[34:35]
	scratch_load_dwordx4 v[32:35], off, off offset:240
	v_mul_f64 v[10:11], v[10:11], v[30:31]
	v_fma_f64 v[8:9], v[8:9], v[28:29], -v[10:11]
	s_waitcnt vmcnt(0) lgkmcnt(0)
	v_mul_f64 v[38:39], v[4:5], v[34:35]
	v_fmac_f64_e32 v[38:39], v[6:7], v[32:33]
	v_add_f64 v[44:45], v[36:37], v[38:39]
	ds_read_b128 v[36:39], v2 offset:768
	v_mul_f64 v[6:7], v[6:7], v[34:35]
	v_fma_f64 v[4:5], v[4:5], v[32:33], -v[6:7]
	s_waitcnt lgkmcnt(0)
	v_mul_f64 v[46:47], v[36:37], v[42:43]
	v_fmac_f64_e32 v[46:47], v[38:39], v[40:41]
	v_add_f64 v[52:53], v[44:45], v[46:47]
	ds_read_b128 v[44:47], v2 offset:784
	s_waitcnt lgkmcnt(0)
	v_mul_f64 v[54:55], v[44:45], v[50:51]
	v_fmac_f64_e32 v[54:55], v[46:47], v[48:49]
	v_add_f64 v[60:61], v[52:53], v[54:55]
	ds_read_b128 v[52:55], v2 offset:800
	;; [unrolled: 5-line block ×15, first 2 shown]
	s_waitcnt lgkmcnt(0)
	v_mul_f64 v[2:3], v[158:159], v[164:165]
	v_fmac_f64_e32 v[2:3], v[160:161], v[162:163]
	v_add_f64 v[96:97], v[96:97], v[2:3]
	v_mul_f64 v[2:3], v[18:19], v[22:23]
	v_fma_f64 v[2:3], v[16:17], v[20:21], -v[2:3]
	v_add_f64 v[2:3], v[2:3], 0
	v_add_f64 v[2:3], v[2:3], v[12:13]
	;; [unrolled: 1-line block ×4, first 2 shown]
	v_mul_f64 v[4:5], v[38:39], v[42:43]
	v_fma_f64 v[4:5], v[36:37], v[40:41], -v[4:5]
	v_add_f64 v[2:3], v[2:3], v[4:5]
	v_mul_f64 v[4:5], v[46:47], v[50:51]
	v_fma_f64 v[4:5], v[44:45], v[48:49], -v[4:5]
	v_add_f64 v[2:3], v[2:3], v[4:5]
	;; [unrolled: 3-line block ×16, first 2 shown]
	scratch_load_dwordx4 v[2:5], off, off offset:176
	s_waitcnt vmcnt(0)
	v_add_f64 v[2:3], v[2:3], -v[6:7]
	v_add_f64 v[4:5], v[4:5], -v[96:97]
	scratch_store_dwordx4 off, v[2:5], off offset:176
	s_and_saveexec_b64 s[2:3], vcc
	s_cbranch_execz .LBB31_185
; %bb.184:
	scratch_load_dwordx4 v[2:5], off, s26
	v_mov_b32_e32 v6, 0
	v_mov_b32_e32 v7, v6
	;; [unrolled: 1-line block ×4, first 2 shown]
	scratch_store_dwordx4 off, v[6:9], off offset:160
	s_waitcnt vmcnt(1)
	ds_write_b128 v250, v[2:5]
.LBB31_185:
	s_or_b64 exec, exec, s[2:3]
	v_mov_b32_e32 v2, 0
	s_waitcnt lgkmcnt(0)
	; wave barrier
	ds_read_b128 v[16:19], v2 offset:688
	ds_read_b128 v[12:15], v2 offset:704
	;; [unrolled: 1-line block ×4, first 2 shown]
	scratch_load_dwordx4 v[20:23], off, off offset:176
	scratch_load_dwordx4 v[40:43], off, off offset:240
	scratch_load_dwordx4 v[72:75], off, off offset:304
	scratch_load_dwordx4 v[80:83], off, off offset:320
	scratch_load_dwordx4 v[88:91], off, off offset:336
	scratch_load_dwordx4 v[96:99], off, off offset:352
	scratch_load_dwordx4 v[106:109], off, off offset:368
	scratch_load_dwordx4 v[114:117], off, off offset:384
	scratch_load_dwordx4 v[122:125], off, off offset:400
	scratch_load_dwordx4 v[130:133], off, off offset:416
	scratch_load_dwordx4 v[138:141], off, off offset:432
	scratch_load_dwordx4 v[146:149], off, off offset:448
	scratch_load_dwordx4 v[154:157], off, off offset:464
	scratch_load_dwordx4 v[162:165], off, off offset:480
	scratch_load_dwordx4 v[170:173], off, off offset:496
	v_cmp_lt_u32_e32 vcc, 9, v1
	scratch_load_dwordx4 v[48:51], off, off offset:256
	scratch_load_dwordx4 v[56:59], off, off offset:272
	;; [unrolled: 1-line block ×3, first 2 shown]
	s_waitcnt vmcnt(17) lgkmcnt(3)
	v_mul_f64 v[24:25], v[16:17], v[22:23]
	v_fmac_f64_e32 v[24:25], v[18:19], v[20:21]
	v_add_f64 v[28:29], v[24:25], 0
	scratch_load_dwordx4 v[24:27], off, off offset:192
	v_mul_f64 v[18:19], v[18:19], v[22:23]
	v_fma_f64 v[16:17], v[16:17], v[20:21], -v[18:19]
	v_add_f64 v[16:17], v[16:17], 0
	s_waitcnt vmcnt(0) lgkmcnt(2)
	v_mul_f64 v[30:31], v[12:13], v[26:27]
	v_fmac_f64_e32 v[30:31], v[14:15], v[24:25]
	v_add_f64 v[32:33], v[28:29], v[30:31]
	scratch_load_dwordx4 v[28:31], off, off offset:208
	v_mul_f64 v[14:15], v[14:15], v[26:27]
	v_fma_f64 v[12:13], v[12:13], v[24:25], -v[14:15]
	v_add_f64 v[12:13], v[16:17], v[12:13]
	;; [unrolled: 8-line block ×3, first 2 shown]
	s_waitcnt vmcnt(0) lgkmcnt(0)
	v_mul_f64 v[38:39], v[4:5], v[34:35]
	v_fmac_f64_e32 v[38:39], v[6:7], v[32:33]
	v_add_f64 v[44:45], v[36:37], v[38:39]
	ds_read_b128 v[36:39], v2 offset:752
	v_mul_f64 v[6:7], v[6:7], v[34:35]
	v_fma_f64 v[4:5], v[4:5], v[32:33], -v[6:7]
	v_add_f64 v[4:5], v[8:9], v[4:5]
	s_waitcnt lgkmcnt(0)
	v_mul_f64 v[46:47], v[36:37], v[42:43]
	v_fmac_f64_e32 v[46:47], v[38:39], v[40:41]
	v_add_f64 v[52:53], v[44:45], v[46:47]
	ds_read_b128 v[44:47], v2 offset:768
	v_mul_f64 v[6:7], v[38:39], v[42:43]
	v_fma_f64 v[6:7], v[36:37], v[40:41], -v[6:7]
	v_add_f64 v[4:5], v[4:5], v[6:7]
	s_waitcnt lgkmcnt(0)
	;; [unrolled: 8-line block ×17, first 2 shown]
	v_mul_f64 v[6:7], v[168:169], v[172:173]
	v_fma_f64 v[6:7], v[166:167], v[170:171], -v[6:7]
	v_add_f64 v[8:9], v[4:5], v[6:7]
	scratch_load_dwordx4 v[4:7], off, off offset:160
	v_mul_f64 v[174:175], v[166:167], v[172:173]
	v_fmac_f64_e32 v[174:175], v[168:169], v[170:171]
	v_add_f64 v[104:105], v[104:105], v[174:175]
	s_waitcnt vmcnt(0)
	v_add_f64 v[4:5], v[4:5], -v[8:9]
	v_add_f64 v[6:7], v[6:7], -v[104:105]
	scratch_store_dwordx4 off, v[4:7], off offset:160
	s_and_saveexec_b64 s[2:3], vcc
	s_cbranch_execz .LBB31_187
; %bb.186:
	scratch_load_dwordx4 v[6:9], off, s24
	v_mov_b32_e32 v3, v2
	v_mov_b32_e32 v4, v2
	;; [unrolled: 1-line block ×3, first 2 shown]
	scratch_store_dwordx4 off, v[2:5], off offset:144
	s_waitcnt vmcnt(1)
	ds_write_b128 v250, v[6:9]
.LBB31_187:
	s_or_b64 exec, exec, s[2:3]
	s_waitcnt lgkmcnt(0)
	; wave barrier
	ds_read_b128 v[16:19], v2 offset:672
	ds_read_b128 v[12:15], v2 offset:688
	ds_read_b128 v[8:11], v2 offset:704
	ds_read_b128 v[4:7], v2 offset:720
	scratch_load_dwordx4 v[20:23], off, off offset:160
	scratch_load_dwordx4 v[40:43], off, off offset:224
	;; [unrolled: 1-line block ×16, first 2 shown]
	v_cmp_lt_u32_e32 vcc, 8, v1
	scratch_load_dwordx4 v[48:51], off, off offset:240
	scratch_load_dwordx4 v[56:59], off, off offset:256
	;; [unrolled: 1-line block ×3, first 2 shown]
	s_waitcnt vmcnt(18) lgkmcnt(3)
	v_mul_f64 v[24:25], v[16:17], v[22:23]
	v_fmac_f64_e32 v[24:25], v[18:19], v[20:21]
	v_add_f64 v[28:29], v[24:25], 0
	scratch_load_dwordx4 v[24:27], off, off offset:176
	s_waitcnt vmcnt(0) lgkmcnt(2)
	v_mul_f64 v[30:31], v[12:13], v[26:27]
	v_fmac_f64_e32 v[30:31], v[14:15], v[24:25]
	v_add_f64 v[32:33], v[28:29], v[30:31]
	scratch_load_dwordx4 v[28:31], off, off offset:192
	v_mul_f64 v[14:15], v[14:15], v[26:27]
	v_fma_f64 v[12:13], v[12:13], v[24:25], -v[14:15]
	s_waitcnt vmcnt(0) lgkmcnt(1)
	v_mul_f64 v[34:35], v[8:9], v[30:31]
	v_fmac_f64_e32 v[34:35], v[10:11], v[28:29]
	v_add_f64 v[36:37], v[32:33], v[34:35]
	scratch_load_dwordx4 v[32:35], off, off offset:208
	v_mul_f64 v[10:11], v[10:11], v[30:31]
	v_fma_f64 v[8:9], v[8:9], v[28:29], -v[10:11]
	s_waitcnt vmcnt(0) lgkmcnt(0)
	v_mul_f64 v[38:39], v[4:5], v[34:35]
	v_fmac_f64_e32 v[38:39], v[6:7], v[32:33]
	v_add_f64 v[44:45], v[36:37], v[38:39]
	ds_read_b128 v[36:39], v2 offset:736
	v_mul_f64 v[6:7], v[6:7], v[34:35]
	v_fma_f64 v[4:5], v[4:5], v[32:33], -v[6:7]
	s_waitcnt lgkmcnt(0)
	v_mul_f64 v[46:47], v[36:37], v[42:43]
	v_fmac_f64_e32 v[46:47], v[38:39], v[40:41]
	v_add_f64 v[52:53], v[44:45], v[46:47]
	ds_read_b128 v[44:47], v2 offset:752
	s_waitcnt lgkmcnt(0)
	v_mul_f64 v[54:55], v[44:45], v[50:51]
	v_fmac_f64_e32 v[54:55], v[46:47], v[48:49]
	v_add_f64 v[60:61], v[52:53], v[54:55]
	ds_read_b128 v[52:55], v2 offset:768
	;; [unrolled: 5-line block ×17, first 2 shown]
	s_waitcnt lgkmcnt(0)
	v_mul_f64 v[2:3], v[174:175], v[180:181]
	v_fmac_f64_e32 v[2:3], v[176:177], v[178:179]
	v_add_f64 v[120:121], v[120:121], v[2:3]
	v_mul_f64 v[2:3], v[18:19], v[22:23]
	v_fma_f64 v[2:3], v[16:17], v[20:21], -v[2:3]
	v_add_f64 v[2:3], v[2:3], 0
	v_add_f64 v[2:3], v[2:3], v[12:13]
	;; [unrolled: 1-line block ×4, first 2 shown]
	v_mul_f64 v[4:5], v[38:39], v[42:43]
	v_fma_f64 v[4:5], v[36:37], v[40:41], -v[4:5]
	v_add_f64 v[2:3], v[2:3], v[4:5]
	v_mul_f64 v[4:5], v[46:47], v[50:51]
	v_fma_f64 v[4:5], v[44:45], v[48:49], -v[4:5]
	v_add_f64 v[2:3], v[2:3], v[4:5]
	;; [unrolled: 3-line block ×18, first 2 shown]
	scratch_load_dwordx4 v[2:5], off, off offset:144
	s_waitcnt vmcnt(0)
	v_add_f64 v[2:3], v[2:3], -v[6:7]
	v_add_f64 v[4:5], v[4:5], -v[120:121]
	scratch_store_dwordx4 off, v[2:5], off offset:144
	s_and_saveexec_b64 s[2:3], vcc
	s_cbranch_execz .LBB31_189
; %bb.188:
	scratch_load_dwordx4 v[2:5], off, s17
	v_mov_b32_e32 v6, 0
	v_mov_b32_e32 v7, v6
	;; [unrolled: 1-line block ×4, first 2 shown]
	scratch_store_dwordx4 off, v[6:9], off offset:128
	s_waitcnt vmcnt(1)
	ds_write_b128 v250, v[2:5]
.LBB31_189:
	s_or_b64 exec, exec, s[2:3]
	v_mov_b32_e32 v2, 0
	s_waitcnt lgkmcnt(0)
	; wave barrier
	ds_read_b128 v[16:19], v2 offset:656
	ds_read_b128 v[12:15], v2 offset:672
	;; [unrolled: 1-line block ×4, first 2 shown]
	scratch_load_dwordx4 v[20:23], off, off offset:144
	scratch_load_dwordx4 v[40:43], off, off offset:208
	;; [unrolled: 1-line block ×16, first 2 shown]
	v_cmp_lt_u32_e32 vcc, 7, v1
	scratch_load_dwordx4 v[48:51], off, off offset:224
	scratch_load_dwordx4 v[56:59], off, off offset:240
	;; [unrolled: 1-line block ×3, first 2 shown]
	ds_read_b128 v[252:255], v2 offset:1008
	s_waitcnt vmcnt(18) lgkmcnt(4)
	v_mul_f64 v[24:25], v[16:17], v[22:23]
	v_fmac_f64_e32 v[24:25], v[18:19], v[20:21]
	v_add_f64 v[28:29], v[24:25], 0
	scratch_load_dwordx4 v[24:27], off, off offset:160
	v_mul_f64 v[18:19], v[18:19], v[22:23]
	v_fma_f64 v[16:17], v[16:17], v[20:21], -v[18:19]
	v_add_f64 v[16:17], v[16:17], 0
	s_waitcnt vmcnt(0) lgkmcnt(3)
	v_mul_f64 v[30:31], v[12:13], v[26:27]
	v_fmac_f64_e32 v[30:31], v[14:15], v[24:25]
	v_add_f64 v[32:33], v[28:29], v[30:31]
	scratch_load_dwordx4 v[28:31], off, off offset:176
	v_mul_f64 v[14:15], v[14:15], v[26:27]
	v_fma_f64 v[12:13], v[12:13], v[24:25], -v[14:15]
	v_add_f64 v[12:13], v[16:17], v[12:13]
	s_waitcnt vmcnt(0) lgkmcnt(2)
	v_mul_f64 v[34:35], v[8:9], v[30:31]
	v_fmac_f64_e32 v[34:35], v[10:11], v[28:29]
	v_add_f64 v[36:37], v[32:33], v[34:35]
	scratch_load_dwordx4 v[32:35], off, off offset:192
	v_mul_f64 v[10:11], v[10:11], v[30:31]
	v_fma_f64 v[8:9], v[8:9], v[28:29], -v[10:11]
	v_add_f64 v[8:9], v[12:13], v[8:9]
	s_waitcnt vmcnt(0) lgkmcnt(1)
	v_mul_f64 v[38:39], v[4:5], v[34:35]
	v_fmac_f64_e32 v[38:39], v[6:7], v[32:33]
	v_add_f64 v[44:45], v[36:37], v[38:39]
	ds_read_b128 v[36:39], v2 offset:720
	v_mul_f64 v[6:7], v[6:7], v[34:35]
	v_fma_f64 v[4:5], v[4:5], v[32:33], -v[6:7]
	v_add_f64 v[4:5], v[8:9], v[4:5]
	s_waitcnt lgkmcnt(0)
	v_mul_f64 v[46:47], v[36:37], v[42:43]
	v_fmac_f64_e32 v[46:47], v[38:39], v[40:41]
	v_add_f64 v[52:53], v[44:45], v[46:47]
	ds_read_b128 v[44:47], v2 offset:736
	v_mul_f64 v[6:7], v[38:39], v[42:43]
	v_fma_f64 v[6:7], v[36:37], v[40:41], -v[6:7]
	v_add_f64 v[4:5], v[4:5], v[6:7]
	s_waitcnt lgkmcnt(0)
	;; [unrolled: 8-line block ×18, first 2 shown]
	v_mul_f64 v[182:183], v[174:175], v[180:181]
	v_fmac_f64_e32 v[182:183], v[176:177], v[178:179]
	v_add_f64 v[128:129], v[128:129], v[182:183]
	scratch_load_dwordx4 v[182:185], off, off offset:496
	v_mul_f64 v[6:7], v[176:177], v[180:181]
	v_fma_f64 v[6:7], v[174:175], v[178:179], -v[6:7]
	v_add_f64 v[4:5], v[4:5], v[6:7]
	s_waitcnt vmcnt(0)
	v_mul_f64 v[6:7], v[254:255], v[184:185]
	v_fma_f64 v[6:7], v[252:253], v[182:183], -v[6:7]
	v_add_f64 v[8:9], v[4:5], v[6:7]
	scratch_load_dwordx4 v[4:7], off, off offset:128
	v_mul_f64 v[186:187], v[252:253], v[184:185]
	v_fmac_f64_e32 v[186:187], v[254:255], v[182:183]
	v_add_f64 v[128:129], v[128:129], v[186:187]
	s_waitcnt vmcnt(0)
	v_add_f64 v[4:5], v[4:5], -v[8:9]
	v_add_f64 v[6:7], v[6:7], -v[128:129]
	scratch_store_dwordx4 off, v[4:7], off offset:128
	s_and_saveexec_b64 s[2:3], vcc
	s_cbranch_execz .LBB31_191
; %bb.190:
	scratch_load_dwordx4 v[6:9], off, s27
	v_mov_b32_e32 v3, v2
	v_mov_b32_e32 v4, v2
	;; [unrolled: 1-line block ×3, first 2 shown]
	scratch_store_dwordx4 off, v[2:5], off offset:112
	s_waitcnt vmcnt(1)
	ds_write_b128 v250, v[6:9]
.LBB31_191:
	s_or_b64 exec, exec, s[2:3]
	s_waitcnt lgkmcnt(0)
	; wave barrier
	ds_read_b128 v[16:19], v2 offset:640
	ds_read_b128 v[12:15], v2 offset:656
	;; [unrolled: 1-line block ×4, first 2 shown]
	scratch_load_dwordx4 v[20:23], off, off offset:128
	scratch_load_dwordx4 v[40:43], off, off offset:192
	;; [unrolled: 1-line block ×18, first 2 shown]
	v_cmp_lt_u32_e32 vcc, 6, v1
	scratch_load_dwordx4 v[48:51], off, off offset:208
	scratch_load_dwordx4 v[56:59], off, off offset:224
	;; [unrolled: 1-line block ×3, first 2 shown]
	s_waitcnt vmcnt(20) lgkmcnt(3)
	v_mul_f64 v[24:25], v[16:17], v[22:23]
	v_fmac_f64_e32 v[24:25], v[18:19], v[20:21]
	v_add_f64 v[28:29], v[24:25], 0
	scratch_load_dwordx4 v[24:27], off, off offset:144
	s_waitcnt vmcnt(0) lgkmcnt(2)
	v_mul_f64 v[30:31], v[12:13], v[26:27]
	v_fmac_f64_e32 v[30:31], v[14:15], v[24:25]
	v_add_f64 v[32:33], v[28:29], v[30:31]
	scratch_load_dwordx4 v[28:31], off, off offset:160
	v_mul_f64 v[14:15], v[14:15], v[26:27]
	v_fma_f64 v[12:13], v[12:13], v[24:25], -v[14:15]
	s_waitcnt vmcnt(0) lgkmcnt(1)
	v_mul_f64 v[34:35], v[8:9], v[30:31]
	v_fmac_f64_e32 v[34:35], v[10:11], v[28:29]
	v_add_f64 v[36:37], v[32:33], v[34:35]
	scratch_load_dwordx4 v[32:35], off, off offset:176
	v_mul_f64 v[10:11], v[10:11], v[30:31]
	v_fma_f64 v[8:9], v[8:9], v[28:29], -v[10:11]
	s_waitcnt vmcnt(0) lgkmcnt(0)
	v_mul_f64 v[38:39], v[4:5], v[34:35]
	v_fmac_f64_e32 v[38:39], v[6:7], v[32:33]
	v_add_f64 v[44:45], v[36:37], v[38:39]
	ds_read_b128 v[36:39], v2 offset:704
	v_mul_f64 v[6:7], v[6:7], v[34:35]
	v_fma_f64 v[4:5], v[4:5], v[32:33], -v[6:7]
	s_waitcnt lgkmcnt(0)
	v_mul_f64 v[46:47], v[36:37], v[42:43]
	v_fmac_f64_e32 v[46:47], v[38:39], v[40:41]
	v_add_f64 v[52:53], v[44:45], v[46:47]
	ds_read_b128 v[44:47], v2 offset:720
	s_waitcnt lgkmcnt(0)
	v_mul_f64 v[54:55], v[44:45], v[50:51]
	v_fmac_f64_e32 v[54:55], v[46:47], v[48:49]
	v_add_f64 v[60:61], v[52:53], v[54:55]
	ds_read_b128 v[52:55], v2 offset:736
	;; [unrolled: 5-line block ×19, first 2 shown]
	s_waitcnt lgkmcnt(0)
	v_mul_f64 v[2:3], v[186:187], v[192:193]
	v_fmac_f64_e32 v[2:3], v[188:189], v[190:191]
	v_add_f64 v[148:149], v[148:149], v[2:3]
	v_mul_f64 v[2:3], v[18:19], v[22:23]
	v_fma_f64 v[2:3], v[16:17], v[20:21], -v[2:3]
	v_add_f64 v[2:3], v[2:3], 0
	v_add_f64 v[2:3], v[2:3], v[12:13]
	;; [unrolled: 1-line block ×4, first 2 shown]
	v_mul_f64 v[4:5], v[38:39], v[42:43]
	v_fma_f64 v[4:5], v[36:37], v[40:41], -v[4:5]
	v_add_f64 v[2:3], v[2:3], v[4:5]
	v_mul_f64 v[4:5], v[46:47], v[50:51]
	v_fma_f64 v[4:5], v[44:45], v[48:49], -v[4:5]
	v_add_f64 v[2:3], v[2:3], v[4:5]
	;; [unrolled: 3-line block ×20, first 2 shown]
	scratch_load_dwordx4 v[2:5], off, off offset:112
	s_waitcnt vmcnt(0)
	v_add_f64 v[2:3], v[2:3], -v[6:7]
	v_add_f64 v[4:5], v[4:5], -v[148:149]
	scratch_store_dwordx4 off, v[2:5], off offset:112
	s_and_saveexec_b64 s[2:3], vcc
	s_cbranch_execz .LBB31_193
; %bb.192:
	scratch_load_dwordx4 v[2:5], off, s25
	v_mov_b32_e32 v6, 0
	v_mov_b32_e32 v7, v6
	;; [unrolled: 1-line block ×4, first 2 shown]
	scratch_store_dwordx4 off, v[6:9], off offset:96
	s_waitcnt vmcnt(1)
	ds_write_b128 v250, v[2:5]
.LBB31_193:
	s_or_b64 exec, exec, s[2:3]
	v_mov_b32_e32 v2, 0
	s_waitcnt lgkmcnt(0)
	; wave barrier
	ds_read_b128 v[16:19], v2 offset:624
	ds_read_b128 v[12:15], v2 offset:640
	;; [unrolled: 1-line block ×4, first 2 shown]
	scratch_load_dwordx4 v[20:23], off, off offset:112
	scratch_load_dwordx4 v[40:43], off, off offset:176
	;; [unrolled: 1-line block ×19, first 2 shown]
	v_cmp_lt_u32_e32 vcc, 5, v1
	scratch_load_dwordx4 v[48:51], off, off offset:192
	scratch_load_dwordx4 v[56:59], off, off offset:208
	;; [unrolled: 1-line block ×3, first 2 shown]
	s_waitcnt vmcnt(21) lgkmcnt(3)
	v_mul_f64 v[24:25], v[16:17], v[22:23]
	v_fmac_f64_e32 v[24:25], v[18:19], v[20:21]
	v_add_f64 v[28:29], v[24:25], 0
	scratch_load_dwordx4 v[24:27], off, off offset:128
	v_mul_f64 v[18:19], v[18:19], v[22:23]
	v_fma_f64 v[16:17], v[16:17], v[20:21], -v[18:19]
	v_add_f64 v[16:17], v[16:17], 0
	s_waitcnt vmcnt(0) lgkmcnt(2)
	v_mul_f64 v[30:31], v[12:13], v[26:27]
	v_fmac_f64_e32 v[30:31], v[14:15], v[24:25]
	v_add_f64 v[32:33], v[28:29], v[30:31]
	scratch_load_dwordx4 v[28:31], off, off offset:144
	v_mul_f64 v[14:15], v[14:15], v[26:27]
	v_fma_f64 v[12:13], v[12:13], v[24:25], -v[14:15]
	v_add_f64 v[12:13], v[16:17], v[12:13]
	;; [unrolled: 8-line block ×3, first 2 shown]
	s_waitcnt vmcnt(0) lgkmcnt(0)
	v_mul_f64 v[38:39], v[4:5], v[34:35]
	v_fmac_f64_e32 v[38:39], v[6:7], v[32:33]
	v_add_f64 v[44:45], v[36:37], v[38:39]
	ds_read_b128 v[36:39], v2 offset:688
	v_mul_f64 v[6:7], v[6:7], v[34:35]
	v_fma_f64 v[4:5], v[4:5], v[32:33], -v[6:7]
	v_add_f64 v[4:5], v[8:9], v[4:5]
	s_waitcnt lgkmcnt(0)
	v_mul_f64 v[46:47], v[36:37], v[42:43]
	v_fmac_f64_e32 v[46:47], v[38:39], v[40:41]
	v_add_f64 v[52:53], v[44:45], v[46:47]
	ds_read_b128 v[44:47], v2 offset:704
	v_mul_f64 v[6:7], v[38:39], v[42:43]
	v_fma_f64 v[6:7], v[36:37], v[40:41], -v[6:7]
	v_add_f64 v[4:5], v[4:5], v[6:7]
	s_waitcnt lgkmcnt(0)
	;; [unrolled: 8-line block ×21, first 2 shown]
	v_mul_f64 v[6:7], v[196:197], v[200:201]
	v_fma_f64 v[6:7], v[194:195], v[198:199], -v[6:7]
	v_add_f64 v[8:9], v[4:5], v[6:7]
	scratch_load_dwordx4 v[4:7], off, off offset:96
	v_mul_f64 v[202:203], v[194:195], v[200:201]
	v_fmac_f64_e32 v[202:203], v[196:197], v[198:199]
	v_add_f64 v[144:145], v[144:145], v[202:203]
	s_waitcnt vmcnt(0)
	v_add_f64 v[4:5], v[4:5], -v[8:9]
	v_add_f64 v[6:7], v[6:7], -v[144:145]
	scratch_store_dwordx4 off, v[4:7], off offset:96
	s_and_saveexec_b64 s[2:3], vcc
	s_cbranch_execz .LBB31_195
; %bb.194:
	scratch_load_dwordx4 v[6:9], off, s19
	v_mov_b32_e32 v3, v2
	v_mov_b32_e32 v4, v2
	;; [unrolled: 1-line block ×3, first 2 shown]
	scratch_store_dwordx4 off, v[2:5], off offset:80
	s_waitcnt vmcnt(1)
	ds_write_b128 v250, v[6:9]
.LBB31_195:
	s_or_b64 exec, exec, s[2:3]
	s_waitcnt lgkmcnt(0)
	; wave barrier
	ds_read_b128 v[16:19], v2 offset:608
	ds_read_b128 v[12:15], v2 offset:624
	;; [unrolled: 1-line block ×4, first 2 shown]
	scratch_load_dwordx4 v[20:23], off, off offset:96
	scratch_load_dwordx4 v[40:43], off, off offset:160
	scratch_load_dwordx4 v[72:75], off, off offset:224
	scratch_load_dwordx4 v[80:83], off, off offset:240
	scratch_load_dwordx4 v[88:91], off, off offset:256
	scratch_load_dwordx4 v[96:99], off, off offset:272
	scratch_load_dwordx4 v[104:107], off, off offset:288
	scratch_load_dwordx4 v[112:115], off, off offset:304
	scratch_load_dwordx4 v[120:123], off, off offset:320
	scratch_load_dwordx4 v[128:131], off, off offset:336
	scratch_load_dwordx4 v[136:139], off, off offset:352
	scratch_load_dwordx4 v[144:147], off, off offset:368
	scratch_load_dwordx4 v[152:155], off, off offset:384
	scratch_load_dwordx4 v[160:163], off, off offset:400
	scratch_load_dwordx4 v[170:173], off, off offset:416
	scratch_load_dwordx4 v[178:181], off, off offset:432
	scratch_load_dwordx4 v[186:189], off, off offset:448
	scratch_load_dwordx4 v[194:197], off, off offset:464
	scratch_load_dwordx4 v[252:255], off, off offset:480
	scratch_load_dwordx4 v[206:209], off, off offset:496
	v_cmp_lt_u32_e32 vcc, 4, v1
	scratch_load_dwordx4 v[48:51], off, off offset:176
	scratch_load_dwordx4 v[56:59], off, off offset:192
	;; [unrolled: 1-line block ×3, first 2 shown]
	s_waitcnt vmcnt(22) lgkmcnt(3)
	v_mul_f64 v[24:25], v[16:17], v[22:23]
	v_fmac_f64_e32 v[24:25], v[18:19], v[20:21]
	v_add_f64 v[28:29], v[24:25], 0
	scratch_load_dwordx4 v[24:27], off, off offset:112
	s_waitcnt vmcnt(0) lgkmcnt(2)
	v_mul_f64 v[30:31], v[12:13], v[26:27]
	v_fmac_f64_e32 v[30:31], v[14:15], v[24:25]
	v_add_f64 v[32:33], v[28:29], v[30:31]
	scratch_load_dwordx4 v[28:31], off, off offset:128
	v_mul_f64 v[14:15], v[14:15], v[26:27]
	v_fma_f64 v[12:13], v[12:13], v[24:25], -v[14:15]
	s_waitcnt vmcnt(0) lgkmcnt(1)
	v_mul_f64 v[34:35], v[8:9], v[30:31]
	v_fmac_f64_e32 v[34:35], v[10:11], v[28:29]
	v_add_f64 v[36:37], v[32:33], v[34:35]
	scratch_load_dwordx4 v[32:35], off, off offset:144
	v_mul_f64 v[10:11], v[10:11], v[30:31]
	v_fma_f64 v[8:9], v[8:9], v[28:29], -v[10:11]
	s_waitcnt vmcnt(0) lgkmcnt(0)
	v_mul_f64 v[38:39], v[4:5], v[34:35]
	v_fmac_f64_e32 v[38:39], v[6:7], v[32:33]
	v_add_f64 v[44:45], v[36:37], v[38:39]
	ds_read_b128 v[36:39], v2 offset:672
	v_mul_f64 v[6:7], v[6:7], v[34:35]
	v_fma_f64 v[4:5], v[4:5], v[32:33], -v[6:7]
	s_waitcnt lgkmcnt(0)
	v_mul_f64 v[46:47], v[36:37], v[42:43]
	v_fmac_f64_e32 v[46:47], v[38:39], v[40:41]
	v_add_f64 v[52:53], v[44:45], v[46:47]
	ds_read_b128 v[44:47], v2 offset:688
	s_waitcnt lgkmcnt(0)
	v_mul_f64 v[54:55], v[44:45], v[50:51]
	v_fmac_f64_e32 v[54:55], v[46:47], v[48:49]
	v_add_f64 v[60:61], v[52:53], v[54:55]
	ds_read_b128 v[52:55], v2 offset:704
	;; [unrolled: 5-line block ×21, first 2 shown]
	s_waitcnt lgkmcnt(0)
	v_mul_f64 v[2:3], v[202:203], v[208:209]
	v_fmac_f64_e32 v[2:3], v[204:205], v[206:207]
	v_add_f64 v[168:169], v[168:169], v[2:3]
	v_mul_f64 v[2:3], v[18:19], v[22:23]
	v_fma_f64 v[2:3], v[16:17], v[20:21], -v[2:3]
	v_add_f64 v[2:3], v[2:3], 0
	v_add_f64 v[2:3], v[2:3], v[12:13]
	;; [unrolled: 1-line block ×4, first 2 shown]
	v_mul_f64 v[4:5], v[38:39], v[42:43]
	v_fma_f64 v[4:5], v[36:37], v[40:41], -v[4:5]
	v_add_f64 v[2:3], v[2:3], v[4:5]
	v_mul_f64 v[4:5], v[46:47], v[50:51]
	v_fma_f64 v[4:5], v[44:45], v[48:49], -v[4:5]
	v_add_f64 v[2:3], v[2:3], v[4:5]
	;; [unrolled: 3-line block ×22, first 2 shown]
	scratch_load_dwordx4 v[2:5], off, off offset:80
	s_waitcnt vmcnt(0)
	v_add_f64 v[2:3], v[2:3], -v[6:7]
	v_add_f64 v[4:5], v[4:5], -v[168:169]
	scratch_store_dwordx4 off, v[2:5], off offset:80
	s_and_saveexec_b64 s[2:3], vcc
	s_cbranch_execz .LBB31_197
; %bb.196:
	scratch_load_dwordx4 v[2:5], off, s16
	v_mov_b32_e32 v6, 0
	v_mov_b32_e32 v7, v6
	;; [unrolled: 1-line block ×4, first 2 shown]
	scratch_store_dwordx4 off, v[6:9], off offset:64
	s_waitcnt vmcnt(1)
	ds_write_b128 v250, v[2:5]
.LBB31_197:
	s_or_b64 exec, exec, s[2:3]
	v_mov_b32_e32 v2, 0
	s_waitcnt lgkmcnt(0)
	; wave barrier
	ds_read_b128 v[16:19], v2 offset:592
	ds_read_b128 v[12:15], v2 offset:608
	ds_read_b128 v[8:11], v2 offset:624
	ds_read_b128 v[4:7], v2 offset:640
	scratch_load_dwordx4 v[20:23], off, off offset:80
	scratch_load_dwordx4 v[40:43], off, off offset:144
	scratch_load_dwordx4 v[72:75], off, off offset:208
	scratch_load_dwordx4 v[80:83], off, off offset:224
	scratch_load_dwordx4 v[88:91], off, off offset:240
	scratch_load_dwordx4 v[96:99], off, off offset:256
	scratch_load_dwordx4 v[104:107], off, off offset:272
	scratch_load_dwordx4 v[112:115], off, off offset:288
	scratch_load_dwordx4 v[120:123], off, off offset:304
	scratch_load_dwordx4 v[128:131], off, off offset:320
	scratch_load_dwordx4 v[136:139], off, off offset:336
	scratch_load_dwordx4 v[144:147], off, off offset:352
	scratch_load_dwordx4 v[152:155], off, off offset:368
	scratch_load_dwordx4 v[162:165], off, off offset:384
	scratch_load_dwordx4 v[170:173], off, off offset:400
	scratch_load_dwordx4 v[178:181], off, off offset:416
	scratch_load_dwordx4 v[186:189], off, off offset:432
	scratch_load_dwordx4 v[194:197], off, off offset:448
	scratch_load_dwordx4 v[202:205], off, off offset:464
	scratch_load_dwordx4 v[252:255], off, off offset:480
	scratch_load_dwordx4 v[214:217], off, off offset:496
	v_cmp_lt_u32_e32 vcc, 3, v1
	scratch_load_dwordx4 v[48:51], off, off offset:160
	scratch_load_dwordx4 v[56:59], off, off offset:176
	;; [unrolled: 1-line block ×3, first 2 shown]
	s_waitcnt vmcnt(23) lgkmcnt(3)
	v_mul_f64 v[24:25], v[16:17], v[22:23]
	v_fmac_f64_e32 v[24:25], v[18:19], v[20:21]
	v_add_f64 v[28:29], v[24:25], 0
	scratch_load_dwordx4 v[24:27], off, off offset:96
	v_mul_f64 v[18:19], v[18:19], v[22:23]
	v_fma_f64 v[16:17], v[16:17], v[20:21], -v[18:19]
	v_add_f64 v[16:17], v[16:17], 0
	s_waitcnt vmcnt(0) lgkmcnt(2)
	v_mul_f64 v[30:31], v[12:13], v[26:27]
	v_fmac_f64_e32 v[30:31], v[14:15], v[24:25]
	v_add_f64 v[32:33], v[28:29], v[30:31]
	scratch_load_dwordx4 v[28:31], off, off offset:112
	v_mul_f64 v[14:15], v[14:15], v[26:27]
	v_fma_f64 v[12:13], v[12:13], v[24:25], -v[14:15]
	v_add_f64 v[12:13], v[16:17], v[12:13]
	;; [unrolled: 8-line block ×3, first 2 shown]
	s_waitcnt vmcnt(0) lgkmcnt(0)
	v_mul_f64 v[38:39], v[4:5], v[34:35]
	v_fmac_f64_e32 v[38:39], v[6:7], v[32:33]
	v_add_f64 v[44:45], v[36:37], v[38:39]
	ds_read_b128 v[36:39], v2 offset:656
	v_mul_f64 v[6:7], v[6:7], v[34:35]
	v_fma_f64 v[4:5], v[4:5], v[32:33], -v[6:7]
	v_add_f64 v[4:5], v[8:9], v[4:5]
	s_waitcnt lgkmcnt(0)
	v_mul_f64 v[46:47], v[36:37], v[42:43]
	v_fmac_f64_e32 v[46:47], v[38:39], v[40:41]
	v_add_f64 v[52:53], v[44:45], v[46:47]
	ds_read_b128 v[44:47], v2 offset:672
	v_mul_f64 v[6:7], v[38:39], v[42:43]
	v_fma_f64 v[6:7], v[36:37], v[40:41], -v[6:7]
	v_add_f64 v[4:5], v[4:5], v[6:7]
	s_waitcnt lgkmcnt(0)
	;; [unrolled: 8-line block ×23, first 2 shown]
	v_mul_f64 v[6:7], v[212:213], v[216:217]
	v_fma_f64 v[6:7], v[210:211], v[214:215], -v[6:7]
	v_add_f64 v[8:9], v[4:5], v[6:7]
	scratch_load_dwordx4 v[4:7], off, off offset:64
	v_mul_f64 v[218:219], v[210:211], v[216:217]
	v_fmac_f64_e32 v[218:219], v[212:213], v[214:215]
	v_add_f64 v[160:161], v[160:161], v[218:219]
	s_waitcnt vmcnt(0)
	v_add_f64 v[4:5], v[4:5], -v[8:9]
	v_add_f64 v[6:7], v[6:7], -v[160:161]
	scratch_store_dwordx4 off, v[4:7], off offset:64
	s_and_saveexec_b64 s[2:3], vcc
	s_cbranch_execz .LBB31_199
; %bb.198:
	scratch_load_dwordx4 v[6:9], off, s15
	v_mov_b32_e32 v3, v2
	v_mov_b32_e32 v4, v2
	;; [unrolled: 1-line block ×3, first 2 shown]
	scratch_store_dwordx4 off, v[2:5], off offset:48
	s_waitcnt vmcnt(1)
	ds_write_b128 v250, v[6:9]
.LBB31_199:
	s_or_b64 exec, exec, s[2:3]
	s_waitcnt lgkmcnt(0)
	; wave barrier
	ds_read_b128 v[16:19], v2 offset:576
	ds_read_b128 v[12:15], v2 offset:592
	;; [unrolled: 1-line block ×4, first 2 shown]
	scratch_load_dwordx4 v[20:23], off, off offset:64
	scratch_load_dwordx4 v[40:43], off, off offset:128
	;; [unrolled: 1-line block ×22, first 2 shown]
	v_cmp_lt_u32_e32 vcc, 2, v1
	scratch_load_dwordx4 v[48:51], off, off offset:144
	scratch_load_dwordx4 v[56:59], off, off offset:160
	;; [unrolled: 1-line block ×3, first 2 shown]
	s_waitcnt vmcnt(24) lgkmcnt(3)
	v_mul_f64 v[24:25], v[16:17], v[22:23]
	v_fmac_f64_e32 v[24:25], v[18:19], v[20:21]
	v_add_f64 v[28:29], v[24:25], 0
	scratch_load_dwordx4 v[24:27], off, off offset:80
	s_waitcnt vmcnt(0) lgkmcnt(2)
	v_mul_f64 v[30:31], v[12:13], v[26:27]
	v_fmac_f64_e32 v[30:31], v[14:15], v[24:25]
	v_add_f64 v[32:33], v[28:29], v[30:31]
	scratch_load_dwordx4 v[28:31], off, off offset:96
	v_mul_f64 v[14:15], v[14:15], v[26:27]
	v_fma_f64 v[12:13], v[12:13], v[24:25], -v[14:15]
	s_waitcnt vmcnt(0) lgkmcnt(1)
	v_mul_f64 v[34:35], v[8:9], v[30:31]
	v_fmac_f64_e32 v[34:35], v[10:11], v[28:29]
	v_add_f64 v[36:37], v[32:33], v[34:35]
	scratch_load_dwordx4 v[32:35], off, off offset:112
	v_mul_f64 v[10:11], v[10:11], v[30:31]
	v_fma_f64 v[8:9], v[8:9], v[28:29], -v[10:11]
	s_waitcnt vmcnt(0) lgkmcnt(0)
	v_mul_f64 v[38:39], v[4:5], v[34:35]
	v_fmac_f64_e32 v[38:39], v[6:7], v[32:33]
	v_add_f64 v[44:45], v[36:37], v[38:39]
	ds_read_b128 v[36:39], v2 offset:640
	v_mul_f64 v[6:7], v[6:7], v[34:35]
	v_fma_f64 v[4:5], v[4:5], v[32:33], -v[6:7]
	s_waitcnt lgkmcnt(0)
	v_mul_f64 v[46:47], v[36:37], v[42:43]
	v_fmac_f64_e32 v[46:47], v[38:39], v[40:41]
	v_add_f64 v[52:53], v[44:45], v[46:47]
	ds_read_b128 v[44:47], v2 offset:656
	s_waitcnt lgkmcnt(0)
	v_mul_f64 v[54:55], v[44:45], v[50:51]
	v_fmac_f64_e32 v[54:55], v[46:47], v[48:49]
	v_add_f64 v[60:61], v[52:53], v[54:55]
	ds_read_b128 v[52:55], v2 offset:672
	;; [unrolled: 5-line block ×23, first 2 shown]
	s_waitcnt lgkmcnt(0)
	v_mul_f64 v[2:3], v[218:219], v[224:225]
	v_fmac_f64_e32 v[2:3], v[220:221], v[222:223]
	v_add_f64 v[176:177], v[176:177], v[2:3]
	v_mul_f64 v[2:3], v[18:19], v[22:23]
	v_fma_f64 v[2:3], v[16:17], v[20:21], -v[2:3]
	v_add_f64 v[2:3], v[2:3], 0
	v_add_f64 v[2:3], v[2:3], v[12:13]
	;; [unrolled: 1-line block ×4, first 2 shown]
	v_mul_f64 v[4:5], v[38:39], v[42:43]
	v_fma_f64 v[4:5], v[36:37], v[40:41], -v[4:5]
	v_add_f64 v[2:3], v[2:3], v[4:5]
	v_mul_f64 v[4:5], v[46:47], v[50:51]
	v_fma_f64 v[4:5], v[44:45], v[48:49], -v[4:5]
	v_add_f64 v[2:3], v[2:3], v[4:5]
	;; [unrolled: 3-line block ×24, first 2 shown]
	scratch_load_dwordx4 v[2:5], off, off offset:48
	s_waitcnt vmcnt(0)
	v_add_f64 v[2:3], v[2:3], -v[6:7]
	v_add_f64 v[4:5], v[4:5], -v[176:177]
	scratch_store_dwordx4 off, v[2:5], off offset:48
	s_and_saveexec_b64 s[2:3], vcc
	s_cbranch_execz .LBB31_201
; %bb.200:
	scratch_load_dwordx4 v[2:5], off, s14
	v_mov_b32_e32 v6, 0
	v_mov_b32_e32 v7, v6
	;; [unrolled: 1-line block ×4, first 2 shown]
	scratch_store_dwordx4 off, v[6:9], off offset:32
	s_waitcnt vmcnt(1)
	ds_write_b128 v250, v[2:5]
.LBB31_201:
	s_or_b64 exec, exec, s[2:3]
	v_mov_b32_e32 v2, 0
	s_waitcnt lgkmcnt(0)
	; wave barrier
	ds_read_b128 v[16:19], v2 offset:560
	ds_read_b128 v[12:15], v2 offset:576
	;; [unrolled: 1-line block ×4, first 2 shown]
	scratch_load_dwordx4 v[20:23], off, off offset:48
	scratch_load_dwordx4 v[40:43], off, off offset:112
	scratch_load_dwordx4 v[72:75], off, off offset:176
	scratch_load_dwordx4 v[80:83], off, off offset:192
	scratch_load_dwordx4 v[88:91], off, off offset:208
	scratch_load_dwordx4 v[96:99], off, off offset:224
	scratch_load_dwordx4 v[104:107], off, off offset:240
	scratch_load_dwordx4 v[112:115], off, off offset:256
	scratch_load_dwordx4 v[120:123], off, off offset:272
	scratch_load_dwordx4 v[128:131], off, off offset:288
	scratch_load_dwordx4 v[136:139], off, off offset:304
	scratch_load_dwordx4 v[144:147], off, off offset:320
	scratch_load_dwordx4 v[152:155], off, off offset:336
	scratch_load_dwordx4 v[160:163], off, off offset:352
	scratch_load_dwordx4 v[168:171], off, off offset:368
	scratch_load_dwordx4 v[178:181], off, off offset:384
	scratch_load_dwordx4 v[186:189], off, off offset:400
	scratch_load_dwordx4 v[194:197], off, off offset:416
	scratch_load_dwordx4 v[202:205], off, off offset:432
	scratch_load_dwordx4 v[210:213], off, off offset:448
	scratch_load_dwordx4 v[218:221], off, off offset:464
	scratch_load_dwordx4 v[252:255], off, off offset:480
	scratch_load_dwordx4 v[230:233], off, off offset:496
	v_cmp_lt_u32_e32 vcc, 1, v1
	scratch_load_dwordx4 v[48:51], off, off offset:128
	scratch_load_dwordx4 v[56:59], off, off offset:144
	scratch_load_dwordx4 v[64:67], off, off offset:160
	s_waitcnt vmcnt(25) lgkmcnt(3)
	v_mul_f64 v[24:25], v[16:17], v[22:23]
	v_fmac_f64_e32 v[24:25], v[18:19], v[20:21]
	v_add_f64 v[28:29], v[24:25], 0
	scratch_load_dwordx4 v[24:27], off, off offset:64
	v_mul_f64 v[18:19], v[18:19], v[22:23]
	v_fma_f64 v[16:17], v[16:17], v[20:21], -v[18:19]
	v_add_f64 v[16:17], v[16:17], 0
	s_waitcnt vmcnt(0) lgkmcnt(2)
	v_mul_f64 v[30:31], v[12:13], v[26:27]
	v_fmac_f64_e32 v[30:31], v[14:15], v[24:25]
	v_add_f64 v[32:33], v[28:29], v[30:31]
	scratch_load_dwordx4 v[28:31], off, off offset:80
	v_mul_f64 v[14:15], v[14:15], v[26:27]
	v_fma_f64 v[12:13], v[12:13], v[24:25], -v[14:15]
	v_add_f64 v[12:13], v[16:17], v[12:13]
	;; [unrolled: 8-line block ×3, first 2 shown]
	s_waitcnt vmcnt(0) lgkmcnt(0)
	v_mul_f64 v[38:39], v[4:5], v[34:35]
	v_fmac_f64_e32 v[38:39], v[6:7], v[32:33]
	v_add_f64 v[44:45], v[36:37], v[38:39]
	ds_read_b128 v[36:39], v2 offset:624
	v_mul_f64 v[6:7], v[6:7], v[34:35]
	v_fma_f64 v[4:5], v[4:5], v[32:33], -v[6:7]
	v_add_f64 v[4:5], v[8:9], v[4:5]
	s_waitcnt lgkmcnt(0)
	v_mul_f64 v[46:47], v[36:37], v[42:43]
	v_fmac_f64_e32 v[46:47], v[38:39], v[40:41]
	v_add_f64 v[52:53], v[44:45], v[46:47]
	ds_read_b128 v[44:47], v2 offset:640
	v_mul_f64 v[6:7], v[38:39], v[42:43]
	v_fma_f64 v[6:7], v[36:37], v[40:41], -v[6:7]
	v_add_f64 v[4:5], v[4:5], v[6:7]
	s_waitcnt lgkmcnt(0)
	;; [unrolled: 8-line block ×25, first 2 shown]
	v_mul_f64 v[6:7], v[228:229], v[232:233]
	v_fma_f64 v[6:7], v[226:227], v[230:231], -v[6:7]
	v_add_f64 v[8:9], v[4:5], v[6:7]
	scratch_load_dwordx4 v[4:7], off, off offset:32
	v_mul_f64 v[234:235], v[226:227], v[232:233]
	v_fmac_f64_e32 v[234:235], v[228:229], v[230:231]
	v_add_f64 v[176:177], v[176:177], v[234:235]
	s_waitcnt vmcnt(0)
	v_add_f64 v[4:5], v[4:5], -v[8:9]
	v_add_f64 v[6:7], v[6:7], -v[176:177]
	scratch_store_dwordx4 off, v[4:7], off offset:32
	s_and_saveexec_b64 s[2:3], vcc
	s_cbranch_execz .LBB31_203
; %bb.202:
	scratch_load_dwordx4 v[6:9], off, s18
	v_mov_b32_e32 v3, v2
	v_mov_b32_e32 v4, v2
	v_mov_b32_e32 v5, v2
	scratch_store_dwordx4 off, v[2:5], off offset:16
	s_waitcnt vmcnt(1)
	ds_write_b128 v250, v[6:9]
.LBB31_203:
	s_or_b64 exec, exec, s[2:3]
	s_waitcnt lgkmcnt(0)
	; wave barrier
	ds_read_b128 v[16:19], v2 offset:544
	ds_read_b128 v[12:15], v2 offset:560
	;; [unrolled: 1-line block ×4, first 2 shown]
	scratch_load_dwordx4 v[20:23], off, off offset:32
	scratch_load_dwordx4 v[40:43], off, off offset:96
	;; [unrolled: 1-line block ×24, first 2 shown]
	v_cmp_ne_u32_e32 vcc, 0, v1
	scratch_load_dwordx4 v[48:51], off, off offset:112
	scratch_load_dwordx4 v[56:59], off, off offset:128
	;; [unrolled: 1-line block ×3, first 2 shown]
	s_waitcnt vmcnt(26) lgkmcnt(3)
	v_mul_f64 v[24:25], v[16:17], v[22:23]
	v_fmac_f64_e32 v[24:25], v[18:19], v[20:21]
	v_add_f64 v[28:29], v[24:25], 0
	scratch_load_dwordx4 v[24:27], off, off offset:48
	s_waitcnt vmcnt(0) lgkmcnt(2)
	v_mul_f64 v[30:31], v[12:13], v[26:27]
	v_fmac_f64_e32 v[30:31], v[14:15], v[24:25]
	v_add_f64 v[32:33], v[28:29], v[30:31]
	scratch_load_dwordx4 v[28:31], off, off offset:64
	v_mul_f64 v[14:15], v[14:15], v[26:27]
	v_fma_f64 v[12:13], v[12:13], v[24:25], -v[14:15]
	s_waitcnt vmcnt(0) lgkmcnt(1)
	v_mul_f64 v[34:35], v[8:9], v[30:31]
	v_fmac_f64_e32 v[34:35], v[10:11], v[28:29]
	v_add_f64 v[36:37], v[32:33], v[34:35]
	scratch_load_dwordx4 v[32:35], off, off offset:80
	v_mul_f64 v[10:11], v[10:11], v[30:31]
	v_fma_f64 v[8:9], v[8:9], v[28:29], -v[10:11]
	s_waitcnt vmcnt(0) lgkmcnt(0)
	v_mul_f64 v[38:39], v[4:5], v[34:35]
	v_fmac_f64_e32 v[38:39], v[6:7], v[32:33]
	v_add_f64 v[44:45], v[36:37], v[38:39]
	ds_read_b128 v[36:39], v2 offset:608
	v_mul_f64 v[6:7], v[6:7], v[34:35]
	v_fma_f64 v[4:5], v[4:5], v[32:33], -v[6:7]
	s_waitcnt lgkmcnt(0)
	v_mul_f64 v[46:47], v[36:37], v[42:43]
	v_fmac_f64_e32 v[46:47], v[38:39], v[40:41]
	v_add_f64 v[52:53], v[44:45], v[46:47]
	ds_read_b128 v[44:47], v2 offset:624
	s_waitcnt lgkmcnt(0)
	v_mul_f64 v[54:55], v[44:45], v[50:51]
	v_fmac_f64_e32 v[54:55], v[46:47], v[48:49]
	v_add_f64 v[60:61], v[52:53], v[54:55]
	ds_read_b128 v[52:55], v2 offset:640
	;; [unrolled: 5-line block ×25, first 2 shown]
	s_waitcnt lgkmcnt(0)
	v_mul_f64 v[2:3], v[232:233], v[238:239]
	v_fmac_f64_e32 v[2:3], v[234:235], v[236:237]
	v_add_f64 v[248:249], v[248:249], v[2:3]
	v_mul_f64 v[2:3], v[18:19], v[22:23]
	v_fma_f64 v[2:3], v[16:17], v[20:21], -v[2:3]
	v_add_f64 v[2:3], v[2:3], 0
	v_add_f64 v[2:3], v[2:3], v[12:13]
	v_add_f64 v[2:3], v[2:3], v[8:9]
	v_add_f64 v[2:3], v[2:3], v[4:5]
	v_mul_f64 v[4:5], v[38:39], v[42:43]
	v_fma_f64 v[4:5], v[36:37], v[40:41], -v[4:5]
	v_add_f64 v[2:3], v[2:3], v[4:5]
	v_mul_f64 v[4:5], v[46:47], v[50:51]
	v_fma_f64 v[4:5], v[44:45], v[48:49], -v[4:5]
	v_add_f64 v[2:3], v[2:3], v[4:5]
	;; [unrolled: 3-line block ×26, first 2 shown]
	scratch_load_dwordx4 v[2:5], off, off offset:16
	s_waitcnt vmcnt(0)
	v_add_f64 v[2:3], v[2:3], -v[6:7]
	v_add_f64 v[4:5], v[4:5], -v[248:249]
	scratch_store_dwordx4 off, v[2:5], off offset:16
	s_and_saveexec_b64 s[2:3], vcc
	s_cbranch_execz .LBB31_205
; %bb.204:
	scratch_load_dwordx4 v[2:5], off, off
	v_mov_b32_e32 v6, 0
	v_mov_b32_e32 v7, v6
	;; [unrolled: 1-line block ×4, first 2 shown]
	scratch_store_dwordx4 off, v[6:9], off
	s_waitcnt vmcnt(1)
	ds_write_b128 v250, v[2:5]
.LBB31_205:
	s_or_b64 exec, exec, s[2:3]
	s_waitcnt lgkmcnt(0)
	; wave barrier
	scratch_load_dwordx4 v[10:13], off, off offset:16
	scratch_load_dwordx4 v[6:9], off, off offset:32
	;; [unrolled: 1-line block ×31, first 2 shown]
	scratch_load_dwordx4 v[128:131], off, off
	v_mov_b32_e32 v126, 0
	ds_read_b128 v[132:135], v126 offset:528
	ds_read_b128 v[136:139], v126 offset:544
	;; [unrolled: 1-line block ×18, first 2 shown]
	s_and_b64 vcc, exec, s[22:23]
	s_waitcnt vmcnt(31) lgkmcnt(14)
	v_mul_f64 v[200:201], v[132:133], v[12:13]
	s_waitcnt vmcnt(30)
	v_mul_f64 v[202:203], v[136:137], v[8:9]
	v_fmac_f64_e32 v[200:201], v[134:135], v[10:11]
	s_waitcnt vmcnt(29)
	v_mul_f64 v[204:205], v[140:141], v[4:5]
	v_fmac_f64_e32 v[202:203], v[138:139], v[6:7]
	v_add_f64 v[200:201], v[200:201], 0
	s_waitcnt vmcnt(28)
	v_mul_f64 v[206:207], v[144:145], v[16:17]
	v_fmac_f64_e32 v[204:205], v[142:143], v[2:3]
	v_add_f64 v[200:201], v[200:201], v[202:203]
	s_waitcnt vmcnt(27) lgkmcnt(13)
	v_mul_f64 v[208:209], v[148:149], v[20:21]
	v_fmac_f64_e32 v[206:207], v[146:147], v[14:15]
	v_add_f64 v[200:201], v[200:201], v[204:205]
	s_waitcnt vmcnt(26) lgkmcnt(12)
	;; [unrolled: 4-line block ×11, first 2 shown]
	v_mul_f64 v[228:229], v[188:189], v[60:61]
	v_fmac_f64_e32 v[226:227], v[186:187], v[54:55]
	v_add_f64 v[200:201], v[200:201], v[224:225]
	v_fmac_f64_e32 v[228:229], v[190:191], v[58:59]
	v_add_f64 v[200:201], v[200:201], v[226:227]
	s_waitcnt vmcnt(16) lgkmcnt(2)
	v_mul_f64 v[202:203], v[192:193], v[64:65]
	v_add_f64 v[200:201], v[200:201], v[228:229]
	v_fmac_f64_e32 v[202:203], v[194:195], v[62:63]
	v_add_f64 v[204:205], v[200:201], v[202:203]
	ds_read_b128 v[200:203], v126 offset:800
	s_waitcnt vmcnt(15) lgkmcnt(2)
	v_mul_f64 v[206:207], v[196:197], v[68:69]
	v_fmac_f64_e32 v[206:207], v[198:199], v[66:67]
	v_add_f64 v[208:209], v[204:205], v[206:207]
	ds_read_b128 v[204:207], v126 offset:816
	s_waitcnt vmcnt(14) lgkmcnt(1)
	v_mul_f64 v[210:211], v[200:201], v[72:73]
	;; [unrolled: 5-line block ×10, first 2 shown]
	v_fmac_f64_e32 v[254:255], v[234:235], v[102:103]
	v_add_f64 v[252:253], v[252:253], v[254:255]
	v_mul_f64 v[12:13], v[134:135], v[12:13]
	s_waitcnt vmcnt(5) lgkmcnt(0)
	v_mul_f64 v[254:255], v[236:237], v[108:109]
	v_fmac_f64_e32 v[254:255], v[238:239], v[106:107]
	v_add_f64 v[252:253], v[252:253], v[254:255]
	v_fma_f64 v[254:255], v[132:133], v[10:11], -v[12:13]
	ds_read_b128 v[10:13], v126 offset:976
	v_mul_f64 v[8:9], v[138:139], v[8:9]
	s_waitcnt vmcnt(4)
	v_mul_f64 v[132:133], v[248:249], v[112:113]
	v_fma_f64 v[136:137], v[136:137], v[6:7], -v[8:9]
	ds_read_b128 v[6:9], v126 offset:992
	v_fmac_f64_e32 v[132:133], v[250:251], v[110:111]
	v_add_f64 v[252:253], v[252:253], v[132:133]
	ds_read_b128 v[132:135], v126 offset:1008
	s_waitcnt vmcnt(3) lgkmcnt(2)
	v_mul_f64 v[138:139], v[10:11], v[116:117]
	v_fmac_f64_e32 v[138:139], v[12:13], v[114:115]
	v_add_f64 v[138:139], v[252:253], v[138:139]
	s_waitcnt vmcnt(2) lgkmcnt(1)
	v_mul_f64 v[252:253], v[6:7], v[120:121]
	v_fmac_f64_e32 v[252:253], v[8:9], v[118:119]
	v_add_f64 v[138:139], v[138:139], v[252:253]
	;; [unrolled: 4-line block ×3, first 2 shown]
	v_add_f64 v[252:253], v[254:255], 0
	v_mul_f64 v[4:5], v[142:143], v[4:5]
	v_add_f64 v[136:137], v[252:253], v[136:137]
	v_fma_f64 v[2:3], v[140:141], v[2:3], -v[4:5]
	v_mul_f64 v[4:5], v[146:147], v[16:17]
	v_add_f64 v[2:3], v[136:137], v[2:3]
	v_fma_f64 v[4:5], v[144:145], v[14:15], -v[4:5]
	v_add_f64 v[2:3], v[2:3], v[4:5]
	v_mul_f64 v[4:5], v[150:151], v[20:21]
	v_fma_f64 v[4:5], v[148:149], v[18:19], -v[4:5]
	v_add_f64 v[2:3], v[2:3], v[4:5]
	v_mul_f64 v[4:5], v[154:155], v[24:25]
	;; [unrolled: 3-line block ×27, first 2 shown]
	v_fma_f64 v[4:5], v[132:133], v[122:123], -v[4:5]
	v_add_f64 v[2:3], v[2:3], v[4:5]
	s_waitcnt vmcnt(0)
	v_add_f64 v[2:3], v[128:129], -v[2:3]
	v_add_f64 v[4:5], v[130:131], -v[138:139]
	scratch_store_dwordx4 off, v[2:5], off
	s_cbranch_vccz .LBB31_268
; %bb.206:
	global_load_dword v2, v126, s[20:21] offset:120
	s_load_dwordx2 s[2:3], s[0:1], 0x4
	v_bfe_u32 v3, v0, 10, 10
	v_bfe_u32 v0, v0, 20, 10
	s_waitcnt lgkmcnt(0)
	s_lshr_b32 s0, s2, 16
	s_mul_i32 s0, s0, s3
	v_mul_u32_u24_e32 v1, s0, v1
	v_mul_u32_u24_e32 v3, s3, v3
	v_add3_u32 v0, v1, v3, v0
	v_mov_b32_e32 v1, 0x408
	v_lshl_add_u32 v0, v0, 4, v1
	s_waitcnt vmcnt(0)
	v_readfirstlane_b32 s0, v2
	s_add_i32 s0, s0, -1
	s_cmp_lg_u32 s0, 30
	s_cbranch_scc0 .LBB31_208
; %bb.207:
	s_lshl_b32 s0, s0, 4
	scratch_load_dwordx4 v[2:5], off, s44
	scratch_load_dwordx4 v[6:9], off, s0
	s_waitcnt vmcnt(1)
	ds_write2_b64 v0, v[2:3], v[4:5] offset1:1
	s_waitcnt vmcnt(0)
	scratch_store_dwordx4 off, v[6:9], s44
	scratch_store_dwordx4 off, v[2:5], s0
.LBB31_208:
	v_mov_b32_e32 v1, 0
	global_load_dword v2, v1, s[20:21] offset:116
	s_waitcnt vmcnt(0)
	v_readfirstlane_b32 s0, v2
	s_add_i32 s0, s0, -1
	s_cmp_eq_u32 s0, 29
	s_cbranch_scc1 .LBB31_210
; %bb.209:
	s_lshl_b32 s0, s0, 4
	scratch_load_dwordx4 v[2:5], off, s43
	scratch_load_dwordx4 v[6:9], off, s0
	s_waitcnt vmcnt(1)
	ds_write2_b64 v0, v[2:3], v[4:5] offset1:1
	s_waitcnt vmcnt(0)
	scratch_store_dwordx4 off, v[6:9], s43
	scratch_store_dwordx4 off, v[2:5], s0
.LBB31_210:
	global_load_dword v1, v1, s[20:21] offset:112
	s_waitcnt vmcnt(0)
	v_readfirstlane_b32 s0, v1
	s_add_i32 s0, s0, -1
	s_cmp_eq_u32 s0, 28
	s_cbranch_scc1 .LBB31_212
; %bb.211:
	s_lshl_b32 s0, s0, 4
	scratch_load_dwordx4 v[2:5], off, s42
	scratch_load_dwordx4 v[6:9], off, s0
	s_waitcnt vmcnt(1)
	ds_write2_b64 v0, v[2:3], v[4:5] offset1:1
	s_waitcnt vmcnt(0)
	scratch_store_dwordx4 off, v[6:9], s42
	scratch_store_dwordx4 off, v[2:5], s0
.LBB31_212:
	v_mov_b32_e32 v1, 0
	global_load_dword v2, v1, s[20:21] offset:108
	s_waitcnt vmcnt(0)
	v_readfirstlane_b32 s0, v2
	s_add_i32 s0, s0, -1
	s_cmp_eq_u32 s0, 27
	s_cbranch_scc1 .LBB31_214
; %bb.213:
	s_lshl_b32 s0, s0, 4
	scratch_load_dwordx4 v[2:5], off, s41
	scratch_load_dwordx4 v[6:9], off, s0
	s_waitcnt vmcnt(1)
	ds_write2_b64 v0, v[2:3], v[4:5] offset1:1
	s_waitcnt vmcnt(0)
	scratch_store_dwordx4 off, v[6:9], s41
	scratch_store_dwordx4 off, v[2:5], s0
.LBB31_214:
	global_load_dword v1, v1, s[20:21] offset:104
	s_waitcnt vmcnt(0)
	v_readfirstlane_b32 s0, v1
	s_add_i32 s0, s0, -1
	s_cmp_eq_u32 s0, 26
	s_cbranch_scc1 .LBB31_216
; %bb.215:
	s_lshl_b32 s0, s0, 4
	scratch_load_dwordx4 v[2:5], off, s40
	scratch_load_dwordx4 v[6:9], off, s0
	s_waitcnt vmcnt(1)
	ds_write2_b64 v0, v[2:3], v[4:5] offset1:1
	s_waitcnt vmcnt(0)
	scratch_store_dwordx4 off, v[6:9], s40
	scratch_store_dwordx4 off, v[2:5], s0
.LBB31_216:
	v_mov_b32_e32 v1, 0
	global_load_dword v2, v1, s[20:21] offset:100
	s_waitcnt vmcnt(0)
	v_readfirstlane_b32 s0, v2
	s_add_i32 s0, s0, -1
	s_cmp_eq_u32 s0, 25
	s_cbranch_scc1 .LBB31_218
; %bb.217:
	s_lshl_b32 s0, s0, 4
	scratch_load_dwordx4 v[2:5], off, s39
	scratch_load_dwordx4 v[6:9], off, s0
	s_waitcnt vmcnt(1)
	ds_write2_b64 v0, v[2:3], v[4:5] offset1:1
	s_waitcnt vmcnt(0)
	scratch_store_dwordx4 off, v[6:9], s39
	scratch_store_dwordx4 off, v[2:5], s0
.LBB31_218:
	global_load_dword v1, v1, s[20:21] offset:96
	s_waitcnt vmcnt(0)
	v_readfirstlane_b32 s0, v1
	s_add_i32 s0, s0, -1
	s_cmp_eq_u32 s0, 24
	s_cbranch_scc1 .LBB31_220
; %bb.219:
	s_lshl_b32 s0, s0, 4
	scratch_load_dwordx4 v[2:5], off, s38
	scratch_load_dwordx4 v[6:9], off, s0
	s_waitcnt vmcnt(1)
	ds_write2_b64 v0, v[2:3], v[4:5] offset1:1
	s_waitcnt vmcnt(0)
	scratch_store_dwordx4 off, v[6:9], s38
	scratch_store_dwordx4 off, v[2:5], s0
.LBB31_220:
	v_mov_b32_e32 v1, 0
	global_load_dword v2, v1, s[20:21] offset:92
	s_waitcnt vmcnt(0)
	v_readfirstlane_b32 s0, v2
	s_add_i32 s0, s0, -1
	s_cmp_eq_u32 s0, 23
	s_cbranch_scc1 .LBB31_222
; %bb.221:
	s_lshl_b32 s0, s0, 4
	scratch_load_dwordx4 v[2:5], off, s37
	scratch_load_dwordx4 v[6:9], off, s0
	s_waitcnt vmcnt(1)
	ds_write2_b64 v0, v[2:3], v[4:5] offset1:1
	s_waitcnt vmcnt(0)
	scratch_store_dwordx4 off, v[6:9], s37
	scratch_store_dwordx4 off, v[2:5], s0
.LBB31_222:
	global_load_dword v1, v1, s[20:21] offset:88
	s_waitcnt vmcnt(0)
	v_readfirstlane_b32 s0, v1
	s_add_i32 s0, s0, -1
	s_cmp_eq_u32 s0, 22
	s_cbranch_scc1 .LBB31_224
; %bb.223:
	s_lshl_b32 s0, s0, 4
	scratch_load_dwordx4 v[2:5], off, s36
	scratch_load_dwordx4 v[6:9], off, s0
	s_waitcnt vmcnt(1)
	ds_write2_b64 v0, v[2:3], v[4:5] offset1:1
	s_waitcnt vmcnt(0)
	scratch_store_dwordx4 off, v[6:9], s36
	scratch_store_dwordx4 off, v[2:5], s0
.LBB31_224:
	v_mov_b32_e32 v1, 0
	global_load_dword v2, v1, s[20:21] offset:84
	s_waitcnt vmcnt(0)
	v_readfirstlane_b32 s0, v2
	s_add_i32 s0, s0, -1
	s_cmp_eq_u32 s0, 21
	s_cbranch_scc1 .LBB31_226
; %bb.225:
	s_lshl_b32 s0, s0, 4
	scratch_load_dwordx4 v[2:5], off, s35
	scratch_load_dwordx4 v[6:9], off, s0
	s_waitcnt vmcnt(1)
	ds_write2_b64 v0, v[2:3], v[4:5] offset1:1
	s_waitcnt vmcnt(0)
	scratch_store_dwordx4 off, v[6:9], s35
	scratch_store_dwordx4 off, v[2:5], s0
.LBB31_226:
	global_load_dword v1, v1, s[20:21] offset:80
	s_waitcnt vmcnt(0)
	v_readfirstlane_b32 s0, v1
	s_add_i32 s0, s0, -1
	s_cmp_eq_u32 s0, 20
	s_cbranch_scc1 .LBB31_228
; %bb.227:
	s_lshl_b32 s0, s0, 4
	scratch_load_dwordx4 v[2:5], off, s34
	scratch_load_dwordx4 v[6:9], off, s0
	s_waitcnt vmcnt(1)
	ds_write2_b64 v0, v[2:3], v[4:5] offset1:1
	s_waitcnt vmcnt(0)
	scratch_store_dwordx4 off, v[6:9], s34
	scratch_store_dwordx4 off, v[2:5], s0
.LBB31_228:
	v_mov_b32_e32 v1, 0
	global_load_dword v2, v1, s[20:21] offset:76
	s_waitcnt vmcnt(0)
	v_readfirstlane_b32 s0, v2
	s_add_i32 s0, s0, -1
	s_cmp_eq_u32 s0, 19
	s_cbranch_scc1 .LBB31_230
; %bb.229:
	s_lshl_b32 s0, s0, 4
	scratch_load_dwordx4 v[2:5], off, s33
	scratch_load_dwordx4 v[6:9], off, s0
	s_waitcnt vmcnt(1)
	ds_write2_b64 v0, v[2:3], v[4:5] offset1:1
	s_waitcnt vmcnt(0)
	scratch_store_dwordx4 off, v[6:9], s33
	scratch_store_dwordx4 off, v[2:5], s0
.LBB31_230:
	global_load_dword v1, v1, s[20:21] offset:72
	s_waitcnt vmcnt(0)
	v_readfirstlane_b32 s0, v1
	s_add_i32 s0, s0, -1
	s_cmp_eq_u32 s0, 18
	s_cbranch_scc1 .LBB31_232
; %bb.231:
	s_lshl_b32 s0, s0, 4
	scratch_load_dwordx4 v[2:5], off, s31
	scratch_load_dwordx4 v[6:9], off, s0
	s_waitcnt vmcnt(1)
	ds_write2_b64 v0, v[2:3], v[4:5] offset1:1
	s_waitcnt vmcnt(0)
	scratch_store_dwordx4 off, v[6:9], s31
	scratch_store_dwordx4 off, v[2:5], s0
.LBB31_232:
	v_mov_b32_e32 v1, 0
	global_load_dword v2, v1, s[20:21] offset:68
	s_waitcnt vmcnt(0)
	v_readfirstlane_b32 s0, v2
	s_add_i32 s0, s0, -1
	s_cmp_eq_u32 s0, 17
	s_cbranch_scc1 .LBB31_234
; %bb.233:
	s_lshl_b32 s0, s0, 4
	scratch_load_dwordx4 v[2:5], off, s30
	scratch_load_dwordx4 v[6:9], off, s0
	s_waitcnt vmcnt(1)
	ds_write2_b64 v0, v[2:3], v[4:5] offset1:1
	s_waitcnt vmcnt(0)
	scratch_store_dwordx4 off, v[6:9], s30
	scratch_store_dwordx4 off, v[2:5], s0
.LBB31_234:
	global_load_dword v1, v1, s[20:21] offset:64
	s_waitcnt vmcnt(0)
	v_readfirstlane_b32 s0, v1
	s_add_i32 s0, s0, -1
	s_cmp_eq_u32 s0, 16
	s_cbranch_scc1 .LBB31_236
; %bb.235:
	s_lshl_b32 s0, s0, 4
	scratch_load_dwordx4 v[2:5], off, s29
	scratch_load_dwordx4 v[6:9], off, s0
	s_waitcnt vmcnt(1)
	ds_write2_b64 v0, v[2:3], v[4:5] offset1:1
	s_waitcnt vmcnt(0)
	scratch_store_dwordx4 off, v[6:9], s29
	scratch_store_dwordx4 off, v[2:5], s0
.LBB31_236:
	v_mov_b32_e32 v1, 0
	global_load_dword v2, v1, s[20:21] offset:60
	s_waitcnt vmcnt(0)
	v_readfirstlane_b32 s0, v2
	s_add_i32 s0, s0, -1
	s_cmp_eq_u32 s0, 15
	s_cbranch_scc1 .LBB31_238
; %bb.237:
	s_lshl_b32 s0, s0, 4
	scratch_load_dwordx4 v[2:5], off, s46
	scratch_load_dwordx4 v[6:9], off, s0
	s_waitcnt vmcnt(1)
	ds_write2_b64 v0, v[2:3], v[4:5] offset1:1
	s_waitcnt vmcnt(0)
	scratch_store_dwordx4 off, v[6:9], s46
	scratch_store_dwordx4 off, v[2:5], s0
.LBB31_238:
	global_load_dword v1, v1, s[20:21] offset:56
	s_waitcnt vmcnt(0)
	v_readfirstlane_b32 s0, v1
	s_add_i32 s0, s0, -1
	s_cmp_eq_u32 s0, 14
	s_cbranch_scc1 .LBB31_240
; %bb.239:
	s_lshl_b32 s0, s0, 4
	scratch_load_dwordx4 v[2:5], off, s49
	scratch_load_dwordx4 v[6:9], off, s0
	s_waitcnt vmcnt(1)
	ds_write2_b64 v0, v[2:3], v[4:5] offset1:1
	s_waitcnt vmcnt(0)
	scratch_store_dwordx4 off, v[6:9], s49
	scratch_store_dwordx4 off, v[2:5], s0
.LBB31_240:
	v_mov_b32_e32 v1, 0
	global_load_dword v2, v1, s[20:21] offset:52
	s_waitcnt vmcnt(0)
	v_readfirstlane_b32 s0, v2
	s_add_i32 s0, s0, -1
	s_cmp_eq_u32 s0, 13
	s_cbranch_scc1 .LBB31_242
; %bb.241:
	s_lshl_b32 s0, s0, 4
	scratch_load_dwordx4 v[2:5], off, s48
	scratch_load_dwordx4 v[6:9], off, s0
	s_waitcnt vmcnt(1)
	ds_write2_b64 v0, v[2:3], v[4:5] offset1:1
	s_waitcnt vmcnt(0)
	scratch_store_dwordx4 off, v[6:9], s48
	scratch_store_dwordx4 off, v[2:5], s0
.LBB31_242:
	global_load_dword v1, v1, s[20:21] offset:48
	s_waitcnt vmcnt(0)
	v_readfirstlane_b32 s0, v1
	s_add_i32 s0, s0, -1
	s_cmp_eq_u32 s0, 12
	s_cbranch_scc1 .LBB31_244
; %bb.243:
	s_lshl_b32 s0, s0, 4
	scratch_load_dwordx4 v[2:5], off, s47
	scratch_load_dwordx4 v[6:9], off, s0
	s_waitcnt vmcnt(1)
	ds_write2_b64 v0, v[2:3], v[4:5] offset1:1
	s_waitcnt vmcnt(0)
	scratch_store_dwordx4 off, v[6:9], s47
	scratch_store_dwordx4 off, v[2:5], s0
.LBB31_244:
	v_mov_b32_e32 v1, 0
	global_load_dword v2, v1, s[20:21] offset:44
	s_waitcnt vmcnt(0)
	v_readfirstlane_b32 s0, v2
	s_add_i32 s0, s0, -1
	s_cmp_eq_u32 s0, 11
	s_cbranch_scc1 .LBB31_246
; %bb.245:
	s_lshl_b32 s0, s0, 4
	scratch_load_dwordx4 v[2:5], off, s28
	scratch_load_dwordx4 v[6:9], off, s0
	s_waitcnt vmcnt(1)
	ds_write2_b64 v0, v[2:3], v[4:5] offset1:1
	s_waitcnt vmcnt(0)
	scratch_store_dwordx4 off, v[6:9], s28
	scratch_store_dwordx4 off, v[2:5], s0
.LBB31_246:
	global_load_dword v1, v1, s[20:21] offset:40
	s_waitcnt vmcnt(0)
	v_readfirstlane_b32 s0, v1
	s_add_i32 s0, s0, -1
	s_cmp_eq_u32 s0, 10
	s_cbranch_scc1 .LBB31_248
; %bb.247:
	s_lshl_b32 s0, s0, 4
	scratch_load_dwordx4 v[2:5], off, s26
	scratch_load_dwordx4 v[6:9], off, s0
	s_waitcnt vmcnt(1)
	ds_write2_b64 v0, v[2:3], v[4:5] offset1:1
	s_waitcnt vmcnt(0)
	scratch_store_dwordx4 off, v[6:9], s26
	scratch_store_dwordx4 off, v[2:5], s0
.LBB31_248:
	v_mov_b32_e32 v1, 0
	global_load_dword v2, v1, s[20:21] offset:36
	s_waitcnt vmcnt(0)
	v_readfirstlane_b32 s0, v2
	s_add_i32 s0, s0, -1
	s_cmp_eq_u32 s0, 9
	s_cbranch_scc1 .LBB31_250
; %bb.249:
	s_lshl_b32 s0, s0, 4
	scratch_load_dwordx4 v[2:5], off, s24
	scratch_load_dwordx4 v[6:9], off, s0
	s_waitcnt vmcnt(1)
	ds_write2_b64 v0, v[2:3], v[4:5] offset1:1
	s_waitcnt vmcnt(0)
	scratch_store_dwordx4 off, v[6:9], s24
	scratch_store_dwordx4 off, v[2:5], s0
.LBB31_250:
	global_load_dword v1, v1, s[20:21] offset:32
	s_waitcnt vmcnt(0)
	v_readfirstlane_b32 s0, v1
	s_add_i32 s0, s0, -1
	s_cmp_eq_u32 s0, 8
	s_cbranch_scc1 .LBB31_252
; %bb.251:
	s_lshl_b32 s0, s0, 4
	scratch_load_dwordx4 v[2:5], off, s17
	scratch_load_dwordx4 v[6:9], off, s0
	s_waitcnt vmcnt(1)
	ds_write2_b64 v0, v[2:3], v[4:5] offset1:1
	s_waitcnt vmcnt(0)
	scratch_store_dwordx4 off, v[6:9], s17
	scratch_store_dwordx4 off, v[2:5], s0
.LBB31_252:
	v_mov_b32_e32 v1, 0
	global_load_dword v2, v1, s[20:21] offset:28
	s_waitcnt vmcnt(0)
	v_readfirstlane_b32 s0, v2
	s_add_i32 s0, s0, -1
	s_cmp_eq_u32 s0, 7
	s_cbranch_scc1 .LBB31_254
; %bb.253:
	s_lshl_b32 s0, s0, 4
	scratch_load_dwordx4 v[2:5], off, s27
	scratch_load_dwordx4 v[6:9], off, s0
	s_waitcnt vmcnt(1)
	ds_write2_b64 v0, v[2:3], v[4:5] offset1:1
	s_waitcnt vmcnt(0)
	scratch_store_dwordx4 off, v[6:9], s27
	scratch_store_dwordx4 off, v[2:5], s0
.LBB31_254:
	global_load_dword v1, v1, s[20:21] offset:24
	s_waitcnt vmcnt(0)
	v_readfirstlane_b32 s0, v1
	s_add_i32 s0, s0, -1
	s_cmp_eq_u32 s0, 6
	s_cbranch_scc1 .LBB31_256
; %bb.255:
	s_lshl_b32 s0, s0, 4
	scratch_load_dwordx4 v[2:5], off, s25
	scratch_load_dwordx4 v[6:9], off, s0
	s_waitcnt vmcnt(1)
	ds_write2_b64 v0, v[2:3], v[4:5] offset1:1
	s_waitcnt vmcnt(0)
	scratch_store_dwordx4 off, v[6:9], s25
	scratch_store_dwordx4 off, v[2:5], s0
.LBB31_256:
	v_mov_b32_e32 v1, 0
	global_load_dword v2, v1, s[20:21] offset:20
	s_waitcnt vmcnt(0)
	v_readfirstlane_b32 s0, v2
	s_add_i32 s0, s0, -1
	s_cmp_eq_u32 s0, 5
	s_cbranch_scc1 .LBB31_258
; %bb.257:
	s_lshl_b32 s0, s0, 4
	scratch_load_dwordx4 v[2:5], off, s19
	scratch_load_dwordx4 v[6:9], off, s0
	s_waitcnt vmcnt(1)
	ds_write2_b64 v0, v[2:3], v[4:5] offset1:1
	s_waitcnt vmcnt(0)
	scratch_store_dwordx4 off, v[6:9], s19
	scratch_store_dwordx4 off, v[2:5], s0
.LBB31_258:
	global_load_dword v1, v1, s[20:21] offset:16
	s_waitcnt vmcnt(0)
	v_readfirstlane_b32 s0, v1
	s_add_i32 s0, s0, -1
	s_cmp_eq_u32 s0, 4
	s_cbranch_scc1 .LBB31_260
; %bb.259:
	s_lshl_b32 s0, s0, 4
	scratch_load_dwordx4 v[2:5], off, s16
	scratch_load_dwordx4 v[6:9], off, s0
	s_waitcnt vmcnt(1)
	ds_write2_b64 v0, v[2:3], v[4:5] offset1:1
	s_waitcnt vmcnt(0)
	scratch_store_dwordx4 off, v[6:9], s16
	scratch_store_dwordx4 off, v[2:5], s0
.LBB31_260:
	v_mov_b32_e32 v1, 0
	global_load_dword v2, v1, s[20:21] offset:12
	s_waitcnt vmcnt(0)
	v_readfirstlane_b32 s0, v2
	s_add_i32 s0, s0, -1
	s_cmp_eq_u32 s0, 3
	s_cbranch_scc1 .LBB31_262
; %bb.261:
	s_lshl_b32 s0, s0, 4
	scratch_load_dwordx4 v[2:5], off, s15
	scratch_load_dwordx4 v[6:9], off, s0
	s_waitcnt vmcnt(1)
	ds_write2_b64 v0, v[2:3], v[4:5] offset1:1
	s_waitcnt vmcnt(0)
	scratch_store_dwordx4 off, v[6:9], s15
	scratch_store_dwordx4 off, v[2:5], s0
.LBB31_262:
	global_load_dword v1, v1, s[20:21] offset:8
	s_waitcnt vmcnt(0)
	v_readfirstlane_b32 s0, v1
	s_add_i32 s0, s0, -1
	s_cmp_eq_u32 s0, 2
	s_cbranch_scc1 .LBB31_264
; %bb.263:
	s_lshl_b32 s0, s0, 4
	scratch_load_dwordx4 v[2:5], off, s14
	scratch_load_dwordx4 v[6:9], off, s0
	s_waitcnt vmcnt(1)
	ds_write2_b64 v0, v[2:3], v[4:5] offset1:1
	s_waitcnt vmcnt(0)
	scratch_store_dwordx4 off, v[6:9], s14
	scratch_store_dwordx4 off, v[2:5], s0
.LBB31_264:
	v_mov_b32_e32 v1, 0
	global_load_dword v2, v1, s[20:21] offset:4
	s_waitcnt vmcnt(0)
	v_readfirstlane_b32 s0, v2
	s_add_i32 s0, s0, -1
	s_cmp_eq_u32 s0, 1
	s_cbranch_scc1 .LBB31_266
; %bb.265:
	s_lshl_b32 s0, s0, 4
	scratch_load_dwordx4 v[2:5], off, s18
	scratch_load_dwordx4 v[6:9], off, s0
	s_waitcnt vmcnt(1)
	ds_write2_b64 v0, v[2:3], v[4:5] offset1:1
	s_waitcnt vmcnt(0)
	scratch_store_dwordx4 off, v[6:9], s18
	scratch_store_dwordx4 off, v[2:5], s0
.LBB31_266:
	global_load_dword v1, v1, s[20:21]
	s_waitcnt vmcnt(0)
	v_readfirstlane_b32 s0, v1
	s_add_i32 s0, s0, -1
	s_cmp_eq_u32 s0, 0
	s_cbranch_scc1 .LBB31_268
; %bb.267:
	s_lshl_b32 s0, s0, 4
	scratch_load_dwordx4 v[2:5], off, off
	scratch_load_dwordx4 v[6:9], off, s0
	s_waitcnt vmcnt(1)
	ds_write2_b64 v0, v[2:3], v[4:5] offset1:1
	s_waitcnt vmcnt(0)
	scratch_store_dwordx4 off, v[6:9], off
	scratch_store_dwordx4 off, v[2:5], s0
.LBB31_268:
	scratch_load_dwordx4 v[0:3], off, off
	s_nop 0
	scratch_load_dwordx4 v[4:7], off, s18
	scratch_load_dwordx4 v[8:11], off, s14
	;; [unrolled: 1-line block ×15, first 2 shown]
                                        ; kill: killed $sgpr49
                                        ; kill: killed $sgpr18
                                        ; kill: killed $sgpr27
                                        ; kill: killed $sgpr48
                                        ; kill: killed $sgpr25
                                        ; kill: killed $sgpr47
                                        ; kill: killed $sgpr19
                                        ; kill: killed $sgpr28
                                        ; kill: killed $sgpr16
                                        ; kill: killed $sgpr26
                                        ; kill: killed $sgpr15
                                        ; kill: killed $sgpr24
                                        ; kill: killed $sgpr46
                                        ; kill: killed $sgpr14
                                        ; kill: killed $sgpr17
	scratch_load_dwordx4 v[64:67], off, s29
	scratch_load_dwordx4 v[68:71], off, s30
	;; [unrolled: 1-line block ×16, first 2 shown]
	v_accvgpr_read_b32 v129, a1
	v_accvgpr_read_b32 v128, a0
	s_waitcnt vmcnt(31)
	global_store_dwordx4 v[128:129], v[0:3], off
	s_nop 1
	v_accvgpr_read_b32 v0, a2
	v_accvgpr_read_b32 v1, a3
	s_waitcnt vmcnt(31)
	global_store_dwordx4 v[0:1], v[4:7], off
	v_accvgpr_read_b32 v0, a4
	v_accvgpr_read_b32 v1, a5
	s_waitcnt vmcnt(31)
	global_store_dwordx4 v[0:1], v[8:11], off
	;; [unrolled: 4-line block ×27, first 2 shown]
	s_waitcnt vmcnt(31)
	global_store_dwordx4 v[240:241], v[112:115], off
	s_waitcnt vmcnt(31)
	global_store_dwordx4 v[242:243], v[116:119], off
	;; [unrolled: 2-line block ×4, first 2 shown]
	s_endpgm
	.section	.rodata,"a",@progbits
	.p2align	6, 0x0
	.amdhsa_kernel _ZN9rocsolver6v33100L18getri_kernel_smallILi32E19rocblas_complex_numIdEPS3_EEvT1_iilPiilS6_bb
		.amdhsa_group_segment_fixed_size 2056
		.amdhsa_private_segment_fixed_size 528
		.amdhsa_kernarg_size 60
		.amdhsa_user_sgpr_count 4
		.amdhsa_user_sgpr_dispatch_ptr 1
		.amdhsa_user_sgpr_queue_ptr 0
		.amdhsa_user_sgpr_kernarg_segment_ptr 1
		.amdhsa_user_sgpr_dispatch_id 0
		.amdhsa_user_sgpr_kernarg_preload_length 0
		.amdhsa_user_sgpr_kernarg_preload_offset 0
		.amdhsa_user_sgpr_private_segment_size 0
		.amdhsa_uses_dynamic_stack 0
		.amdhsa_enable_private_segment 1
		.amdhsa_system_sgpr_workgroup_id_x 1
		.amdhsa_system_sgpr_workgroup_id_y 0
		.amdhsa_system_sgpr_workgroup_id_z 0
		.amdhsa_system_sgpr_workgroup_info 0
		.amdhsa_system_vgpr_workitem_id 2
		.amdhsa_next_free_vgpr 312
		.amdhsa_next_free_sgpr 50
		.amdhsa_accum_offset 256
		.amdhsa_reserve_vcc 1
		.amdhsa_float_round_mode_32 0
		.amdhsa_float_round_mode_16_64 0
		.amdhsa_float_denorm_mode_32 3
		.amdhsa_float_denorm_mode_16_64 3
		.amdhsa_dx10_clamp 1
		.amdhsa_ieee_mode 1
		.amdhsa_fp16_overflow 0
		.amdhsa_tg_split 0
		.amdhsa_exception_fp_ieee_invalid_op 0
		.amdhsa_exception_fp_denorm_src 0
		.amdhsa_exception_fp_ieee_div_zero 0
		.amdhsa_exception_fp_ieee_overflow 0
		.amdhsa_exception_fp_ieee_underflow 0
		.amdhsa_exception_fp_ieee_inexact 0
		.amdhsa_exception_int_div_zero 0
	.end_amdhsa_kernel
	.section	.text._ZN9rocsolver6v33100L18getri_kernel_smallILi32E19rocblas_complex_numIdEPS3_EEvT1_iilPiilS6_bb,"axG",@progbits,_ZN9rocsolver6v33100L18getri_kernel_smallILi32E19rocblas_complex_numIdEPS3_EEvT1_iilPiilS6_bb,comdat
.Lfunc_end31:
	.size	_ZN9rocsolver6v33100L18getri_kernel_smallILi32E19rocblas_complex_numIdEPS3_EEvT1_iilPiilS6_bb, .Lfunc_end31-_ZN9rocsolver6v33100L18getri_kernel_smallILi32E19rocblas_complex_numIdEPS3_EEvT1_iilPiilS6_bb
                                        ; -- End function
	.set _ZN9rocsolver6v33100L18getri_kernel_smallILi32E19rocblas_complex_numIdEPS3_EEvT1_iilPiilS6_bb.num_vgpr, 256
	.set _ZN9rocsolver6v33100L18getri_kernel_smallILi32E19rocblas_complex_numIdEPS3_EEvT1_iilPiilS6_bb.num_agpr, 56
	.set _ZN9rocsolver6v33100L18getri_kernel_smallILi32E19rocblas_complex_numIdEPS3_EEvT1_iilPiilS6_bb.numbered_sgpr, 50
	.set _ZN9rocsolver6v33100L18getri_kernel_smallILi32E19rocblas_complex_numIdEPS3_EEvT1_iilPiilS6_bb.num_named_barrier, 0
	.set _ZN9rocsolver6v33100L18getri_kernel_smallILi32E19rocblas_complex_numIdEPS3_EEvT1_iilPiilS6_bb.private_seg_size, 528
	.set _ZN9rocsolver6v33100L18getri_kernel_smallILi32E19rocblas_complex_numIdEPS3_EEvT1_iilPiilS6_bb.uses_vcc, 1
	.set _ZN9rocsolver6v33100L18getri_kernel_smallILi32E19rocblas_complex_numIdEPS3_EEvT1_iilPiilS6_bb.uses_flat_scratch, 0
	.set _ZN9rocsolver6v33100L18getri_kernel_smallILi32E19rocblas_complex_numIdEPS3_EEvT1_iilPiilS6_bb.has_dyn_sized_stack, 0
	.set _ZN9rocsolver6v33100L18getri_kernel_smallILi32E19rocblas_complex_numIdEPS3_EEvT1_iilPiilS6_bb.has_recursion, 0
	.set _ZN9rocsolver6v33100L18getri_kernel_smallILi32E19rocblas_complex_numIdEPS3_EEvT1_iilPiilS6_bb.has_indirect_call, 0
	.section	.AMDGPU.csdata,"",@progbits
; Kernel info:
; codeLenInByte = 47932
; TotalNumSgprs: 56
; NumVgprs: 256
; NumAgprs: 56
; TotalNumVgprs: 312
; ScratchSize: 528
; MemoryBound: 0
; FloatMode: 240
; IeeeMode: 1
; LDSByteSize: 2056 bytes/workgroup (compile time only)
; SGPRBlocks: 6
; VGPRBlocks: 38
; NumSGPRsForWavesPerEU: 56
; NumVGPRsForWavesPerEU: 312
; AccumOffset: 256
; Occupancy: 1
; WaveLimiterHint : 1
; COMPUTE_PGM_RSRC2:SCRATCH_EN: 1
; COMPUTE_PGM_RSRC2:USER_SGPR: 4
; COMPUTE_PGM_RSRC2:TRAP_HANDLER: 0
; COMPUTE_PGM_RSRC2:TGID_X_EN: 1
; COMPUTE_PGM_RSRC2:TGID_Y_EN: 0
; COMPUTE_PGM_RSRC2:TGID_Z_EN: 0
; COMPUTE_PGM_RSRC2:TIDIG_COMP_CNT: 2
; COMPUTE_PGM_RSRC3_GFX90A:ACCUM_OFFSET: 63
; COMPUTE_PGM_RSRC3_GFX90A:TG_SPLIT: 0
	.section	.text._ZN9rocsolver6v33100L18getri_kernel_smallILi33E19rocblas_complex_numIdEPS3_EEvT1_iilPiilS6_bb,"axG",@progbits,_ZN9rocsolver6v33100L18getri_kernel_smallILi33E19rocblas_complex_numIdEPS3_EEvT1_iilPiilS6_bb,comdat
	.globl	_ZN9rocsolver6v33100L18getri_kernel_smallILi33E19rocblas_complex_numIdEPS3_EEvT1_iilPiilS6_bb ; -- Begin function _ZN9rocsolver6v33100L18getri_kernel_smallILi33E19rocblas_complex_numIdEPS3_EEvT1_iilPiilS6_bb
	.p2align	8
	.type	_ZN9rocsolver6v33100L18getri_kernel_smallILi33E19rocblas_complex_numIdEPS3_EEvT1_iilPiilS6_bb,@function
_ZN9rocsolver6v33100L18getri_kernel_smallILi33E19rocblas_complex_numIdEPS3_EEvT1_iilPiilS6_bb: ; @_ZN9rocsolver6v33100L18getri_kernel_smallILi33E19rocblas_complex_numIdEPS3_EEvT1_iilPiilS6_bb
; %bb.0:
	v_cmp_gt_u32_e32 vcc, 33, v0
	s_and_saveexec_b64 s[4:5], vcc
	s_cbranch_execz .LBB32_146
; %bb.1:
	s_load_dword s8, s[0:1], 0x38
	s_load_dwordx4 s[12:15], s[0:1], 0x10
	s_load_dwordx4 s[4:7], s[0:1], 0x28
                                        ; implicit-def: $sgpr16_sgpr17
	s_waitcnt lgkmcnt(0)
	s_bitcmp1_b32 s8, 8
	s_cselect_b64 s[18:19], -1, 0
	s_ashr_i32 s3, s2, 31
	s_bfe_u32 s8, s8, 0x10008
	s_cmp_eq_u32 s8, 0
	s_cbranch_scc1 .LBB32_3
; %bb.2:
	s_load_dword s8, s[0:1], 0x20
	s_mul_i32 s9, s4, s3
	s_mul_hi_u32 s10, s4, s2
	s_mul_i32 s5, s5, s2
	s_add_i32 s10, s10, s9
	s_add_i32 s5, s10, s5
	s_mul_i32 s4, s4, s2
	s_waitcnt lgkmcnt(0)
	s_ashr_i32 s9, s8, 31
	s_lshl_b64 s[4:5], s[4:5], 2
	s_add_u32 s10, s14, s4
	s_addc_u32 s11, s15, s5
	s_lshl_b64 s[4:5], s[8:9], 2
	s_add_u32 s16, s10, s4
	s_addc_u32 s17, s11, s5
.LBB32_3:
	s_load_dwordx4 s[8:11], s[0:1], 0x0
	s_load_dword s4, s[0:1], 0x38
	s_mul_i32 s5, s12, s3
	s_mul_hi_u32 s14, s12, s2
	s_add_i32 s5, s14, s5
	s_waitcnt lgkmcnt(0)
	s_ashr_i32 s1, s10, 31
	s_mov_b32 s0, s10
	s_mul_i32 s10, s13, s2
	s_add_i32 s13, s5, s10
	s_mul_i32 s12, s12, s2
	s_lshl_b64 s[12:13], s[12:13], 4
	s_add_u32 s5, s8, s12
	s_addc_u32 s8, s9, s13
	s_lshl_b64 s[0:1], s[0:1], 4
	s_add_u32 s0, s5, s0
	s_addc_u32 s1, s8, s1
	s_add_i32 s5, s11, s11
	v_add_u32_e32 v14, s5, v0
	v_ashrrev_i32_e32 v15, 31, v14
	v_lshl_add_u64 v[10:11], v[14:15], 4, s[0:1]
	v_add_u32_e32 v14, s11, v14
	v_add_u32_e32 v22, s11, v14
	v_ashrrev_i32_e32 v23, 31, v22
	v_lshl_add_u64 v[18:19], v[22:23], 4, s[0:1]
	v_add_u32_e32 v22, s11, v22
	;; [unrolled: 4-line block ×3, first 2 shown]
	v_ashrrev_i32_e32 v31, 31, v30
	v_lshl_add_u64 v[32:33], v[30:31], 4, s[0:1]
	v_add_u32_e32 v30, s11, v30
	v_add_u32_e32 v40, s11, v30
	;; [unrolled: 1-line block ×6, first 2 shown]
	v_ashrrev_i32_e32 v57, 31, v56
	v_lshl_add_u64 v[58:59], v[56:57], 4, s[0:1]
	v_add_u32_e32 v56, s11, v56
	v_add_u32_e32 v64, s11, v56
	v_add_u32_e32 v66, s11, v64
	v_add_u32_e32 v72, s11, v66
	v_add_u32_e32 v80, s11, v72
	v_ashrrev_i32_e32 v81, 31, v80
	v_lshl_add_u64 v[76:77], v[80:81], 4, s[0:1]
	v_add_u32_e32 v80, s11, v80
	v_add_u32_e32 v88, s11, v80
	v_ashrrev_i32_e32 v89, 31, v88
	v_lshl_add_u64 v[84:85], v[88:89], 4, s[0:1]
	v_add_u32_e32 v88, s11, v88
	v_add_u32_e32 v96, s11, v88
	;; [unrolled: 4-line block ×6, first 2 shown]
	v_lshlrev_b32_e32 v38, 4, v0
	v_mov_b32_e32 v39, 0
	v_ashrrev_i32_e32 v129, 31, v128
	v_lshl_add_u64 v[6:7], s[0:1], 0, v[38:39]
	v_lshl_add_u64 v[252:253], v[128:129], 4, s[0:1]
	v_add_u32_e32 v128, s11, v128
	s_ashr_i32 s9, s11, 31
	s_mov_b32 s8, s11
	v_accvgpr_write_b32 a0, v6
	v_ashrrev_i32_e32 v15, 31, v14
	v_ashrrev_i32_e32 v23, 31, v22
	;; [unrolled: 1-line block ×17, first 2 shown]
	v_accvgpr_write_b32 a1, v7
	v_lshl_add_u64 v[6:7], s[8:9], 4, v[6:7]
	v_lshl_add_u64 v[16:17], v[14:15], 4, s[0:1]
	;; [unrolled: 1-line block ×17, first 2 shown]
	v_ashrrev_i32_e32 v121, 31, v120
	v_lshl_add_u64 v[254:255], v[128:129], 4, s[0:1]
	v_add_u32_e32 v128, s11, v128
	v_accvgpr_write_b32 a2, v6
	v_accvgpr_write_b32 a4, v10
	;; [unrolled: 1-line block ×28, first 2 shown]
	v_lshl_add_u64 v[250:251], v[120:121], 4, s[0:1]
	v_ashrrev_i32_e32 v129, 31, v128
	global_load_dwordx4 v[2:5], v38, s[0:1]
	v_accvgpr_write_b32 a3, v7
	global_load_dwordx4 v[6:9], v[6:7], off
	v_accvgpr_write_b32 a5, v11
	global_load_dwordx4 v[10:13], v[10:11], off
	;; [unrolled: 2-line block ×28, first 2 shown]
	s_nop 0
	global_load_dwordx4 v[120:123], v[250:251], off
	global_load_dwordx4 v[124:127], v[252:253], off
	v_lshl_add_u64 v[240:241], v[128:129], 4, s[0:1]
	global_load_dwordx4 v[128:131], v[254:255], off
	global_load_dwordx4 v[132:135], v[240:241], off
	s_movk_i32 s0, 0x50
	s_add_i32 s21, s0, 16
	s_movk_i32 s0, 0x60
	s_add_i32 s23, s0, 16
	;; [unrolled: 2-line block ×28, first 2 shown]
	s_mov_b32 s20, 32
	s_mov_b32 s12, 48
	;; [unrolled: 1-line block ×3, first 2 shown]
	s_movk_i32 s14, 0x50
	s_bitcmp0_b32 s4, 0
	s_mov_b64 s[4:5], -1
	s_waitcnt vmcnt(32)
	scratch_store_dwordx4 off, v[2:5], off offset:16
	s_waitcnt vmcnt(32)
	scratch_store_dwordx4 off, v[6:9], off offset:32
	;; [unrolled: 2-line block ×33, first 2 shown]
	s_cbranch_scc1 .LBB32_144
; %bb.4:
	v_cmp_eq_u32_e64 s[0:1], 0, v0
	s_and_saveexec_b64 s[4:5], s[0:1]
; %bb.5:
	v_mov_b32_e32 v1, 0
	ds_write_b32 v1, v1 offset:1056
; %bb.6:
	s_or_b64 exec, exec, s[4:5]
	s_waitcnt lgkmcnt(0)
	; wave barrier
	scratch_load_dwordx4 v[2:5], v38, off offset:16
	s_waitcnt vmcnt(0)
	v_cmp_eq_f64_e32 vcc, 0, v[2:3]
	v_cmp_eq_f64_e64 s[4:5], 0, v[4:5]
	s_and_b64 s[4:5], vcc, s[4:5]
	s_and_saveexec_b64 s[8:9], s[4:5]
	s_cbranch_execz .LBB32_10
; %bb.7:
	v_mov_b32_e32 v1, 0
	ds_read_b32 v3, v1 offset:1056
	v_add_u32_e32 v2, 1, v0
	s_waitcnt lgkmcnt(0)
	v_readfirstlane_b32 s4, v3
	s_cmp_eq_u32 s4, 0
	s_cselect_b64 s[10:11], -1, 0
	v_cmp_gt_i32_e32 vcc, s4, v2
	s_or_b64 s[10:11], s[10:11], vcc
	s_and_b64 exec, exec, s[10:11]
	s_cbranch_execz .LBB32_10
; %bb.8:
	s_mov_b64 s[10:11], 0
	v_mov_b32_e32 v3, s4
.LBB32_9:                               ; =>This Inner Loop Header: Depth=1
	ds_cmpst_rtn_b32 v3, v1, v3, v2 offset:1056
	s_waitcnt lgkmcnt(0)
	v_cmp_ne_u32_e32 vcc, 0, v3
	v_cmp_le_i32_e64 s[4:5], v3, v2
	s_and_b64 s[4:5], vcc, s[4:5]
	s_and_b64 s[4:5], exec, s[4:5]
	s_or_b64 s[10:11], s[4:5], s[10:11]
	s_andn2_b64 exec, exec, s[10:11]
	s_cbranch_execnz .LBB32_9
.LBB32_10:
	s_or_b64 exec, exec, s[8:9]
	v_mov_b32_e32 v2, 0
	; wave barrier
	ds_read_b32 v1, v2 offset:1056
	s_and_saveexec_b64 s[4:5], s[0:1]
	s_cbranch_execz .LBB32_12
; %bb.11:
	s_lshl_b64 s[8:9], s[2:3], 2
	s_add_u32 s8, s6, s8
	s_addc_u32 s9, s7, s9
	s_waitcnt lgkmcnt(0)
	global_store_dword v2, v1, s[8:9]
.LBB32_12:
	s_or_b64 exec, exec, s[4:5]
	s_waitcnt lgkmcnt(0)
	v_cmp_ne_u32_e32 vcc, 0, v1
	s_mov_b64 s[4:5], 0
	s_cbranch_vccnz .LBB32_144
; %bb.13:
	v_add_u32_e32 v14, 16, v38
	scratch_load_dwordx4 v[2:5], v14, off
                                        ; implicit-def: $vgpr6_vgpr7
                                        ; implicit-def: $vgpr10_vgpr11
	s_waitcnt vmcnt(0)
	v_cmp_ngt_f64_e64 s[4:5], |v[2:3]|, |v[4:5]|
	s_and_saveexec_b64 s[8:9], s[4:5]
	s_xor_b64 s[4:5], exec, s[8:9]
	s_cbranch_execz .LBB32_15
; %bb.14:
	v_div_scale_f64 v[6:7], s[8:9], v[4:5], v[4:5], v[2:3]
	v_rcp_f64_e32 v[8:9], v[6:7]
	v_div_scale_f64 v[10:11], vcc, v[2:3], v[4:5], v[2:3]
	v_fma_f64 v[12:13], -v[6:7], v[8:9], 1.0
	v_fmac_f64_e32 v[8:9], v[8:9], v[12:13]
	v_fma_f64 v[12:13], -v[6:7], v[8:9], 1.0
	v_fmac_f64_e32 v[8:9], v[8:9], v[12:13]
	v_mul_f64 v[12:13], v[10:11], v[8:9]
	v_fma_f64 v[6:7], -v[6:7], v[12:13], v[10:11]
	v_div_fmas_f64 v[6:7], v[6:7], v[8:9], v[12:13]
	v_div_fixup_f64 v[6:7], v[6:7], v[4:5], v[2:3]
	v_fmac_f64_e32 v[4:5], v[2:3], v[6:7]
	v_div_scale_f64 v[2:3], s[8:9], v[4:5], v[4:5], 1.0
	v_rcp_f64_e32 v[8:9], v[2:3]
	s_nop 0
	v_fma_f64 v[10:11], -v[2:3], v[8:9], 1.0
	v_fmac_f64_e32 v[8:9], v[8:9], v[10:11]
	v_fma_f64 v[10:11], -v[2:3], v[8:9], 1.0
	v_fmac_f64_e32 v[8:9], v[8:9], v[10:11]
	v_div_scale_f64 v[10:11], vcc, 1.0, v[4:5], 1.0
	v_mul_f64 v[12:13], v[10:11], v[8:9]
	v_fma_f64 v[2:3], -v[2:3], v[12:13], v[10:11]
	s_nop 1
	v_div_fmas_f64 v[2:3], v[2:3], v[8:9], v[12:13]
	v_div_fixup_f64 v[8:9], v[2:3], v[4:5], 1.0
	v_mul_f64 v[6:7], v[6:7], v[8:9]
	v_xor_b32_e32 v9, 0x80000000, v9
	v_xor_b32_e32 v11, 0x80000000, v7
	v_mov_b32_e32 v10, v6
                                        ; implicit-def: $vgpr2_vgpr3
.LBB32_15:
	s_andn2_saveexec_b64 s[4:5], s[4:5]
	s_cbranch_execz .LBB32_17
; %bb.16:
	v_div_scale_f64 v[6:7], s[8:9], v[2:3], v[2:3], v[4:5]
	v_rcp_f64_e32 v[8:9], v[6:7]
	v_div_scale_f64 v[10:11], vcc, v[4:5], v[2:3], v[4:5]
	v_fma_f64 v[12:13], -v[6:7], v[8:9], 1.0
	v_fmac_f64_e32 v[8:9], v[8:9], v[12:13]
	v_fma_f64 v[12:13], -v[6:7], v[8:9], 1.0
	v_fmac_f64_e32 v[8:9], v[8:9], v[12:13]
	v_mul_f64 v[12:13], v[10:11], v[8:9]
	v_fma_f64 v[6:7], -v[6:7], v[12:13], v[10:11]
	v_div_fmas_f64 v[6:7], v[6:7], v[8:9], v[12:13]
	v_div_fixup_f64 v[8:9], v[6:7], v[2:3], v[4:5]
	v_fmac_f64_e32 v[2:3], v[4:5], v[8:9]
	v_div_scale_f64 v[4:5], s[8:9], v[2:3], v[2:3], 1.0
	v_rcp_f64_e32 v[6:7], v[4:5]
	s_nop 0
	v_fma_f64 v[10:11], -v[4:5], v[6:7], 1.0
	v_fmac_f64_e32 v[6:7], v[6:7], v[10:11]
	v_fma_f64 v[10:11], -v[4:5], v[6:7], 1.0
	v_fmac_f64_e32 v[6:7], v[6:7], v[10:11]
	v_div_scale_f64 v[10:11], vcc, 1.0, v[2:3], 1.0
	v_mul_f64 v[12:13], v[10:11], v[6:7]
	v_fma_f64 v[4:5], -v[4:5], v[12:13], v[10:11]
	s_nop 1
	v_div_fmas_f64 v[4:5], v[4:5], v[6:7], v[12:13]
	v_div_fixup_f64 v[6:7], v[4:5], v[2:3], 1.0
	v_xor_b32_e32 v11, 0x80000000, v7
	v_mov_b32_e32 v10, v6
	v_mul_f64 v[8:9], v[8:9], -v[6:7]
.LBB32_17:
	s_or_b64 exec, exec, s[4:5]
	scratch_store_dwordx4 v14, v[6:9], off
	scratch_load_dwordx4 v[2:5], off, s20
	v_xor_b32_e32 v13, 0x80000000, v9
	v_mov_b32_e32 v12, v8
	v_add_u32_e32 v1, 0x210, v38
	ds_write_b128 v38, v[10:13]
	s_waitcnt vmcnt(0)
	ds_write_b128 v38, v[2:5] offset:528
	s_waitcnt lgkmcnt(0)
	; wave barrier
	s_and_saveexec_b64 s[4:5], s[0:1]
	s_cbranch_execz .LBB32_19
; %bb.18:
	scratch_load_dwordx4 v[2:5], v14, off
	ds_read_b128 v[6:9], v1
	v_mov_b32_e32 v10, 0
	ds_read_b128 v[10:13], v10 offset:16
	s_waitcnt vmcnt(0) lgkmcnt(1)
	v_mul_f64 v[16:17], v[8:9], v[4:5]
	v_mul_f64 v[4:5], v[6:7], v[4:5]
	v_fma_f64 v[6:7], v[6:7], v[2:3], -v[16:17]
	v_fmac_f64_e32 v[4:5], v[8:9], v[2:3]
	v_add_f64 v[2:3], v[6:7], 0
	v_add_f64 v[6:7], v[4:5], 0
	s_waitcnt lgkmcnt(0)
	v_mul_f64 v[8:9], v[6:7], v[12:13]
	v_mul_f64 v[4:5], v[2:3], v[12:13]
	v_fma_f64 v[2:3], v[2:3], v[10:11], -v[8:9]
	v_fmac_f64_e32 v[4:5], v[6:7], v[10:11]
	scratch_store_dwordx4 off, v[2:5], off offset:32
.LBB32_19:
	s_or_b64 exec, exec, s[4:5]
	; wave barrier
	scratch_load_dwordx4 v[2:5], off, s12
	v_cmp_gt_u32_e32 vcc, 2, v0
	s_waitcnt vmcnt(0)
	ds_write_b128 v1, v[2:5]
	s_waitcnt lgkmcnt(0)
	; wave barrier
	s_and_saveexec_b64 s[4:5], vcc
	s_cbranch_execz .LBB32_23
; %bb.20:
	scratch_load_dwordx4 v[2:5], v14, off
	ds_read_b128 v[6:9], v1
	s_waitcnt vmcnt(0) lgkmcnt(0)
	v_mul_f64 v[10:11], v[8:9], v[4:5]
	v_mul_f64 v[12:13], v[6:7], v[4:5]
	v_fma_f64 v[4:5], v[6:7], v[2:3], -v[10:11]
	v_fmac_f64_e32 v[12:13], v[8:9], v[2:3]
	v_add_f64 v[4:5], v[4:5], 0
	v_add_f64 v[2:3], v[12:13], 0
	s_and_saveexec_b64 s[8:9], s[0:1]
	s_cbranch_execz .LBB32_22
; %bb.21:
	scratch_load_dwordx4 v[6:9], off, off offset:32
	v_mov_b32_e32 v10, 0
	ds_read_b128 v[10:13], v10 offset:544
	s_waitcnt vmcnt(0) lgkmcnt(0)
	v_mul_f64 v[14:15], v[10:11], v[8:9]
	v_mul_f64 v[8:9], v[12:13], v[8:9]
	v_fmac_f64_e32 v[14:15], v[12:13], v[6:7]
	v_fma_f64 v[6:7], v[10:11], v[6:7], -v[8:9]
	v_add_f64 v[2:3], v[2:3], v[14:15]
	v_add_f64 v[4:5], v[4:5], v[6:7]
.LBB32_22:
	s_or_b64 exec, exec, s[8:9]
	v_mov_b32_e32 v6, 0
	ds_read_b128 v[6:9], v6 offset:32
	s_waitcnt lgkmcnt(0)
	v_mul_f64 v[12:13], v[2:3], v[8:9]
	v_mul_f64 v[10:11], v[4:5], v[8:9]
	v_fma_f64 v[8:9], v[4:5], v[6:7], -v[12:13]
	v_fmac_f64_e32 v[10:11], v[2:3], v[6:7]
	scratch_store_dwordx4 off, v[8:11], off offset:48
.LBB32_23:
	s_or_b64 exec, exec, s[4:5]
	; wave barrier
	scratch_load_dwordx4 v[2:5], off, s13
	v_cmp_gt_u32_e32 vcc, 3, v0
	v_add_u32_e32 v6, -1, v0
	s_waitcnt vmcnt(0)
	ds_write_b128 v1, v[2:5]
	s_waitcnt lgkmcnt(0)
	; wave barrier
	s_and_saveexec_b64 s[0:1], vcc
	s_cbranch_execz .LBB32_27
; %bb.24:
	v_add_u32_e32 v7, -1, v0
	v_add_u32_e32 v8, 0x210, v38
	v_add_u32_e32 v9, 16, v38
	v_mov_b64_e32 v[2:3], 0
	s_mov_b64 s[4:5], 0
	v_mov_b64_e32 v[4:5], 0
.LBB32_25:                              ; =>This Inner Loop Header: Depth=1
	scratch_load_dwordx4 v[10:13], v9, off
	ds_read_b128 v[14:17], v8
	v_add_u32_e32 v7, 1, v7
	v_cmp_lt_u32_e32 vcc, 1, v7
	v_add_u32_e32 v8, 16, v8
	v_add_u32_e32 v9, 16, v9
	s_or_b64 s[4:5], vcc, s[4:5]
	s_waitcnt vmcnt(0) lgkmcnt(0)
	v_mul_f64 v[18:19], v[16:17], v[12:13]
	v_mul_f64 v[12:13], v[14:15], v[12:13]
	v_fma_f64 v[14:15], v[14:15], v[10:11], -v[18:19]
	v_fmac_f64_e32 v[12:13], v[16:17], v[10:11]
	v_add_f64 v[4:5], v[4:5], v[14:15]
	v_add_f64 v[2:3], v[2:3], v[12:13]
	s_andn2_b64 exec, exec, s[4:5]
	s_cbranch_execnz .LBB32_25
; %bb.26:
	s_or_b64 exec, exec, s[4:5]
	v_mov_b32_e32 v7, 0
	ds_read_b128 v[8:11], v7 offset:48
	s_waitcnt lgkmcnt(0)
	v_mul_f64 v[14:15], v[2:3], v[10:11]
	v_mul_f64 v[12:13], v[4:5], v[10:11]
	v_fma_f64 v[10:11], v[4:5], v[8:9], -v[14:15]
	v_fmac_f64_e32 v[12:13], v[2:3], v[8:9]
	scratch_store_dwordx4 off, v[10:13], off offset:64
.LBB32_27:
	s_or_b64 exec, exec, s[0:1]
	; wave barrier
	scratch_load_dwordx4 v[2:5], off, s14
	v_cmp_gt_u32_e32 vcc, 4, v0
	s_waitcnt vmcnt(0)
	ds_write_b128 v1, v[2:5]
	s_waitcnt lgkmcnt(0)
	; wave barrier
	s_and_saveexec_b64 s[0:1], vcc
	s_cbranch_execz .LBB32_31
; %bb.28:
	v_add_u32_e32 v7, -1, v0
	v_add_u32_e32 v8, 0x210, v38
	v_add_u32_e32 v9, 16, v38
	v_mov_b64_e32 v[2:3], 0
	s_mov_b64 s[4:5], 0
	v_mov_b64_e32 v[4:5], 0
.LBB32_29:                              ; =>This Inner Loop Header: Depth=1
	scratch_load_dwordx4 v[10:13], v9, off
	ds_read_b128 v[14:17], v8
	v_add_u32_e32 v7, 1, v7
	v_cmp_lt_u32_e32 vcc, 2, v7
	v_add_u32_e32 v8, 16, v8
	v_add_u32_e32 v9, 16, v9
	s_or_b64 s[4:5], vcc, s[4:5]
	s_waitcnt vmcnt(0) lgkmcnt(0)
	v_mul_f64 v[18:19], v[16:17], v[12:13]
	v_mul_f64 v[12:13], v[14:15], v[12:13]
	v_fma_f64 v[14:15], v[14:15], v[10:11], -v[18:19]
	v_fmac_f64_e32 v[12:13], v[16:17], v[10:11]
	v_add_f64 v[4:5], v[4:5], v[14:15]
	v_add_f64 v[2:3], v[2:3], v[12:13]
	s_andn2_b64 exec, exec, s[4:5]
	s_cbranch_execnz .LBB32_29
; %bb.30:
	s_or_b64 exec, exec, s[4:5]
	v_mov_b32_e32 v7, 0
	ds_read_b128 v[8:11], v7 offset:64
	s_waitcnt lgkmcnt(0)
	v_mul_f64 v[14:15], v[2:3], v[10:11]
	v_mul_f64 v[12:13], v[4:5], v[10:11]
	v_fma_f64 v[10:11], v[4:5], v[8:9], -v[14:15]
	v_fmac_f64_e32 v[12:13], v[2:3], v[8:9]
	scratch_store_dwordx4 off, v[10:13], off offset:80
.LBB32_31:
	s_or_b64 exec, exec, s[0:1]
	; wave barrier
	scratch_load_dwordx4 v[2:5], off, s21
	v_cmp_gt_u32_e32 vcc, 5, v0
	s_waitcnt vmcnt(0)
	ds_write_b128 v1, v[2:5]
	s_waitcnt lgkmcnt(0)
	; wave barrier
	s_and_saveexec_b64 s[0:1], vcc
	s_cbranch_execz .LBB32_35
; %bb.32:
	v_add_u32_e32 v7, -1, v0
	v_add_u32_e32 v8, 0x210, v38
	v_add_u32_e32 v9, 16, v38
	v_mov_b64_e32 v[2:3], 0
	s_mov_b64 s[4:5], 0
	v_mov_b64_e32 v[4:5], 0
.LBB32_33:                              ; =>This Inner Loop Header: Depth=1
	scratch_load_dwordx4 v[10:13], v9, off
	ds_read_b128 v[14:17], v8
	v_add_u32_e32 v7, 1, v7
	v_cmp_lt_u32_e32 vcc, 3, v7
	v_add_u32_e32 v8, 16, v8
	v_add_u32_e32 v9, 16, v9
	s_or_b64 s[4:5], vcc, s[4:5]
	s_waitcnt vmcnt(0) lgkmcnt(0)
	v_mul_f64 v[18:19], v[16:17], v[12:13]
	v_mul_f64 v[12:13], v[14:15], v[12:13]
	v_fma_f64 v[14:15], v[14:15], v[10:11], -v[18:19]
	v_fmac_f64_e32 v[12:13], v[16:17], v[10:11]
	v_add_f64 v[4:5], v[4:5], v[14:15]
	v_add_f64 v[2:3], v[2:3], v[12:13]
	s_andn2_b64 exec, exec, s[4:5]
	s_cbranch_execnz .LBB32_33
; %bb.34:
	s_or_b64 exec, exec, s[4:5]
	v_mov_b32_e32 v7, 0
	ds_read_b128 v[8:11], v7 offset:80
	s_waitcnt lgkmcnt(0)
	v_mul_f64 v[14:15], v[2:3], v[10:11]
	v_mul_f64 v[12:13], v[4:5], v[10:11]
	v_fma_f64 v[10:11], v[4:5], v[8:9], -v[14:15]
	v_fmac_f64_e32 v[12:13], v[2:3], v[8:9]
	scratch_store_dwordx4 off, v[10:13], off offset:96
.LBB32_35:
	s_or_b64 exec, exec, s[0:1]
	; wave barrier
	scratch_load_dwordx4 v[2:5], off, s23
	v_cmp_gt_u32_e32 vcc, 6, v0
	s_waitcnt vmcnt(0)
	ds_write_b128 v1, v[2:5]
	s_waitcnt lgkmcnt(0)
	; wave barrier
	s_and_saveexec_b64 s[0:1], vcc
	s_cbranch_execz .LBB32_39
; %bb.36:
	v_add_u32_e32 v7, -1, v0
	v_add_u32_e32 v8, 0x210, v38
	v_add_u32_e32 v9, 16, v38
	v_mov_b64_e32 v[2:3], 0
	s_mov_b64 s[4:5], 0
	v_mov_b64_e32 v[4:5], 0
.LBB32_37:                              ; =>This Inner Loop Header: Depth=1
	scratch_load_dwordx4 v[10:13], v9, off
	ds_read_b128 v[14:17], v8
	v_add_u32_e32 v7, 1, v7
	v_cmp_lt_u32_e32 vcc, 4, v7
	v_add_u32_e32 v8, 16, v8
	v_add_u32_e32 v9, 16, v9
	s_or_b64 s[4:5], vcc, s[4:5]
	s_waitcnt vmcnt(0) lgkmcnt(0)
	v_mul_f64 v[18:19], v[16:17], v[12:13]
	v_mul_f64 v[12:13], v[14:15], v[12:13]
	v_fma_f64 v[14:15], v[14:15], v[10:11], -v[18:19]
	v_fmac_f64_e32 v[12:13], v[16:17], v[10:11]
	v_add_f64 v[4:5], v[4:5], v[14:15]
	v_add_f64 v[2:3], v[2:3], v[12:13]
	s_andn2_b64 exec, exec, s[4:5]
	s_cbranch_execnz .LBB32_37
; %bb.38:
	s_or_b64 exec, exec, s[4:5]
	v_mov_b32_e32 v7, 0
	ds_read_b128 v[8:11], v7 offset:96
	s_waitcnt lgkmcnt(0)
	v_mul_f64 v[14:15], v[2:3], v[10:11]
	v_mul_f64 v[12:13], v[4:5], v[10:11]
	v_fma_f64 v[10:11], v[4:5], v[8:9], -v[14:15]
	v_fmac_f64_e32 v[12:13], v[2:3], v[8:9]
	scratch_store_dwordx4 off, v[10:13], off offset:112
.LBB32_39:
	s_or_b64 exec, exec, s[0:1]
	; wave barrier
	scratch_load_dwordx4 v[2:5], off, s25
	v_cmp_gt_u32_e32 vcc, 7, v0
	s_waitcnt vmcnt(0)
	ds_write_b128 v1, v[2:5]
	s_waitcnt lgkmcnt(0)
	; wave barrier
	s_and_saveexec_b64 s[0:1], vcc
	s_cbranch_execz .LBB32_43
; %bb.40:
	v_add_u32_e32 v7, -1, v0
	v_add_u32_e32 v8, 0x210, v38
	v_add_u32_e32 v9, 16, v38
	v_mov_b64_e32 v[2:3], 0
	s_mov_b64 s[4:5], 0
	v_mov_b64_e32 v[4:5], 0
.LBB32_41:                              ; =>This Inner Loop Header: Depth=1
	scratch_load_dwordx4 v[10:13], v9, off
	ds_read_b128 v[14:17], v8
	v_add_u32_e32 v7, 1, v7
	v_cmp_lt_u32_e32 vcc, 5, v7
	v_add_u32_e32 v8, 16, v8
	v_add_u32_e32 v9, 16, v9
	s_or_b64 s[4:5], vcc, s[4:5]
	s_waitcnt vmcnt(0) lgkmcnt(0)
	v_mul_f64 v[18:19], v[16:17], v[12:13]
	v_mul_f64 v[12:13], v[14:15], v[12:13]
	v_fma_f64 v[14:15], v[14:15], v[10:11], -v[18:19]
	v_fmac_f64_e32 v[12:13], v[16:17], v[10:11]
	v_add_f64 v[4:5], v[4:5], v[14:15]
	v_add_f64 v[2:3], v[2:3], v[12:13]
	s_andn2_b64 exec, exec, s[4:5]
	s_cbranch_execnz .LBB32_41
; %bb.42:
	s_or_b64 exec, exec, s[4:5]
	v_mov_b32_e32 v7, 0
	ds_read_b128 v[8:11], v7 offset:112
	s_waitcnt lgkmcnt(0)
	v_mul_f64 v[14:15], v[2:3], v[10:11]
	v_mul_f64 v[12:13], v[4:5], v[10:11]
	v_fma_f64 v[10:11], v[4:5], v[8:9], -v[14:15]
	v_fmac_f64_e32 v[12:13], v[2:3], v[8:9]
	scratch_store_dwordx4 off, v[10:13], off offset:128
.LBB32_43:
	s_or_b64 exec, exec, s[0:1]
	; wave barrier
	scratch_load_dwordx4 v[2:5], off, s15
	v_cmp_gt_u32_e32 vcc, 8, v0
	s_waitcnt vmcnt(0)
	ds_write_b128 v1, v[2:5]
	s_waitcnt lgkmcnt(0)
	; wave barrier
	s_and_saveexec_b64 s[0:1], vcc
	s_cbranch_execz .LBB32_47
; %bb.44:
	v_add_u32_e32 v7, -1, v0
	v_add_u32_e32 v8, 0x210, v38
	v_add_u32_e32 v9, 16, v38
	v_mov_b64_e32 v[2:3], 0
	s_mov_b64 s[4:5], 0
	v_mov_b64_e32 v[4:5], 0
.LBB32_45:                              ; =>This Inner Loop Header: Depth=1
	scratch_load_dwordx4 v[10:13], v9, off
	ds_read_b128 v[14:17], v8
	v_add_u32_e32 v7, 1, v7
	v_cmp_lt_u32_e32 vcc, 6, v7
	v_add_u32_e32 v8, 16, v8
	v_add_u32_e32 v9, 16, v9
	s_or_b64 s[4:5], vcc, s[4:5]
	s_waitcnt vmcnt(0) lgkmcnt(0)
	v_mul_f64 v[18:19], v[16:17], v[12:13]
	v_mul_f64 v[12:13], v[14:15], v[12:13]
	v_fma_f64 v[14:15], v[14:15], v[10:11], -v[18:19]
	v_fmac_f64_e32 v[12:13], v[16:17], v[10:11]
	v_add_f64 v[4:5], v[4:5], v[14:15]
	v_add_f64 v[2:3], v[2:3], v[12:13]
	s_andn2_b64 exec, exec, s[4:5]
	s_cbranch_execnz .LBB32_45
; %bb.46:
	s_or_b64 exec, exec, s[4:5]
	v_mov_b32_e32 v7, 0
	ds_read_b128 v[8:11], v7 offset:128
	s_waitcnt lgkmcnt(0)
	v_mul_f64 v[14:15], v[2:3], v[10:11]
	v_mul_f64 v[12:13], v[4:5], v[10:11]
	v_fma_f64 v[10:11], v[4:5], v[8:9], -v[14:15]
	v_fmac_f64_e32 v[12:13], v[2:3], v[8:9]
	scratch_store_dwordx4 off, v[10:13], off offset:144
.LBB32_47:
	s_or_b64 exec, exec, s[0:1]
	; wave barrier
	scratch_load_dwordx4 v[2:5], off, s22
	v_cmp_gt_u32_e32 vcc, 9, v0
	s_waitcnt vmcnt(0)
	ds_write_b128 v1, v[2:5]
	s_waitcnt lgkmcnt(0)
	; wave barrier
	s_and_saveexec_b64 s[0:1], vcc
	s_cbranch_execz .LBB32_51
; %bb.48:
	v_add_u32_e32 v7, -1, v0
	v_add_u32_e32 v8, 0x210, v38
	v_add_u32_e32 v9, 16, v38
	v_mov_b64_e32 v[2:3], 0
	s_mov_b64 s[4:5], 0
	v_mov_b64_e32 v[4:5], 0
.LBB32_49:                              ; =>This Inner Loop Header: Depth=1
	scratch_load_dwordx4 v[10:13], v9, off
	ds_read_b128 v[14:17], v8
	v_add_u32_e32 v7, 1, v7
	v_cmp_lt_u32_e32 vcc, 7, v7
	v_add_u32_e32 v8, 16, v8
	v_add_u32_e32 v9, 16, v9
	s_or_b64 s[4:5], vcc, s[4:5]
	s_waitcnt vmcnt(0) lgkmcnt(0)
	v_mul_f64 v[18:19], v[16:17], v[12:13]
	v_mul_f64 v[12:13], v[14:15], v[12:13]
	v_fma_f64 v[14:15], v[14:15], v[10:11], -v[18:19]
	v_fmac_f64_e32 v[12:13], v[16:17], v[10:11]
	v_add_f64 v[4:5], v[4:5], v[14:15]
	v_add_f64 v[2:3], v[2:3], v[12:13]
	s_andn2_b64 exec, exec, s[4:5]
	s_cbranch_execnz .LBB32_49
; %bb.50:
	s_or_b64 exec, exec, s[4:5]
	v_mov_b32_e32 v7, 0
	ds_read_b128 v[8:11], v7 offset:144
	s_waitcnt lgkmcnt(0)
	v_mul_f64 v[14:15], v[2:3], v[10:11]
	v_mul_f64 v[12:13], v[4:5], v[10:11]
	v_fma_f64 v[10:11], v[4:5], v[8:9], -v[14:15]
	v_fmac_f64_e32 v[12:13], v[2:3], v[8:9]
	scratch_store_dwordx4 off, v[10:13], off offset:160
.LBB32_51:
	s_or_b64 exec, exec, s[0:1]
	; wave barrier
	scratch_load_dwordx4 v[2:5], off, s24
	v_cmp_gt_u32_e32 vcc, 10, v0
	s_waitcnt vmcnt(0)
	ds_write_b128 v1, v[2:5]
	s_waitcnt lgkmcnt(0)
	; wave barrier
	s_and_saveexec_b64 s[0:1], vcc
	s_cbranch_execz .LBB32_55
; %bb.52:
	v_add_u32_e32 v7, -1, v0
	v_add_u32_e32 v8, 0x210, v38
	v_add_u32_e32 v9, 16, v38
	v_mov_b64_e32 v[2:3], 0
	s_mov_b64 s[4:5], 0
	v_mov_b64_e32 v[4:5], 0
.LBB32_53:                              ; =>This Inner Loop Header: Depth=1
	scratch_load_dwordx4 v[10:13], v9, off
	ds_read_b128 v[14:17], v8
	v_add_u32_e32 v7, 1, v7
	v_cmp_lt_u32_e32 vcc, 8, v7
	v_add_u32_e32 v8, 16, v8
	v_add_u32_e32 v9, 16, v9
	s_or_b64 s[4:5], vcc, s[4:5]
	s_waitcnt vmcnt(0) lgkmcnt(0)
	v_mul_f64 v[18:19], v[16:17], v[12:13]
	v_mul_f64 v[12:13], v[14:15], v[12:13]
	v_fma_f64 v[14:15], v[14:15], v[10:11], -v[18:19]
	v_fmac_f64_e32 v[12:13], v[16:17], v[10:11]
	v_add_f64 v[4:5], v[4:5], v[14:15]
	v_add_f64 v[2:3], v[2:3], v[12:13]
	s_andn2_b64 exec, exec, s[4:5]
	s_cbranch_execnz .LBB32_53
; %bb.54:
	s_or_b64 exec, exec, s[4:5]
	v_mov_b32_e32 v7, 0
	ds_read_b128 v[8:11], v7 offset:160
	s_waitcnt lgkmcnt(0)
	v_mul_f64 v[14:15], v[2:3], v[10:11]
	v_mul_f64 v[12:13], v[4:5], v[10:11]
	v_fma_f64 v[10:11], v[4:5], v[8:9], -v[14:15]
	v_fmac_f64_e32 v[12:13], v[2:3], v[8:9]
	scratch_store_dwordx4 off, v[10:13], off offset:176
.LBB32_55:
	s_or_b64 exec, exec, s[0:1]
	; wave barrier
	scratch_load_dwordx4 v[2:5], off, s26
	v_cmp_gt_u32_e32 vcc, 11, v0
	s_waitcnt vmcnt(0)
	ds_write_b128 v1, v[2:5]
	s_waitcnt lgkmcnt(0)
	; wave barrier
	s_and_saveexec_b64 s[0:1], vcc
	s_cbranch_execz .LBB32_59
; %bb.56:
	v_add_u32_e32 v7, -1, v0
	v_add_u32_e32 v8, 0x210, v38
	v_add_u32_e32 v9, 16, v38
	v_mov_b64_e32 v[2:3], 0
	s_mov_b64 s[4:5], 0
	v_mov_b64_e32 v[4:5], 0
.LBB32_57:                              ; =>This Inner Loop Header: Depth=1
	scratch_load_dwordx4 v[10:13], v9, off
	ds_read_b128 v[14:17], v8
	v_add_u32_e32 v7, 1, v7
	v_cmp_lt_u32_e32 vcc, 9, v7
	v_add_u32_e32 v8, 16, v8
	v_add_u32_e32 v9, 16, v9
	s_or_b64 s[4:5], vcc, s[4:5]
	s_waitcnt vmcnt(0) lgkmcnt(0)
	v_mul_f64 v[18:19], v[16:17], v[12:13]
	v_mul_f64 v[12:13], v[14:15], v[12:13]
	v_fma_f64 v[14:15], v[14:15], v[10:11], -v[18:19]
	v_fmac_f64_e32 v[12:13], v[16:17], v[10:11]
	v_add_f64 v[4:5], v[4:5], v[14:15]
	v_add_f64 v[2:3], v[2:3], v[12:13]
	s_andn2_b64 exec, exec, s[4:5]
	s_cbranch_execnz .LBB32_57
; %bb.58:
	s_or_b64 exec, exec, s[4:5]
	v_mov_b32_e32 v7, 0
	ds_read_b128 v[8:11], v7 offset:176
	s_waitcnt lgkmcnt(0)
	v_mul_f64 v[14:15], v[2:3], v[10:11]
	v_mul_f64 v[12:13], v[4:5], v[10:11]
	v_fma_f64 v[10:11], v[4:5], v[8:9], -v[14:15]
	v_fmac_f64_e32 v[12:13], v[2:3], v[8:9]
	scratch_store_dwordx4 off, v[10:13], off offset:192
.LBB32_59:
	s_or_b64 exec, exec, s[0:1]
	; wave barrier
	scratch_load_dwordx4 v[2:5], off, s46
	v_cmp_gt_u32_e32 vcc, 12, v0
	s_waitcnt vmcnt(0)
	ds_write_b128 v1, v[2:5]
	s_waitcnt lgkmcnt(0)
	; wave barrier
	s_and_saveexec_b64 s[0:1], vcc
	s_cbranch_execz .LBB32_63
; %bb.60:
	v_add_u32_e32 v7, -1, v0
	v_add_u32_e32 v8, 0x210, v38
	v_add_u32_e32 v9, 16, v38
	v_mov_b64_e32 v[2:3], 0
	s_mov_b64 s[4:5], 0
	v_mov_b64_e32 v[4:5], 0
.LBB32_61:                              ; =>This Inner Loop Header: Depth=1
	scratch_load_dwordx4 v[10:13], v9, off
	ds_read_b128 v[14:17], v8
	v_add_u32_e32 v7, 1, v7
	v_cmp_lt_u32_e32 vcc, 10, v7
	v_add_u32_e32 v8, 16, v8
	v_add_u32_e32 v9, 16, v9
	s_or_b64 s[4:5], vcc, s[4:5]
	s_waitcnt vmcnt(0) lgkmcnt(0)
	v_mul_f64 v[18:19], v[16:17], v[12:13]
	v_mul_f64 v[12:13], v[14:15], v[12:13]
	v_fma_f64 v[14:15], v[14:15], v[10:11], -v[18:19]
	v_fmac_f64_e32 v[12:13], v[16:17], v[10:11]
	v_add_f64 v[4:5], v[4:5], v[14:15]
	v_add_f64 v[2:3], v[2:3], v[12:13]
	s_andn2_b64 exec, exec, s[4:5]
	s_cbranch_execnz .LBB32_61
; %bb.62:
	s_or_b64 exec, exec, s[4:5]
	v_mov_b32_e32 v7, 0
	ds_read_b128 v[8:11], v7 offset:192
	s_waitcnt lgkmcnt(0)
	v_mul_f64 v[14:15], v[2:3], v[10:11]
	v_mul_f64 v[12:13], v[4:5], v[10:11]
	v_fma_f64 v[10:11], v[4:5], v[8:9], -v[14:15]
	v_fmac_f64_e32 v[12:13], v[2:3], v[8:9]
	scratch_store_dwordx4 off, v[10:13], off offset:208
.LBB32_63:
	s_or_b64 exec, exec, s[0:1]
	; wave barrier
	scratch_load_dwordx4 v[2:5], off, s47
	v_cmp_gt_u32_e32 vcc, 13, v0
	s_waitcnt vmcnt(0)
	ds_write_b128 v1, v[2:5]
	s_waitcnt lgkmcnt(0)
	; wave barrier
	s_and_saveexec_b64 s[0:1], vcc
	s_cbranch_execz .LBB32_67
; %bb.64:
	v_add_u32_e32 v7, -1, v0
	v_add_u32_e32 v8, 0x210, v38
	v_add_u32_e32 v9, 16, v38
	v_mov_b64_e32 v[2:3], 0
	s_mov_b64 s[4:5], 0
	v_mov_b64_e32 v[4:5], 0
.LBB32_65:                              ; =>This Inner Loop Header: Depth=1
	scratch_load_dwordx4 v[10:13], v9, off
	ds_read_b128 v[14:17], v8
	v_add_u32_e32 v7, 1, v7
	v_cmp_lt_u32_e32 vcc, 11, v7
	v_add_u32_e32 v8, 16, v8
	v_add_u32_e32 v9, 16, v9
	s_or_b64 s[4:5], vcc, s[4:5]
	s_waitcnt vmcnt(0) lgkmcnt(0)
	v_mul_f64 v[18:19], v[16:17], v[12:13]
	v_mul_f64 v[12:13], v[14:15], v[12:13]
	v_fma_f64 v[14:15], v[14:15], v[10:11], -v[18:19]
	v_fmac_f64_e32 v[12:13], v[16:17], v[10:11]
	v_add_f64 v[4:5], v[4:5], v[14:15]
	v_add_f64 v[2:3], v[2:3], v[12:13]
	s_andn2_b64 exec, exec, s[4:5]
	s_cbranch_execnz .LBB32_65
; %bb.66:
	s_or_b64 exec, exec, s[4:5]
	v_mov_b32_e32 v7, 0
	ds_read_b128 v[8:11], v7 offset:208
	s_waitcnt lgkmcnt(0)
	v_mul_f64 v[14:15], v[2:3], v[10:11]
	v_mul_f64 v[12:13], v[4:5], v[10:11]
	v_fma_f64 v[10:11], v[4:5], v[8:9], -v[14:15]
	v_fmac_f64_e32 v[12:13], v[2:3], v[8:9]
	scratch_store_dwordx4 off, v[10:13], off offset:224
.LBB32_67:
	s_or_b64 exec, exec, s[0:1]
	; wave barrier
	scratch_load_dwordx4 v[2:5], off, s48
	v_cmp_gt_u32_e32 vcc, 14, v0
	s_waitcnt vmcnt(0)
	ds_write_b128 v1, v[2:5]
	s_waitcnt lgkmcnt(0)
	; wave barrier
	s_and_saveexec_b64 s[0:1], vcc
	s_cbranch_execz .LBB32_71
; %bb.68:
	v_add_u32_e32 v7, -1, v0
	v_add_u32_e32 v8, 0x210, v38
	v_add_u32_e32 v9, 16, v38
	v_mov_b64_e32 v[2:3], 0
	s_mov_b64 s[4:5], 0
	v_mov_b64_e32 v[4:5], 0
.LBB32_69:                              ; =>This Inner Loop Header: Depth=1
	scratch_load_dwordx4 v[10:13], v9, off
	ds_read_b128 v[14:17], v8
	v_add_u32_e32 v7, 1, v7
	v_cmp_lt_u32_e32 vcc, 12, v7
	v_add_u32_e32 v8, 16, v8
	v_add_u32_e32 v9, 16, v9
	s_or_b64 s[4:5], vcc, s[4:5]
	s_waitcnt vmcnt(0) lgkmcnt(0)
	v_mul_f64 v[18:19], v[16:17], v[12:13]
	v_mul_f64 v[12:13], v[14:15], v[12:13]
	v_fma_f64 v[14:15], v[14:15], v[10:11], -v[18:19]
	v_fmac_f64_e32 v[12:13], v[16:17], v[10:11]
	v_add_f64 v[4:5], v[4:5], v[14:15]
	v_add_f64 v[2:3], v[2:3], v[12:13]
	s_andn2_b64 exec, exec, s[4:5]
	s_cbranch_execnz .LBB32_69
; %bb.70:
	s_or_b64 exec, exec, s[4:5]
	v_mov_b32_e32 v7, 0
	ds_read_b128 v[8:11], v7 offset:224
	s_waitcnt lgkmcnt(0)
	v_mul_f64 v[14:15], v[2:3], v[10:11]
	v_mul_f64 v[12:13], v[4:5], v[10:11]
	v_fma_f64 v[10:11], v[4:5], v[8:9], -v[14:15]
	v_fmac_f64_e32 v[12:13], v[2:3], v[8:9]
	scratch_store_dwordx4 off, v[10:13], off offset:240
.LBB32_71:
	s_or_b64 exec, exec, s[0:1]
	; wave barrier
	scratch_load_dwordx4 v[2:5], off, s27
	v_cmp_gt_u32_e32 vcc, 15, v0
	s_waitcnt vmcnt(0)
	ds_write_b128 v1, v[2:5]
	s_waitcnt lgkmcnt(0)
	; wave barrier
	s_and_saveexec_b64 s[0:1], vcc
	s_cbranch_execz .LBB32_75
; %bb.72:
	v_add_u32_e32 v7, -1, v0
	v_add_u32_e32 v8, 0x210, v38
	v_add_u32_e32 v9, 16, v38
	v_mov_b64_e32 v[2:3], 0
	s_mov_b64 s[4:5], 0
	v_mov_b64_e32 v[4:5], 0
.LBB32_73:                              ; =>This Inner Loop Header: Depth=1
	scratch_load_dwordx4 v[10:13], v9, off
	ds_read_b128 v[14:17], v8
	v_add_u32_e32 v7, 1, v7
	v_cmp_lt_u32_e32 vcc, 13, v7
	v_add_u32_e32 v8, 16, v8
	v_add_u32_e32 v9, 16, v9
	s_or_b64 s[4:5], vcc, s[4:5]
	s_waitcnt vmcnt(0) lgkmcnt(0)
	v_mul_f64 v[18:19], v[16:17], v[12:13]
	v_mul_f64 v[12:13], v[14:15], v[12:13]
	v_fma_f64 v[14:15], v[14:15], v[10:11], -v[18:19]
	v_fmac_f64_e32 v[12:13], v[16:17], v[10:11]
	v_add_f64 v[4:5], v[4:5], v[14:15]
	v_add_f64 v[2:3], v[2:3], v[12:13]
	s_andn2_b64 exec, exec, s[4:5]
	s_cbranch_execnz .LBB32_73
; %bb.74:
	s_or_b64 exec, exec, s[4:5]
	v_mov_b32_e32 v7, 0
	ds_read_b128 v[8:11], v7 offset:240
	s_waitcnt lgkmcnt(0)
	v_mul_f64 v[14:15], v[2:3], v[10:11]
	v_mul_f64 v[12:13], v[4:5], v[10:11]
	v_fma_f64 v[10:11], v[4:5], v[8:9], -v[14:15]
	v_fmac_f64_e32 v[12:13], v[2:3], v[8:9]
	scratch_store_dwordx4 off, v[10:13], off offset:256
.LBB32_75:
	s_or_b64 exec, exec, s[0:1]
	; wave barrier
	scratch_load_dwordx4 v[2:5], off, s28
	v_cmp_gt_u32_e32 vcc, 16, v0
	s_waitcnt vmcnt(0)
	ds_write_b128 v1, v[2:5]
	s_waitcnt lgkmcnt(0)
	; wave barrier
	s_and_saveexec_b64 s[0:1], vcc
	s_cbranch_execz .LBB32_79
; %bb.76:
	v_add_u32_e32 v7, -1, v0
	v_add_u32_e32 v8, 0x210, v38
	v_add_u32_e32 v9, 16, v38
	v_mov_b64_e32 v[2:3], 0
	s_mov_b64 s[4:5], 0
	v_mov_b64_e32 v[4:5], 0
.LBB32_77:                              ; =>This Inner Loop Header: Depth=1
	scratch_load_dwordx4 v[10:13], v9, off
	ds_read_b128 v[14:17], v8
	v_add_u32_e32 v7, 1, v7
	v_cmp_lt_u32_e32 vcc, 14, v7
	v_add_u32_e32 v8, 16, v8
	v_add_u32_e32 v9, 16, v9
	s_or_b64 s[4:5], vcc, s[4:5]
	s_waitcnt vmcnt(0) lgkmcnt(0)
	v_mul_f64 v[18:19], v[16:17], v[12:13]
	v_mul_f64 v[12:13], v[14:15], v[12:13]
	v_fma_f64 v[14:15], v[14:15], v[10:11], -v[18:19]
	v_fmac_f64_e32 v[12:13], v[16:17], v[10:11]
	v_add_f64 v[4:5], v[4:5], v[14:15]
	v_add_f64 v[2:3], v[2:3], v[12:13]
	s_andn2_b64 exec, exec, s[4:5]
	s_cbranch_execnz .LBB32_77
; %bb.78:
	s_or_b64 exec, exec, s[4:5]
	v_mov_b32_e32 v7, 0
	ds_read_b128 v[8:11], v7 offset:256
	s_waitcnt lgkmcnt(0)
	v_mul_f64 v[14:15], v[2:3], v[10:11]
	v_mul_f64 v[12:13], v[4:5], v[10:11]
	v_fma_f64 v[10:11], v[4:5], v[8:9], -v[14:15]
	v_fmac_f64_e32 v[12:13], v[2:3], v[8:9]
	scratch_store_dwordx4 off, v[10:13], off offset:272
.LBB32_79:
	s_or_b64 exec, exec, s[0:1]
	; wave barrier
	scratch_load_dwordx4 v[2:5], off, s29
	v_cmp_gt_u32_e32 vcc, 17, v0
	s_waitcnt vmcnt(0)
	ds_write_b128 v1, v[2:5]
	s_waitcnt lgkmcnt(0)
	; wave barrier
	s_and_saveexec_b64 s[0:1], vcc
	s_cbranch_execz .LBB32_83
; %bb.80:
	v_add_u32_e32 v7, -1, v0
	v_add_u32_e32 v8, 0x210, v38
	v_add_u32_e32 v9, 16, v38
	v_mov_b64_e32 v[2:3], 0
	s_mov_b64 s[4:5], 0
	v_mov_b64_e32 v[4:5], 0
.LBB32_81:                              ; =>This Inner Loop Header: Depth=1
	scratch_load_dwordx4 v[10:13], v9, off
	ds_read_b128 v[14:17], v8
	v_add_u32_e32 v7, 1, v7
	v_cmp_lt_u32_e32 vcc, 15, v7
	v_add_u32_e32 v8, 16, v8
	v_add_u32_e32 v9, 16, v9
	s_or_b64 s[4:5], vcc, s[4:5]
	s_waitcnt vmcnt(0) lgkmcnt(0)
	v_mul_f64 v[18:19], v[16:17], v[12:13]
	v_mul_f64 v[12:13], v[14:15], v[12:13]
	v_fma_f64 v[14:15], v[14:15], v[10:11], -v[18:19]
	v_fmac_f64_e32 v[12:13], v[16:17], v[10:11]
	v_add_f64 v[4:5], v[4:5], v[14:15]
	v_add_f64 v[2:3], v[2:3], v[12:13]
	s_andn2_b64 exec, exec, s[4:5]
	s_cbranch_execnz .LBB32_81
; %bb.82:
	s_or_b64 exec, exec, s[4:5]
	v_mov_b32_e32 v7, 0
	ds_read_b128 v[8:11], v7 offset:272
	s_waitcnt lgkmcnt(0)
	v_mul_f64 v[14:15], v[2:3], v[10:11]
	v_mul_f64 v[12:13], v[4:5], v[10:11]
	v_fma_f64 v[10:11], v[4:5], v[8:9], -v[14:15]
	v_fmac_f64_e32 v[12:13], v[2:3], v[8:9]
	scratch_store_dwordx4 off, v[10:13], off offset:288
.LBB32_83:
	s_or_b64 exec, exec, s[0:1]
	; wave barrier
	scratch_load_dwordx4 v[2:5], off, s30
	v_cmp_gt_u32_e32 vcc, 18, v0
	s_waitcnt vmcnt(0)
	ds_write_b128 v1, v[2:5]
	s_waitcnt lgkmcnt(0)
	; wave barrier
	s_and_saveexec_b64 s[0:1], vcc
	s_cbranch_execz .LBB32_87
; %bb.84:
	v_add_u32_e32 v7, -1, v0
	v_add_u32_e32 v8, 0x210, v38
	v_add_u32_e32 v9, 16, v38
	v_mov_b64_e32 v[2:3], 0
	s_mov_b64 s[4:5], 0
	v_mov_b64_e32 v[4:5], 0
.LBB32_85:                              ; =>This Inner Loop Header: Depth=1
	scratch_load_dwordx4 v[10:13], v9, off
	ds_read_b128 v[14:17], v8
	v_add_u32_e32 v7, 1, v7
	v_cmp_lt_u32_e32 vcc, 16, v7
	v_add_u32_e32 v8, 16, v8
	v_add_u32_e32 v9, 16, v9
	s_or_b64 s[4:5], vcc, s[4:5]
	s_waitcnt vmcnt(0) lgkmcnt(0)
	v_mul_f64 v[18:19], v[16:17], v[12:13]
	v_mul_f64 v[12:13], v[14:15], v[12:13]
	v_fma_f64 v[14:15], v[14:15], v[10:11], -v[18:19]
	v_fmac_f64_e32 v[12:13], v[16:17], v[10:11]
	v_add_f64 v[4:5], v[4:5], v[14:15]
	v_add_f64 v[2:3], v[2:3], v[12:13]
	s_andn2_b64 exec, exec, s[4:5]
	s_cbranch_execnz .LBB32_85
; %bb.86:
	s_or_b64 exec, exec, s[4:5]
	v_mov_b32_e32 v7, 0
	ds_read_b128 v[8:11], v7 offset:288
	s_waitcnt lgkmcnt(0)
	v_mul_f64 v[14:15], v[2:3], v[10:11]
	v_mul_f64 v[12:13], v[4:5], v[10:11]
	v_fma_f64 v[10:11], v[4:5], v[8:9], -v[14:15]
	v_fmac_f64_e32 v[12:13], v[2:3], v[8:9]
	scratch_store_dwordx4 off, v[10:13], off offset:304
.LBB32_87:
	s_or_b64 exec, exec, s[0:1]
	; wave barrier
	scratch_load_dwordx4 v[2:5], off, s31
	v_cmp_gt_u32_e32 vcc, 19, v0
	s_waitcnt vmcnt(0)
	ds_write_b128 v1, v[2:5]
	s_waitcnt lgkmcnt(0)
	; wave barrier
	s_and_saveexec_b64 s[0:1], vcc
	s_cbranch_execz .LBB32_91
; %bb.88:
	v_add_u32_e32 v7, -1, v0
	v_add_u32_e32 v8, 0x210, v38
	v_add_u32_e32 v9, 16, v38
	v_mov_b64_e32 v[2:3], 0
	s_mov_b64 s[4:5], 0
	v_mov_b64_e32 v[4:5], 0
.LBB32_89:                              ; =>This Inner Loop Header: Depth=1
	scratch_load_dwordx4 v[10:13], v9, off
	ds_read_b128 v[14:17], v8
	v_add_u32_e32 v7, 1, v7
	v_cmp_lt_u32_e32 vcc, 17, v7
	v_add_u32_e32 v8, 16, v8
	v_add_u32_e32 v9, 16, v9
	s_or_b64 s[4:5], vcc, s[4:5]
	s_waitcnt vmcnt(0) lgkmcnt(0)
	v_mul_f64 v[18:19], v[16:17], v[12:13]
	v_mul_f64 v[12:13], v[14:15], v[12:13]
	v_fma_f64 v[14:15], v[14:15], v[10:11], -v[18:19]
	v_fmac_f64_e32 v[12:13], v[16:17], v[10:11]
	v_add_f64 v[4:5], v[4:5], v[14:15]
	v_add_f64 v[2:3], v[2:3], v[12:13]
	s_andn2_b64 exec, exec, s[4:5]
	s_cbranch_execnz .LBB32_89
; %bb.90:
	s_or_b64 exec, exec, s[4:5]
	v_mov_b32_e32 v7, 0
	ds_read_b128 v[8:11], v7 offset:304
	s_waitcnt lgkmcnt(0)
	v_mul_f64 v[14:15], v[2:3], v[10:11]
	v_mul_f64 v[12:13], v[4:5], v[10:11]
	v_fma_f64 v[10:11], v[4:5], v[8:9], -v[14:15]
	v_fmac_f64_e32 v[12:13], v[2:3], v[8:9]
	scratch_store_dwordx4 off, v[10:13], off offset:320
.LBB32_91:
	s_or_b64 exec, exec, s[0:1]
	; wave barrier
	scratch_load_dwordx4 v[2:5], off, s33
	v_cmp_gt_u32_e32 vcc, 20, v0
	s_waitcnt vmcnt(0)
	ds_write_b128 v1, v[2:5]
	s_waitcnt lgkmcnt(0)
	; wave barrier
	s_and_saveexec_b64 s[0:1], vcc
	s_cbranch_execz .LBB32_95
; %bb.92:
	v_add_u32_e32 v7, -1, v0
	v_add_u32_e32 v8, 0x210, v38
	v_add_u32_e32 v9, 16, v38
	v_mov_b64_e32 v[2:3], 0
	s_mov_b64 s[4:5], 0
	v_mov_b64_e32 v[4:5], 0
.LBB32_93:                              ; =>This Inner Loop Header: Depth=1
	scratch_load_dwordx4 v[10:13], v9, off
	ds_read_b128 v[14:17], v8
	v_add_u32_e32 v7, 1, v7
	v_cmp_lt_u32_e32 vcc, 18, v7
	v_add_u32_e32 v8, 16, v8
	v_add_u32_e32 v9, 16, v9
	s_or_b64 s[4:5], vcc, s[4:5]
	s_waitcnt vmcnt(0) lgkmcnt(0)
	v_mul_f64 v[18:19], v[16:17], v[12:13]
	v_mul_f64 v[12:13], v[14:15], v[12:13]
	v_fma_f64 v[14:15], v[14:15], v[10:11], -v[18:19]
	v_fmac_f64_e32 v[12:13], v[16:17], v[10:11]
	v_add_f64 v[4:5], v[4:5], v[14:15]
	v_add_f64 v[2:3], v[2:3], v[12:13]
	s_andn2_b64 exec, exec, s[4:5]
	s_cbranch_execnz .LBB32_93
; %bb.94:
	s_or_b64 exec, exec, s[4:5]
	v_mov_b32_e32 v7, 0
	ds_read_b128 v[8:11], v7 offset:320
	s_waitcnt lgkmcnt(0)
	v_mul_f64 v[14:15], v[2:3], v[10:11]
	v_mul_f64 v[12:13], v[4:5], v[10:11]
	v_fma_f64 v[10:11], v[4:5], v[8:9], -v[14:15]
	v_fmac_f64_e32 v[12:13], v[2:3], v[8:9]
	scratch_store_dwordx4 off, v[10:13], off offset:336
.LBB32_95:
	s_or_b64 exec, exec, s[0:1]
	; wave barrier
	scratch_load_dwordx4 v[2:5], off, s34
	v_cmp_gt_u32_e32 vcc, 21, v0
	s_waitcnt vmcnt(0)
	ds_write_b128 v1, v[2:5]
	s_waitcnt lgkmcnt(0)
	; wave barrier
	s_and_saveexec_b64 s[0:1], vcc
	s_cbranch_execz .LBB32_99
; %bb.96:
	v_add_u32_e32 v7, -1, v0
	v_add_u32_e32 v8, 0x210, v38
	v_add_u32_e32 v9, 16, v38
	v_mov_b64_e32 v[2:3], 0
	s_mov_b64 s[4:5], 0
	v_mov_b64_e32 v[4:5], 0
.LBB32_97:                              ; =>This Inner Loop Header: Depth=1
	scratch_load_dwordx4 v[10:13], v9, off
	ds_read_b128 v[14:17], v8
	v_add_u32_e32 v7, 1, v7
	v_cmp_lt_u32_e32 vcc, 19, v7
	v_add_u32_e32 v8, 16, v8
	v_add_u32_e32 v9, 16, v9
	s_or_b64 s[4:5], vcc, s[4:5]
	s_waitcnt vmcnt(0) lgkmcnt(0)
	v_mul_f64 v[18:19], v[16:17], v[12:13]
	v_mul_f64 v[12:13], v[14:15], v[12:13]
	v_fma_f64 v[14:15], v[14:15], v[10:11], -v[18:19]
	v_fmac_f64_e32 v[12:13], v[16:17], v[10:11]
	v_add_f64 v[4:5], v[4:5], v[14:15]
	v_add_f64 v[2:3], v[2:3], v[12:13]
	s_andn2_b64 exec, exec, s[4:5]
	s_cbranch_execnz .LBB32_97
; %bb.98:
	s_or_b64 exec, exec, s[4:5]
	v_mov_b32_e32 v7, 0
	ds_read_b128 v[8:11], v7 offset:336
	s_waitcnt lgkmcnt(0)
	v_mul_f64 v[14:15], v[2:3], v[10:11]
	v_mul_f64 v[12:13], v[4:5], v[10:11]
	v_fma_f64 v[10:11], v[4:5], v[8:9], -v[14:15]
	v_fmac_f64_e32 v[12:13], v[2:3], v[8:9]
	scratch_store_dwordx4 off, v[10:13], off offset:352
.LBB32_99:
	s_or_b64 exec, exec, s[0:1]
	; wave barrier
	scratch_load_dwordx4 v[2:5], off, s35
	v_cmp_gt_u32_e32 vcc, 22, v0
	s_waitcnt vmcnt(0)
	ds_write_b128 v1, v[2:5]
	s_waitcnt lgkmcnt(0)
	; wave barrier
	s_and_saveexec_b64 s[0:1], vcc
	s_cbranch_execz .LBB32_103
; %bb.100:
	v_add_u32_e32 v7, -1, v0
	v_add_u32_e32 v8, 0x210, v38
	v_add_u32_e32 v9, 16, v38
	v_mov_b64_e32 v[2:3], 0
	s_mov_b64 s[4:5], 0
	v_mov_b64_e32 v[4:5], 0
.LBB32_101:                             ; =>This Inner Loop Header: Depth=1
	scratch_load_dwordx4 v[10:13], v9, off
	ds_read_b128 v[14:17], v8
	v_add_u32_e32 v7, 1, v7
	v_cmp_lt_u32_e32 vcc, 20, v7
	v_add_u32_e32 v8, 16, v8
	v_add_u32_e32 v9, 16, v9
	s_or_b64 s[4:5], vcc, s[4:5]
	s_waitcnt vmcnt(0) lgkmcnt(0)
	v_mul_f64 v[18:19], v[16:17], v[12:13]
	v_mul_f64 v[12:13], v[14:15], v[12:13]
	v_fma_f64 v[14:15], v[14:15], v[10:11], -v[18:19]
	v_fmac_f64_e32 v[12:13], v[16:17], v[10:11]
	v_add_f64 v[4:5], v[4:5], v[14:15]
	v_add_f64 v[2:3], v[2:3], v[12:13]
	s_andn2_b64 exec, exec, s[4:5]
	s_cbranch_execnz .LBB32_101
; %bb.102:
	s_or_b64 exec, exec, s[4:5]
	v_mov_b32_e32 v7, 0
	ds_read_b128 v[8:11], v7 offset:352
	s_waitcnt lgkmcnt(0)
	v_mul_f64 v[14:15], v[2:3], v[10:11]
	v_mul_f64 v[12:13], v[4:5], v[10:11]
	v_fma_f64 v[10:11], v[4:5], v[8:9], -v[14:15]
	v_fmac_f64_e32 v[12:13], v[2:3], v[8:9]
	scratch_store_dwordx4 off, v[10:13], off offset:368
.LBB32_103:
	s_or_b64 exec, exec, s[0:1]
	; wave barrier
	scratch_load_dwordx4 v[2:5], off, s36
	v_cmp_gt_u32_e32 vcc, 23, v0
	s_waitcnt vmcnt(0)
	ds_write_b128 v1, v[2:5]
	s_waitcnt lgkmcnt(0)
	; wave barrier
	s_and_saveexec_b64 s[0:1], vcc
	s_cbranch_execz .LBB32_107
; %bb.104:
	v_add_u32_e32 v7, -1, v0
	v_add_u32_e32 v8, 0x210, v38
	v_add_u32_e32 v9, 16, v38
	v_mov_b64_e32 v[2:3], 0
	s_mov_b64 s[4:5], 0
	v_mov_b64_e32 v[4:5], 0
.LBB32_105:                             ; =>This Inner Loop Header: Depth=1
	scratch_load_dwordx4 v[10:13], v9, off
	ds_read_b128 v[14:17], v8
	v_add_u32_e32 v7, 1, v7
	v_cmp_lt_u32_e32 vcc, 21, v7
	v_add_u32_e32 v8, 16, v8
	v_add_u32_e32 v9, 16, v9
	s_or_b64 s[4:5], vcc, s[4:5]
	s_waitcnt vmcnt(0) lgkmcnt(0)
	v_mul_f64 v[18:19], v[16:17], v[12:13]
	v_mul_f64 v[12:13], v[14:15], v[12:13]
	v_fma_f64 v[14:15], v[14:15], v[10:11], -v[18:19]
	v_fmac_f64_e32 v[12:13], v[16:17], v[10:11]
	v_add_f64 v[4:5], v[4:5], v[14:15]
	v_add_f64 v[2:3], v[2:3], v[12:13]
	s_andn2_b64 exec, exec, s[4:5]
	s_cbranch_execnz .LBB32_105
; %bb.106:
	s_or_b64 exec, exec, s[4:5]
	v_mov_b32_e32 v7, 0
	ds_read_b128 v[8:11], v7 offset:368
	s_waitcnt lgkmcnt(0)
	v_mul_f64 v[14:15], v[2:3], v[10:11]
	v_mul_f64 v[12:13], v[4:5], v[10:11]
	v_fma_f64 v[10:11], v[4:5], v[8:9], -v[14:15]
	v_fmac_f64_e32 v[12:13], v[2:3], v[8:9]
	scratch_store_dwordx4 off, v[10:13], off offset:384
.LBB32_107:
	s_or_b64 exec, exec, s[0:1]
	; wave barrier
	scratch_load_dwordx4 v[2:5], off, s37
	v_cmp_gt_u32_e32 vcc, 24, v0
	;; [unrolled: 45-line block ×9, first 2 shown]
	s_waitcnt vmcnt(0)
	ds_write_b128 v1, v[2:5]
	s_waitcnt lgkmcnt(0)
	; wave barrier
	s_and_saveexec_b64 s[0:1], vcc
	s_cbranch_execz .LBB32_139
; %bb.136:
	v_add_u32_e32 v7, -1, v0
	v_add_u32_e32 v8, 0x210, v38
	v_add_u32_e32 v9, 16, v38
	v_mov_b64_e32 v[2:3], 0
	s_mov_b64 s[4:5], 0
	v_mov_b64_e32 v[4:5], 0
.LBB32_137:                             ; =>This Inner Loop Header: Depth=1
	scratch_load_dwordx4 v[10:13], v9, off
	ds_read_b128 v[14:17], v8
	v_add_u32_e32 v7, 1, v7
	v_cmp_lt_u32_e32 vcc, 29, v7
	v_add_u32_e32 v8, 16, v8
	v_add_u32_e32 v9, 16, v9
	s_or_b64 s[4:5], vcc, s[4:5]
	s_waitcnt vmcnt(0) lgkmcnt(0)
	v_mul_f64 v[18:19], v[16:17], v[12:13]
	v_mul_f64 v[12:13], v[14:15], v[12:13]
	v_fma_f64 v[14:15], v[14:15], v[10:11], -v[18:19]
	v_fmac_f64_e32 v[12:13], v[16:17], v[10:11]
	v_add_f64 v[4:5], v[4:5], v[14:15]
	v_add_f64 v[2:3], v[2:3], v[12:13]
	s_andn2_b64 exec, exec, s[4:5]
	s_cbranch_execnz .LBB32_137
; %bb.138:
	s_or_b64 exec, exec, s[4:5]
	v_mov_b32_e32 v7, 0
	ds_read_b128 v[8:11], v7 offset:496
	s_waitcnt lgkmcnt(0)
	v_mul_f64 v[14:15], v[2:3], v[10:11]
	v_mul_f64 v[12:13], v[4:5], v[10:11]
	v_fma_f64 v[10:11], v[4:5], v[8:9], -v[14:15]
	v_fmac_f64_e32 v[12:13], v[2:3], v[8:9]
	scratch_store_dwordx4 off, v[10:13], off offset:512
.LBB32_139:
	s_or_b64 exec, exec, s[0:1]
	; wave barrier
	scratch_load_dwordx4 v[2:5], off, s45
	v_cmp_ne_u32_e32 vcc, 32, v0
	s_waitcnt vmcnt(0)
	ds_write_b128 v1, v[2:5]
	s_waitcnt lgkmcnt(0)
	; wave barrier
	s_and_saveexec_b64 s[0:1], vcc
	s_cbranch_execz .LBB32_143
; %bb.140:
	v_add_u32_e32 v1, 0x210, v38
	v_add_u32_e32 v7, 16, v38
	v_mov_b64_e32 v[2:3], 0
	s_mov_b64 s[4:5], 0
	v_mov_b64_e32 v[4:5], 0
.LBB32_141:                             ; =>This Inner Loop Header: Depth=1
	scratch_load_dwordx4 v[8:11], v7, off
	ds_read_b128 v[12:15], v1
	v_add_u32_e32 v6, 1, v6
	v_cmp_lt_u32_e32 vcc, 30, v6
	v_add_u32_e32 v1, 16, v1
	v_add_u32_e32 v7, 16, v7
	s_or_b64 s[4:5], vcc, s[4:5]
	s_waitcnt vmcnt(0) lgkmcnt(0)
	v_mul_f64 v[16:17], v[14:15], v[10:11]
	v_mul_f64 v[10:11], v[12:13], v[10:11]
	v_fma_f64 v[12:13], v[12:13], v[8:9], -v[16:17]
	v_fmac_f64_e32 v[10:11], v[14:15], v[8:9]
	v_add_f64 v[4:5], v[4:5], v[12:13]
	v_add_f64 v[2:3], v[2:3], v[10:11]
	s_andn2_b64 exec, exec, s[4:5]
	s_cbranch_execnz .LBB32_141
; %bb.142:
	s_or_b64 exec, exec, s[4:5]
	v_mov_b32_e32 v1, 0
	ds_read_b128 v[6:9], v1 offset:512
	s_waitcnt lgkmcnt(0)
	v_mul_f64 v[12:13], v[2:3], v[8:9]
	v_mul_f64 v[10:11], v[4:5], v[8:9]
	v_fma_f64 v[8:9], v[4:5], v[6:7], -v[12:13]
	v_fmac_f64_e32 v[10:11], v[2:3], v[6:7]
	scratch_store_dwordx4 off, v[8:11], off offset:528
.LBB32_143:
	s_or_b64 exec, exec, s[0:1]
	s_mov_b64 s[4:5], -1
	; wave barrier
.LBB32_144:
	s_and_b64 vcc, exec, s[4:5]
	s_cbranch_vccz .LBB32_146
; %bb.145:
	s_lshl_b64 s[0:1], s[2:3], 2
	s_add_u32 s0, s6, s0
	s_addc_u32 s1, s7, s1
	v_mov_b32_e32 v1, 0
	global_load_dword v1, v1, s[0:1]
	s_waitcnt vmcnt(0)
	v_cmp_ne_u32_e32 vcc, 0, v1
	s_cbranch_vccz .LBB32_147
.LBB32_146:
	s_endpgm
.LBB32_147:
	v_mov_b32_e32 v1, 0x210
	v_lshl_add_u32 v1, v0, 4, v1
	v_cmp_eq_u32_e32 vcc, 32, v0
	s_and_saveexec_b64 s[0:1], vcc
	s_cbranch_execz .LBB32_149
; %bb.148:
	scratch_load_dwordx4 v[2:5], off, s44
	v_mov_b32_e32 v6, 0
	v_mov_b32_e32 v7, v6
	;; [unrolled: 1-line block ×4, first 2 shown]
	scratch_store_dwordx4 off, v[6:9], off offset:512
	s_waitcnt vmcnt(1)
	ds_write_b128 v1, v[2:5]
.LBB32_149:
	s_or_b64 exec, exec, s[0:1]
	s_waitcnt lgkmcnt(0)
	; wave barrier
	scratch_load_dwordx4 v[4:7], off, off offset:528
	scratch_load_dwordx4 v[8:11], off, off offset:512
	v_mov_b32_e32 v2, 0
	ds_read_b128 v[12:15], v2 offset:1040
	v_cmp_lt_u32_e32 vcc, 30, v0
	s_waitcnt vmcnt(1) lgkmcnt(0)
	v_mul_f64 v[16:17], v[12:13], v[6:7]
	v_mul_f64 v[6:7], v[14:15], v[6:7]
	v_fmac_f64_e32 v[16:17], v[14:15], v[4:5]
	v_fma_f64 v[4:5], v[12:13], v[4:5], -v[6:7]
	v_add_f64 v[6:7], v[16:17], 0
	v_add_f64 v[4:5], v[4:5], 0
	s_waitcnt vmcnt(0)
	v_add_f64 v[4:5], v[8:9], -v[4:5]
	v_add_f64 v[6:7], v[10:11], -v[6:7]
	scratch_store_dwordx4 off, v[4:7], off offset:512
	s_and_saveexec_b64 s[0:1], vcc
	s_cbranch_execz .LBB32_151
; %bb.150:
	scratch_load_dwordx4 v[6:9], off, s43
	v_mov_b32_e32 v3, v2
	v_mov_b32_e32 v4, v2
	;; [unrolled: 1-line block ×3, first 2 shown]
	scratch_store_dwordx4 off, v[2:5], off offset:496
	s_waitcnt vmcnt(1)
	ds_write_b128 v1, v[6:9]
.LBB32_151:
	s_or_b64 exec, exec, s[0:1]
	s_waitcnt lgkmcnt(0)
	; wave barrier
	scratch_load_dwordx4 v[4:7], off, off offset:512
	scratch_load_dwordx4 v[8:11], off, off offset:528
	;; [unrolled: 1-line block ×3, first 2 shown]
	ds_read_b128 v[16:19], v2 offset:1024
	ds_read_b128 v[20:23], v2 offset:1040
	v_cmp_lt_u32_e32 vcc, 29, v0
	s_waitcnt vmcnt(2) lgkmcnt(1)
	v_mul_f64 v[2:3], v[16:17], v[6:7]
	v_mul_f64 v[6:7], v[18:19], v[6:7]
	s_waitcnt vmcnt(1) lgkmcnt(0)
	v_mul_f64 v[24:25], v[20:21], v[10:11]
	v_mul_f64 v[10:11], v[22:23], v[10:11]
	v_fmac_f64_e32 v[2:3], v[18:19], v[4:5]
	v_fma_f64 v[4:5], v[16:17], v[4:5], -v[6:7]
	v_fmac_f64_e32 v[24:25], v[22:23], v[8:9]
	v_fma_f64 v[6:7], v[20:21], v[8:9], -v[10:11]
	v_add_f64 v[2:3], v[2:3], 0
	v_add_f64 v[4:5], v[4:5], 0
	;; [unrolled: 1-line block ×4, first 2 shown]
	s_waitcnt vmcnt(0)
	v_add_f64 v[2:3], v[12:13], -v[2:3]
	v_add_f64 v[4:5], v[14:15], -v[8:9]
	scratch_store_dwordx4 off, v[2:5], off offset:496
	s_and_saveexec_b64 s[0:1], vcc
	s_cbranch_execz .LBB32_153
; %bb.152:
	scratch_load_dwordx4 v[2:5], off, s42
	v_mov_b32_e32 v6, 0
	v_mov_b32_e32 v7, v6
	;; [unrolled: 1-line block ×4, first 2 shown]
	scratch_store_dwordx4 off, v[6:9], off offset:480
	s_waitcnt vmcnt(1)
	ds_write_b128 v1, v[2:5]
.LBB32_153:
	s_or_b64 exec, exec, s[0:1]
	s_waitcnt lgkmcnt(0)
	; wave barrier
	scratch_load_dwordx4 v[4:7], off, off offset:496
	scratch_load_dwordx4 v[8:11], off, off offset:512
	;; [unrolled: 1-line block ×4, first 2 shown]
	v_mov_b32_e32 v2, 0
	ds_read_b128 v[20:23], v2 offset:1008
	ds_read_b128 v[24:27], v2 offset:1024
	;; [unrolled: 1-line block ×3, first 2 shown]
	v_cmp_lt_u32_e32 vcc, 28, v0
	s_waitcnt vmcnt(3) lgkmcnt(2)
	v_mul_f64 v[32:33], v[20:21], v[6:7]
	v_mul_f64 v[6:7], v[22:23], v[6:7]
	s_waitcnt vmcnt(2) lgkmcnt(1)
	v_mul_f64 v[34:35], v[24:25], v[10:11]
	v_mul_f64 v[10:11], v[26:27], v[10:11]
	v_fmac_f64_e32 v[32:33], v[22:23], v[4:5]
	v_fma_f64 v[4:5], v[20:21], v[4:5], -v[6:7]
	s_waitcnt vmcnt(1) lgkmcnt(0)
	v_mul_f64 v[36:37], v[28:29], v[14:15]
	v_mul_f64 v[14:15], v[30:31], v[14:15]
	v_fmac_f64_e32 v[34:35], v[26:27], v[8:9]
	v_fma_f64 v[6:7], v[24:25], v[8:9], -v[10:11]
	v_add_f64 v[10:11], v[32:33], 0
	v_add_f64 v[4:5], v[4:5], 0
	v_fmac_f64_e32 v[36:37], v[30:31], v[12:13]
	v_fma_f64 v[8:9], v[28:29], v[12:13], -v[14:15]
	v_add_f64 v[10:11], v[10:11], v[34:35]
	v_add_f64 v[4:5], v[4:5], v[6:7]
	;; [unrolled: 1-line block ×4, first 2 shown]
	s_waitcnt vmcnt(0)
	v_add_f64 v[4:5], v[16:17], -v[4:5]
	v_add_f64 v[6:7], v[18:19], -v[6:7]
	scratch_store_dwordx4 off, v[4:7], off offset:480
	s_and_saveexec_b64 s[0:1], vcc
	s_cbranch_execz .LBB32_155
; %bb.154:
	scratch_load_dwordx4 v[6:9], off, s41
	v_mov_b32_e32 v3, v2
	v_mov_b32_e32 v4, v2
	;; [unrolled: 1-line block ×3, first 2 shown]
	scratch_store_dwordx4 off, v[2:5], off offset:464
	s_waitcnt vmcnt(1)
	ds_write_b128 v1, v[6:9]
.LBB32_155:
	s_or_b64 exec, exec, s[0:1]
	s_waitcnt lgkmcnt(0)
	; wave barrier
	scratch_load_dwordx4 v[4:7], off, off offset:480
	scratch_load_dwordx4 v[8:11], off, off offset:496
	;; [unrolled: 1-line block ×5, first 2 shown]
	ds_read_b128 v[24:27], v2 offset:992
	ds_read_b128 v[28:31], v2 offset:1008
	;; [unrolled: 1-line block ×4, first 2 shown]
	v_cmp_lt_u32_e32 vcc, 27, v0
	s_waitcnt vmcnt(4) lgkmcnt(3)
	v_mul_f64 v[2:3], v[24:25], v[6:7]
	v_mul_f64 v[6:7], v[26:27], v[6:7]
	s_waitcnt vmcnt(3) lgkmcnt(2)
	v_mul_f64 v[40:41], v[28:29], v[10:11]
	v_mul_f64 v[10:11], v[30:31], v[10:11]
	v_fmac_f64_e32 v[2:3], v[26:27], v[4:5]
	v_fma_f64 v[4:5], v[24:25], v[4:5], -v[6:7]
	s_waitcnt vmcnt(2) lgkmcnt(1)
	v_mul_f64 v[42:43], v[32:33], v[14:15]
	v_mul_f64 v[14:15], v[34:35], v[14:15]
	v_fmac_f64_e32 v[40:41], v[30:31], v[8:9]
	v_fma_f64 v[6:7], v[28:29], v[8:9], -v[10:11]
	v_add_f64 v[2:3], v[2:3], 0
	v_add_f64 v[4:5], v[4:5], 0
	s_waitcnt vmcnt(1) lgkmcnt(0)
	v_mul_f64 v[44:45], v[36:37], v[18:19]
	v_mul_f64 v[18:19], v[38:39], v[18:19]
	v_fmac_f64_e32 v[42:43], v[34:35], v[12:13]
	v_fma_f64 v[8:9], v[32:33], v[12:13], -v[14:15]
	v_add_f64 v[2:3], v[2:3], v[40:41]
	v_add_f64 v[4:5], v[4:5], v[6:7]
	v_fmac_f64_e32 v[44:45], v[38:39], v[16:17]
	v_fma_f64 v[10:11], v[36:37], v[16:17], -v[18:19]
	v_add_f64 v[2:3], v[2:3], v[42:43]
	v_add_f64 v[4:5], v[4:5], v[8:9]
	v_add_f64 v[6:7], v[2:3], v[44:45]
	v_add_f64 v[2:3], v[4:5], v[10:11]
	s_waitcnt vmcnt(0)
	v_add_f64 v[2:3], v[20:21], -v[2:3]
	v_add_f64 v[4:5], v[22:23], -v[6:7]
	scratch_store_dwordx4 off, v[2:5], off offset:464
	s_and_saveexec_b64 s[0:1], vcc
	s_cbranch_execz .LBB32_157
; %bb.156:
	scratch_load_dwordx4 v[2:5], off, s40
	v_mov_b32_e32 v6, 0
	v_mov_b32_e32 v7, v6
	;; [unrolled: 1-line block ×4, first 2 shown]
	scratch_store_dwordx4 off, v[6:9], off offset:448
	s_waitcnt vmcnt(1)
	ds_write_b128 v1, v[2:5]
.LBB32_157:
	s_or_b64 exec, exec, s[0:1]
	s_waitcnt lgkmcnt(0)
	; wave barrier
	scratch_load_dwordx4 v[4:7], off, off offset:464
	scratch_load_dwordx4 v[8:11], off, off offset:480
	;; [unrolled: 1-line block ×6, first 2 shown]
	v_mov_b32_e32 v2, 0
	ds_read_b128 v[28:31], v2 offset:976
	ds_read_b128 v[32:35], v2 offset:992
	;; [unrolled: 1-line block ×5, first 2 shown]
	v_cmp_lt_u32_e32 vcc, 26, v0
	s_waitcnt vmcnt(5) lgkmcnt(4)
	v_mul_f64 v[48:49], v[28:29], v[6:7]
	v_mul_f64 v[6:7], v[30:31], v[6:7]
	s_waitcnt vmcnt(4) lgkmcnt(3)
	v_mul_f64 v[50:51], v[32:33], v[10:11]
	s_waitcnt vmcnt(3) lgkmcnt(2)
	v_mul_f64 v[52:53], v[36:37], v[14:15]
	v_mul_f64 v[10:11], v[34:35], v[10:11]
	;; [unrolled: 1-line block ×3, first 2 shown]
	v_fmac_f64_e32 v[48:49], v[30:31], v[4:5]
	v_fma_f64 v[4:5], v[28:29], v[4:5], -v[6:7]
	v_fmac_f64_e32 v[50:51], v[34:35], v[8:9]
	v_fma_f64 v[6:7], v[32:33], v[8:9], -v[10:11]
	v_fma_f64 v[8:9], v[36:37], v[12:13], -v[14:15]
	v_add_f64 v[14:15], v[48:49], 0
	v_add_f64 v[4:5], v[4:5], 0
	s_waitcnt vmcnt(2) lgkmcnt(1)
	v_mul_f64 v[54:55], v[40:41], v[18:19]
	v_mul_f64 v[18:19], v[42:43], v[18:19]
	v_fmac_f64_e32 v[52:53], v[38:39], v[12:13]
	v_add_f64 v[14:15], v[14:15], v[50:51]
	v_add_f64 v[4:5], v[4:5], v[6:7]
	s_waitcnt vmcnt(1) lgkmcnt(0)
	v_mul_f64 v[56:57], v[44:45], v[22:23]
	v_mul_f64 v[22:23], v[46:47], v[22:23]
	v_fmac_f64_e32 v[54:55], v[42:43], v[16:17]
	v_fma_f64 v[10:11], v[40:41], v[16:17], -v[18:19]
	v_add_f64 v[6:7], v[14:15], v[52:53]
	v_add_f64 v[4:5], v[4:5], v[8:9]
	v_fmac_f64_e32 v[56:57], v[46:47], v[20:21]
	v_fma_f64 v[12:13], v[44:45], v[20:21], -v[22:23]
	v_add_f64 v[6:7], v[6:7], v[54:55]
	v_add_f64 v[4:5], v[4:5], v[10:11]
	;; [unrolled: 1-line block ×4, first 2 shown]
	s_waitcnt vmcnt(0)
	v_add_f64 v[4:5], v[24:25], -v[4:5]
	v_add_f64 v[6:7], v[26:27], -v[6:7]
	scratch_store_dwordx4 off, v[4:7], off offset:448
	s_and_saveexec_b64 s[0:1], vcc
	s_cbranch_execz .LBB32_159
; %bb.158:
	scratch_load_dwordx4 v[6:9], off, s39
	v_mov_b32_e32 v3, v2
	v_mov_b32_e32 v4, v2
	;; [unrolled: 1-line block ×3, first 2 shown]
	scratch_store_dwordx4 off, v[2:5], off offset:432
	s_waitcnt vmcnt(1)
	ds_write_b128 v1, v[6:9]
.LBB32_159:
	s_or_b64 exec, exec, s[0:1]
	s_waitcnt lgkmcnt(0)
	; wave barrier
	ds_read_b128 v[4:7], v2 offset:960
	ds_read_b128 v[8:11], v2 offset:976
	ds_read_b128 v[12:15], v2 offset:992
	ds_read_b128 v[16:19], v2 offset:1008
	scratch_load_dwordx4 v[20:23], off, off offset:448
	scratch_load_dwordx4 v[40:43], off, off offset:512
	v_cmp_lt_u32_e32 vcc, 25, v0
	scratch_load_dwordx4 v[48:51], off, off offset:528
	s_waitcnt vmcnt(2) lgkmcnt(3)
	v_mul_f64 v[24:25], v[4:5], v[22:23]
	v_fmac_f64_e32 v[24:25], v[6:7], v[20:21]
	v_add_f64 v[28:29], v[24:25], 0
	scratch_load_dwordx4 v[24:27], off, off offset:464
	s_waitcnt vmcnt(0) lgkmcnt(2)
	v_mul_f64 v[30:31], v[8:9], v[26:27]
	v_fmac_f64_e32 v[30:31], v[10:11], v[24:25]
	v_add_f64 v[32:33], v[28:29], v[30:31]
	;; [unrolled: 5-line block ×4, first 2 shown]
	ds_read_b128 v[36:39], v2 offset:1024
	s_waitcnt lgkmcnt(0)
	v_mul_f64 v[46:47], v[36:37], v[42:43]
	v_fmac_f64_e32 v[46:47], v[38:39], v[40:41]
	v_add_f64 v[52:53], v[44:45], v[46:47]
	ds_read_b128 v[44:47], v2 offset:1040
	s_waitcnt lgkmcnt(0)
	v_mul_f64 v[2:3], v[44:45], v[50:51]
	v_fmac_f64_e32 v[2:3], v[46:47], v[48:49]
	v_add_f64 v[52:53], v[52:53], v[2:3]
	v_mul_f64 v[2:3], v[6:7], v[22:23]
	v_fma_f64 v[2:3], v[4:5], v[20:21], -v[2:3]
	v_mul_f64 v[4:5], v[10:11], v[26:27]
	v_add_f64 v[2:3], v[2:3], 0
	v_fma_f64 v[4:5], v[8:9], v[24:25], -v[4:5]
	v_add_f64 v[2:3], v[2:3], v[4:5]
	v_mul_f64 v[4:5], v[14:15], v[30:31]
	v_fma_f64 v[4:5], v[12:13], v[28:29], -v[4:5]
	v_add_f64 v[2:3], v[2:3], v[4:5]
	v_mul_f64 v[4:5], v[18:19], v[34:35]
	v_fma_f64 v[4:5], v[16:17], v[32:33], -v[4:5]
	v_add_f64 v[2:3], v[2:3], v[4:5]
	v_mul_f64 v[4:5], v[38:39], v[42:43]
	v_fma_f64 v[4:5], v[36:37], v[40:41], -v[4:5]
	v_add_f64 v[2:3], v[2:3], v[4:5]
	v_mul_f64 v[4:5], v[46:47], v[50:51]
	v_fma_f64 v[4:5], v[44:45], v[48:49], -v[4:5]
	v_add_f64 v[6:7], v[2:3], v[4:5]
	scratch_load_dwordx4 v[2:5], off, off offset:432
	s_waitcnt vmcnt(0)
	v_add_f64 v[2:3], v[2:3], -v[6:7]
	v_add_f64 v[4:5], v[4:5], -v[52:53]
	scratch_store_dwordx4 off, v[2:5], off offset:432
	s_and_saveexec_b64 s[0:1], vcc
	s_cbranch_execz .LBB32_161
; %bb.160:
	scratch_load_dwordx4 v[2:5], off, s38
	v_mov_b32_e32 v6, 0
	v_mov_b32_e32 v7, v6
	;; [unrolled: 1-line block ×4, first 2 shown]
	scratch_store_dwordx4 off, v[6:9], off offset:416
	s_waitcnt vmcnt(1)
	ds_write_b128 v1, v[2:5]
.LBB32_161:
	s_or_b64 exec, exec, s[0:1]
	s_waitcnt lgkmcnt(0)
	; wave barrier
	scratch_load_dwordx4 v[4:7], off, off offset:432
	scratch_load_dwordx4 v[8:11], off, off offset:448
	;; [unrolled: 1-line block ×8, first 2 shown]
	v_mov_b32_e32 v2, 0
	ds_read_b128 v[36:39], v2 offset:944
	ds_read_b128 v[40:43], v2 offset:960
	;; [unrolled: 1-line block ×7, first 2 shown]
	v_cmp_lt_u32_e32 vcc, 24, v0
	s_waitcnt vmcnt(7) lgkmcnt(6)
	v_mul_f64 v[64:65], v[36:37], v[6:7]
	v_mul_f64 v[6:7], v[38:39], v[6:7]
	s_waitcnt vmcnt(6) lgkmcnt(5)
	v_mul_f64 v[66:67], v[40:41], v[10:11]
	s_waitcnt vmcnt(4) lgkmcnt(3)
	v_mul_f64 v[70:71], v[48:49], v[18:19]
	v_mul_f64 v[10:11], v[42:43], v[10:11]
	;; [unrolled: 1-line block ×3, first 2 shown]
	v_fmac_f64_e32 v[64:65], v[38:39], v[4:5]
	v_fma_f64 v[4:5], v[36:37], v[4:5], -v[6:7]
	v_mul_f64 v[68:69], v[44:45], v[14:15]
	v_mul_f64 v[14:15], v[46:47], v[14:15]
	v_fmac_f64_e32 v[66:67], v[42:43], v[8:9]
	v_fma_f64 v[6:7], v[40:41], v[8:9], -v[10:11]
	v_fma_f64 v[10:11], v[48:49], v[16:17], -v[18:19]
	v_add_f64 v[18:19], v[64:65], 0
	v_add_f64 v[4:5], v[4:5], 0
	v_fmac_f64_e32 v[68:69], v[46:47], v[12:13]
	v_fma_f64 v[8:9], v[44:45], v[12:13], -v[14:15]
	v_add_f64 v[18:19], v[18:19], v[66:67]
	v_add_f64 v[4:5], v[4:5], v[6:7]
	s_waitcnt vmcnt(3) lgkmcnt(2)
	v_mul_f64 v[72:73], v[52:53], v[22:23]
	v_mul_f64 v[22:23], v[54:55], v[22:23]
	v_fmac_f64_e32 v[70:71], v[50:51], v[16:17]
	v_add_f64 v[6:7], v[18:19], v[68:69]
	v_add_f64 v[4:5], v[4:5], v[8:9]
	s_waitcnt vmcnt(2) lgkmcnt(1)
	v_mul_f64 v[74:75], v[56:57], v[26:27]
	v_mul_f64 v[26:27], v[58:59], v[26:27]
	v_fmac_f64_e32 v[72:73], v[54:55], v[20:21]
	v_fma_f64 v[12:13], v[52:53], v[20:21], -v[22:23]
	v_add_f64 v[6:7], v[6:7], v[70:71]
	v_add_f64 v[4:5], v[4:5], v[10:11]
	s_waitcnt vmcnt(1) lgkmcnt(0)
	v_mul_f64 v[76:77], v[60:61], v[30:31]
	v_mul_f64 v[30:31], v[62:63], v[30:31]
	v_fmac_f64_e32 v[74:75], v[58:59], v[24:25]
	v_fma_f64 v[14:15], v[56:57], v[24:25], -v[26:27]
	v_add_f64 v[6:7], v[6:7], v[72:73]
	v_add_f64 v[4:5], v[4:5], v[12:13]
	v_fmac_f64_e32 v[76:77], v[62:63], v[28:29]
	v_fma_f64 v[16:17], v[60:61], v[28:29], -v[30:31]
	v_add_f64 v[6:7], v[6:7], v[74:75]
	v_add_f64 v[4:5], v[4:5], v[14:15]
	;; [unrolled: 1-line block ×4, first 2 shown]
	s_waitcnt vmcnt(0)
	v_add_f64 v[4:5], v[32:33], -v[4:5]
	v_add_f64 v[6:7], v[34:35], -v[6:7]
	scratch_store_dwordx4 off, v[4:7], off offset:416
	s_and_saveexec_b64 s[0:1], vcc
	s_cbranch_execz .LBB32_163
; %bb.162:
	scratch_load_dwordx4 v[6:9], off, s37
	v_mov_b32_e32 v3, v2
	v_mov_b32_e32 v4, v2
	;; [unrolled: 1-line block ×3, first 2 shown]
	scratch_store_dwordx4 off, v[2:5], off offset:400
	s_waitcnt vmcnt(1)
	ds_write_b128 v1, v[6:9]
.LBB32_163:
	s_or_b64 exec, exec, s[0:1]
	s_waitcnt lgkmcnt(0)
	; wave barrier
	scratch_load_dwordx4 v[4:7], off, off offset:416
	scratch_load_dwordx4 v[8:11], off, off offset:432
	;; [unrolled: 1-line block ×9, first 2 shown]
	ds_read_b128 v[40:43], v2 offset:928
	ds_read_b128 v[44:47], v2 offset:944
	ds_read_b128 v[48:51], v2 offset:960
	ds_read_b128 v[52:55], v2 offset:976
	ds_read_b128 v[56:59], v2 offset:992
	ds_read_b128 v[60:63], v2 offset:1008
	ds_read_b128 v[64:67], v2 offset:1024
	ds_read_b128 v[68:71], v2 offset:1040
	v_cmp_lt_u32_e32 vcc, 23, v0
	s_waitcnt vmcnt(8) lgkmcnt(7)
	v_mul_f64 v[2:3], v[40:41], v[6:7]
	v_mul_f64 v[6:7], v[42:43], v[6:7]
	s_waitcnt vmcnt(7) lgkmcnt(6)
	v_mul_f64 v[72:73], v[44:45], v[10:11]
	v_mul_f64 v[10:11], v[46:47], v[10:11]
	v_fmac_f64_e32 v[2:3], v[42:43], v[4:5]
	v_fma_f64 v[4:5], v[40:41], v[4:5], -v[6:7]
	s_waitcnt vmcnt(6) lgkmcnt(5)
	v_mul_f64 v[74:75], v[48:49], v[14:15]
	v_mul_f64 v[14:15], v[50:51], v[14:15]
	v_fmac_f64_e32 v[72:73], v[46:47], v[8:9]
	v_fma_f64 v[6:7], v[44:45], v[8:9], -v[10:11]
	v_add_f64 v[2:3], v[2:3], 0
	v_add_f64 v[4:5], v[4:5], 0
	s_waitcnt vmcnt(5) lgkmcnt(4)
	v_mul_f64 v[76:77], v[52:53], v[18:19]
	v_mul_f64 v[18:19], v[54:55], v[18:19]
	v_fmac_f64_e32 v[74:75], v[50:51], v[12:13]
	v_fma_f64 v[8:9], v[48:49], v[12:13], -v[14:15]
	v_add_f64 v[2:3], v[2:3], v[72:73]
	v_add_f64 v[4:5], v[4:5], v[6:7]
	;; [unrolled: 7-line block ×6, first 2 shown]
	v_fmac_f64_e32 v[84:85], v[70:71], v[32:33]
	v_fma_f64 v[18:19], v[68:69], v[32:33], -v[34:35]
	v_add_f64 v[2:3], v[2:3], v[82:83]
	v_add_f64 v[4:5], v[4:5], v[16:17]
	;; [unrolled: 1-line block ×4, first 2 shown]
	s_waitcnt vmcnt(0)
	v_add_f64 v[2:3], v[36:37], -v[2:3]
	v_add_f64 v[4:5], v[38:39], -v[6:7]
	scratch_store_dwordx4 off, v[2:5], off offset:400
	s_and_saveexec_b64 s[0:1], vcc
	s_cbranch_execz .LBB32_165
; %bb.164:
	scratch_load_dwordx4 v[2:5], off, s36
	v_mov_b32_e32 v6, 0
	v_mov_b32_e32 v7, v6
	;; [unrolled: 1-line block ×4, first 2 shown]
	scratch_store_dwordx4 off, v[6:9], off offset:384
	s_waitcnt vmcnt(1)
	ds_write_b128 v1, v[2:5]
.LBB32_165:
	s_or_b64 exec, exec, s[0:1]
	s_waitcnt lgkmcnt(0)
	; wave barrier
	scratch_load_dwordx4 v[4:7], off, off offset:400
	scratch_load_dwordx4 v[8:11], off, off offset:416
	;; [unrolled: 1-line block ×10, first 2 shown]
	v_mov_b32_e32 v2, 0
	ds_read_b128 v[44:47], v2 offset:912
	ds_read_b128 v[48:51], v2 offset:928
	;; [unrolled: 1-line block ×9, first 2 shown]
	v_cmp_lt_u32_e32 vcc, 22, v0
	s_waitcnt vmcnt(9) lgkmcnt(8)
	v_mul_f64 v[80:81], v[44:45], v[6:7]
	v_mul_f64 v[6:7], v[46:47], v[6:7]
	s_waitcnt vmcnt(8) lgkmcnt(7)
	v_mul_f64 v[82:83], v[48:49], v[10:11]
	s_waitcnt vmcnt(7) lgkmcnt(6)
	;; [unrolled: 2-line block ×3, first 2 shown]
	v_mul_f64 v[88:89], v[60:61], v[22:23]
	v_mul_f64 v[10:11], v[50:51], v[10:11]
	;; [unrolled: 1-line block ×4, first 2 shown]
	v_fmac_f64_e32 v[80:81], v[46:47], v[4:5]
	v_fma_f64 v[4:5], v[44:45], v[4:5], -v[6:7]
	v_fmac_f64_e32 v[82:83], v[50:51], v[8:9]
	v_fmac_f64_e32 v[84:85], v[54:55], v[12:13]
	v_fma_f64 v[6:7], v[48:49], v[8:9], -v[10:11]
	v_fma_f64 v[8:9], v[52:53], v[12:13], -v[14:15]
	;; [unrolled: 1-line block ×3, first 2 shown]
	v_add_f64 v[22:23], v[80:81], 0
	v_add_f64 v[4:5], v[4:5], 0
	v_mul_f64 v[86:87], v[56:57], v[18:19]
	v_mul_f64 v[18:19], v[58:59], v[18:19]
	v_add_f64 v[22:23], v[22:23], v[82:83]
	v_add_f64 v[4:5], v[4:5], v[6:7]
	v_fmac_f64_e32 v[86:87], v[58:59], v[16:17]
	v_fma_f64 v[10:11], v[56:57], v[16:17], -v[18:19]
	v_add_f64 v[6:7], v[22:23], v[84:85]
	v_add_f64 v[4:5], v[4:5], v[8:9]
	s_waitcnt vmcnt(4) lgkmcnt(3)
	v_mul_f64 v[90:91], v[64:65], v[26:27]
	v_mul_f64 v[26:27], v[66:67], v[26:27]
	v_fmac_f64_e32 v[88:89], v[62:63], v[20:21]
	v_add_f64 v[6:7], v[6:7], v[86:87]
	v_add_f64 v[4:5], v[4:5], v[10:11]
	s_waitcnt vmcnt(3) lgkmcnt(2)
	v_mul_f64 v[92:93], v[68:69], v[30:31]
	v_mul_f64 v[30:31], v[70:71], v[30:31]
	v_fmac_f64_e32 v[90:91], v[66:67], v[24:25]
	v_fma_f64 v[14:15], v[64:65], v[24:25], -v[26:27]
	v_add_f64 v[6:7], v[6:7], v[88:89]
	v_add_f64 v[4:5], v[4:5], v[12:13]
	s_waitcnt vmcnt(2) lgkmcnt(1)
	v_mul_f64 v[94:95], v[72:73], v[34:35]
	v_mul_f64 v[34:35], v[74:75], v[34:35]
	v_fmac_f64_e32 v[92:93], v[70:71], v[28:29]
	v_fma_f64 v[16:17], v[68:69], v[28:29], -v[30:31]
	;; [unrolled: 7-line block ×3, first 2 shown]
	v_add_f64 v[6:7], v[6:7], v[92:93]
	v_add_f64 v[4:5], v[4:5], v[16:17]
	v_fmac_f64_e32 v[96:97], v[78:79], v[36:37]
	v_fma_f64 v[20:21], v[76:77], v[36:37], -v[38:39]
	v_add_f64 v[6:7], v[6:7], v[94:95]
	v_add_f64 v[4:5], v[4:5], v[18:19]
	;; [unrolled: 1-line block ×4, first 2 shown]
	s_waitcnt vmcnt(0)
	v_add_f64 v[4:5], v[40:41], -v[4:5]
	v_add_f64 v[6:7], v[42:43], -v[6:7]
	scratch_store_dwordx4 off, v[4:7], off offset:384
	s_and_saveexec_b64 s[0:1], vcc
	s_cbranch_execz .LBB32_167
; %bb.166:
	scratch_load_dwordx4 v[6:9], off, s35
	v_mov_b32_e32 v3, v2
	v_mov_b32_e32 v4, v2
	;; [unrolled: 1-line block ×3, first 2 shown]
	scratch_store_dwordx4 off, v[2:5], off offset:368
	s_waitcnt vmcnt(1)
	ds_write_b128 v1, v[6:9]
.LBB32_167:
	s_or_b64 exec, exec, s[0:1]
	s_waitcnt lgkmcnt(0)
	; wave barrier
	ds_read_b128 v[4:7], v2 offset:896
	ds_read_b128 v[8:11], v2 offset:912
	;; [unrolled: 1-line block ×4, first 2 shown]
	scratch_load_dwordx4 v[20:23], off, off offset:384
	scratch_load_dwordx4 v[40:43], off, off offset:448
	;; [unrolled: 1-line block ×4, first 2 shown]
	v_cmp_lt_u32_e32 vcc, 21, v0
	scratch_load_dwordx4 v[48:51], off, off offset:464
	scratch_load_dwordx4 v[56:59], off, off offset:480
	;; [unrolled: 1-line block ×3, first 2 shown]
	s_waitcnt vmcnt(6) lgkmcnt(3)
	v_mul_f64 v[24:25], v[4:5], v[22:23]
	v_fmac_f64_e32 v[24:25], v[6:7], v[20:21]
	v_add_f64 v[28:29], v[24:25], 0
	scratch_load_dwordx4 v[24:27], off, off offset:400
	s_waitcnt vmcnt(0) lgkmcnt(2)
	v_mul_f64 v[30:31], v[8:9], v[26:27]
	v_fmac_f64_e32 v[30:31], v[10:11], v[24:25]
	v_add_f64 v[32:33], v[28:29], v[30:31]
	scratch_load_dwordx4 v[28:31], off, off offset:416
	;; [unrolled: 5-line block ×3, first 2 shown]
	s_waitcnt vmcnt(0) lgkmcnt(0)
	v_mul_f64 v[38:39], v[16:17], v[34:35]
	v_fmac_f64_e32 v[38:39], v[18:19], v[32:33]
	v_add_f64 v[44:45], v[36:37], v[38:39]
	ds_read_b128 v[36:39], v2 offset:960
	s_waitcnt lgkmcnt(0)
	v_mul_f64 v[46:47], v[36:37], v[42:43]
	v_fmac_f64_e32 v[46:47], v[38:39], v[40:41]
	v_add_f64 v[52:53], v[44:45], v[46:47]
	ds_read_b128 v[44:47], v2 offset:976
	s_waitcnt lgkmcnt(0)
	;; [unrolled: 5-line block ×6, first 2 shown]
	v_mul_f64 v[2:3], v[76:77], v[82:83]
	v_fmac_f64_e32 v[2:3], v[78:79], v[80:81]
	v_add_f64 v[84:85], v[84:85], v[2:3]
	v_mul_f64 v[2:3], v[6:7], v[22:23]
	v_fma_f64 v[2:3], v[4:5], v[20:21], -v[2:3]
	v_mul_f64 v[4:5], v[10:11], v[26:27]
	v_add_f64 v[2:3], v[2:3], 0
	v_fma_f64 v[4:5], v[8:9], v[24:25], -v[4:5]
	v_add_f64 v[2:3], v[2:3], v[4:5]
	v_mul_f64 v[4:5], v[14:15], v[30:31]
	v_fma_f64 v[4:5], v[12:13], v[28:29], -v[4:5]
	v_add_f64 v[2:3], v[2:3], v[4:5]
	v_mul_f64 v[4:5], v[18:19], v[34:35]
	;; [unrolled: 3-line block ×8, first 2 shown]
	v_fma_f64 v[4:5], v[76:77], v[80:81], -v[4:5]
	v_add_f64 v[6:7], v[2:3], v[4:5]
	scratch_load_dwordx4 v[2:5], off, off offset:368
	s_waitcnt vmcnt(0)
	v_add_f64 v[2:3], v[2:3], -v[6:7]
	v_add_f64 v[4:5], v[4:5], -v[84:85]
	scratch_store_dwordx4 off, v[2:5], off offset:368
	s_and_saveexec_b64 s[0:1], vcc
	s_cbranch_execz .LBB32_169
; %bb.168:
	scratch_load_dwordx4 v[2:5], off, s34
	v_mov_b32_e32 v6, 0
	v_mov_b32_e32 v7, v6
	;; [unrolled: 1-line block ×4, first 2 shown]
	scratch_store_dwordx4 off, v[6:9], off offset:352
	s_waitcnt vmcnt(1)
	ds_write_b128 v1, v[2:5]
.LBB32_169:
	s_or_b64 exec, exec, s[0:1]
	v_mov_b32_e32 v2, 0
	s_waitcnt lgkmcnt(0)
	; wave barrier
	ds_read_b128 v[4:7], v2 offset:880
	ds_read_b128 v[8:11], v2 offset:896
	;; [unrolled: 1-line block ×4, first 2 shown]
	scratch_load_dwordx4 v[20:23], off, off offset:368
	scratch_load_dwordx4 v[40:43], off, off offset:432
	;; [unrolled: 1-line block ×5, first 2 shown]
	v_cmp_lt_u32_e32 vcc, 20, v0
	scratch_load_dwordx4 v[48:51], off, off offset:448
	scratch_load_dwordx4 v[56:59], off, off offset:464
	;; [unrolled: 1-line block ×3, first 2 shown]
	s_waitcnt vmcnt(7) lgkmcnt(3)
	v_mul_f64 v[24:25], v[4:5], v[22:23]
	v_fmac_f64_e32 v[24:25], v[6:7], v[20:21]
	v_add_f64 v[28:29], v[24:25], 0
	scratch_load_dwordx4 v[24:27], off, off offset:384
	v_mul_f64 v[6:7], v[6:7], v[22:23]
	v_fma_f64 v[4:5], v[4:5], v[20:21], -v[6:7]
	v_add_f64 v[4:5], v[4:5], 0
	s_waitcnt vmcnt(0) lgkmcnt(2)
	v_mul_f64 v[30:31], v[8:9], v[26:27]
	v_fmac_f64_e32 v[30:31], v[10:11], v[24:25]
	v_add_f64 v[32:33], v[28:29], v[30:31]
	scratch_load_dwordx4 v[28:31], off, off offset:400
	v_mul_f64 v[6:7], v[10:11], v[26:27]
	v_fma_f64 v[6:7], v[8:9], v[24:25], -v[6:7]
	v_add_f64 v[4:5], v[4:5], v[6:7]
	;; [unrolled: 8-line block ×3, first 2 shown]
	s_waitcnt vmcnt(0) lgkmcnt(0)
	v_mul_f64 v[38:39], v[16:17], v[34:35]
	v_fmac_f64_e32 v[38:39], v[18:19], v[32:33]
	v_add_f64 v[44:45], v[36:37], v[38:39]
	ds_read_b128 v[36:39], v2 offset:944
	v_mul_f64 v[6:7], v[18:19], v[34:35]
	v_fma_f64 v[6:7], v[16:17], v[32:33], -v[6:7]
	v_add_f64 v[4:5], v[4:5], v[6:7]
	s_waitcnt lgkmcnt(0)
	v_mul_f64 v[46:47], v[36:37], v[42:43]
	v_fmac_f64_e32 v[46:47], v[38:39], v[40:41]
	v_add_f64 v[52:53], v[44:45], v[46:47]
	ds_read_b128 v[44:47], v2 offset:960
	v_mul_f64 v[6:7], v[38:39], v[42:43]
	v_fma_f64 v[6:7], v[36:37], v[40:41], -v[6:7]
	v_add_f64 v[4:5], v[4:5], v[6:7]
	s_waitcnt lgkmcnt(0)
	;; [unrolled: 8-line block ×7, first 2 shown]
	v_mul_f64 v[6:7], v[86:87], v[90:91]
	v_fma_f64 v[6:7], v[84:85], v[88:89], -v[6:7]
	v_add_f64 v[8:9], v[4:5], v[6:7]
	scratch_load_dwordx4 v[4:7], off, off offset:352
	v_mul_f64 v[94:95], v[84:85], v[90:91]
	v_fmac_f64_e32 v[94:95], v[86:87], v[88:89]
	v_add_f64 v[92:93], v[92:93], v[94:95]
	s_waitcnt vmcnt(0)
	v_add_f64 v[4:5], v[4:5], -v[8:9]
	v_add_f64 v[6:7], v[6:7], -v[92:93]
	scratch_store_dwordx4 off, v[4:7], off offset:352
	s_and_saveexec_b64 s[0:1], vcc
	s_cbranch_execz .LBB32_171
; %bb.170:
	scratch_load_dwordx4 v[6:9], off, s33
	v_mov_b32_e32 v3, v2
	v_mov_b32_e32 v4, v2
	;; [unrolled: 1-line block ×3, first 2 shown]
	scratch_store_dwordx4 off, v[2:5], off offset:336
	s_waitcnt vmcnt(1)
	ds_write_b128 v1, v[6:9]
.LBB32_171:
	s_or_b64 exec, exec, s[0:1]
	s_waitcnt lgkmcnt(0)
	; wave barrier
	scratch_load_dwordx4 v[4:7], off, off offset:352
	scratch_load_dwordx4 v[8:11], off, off offset:368
	;; [unrolled: 1-line block ×12, first 2 shown]
	ds_read_b128 v[52:55], v2 offset:864
	ds_read_b128 v[56:59], v2 offset:880
	;; [unrolled: 1-line block ×4, first 2 shown]
	scratch_load_dwordx4 v[68:71], off, off offset:336
	ds_read_b128 v[72:75], v2 offset:928
	ds_read_b128 v[76:79], v2 offset:944
	;; [unrolled: 1-line block ×8, first 2 shown]
	v_cmp_lt_u32_e32 vcc, 19, v0
	s_waitcnt vmcnt(12) lgkmcnt(11)
	v_mul_f64 v[2:3], v[52:53], v[6:7]
	s_waitcnt vmcnt(11) lgkmcnt(10)
	v_mul_f64 v[104:105], v[56:57], v[10:11]
	v_fmac_f64_e32 v[2:3], v[54:55], v[4:5]
	s_waitcnt vmcnt(10) lgkmcnt(9)
	v_mul_f64 v[106:107], v[60:61], v[14:15]
	v_mul_f64 v[6:7], v[54:55], v[6:7]
	v_fmac_f64_e32 v[104:105], v[58:59], v[8:9]
	v_add_f64 v[2:3], v[2:3], 0
	s_waitcnt vmcnt(9) lgkmcnt(8)
	v_mul_f64 v[108:109], v[64:65], v[18:19]
	v_mul_f64 v[10:11], v[58:59], v[10:11]
	v_fmac_f64_e32 v[106:107], v[62:63], v[12:13]
	v_fma_f64 v[4:5], v[52:53], v[4:5], -v[6:7]
	v_add_f64 v[2:3], v[2:3], v[104:105]
	s_waitcnt vmcnt(8) lgkmcnt(7)
	v_mul_f64 v[110:111], v[72:73], v[22:23]
	v_mul_f64 v[14:15], v[62:63], v[14:15]
	v_fmac_f64_e32 v[108:109], v[66:67], v[16:17]
	v_fma_f64 v[6:7], v[56:57], v[8:9], -v[10:11]
	v_add_f64 v[4:5], v[4:5], 0
	v_add_f64 v[2:3], v[2:3], v[106:107]
	s_waitcnt vmcnt(7) lgkmcnt(6)
	v_mul_f64 v[112:113], v[76:77], v[26:27]
	v_mul_f64 v[18:19], v[66:67], v[18:19]
	v_fmac_f64_e32 v[110:111], v[74:75], v[20:21]
	v_fma_f64 v[8:9], v[60:61], v[12:13], -v[14:15]
	v_add_f64 v[4:5], v[4:5], v[6:7]
	;; [unrolled: 7-line block ×8, first 2 shown]
	v_add_f64 v[2:3], v[2:3], v[120:121]
	v_mul_f64 v[46:47], v[98:99], v[46:47]
	v_fmac_f64_e32 v[124:125], v[102:103], v[48:49]
	v_fma_f64 v[22:23], v[92:93], v[40:41], -v[42:43]
	v_add_f64 v[4:5], v[4:5], v[20:21]
	v_add_f64 v[2:3], v[2:3], v[122:123]
	;; [unrolled: 1-line block ×4, first 2 shown]
	v_fma_f64 v[2:3], v[96:97], v[44:45], -v[46:47]
	v_add_f64 v[2:3], v[4:5], v[2:3]
	v_mul_f64 v[4:5], v[102:103], v[50:51]
	v_fma_f64 v[4:5], v[100:101], v[48:49], -v[4:5]
	v_add_f64 v[2:3], v[2:3], v[4:5]
	s_waitcnt vmcnt(0)
	v_add_f64 v[2:3], v[68:69], -v[2:3]
	v_add_f64 v[4:5], v[70:71], -v[6:7]
	scratch_store_dwordx4 off, v[2:5], off offset:336
	s_and_saveexec_b64 s[0:1], vcc
	s_cbranch_execz .LBB32_173
; %bb.172:
	scratch_load_dwordx4 v[2:5], off, s31
	v_mov_b32_e32 v6, 0
	v_mov_b32_e32 v7, v6
	;; [unrolled: 1-line block ×4, first 2 shown]
	scratch_store_dwordx4 off, v[6:9], off offset:320
	s_waitcnt vmcnt(1)
	ds_write_b128 v1, v[2:5]
.LBB32_173:
	s_or_b64 exec, exec, s[0:1]
	s_waitcnt lgkmcnt(0)
	; wave barrier
	scratch_load_dwordx4 v[4:7], off, off offset:336
	scratch_load_dwordx4 v[8:11], off, off offset:352
	scratch_load_dwordx4 v[12:15], off, off offset:368
	scratch_load_dwordx4 v[16:19], off, off offset:384
	scratch_load_dwordx4 v[20:23], off, off offset:400
	scratch_load_dwordx4 v[24:27], off, off offset:416
	scratch_load_dwordx4 v[28:31], off, off offset:432
	scratch_load_dwordx4 v[32:35], off, off offset:448
	scratch_load_dwordx4 v[36:39], off, off offset:464
	scratch_load_dwordx4 v[40:43], off, off offset:480
	scratch_load_dwordx4 v[44:47], off, off offset:496
	scratch_load_dwordx4 v[48:51], off, off offset:512
	scratch_load_dwordx4 v[52:55], off, off offset:528
	scratch_load_dwordx4 v[56:59], off, off offset:320
	v_mov_b32_e32 v2, 0
	ds_read_b128 v[60:63], v2 offset:848
	ds_read_b128 v[64:67], v2 offset:864
	ds_read_b128 v[68:71], v2 offset:880
	ds_read_b128 v[72:75], v2 offset:896
	ds_read_b128 v[76:79], v2 offset:912
	ds_read_b128 v[80:83], v2 offset:928
	ds_read_b128 v[84:87], v2 offset:944
	ds_read_b128 v[88:91], v2 offset:960
	ds_read_b128 v[92:95], v2 offset:976
	ds_read_b128 v[96:99], v2 offset:992
	ds_read_b128 v[100:103], v2 offset:1008
	ds_read_b128 v[104:107], v2 offset:1024
	ds_read_b128 v[108:111], v2 offset:1040
	v_cmp_lt_u32_e32 vcc, 18, v0
	s_waitcnt vmcnt(13) lgkmcnt(12)
	v_mul_f64 v[112:113], v[60:61], v[6:7]
	v_mul_f64 v[6:7], v[62:63], v[6:7]
	s_waitcnt vmcnt(12) lgkmcnt(11)
	v_mul_f64 v[114:115], v[64:65], v[10:11]
	v_mul_f64 v[10:11], v[66:67], v[10:11]
	v_fmac_f64_e32 v[112:113], v[62:63], v[4:5]
	v_fma_f64 v[4:5], v[60:61], v[4:5], -v[6:7]
	s_waitcnt vmcnt(11) lgkmcnt(10)
	v_mul_f64 v[116:117], v[68:69], v[14:15]
	v_mul_f64 v[14:15], v[70:71], v[14:15]
	v_fma_f64 v[6:7], v[64:65], v[8:9], -v[10:11]
	v_add_f64 v[4:5], v[4:5], 0
	s_waitcnt vmcnt(10) lgkmcnt(9)
	v_mul_f64 v[118:119], v[72:73], v[18:19]
	v_mul_f64 v[18:19], v[74:75], v[18:19]
	v_fmac_f64_e32 v[114:115], v[66:67], v[8:9]
	v_fma_f64 v[8:9], v[68:69], v[12:13], -v[14:15]
	v_add_f64 v[4:5], v[4:5], v[6:7]
	s_waitcnt vmcnt(9) lgkmcnt(8)
	v_mul_f64 v[120:121], v[76:77], v[22:23]
	v_mul_f64 v[22:23], v[78:79], v[22:23]
	v_fma_f64 v[10:11], v[72:73], v[16:17], -v[18:19]
	v_add_f64 v[4:5], v[4:5], v[8:9]
	s_waitcnt vmcnt(8) lgkmcnt(7)
	v_mul_f64 v[122:123], v[80:81], v[26:27]
	v_mul_f64 v[26:27], v[82:83], v[26:27]
	v_fmac_f64_e32 v[116:117], v[70:71], v[12:13]
	v_fma_f64 v[12:13], v[76:77], v[20:21], -v[22:23]
	v_add_f64 v[22:23], v[112:113], 0
	v_add_f64 v[4:5], v[4:5], v[10:11]
	s_waitcnt vmcnt(7) lgkmcnt(6)
	v_mul_f64 v[124:125], v[84:85], v[30:31]
	v_mul_f64 v[30:31], v[86:87], v[30:31]
	v_fma_f64 v[14:15], v[80:81], v[24:25], -v[26:27]
	v_add_f64 v[22:23], v[22:23], v[114:115]
	v_add_f64 v[4:5], v[4:5], v[12:13]
	s_waitcnt vmcnt(6) lgkmcnt(5)
	v_mul_f64 v[126:127], v[88:89], v[34:35]
	v_mul_f64 v[34:35], v[90:91], v[34:35]
	v_fmac_f64_e32 v[118:119], v[74:75], v[16:17]
	v_fma_f64 v[16:17], v[84:85], v[28:29], -v[30:31]
	v_add_f64 v[6:7], v[22:23], v[116:117]
	v_add_f64 v[4:5], v[4:5], v[14:15]
	s_waitcnt vmcnt(5) lgkmcnt(4)
	v_mul_f64 v[128:129], v[92:93], v[38:39]
	v_mul_f64 v[38:39], v[94:95], v[38:39]
	v_fmac_f64_e32 v[120:121], v[78:79], v[20:21]
	v_fma_f64 v[18:19], v[88:89], v[32:33], -v[34:35]
	v_add_f64 v[6:7], v[6:7], v[118:119]
	v_add_f64 v[4:5], v[4:5], v[16:17]
	v_fmac_f64_e32 v[122:123], v[82:83], v[24:25]
	v_fma_f64 v[20:21], v[92:93], v[36:37], -v[38:39]
	v_add_f64 v[6:7], v[6:7], v[120:121]
	v_add_f64 v[4:5], v[4:5], v[18:19]
	s_waitcnt vmcnt(4) lgkmcnt(3)
	v_mul_f64 v[8:9], v[98:99], v[42:43]
	v_fmac_f64_e32 v[124:125], v[86:87], v[28:29]
	v_add_f64 v[6:7], v[6:7], v[122:123]
	v_add_f64 v[4:5], v[4:5], v[20:21]
	v_fma_f64 v[8:9], v[96:97], v[40:41], -v[8:9]
	v_fmac_f64_e32 v[126:127], v[90:91], v[32:33]
	v_add_f64 v[6:7], v[6:7], v[124:125]
	v_add_f64 v[4:5], v[4:5], v[8:9]
	s_waitcnt vmcnt(3) lgkmcnt(2)
	v_mul_f64 v[8:9], v[102:103], v[46:47]
	v_mul_f64 v[130:131], v[96:97], v[42:43]
	v_fmac_f64_e32 v[128:129], v[94:95], v[36:37]
	v_add_f64 v[6:7], v[6:7], v[126:127]
	v_fma_f64 v[8:9], v[100:101], v[44:45], -v[8:9]
	v_mul_f64 v[132:133], v[100:101], v[46:47]
	v_fmac_f64_e32 v[130:131], v[98:99], v[40:41]
	v_add_f64 v[6:7], v[6:7], v[128:129]
	v_add_f64 v[4:5], v[4:5], v[8:9]
	s_waitcnt vmcnt(2) lgkmcnt(1)
	v_mul_f64 v[8:9], v[106:107], v[50:51]
	v_mul_f64 v[134:135], v[104:105], v[50:51]
	v_fmac_f64_e32 v[132:133], v[102:103], v[44:45]
	v_add_f64 v[6:7], v[6:7], v[130:131]
	v_fma_f64 v[8:9], v[104:105], v[48:49], -v[8:9]
	s_waitcnt vmcnt(1) lgkmcnt(0)
	v_mul_f64 v[136:137], v[108:109], v[54:55]
	v_fmac_f64_e32 v[134:135], v[106:107], v[48:49]
	v_add_f64 v[6:7], v[6:7], v[132:133]
	v_add_f64 v[4:5], v[4:5], v[8:9]
	v_mul_f64 v[8:9], v[110:111], v[54:55]
	v_fmac_f64_e32 v[136:137], v[110:111], v[52:53]
	v_add_f64 v[6:7], v[6:7], v[134:135]
	v_fma_f64 v[8:9], v[108:109], v[52:53], -v[8:9]
	v_add_f64 v[6:7], v[6:7], v[136:137]
	v_add_f64 v[4:5], v[4:5], v[8:9]
	s_waitcnt vmcnt(0)
	v_add_f64 v[4:5], v[56:57], -v[4:5]
	v_add_f64 v[6:7], v[58:59], -v[6:7]
	scratch_store_dwordx4 off, v[4:7], off offset:320
	s_and_saveexec_b64 s[0:1], vcc
	s_cbranch_execz .LBB32_175
; %bb.174:
	scratch_load_dwordx4 v[6:9], off, s30
	v_mov_b32_e32 v3, v2
	v_mov_b32_e32 v4, v2
	;; [unrolled: 1-line block ×3, first 2 shown]
	scratch_store_dwordx4 off, v[2:5], off offset:304
	s_waitcnt vmcnt(1)
	ds_write_b128 v1, v[6:9]
.LBB32_175:
	s_or_b64 exec, exec, s[0:1]
	s_waitcnt lgkmcnt(0)
	; wave barrier
	scratch_load_dwordx4 v[4:7], off, off offset:320
	scratch_load_dwordx4 v[8:11], off, off offset:336
	scratch_load_dwordx4 v[12:15], off, off offset:352
	scratch_load_dwordx4 v[16:19], off, off offset:368
	scratch_load_dwordx4 v[20:23], off, off offset:384
	scratch_load_dwordx4 v[24:27], off, off offset:400
	scratch_load_dwordx4 v[28:31], off, off offset:416
	scratch_load_dwordx4 v[32:35], off, off offset:432
	scratch_load_dwordx4 v[36:39], off, off offset:448
	scratch_load_dwordx4 v[40:43], off, off offset:464
	scratch_load_dwordx4 v[44:47], off, off offset:480
	scratch_load_dwordx4 v[48:51], off, off offset:496
	scratch_load_dwordx4 v[52:55], off, off offset:512
	scratch_load_dwordx4 v[56:59], off, off offset:528
	ds_read_b128 v[60:63], v2 offset:832
	ds_read_b128 v[64:67], v2 offset:848
	;; [unrolled: 1-line block ×14, first 2 shown]
	scratch_load_dwordx4 v[116:119], off, off offset:304
	v_cmp_lt_u32_e32 vcc, 17, v0
	s_waitcnt vmcnt(14) lgkmcnt(13)
	v_mul_f64 v[2:3], v[60:61], v[6:7]
	s_waitcnt vmcnt(13) lgkmcnt(12)
	v_mul_f64 v[120:121], v[64:65], v[10:11]
	v_fmac_f64_e32 v[2:3], v[62:63], v[4:5]
	s_waitcnt vmcnt(12) lgkmcnt(11)
	v_mul_f64 v[122:123], v[68:69], v[14:15]
	v_fmac_f64_e32 v[120:121], v[66:67], v[8:9]
	v_add_f64 v[2:3], v[2:3], 0
	s_waitcnt vmcnt(11) lgkmcnt(10)
	v_mul_f64 v[124:125], v[72:73], v[18:19]
	v_fmac_f64_e32 v[122:123], v[70:71], v[12:13]
	v_add_f64 v[2:3], v[2:3], v[120:121]
	;; [unrolled: 4-line block ×4, first 2 shown]
	s_waitcnt vmcnt(8) lgkmcnt(7)
	v_mul_f64 v[130:131], v[84:85], v[30:31]
	v_mul_f64 v[6:7], v[62:63], v[6:7]
	v_fmac_f64_e32 v[128:129], v[82:83], v[24:25]
	v_add_f64 v[2:3], v[2:3], v[126:127]
	s_waitcnt vmcnt(7) lgkmcnt(6)
	v_mul_f64 v[132:133], v[88:89], v[34:35]
	v_mul_f64 v[10:11], v[66:67], v[10:11]
	v_fmac_f64_e32 v[130:131], v[86:87], v[28:29]
	v_fma_f64 v[4:5], v[60:61], v[4:5], -v[6:7]
	v_add_f64 v[2:3], v[2:3], v[128:129]
	s_waitcnt vmcnt(6) lgkmcnt(5)
	v_mul_f64 v[134:135], v[92:93], v[38:39]
	v_mul_f64 v[14:15], v[70:71], v[14:15]
	v_fmac_f64_e32 v[132:133], v[90:91], v[32:33]
	v_fma_f64 v[6:7], v[64:65], v[8:9], -v[10:11]
	v_add_f64 v[4:5], v[4:5], 0
	v_add_f64 v[2:3], v[2:3], v[130:131]
	s_waitcnt vmcnt(5) lgkmcnt(4)
	v_mul_f64 v[136:137], v[96:97], v[42:43]
	v_mul_f64 v[18:19], v[74:75], v[18:19]
	v_fmac_f64_e32 v[134:135], v[94:95], v[36:37]
	v_fma_f64 v[8:9], v[68:69], v[12:13], -v[14:15]
	v_add_f64 v[4:5], v[4:5], v[6:7]
	;; [unrolled: 7-line block ×6, first 2 shown]
	v_add_f64 v[2:3], v[2:3], v[140:141]
	v_fmac_f64_e32 v[144:145], v[114:115], v[56:57]
	v_fma_f64 v[18:19], v[88:89], v[32:33], -v[34:35]
	v_add_f64 v[4:5], v[4:5], v[16:17]
	v_add_f64 v[2:3], v[2:3], v[142:143]
	;; [unrolled: 1-line block ×4, first 2 shown]
	v_mul_f64 v[4:5], v[94:95], v[38:39]
	v_fma_f64 v[4:5], v[92:93], v[36:37], -v[4:5]
	v_add_f64 v[2:3], v[2:3], v[4:5]
	v_mul_f64 v[4:5], v[98:99], v[42:43]
	v_fma_f64 v[4:5], v[96:97], v[40:41], -v[4:5]
	v_add_f64 v[2:3], v[2:3], v[4:5]
	;; [unrolled: 3-line block ×6, first 2 shown]
	s_waitcnt vmcnt(0)
	v_add_f64 v[2:3], v[116:117], -v[2:3]
	v_add_f64 v[4:5], v[118:119], -v[6:7]
	scratch_store_dwordx4 off, v[2:5], off offset:304
	s_and_saveexec_b64 s[0:1], vcc
	s_cbranch_execz .LBB32_177
; %bb.176:
	scratch_load_dwordx4 v[2:5], off, s29
	v_mov_b32_e32 v6, 0
	v_mov_b32_e32 v7, v6
	;; [unrolled: 1-line block ×4, first 2 shown]
	scratch_store_dwordx4 off, v[6:9], off offset:288
	s_waitcnt vmcnt(1)
	ds_write_b128 v1, v[2:5]
.LBB32_177:
	s_or_b64 exec, exec, s[0:1]
	s_waitcnt lgkmcnt(0)
	; wave barrier
	scratch_load_dwordx4 v[4:7], off, off offset:304
	scratch_load_dwordx4 v[8:11], off, off offset:320
	;; [unrolled: 1-line block ×16, first 2 shown]
	v_mov_b32_e32 v2, 0
	ds_read_b128 v[68:71], v2 offset:816
	ds_read_b128 v[72:75], v2 offset:832
	;; [unrolled: 1-line block ×15, first 2 shown]
	v_cmp_lt_u32_e32 vcc, 16, v0
	s_waitcnt vmcnt(15) lgkmcnt(14)
	v_mul_f64 v[128:129], v[68:69], v[6:7]
	v_mul_f64 v[6:7], v[70:71], v[6:7]
	s_waitcnt vmcnt(14) lgkmcnt(13)
	v_mul_f64 v[130:131], v[72:73], v[10:11]
	v_mul_f64 v[10:11], v[74:75], v[10:11]
	v_fmac_f64_e32 v[128:129], v[70:71], v[4:5]
	v_fma_f64 v[4:5], v[68:69], v[4:5], -v[6:7]
	s_waitcnt vmcnt(13) lgkmcnt(12)
	v_mul_f64 v[132:133], v[76:77], v[14:15]
	v_mul_f64 v[14:15], v[78:79], v[14:15]
	v_fma_f64 v[6:7], v[72:73], v[8:9], -v[10:11]
	v_add_f64 v[4:5], v[4:5], 0
	s_waitcnt vmcnt(12) lgkmcnt(11)
	v_mul_f64 v[134:135], v[80:81], v[18:19]
	v_mul_f64 v[18:19], v[82:83], v[18:19]
	v_fmac_f64_e32 v[130:131], v[74:75], v[8:9]
	v_fma_f64 v[8:9], v[76:77], v[12:13], -v[14:15]
	v_add_f64 v[4:5], v[4:5], v[6:7]
	s_waitcnt vmcnt(11) lgkmcnt(10)
	v_mul_f64 v[136:137], v[84:85], v[22:23]
	v_mul_f64 v[22:23], v[86:87], v[22:23]
	v_fma_f64 v[10:11], v[80:81], v[16:17], -v[18:19]
	v_add_f64 v[4:5], v[4:5], v[8:9]
	s_waitcnt vmcnt(10) lgkmcnt(9)
	v_mul_f64 v[138:139], v[88:89], v[26:27]
	v_mul_f64 v[26:27], v[90:91], v[26:27]
	v_fmac_f64_e32 v[132:133], v[78:79], v[12:13]
	v_fma_f64 v[12:13], v[84:85], v[20:21], -v[22:23]
	v_add_f64 v[4:5], v[4:5], v[10:11]
	v_fma_f64 v[14:15], v[88:89], v[24:25], -v[26:27]
	v_add_f64 v[4:5], v[4:5], v[12:13]
	s_waitcnt vmcnt(9) lgkmcnt(8)
	v_mul_f64 v[8:9], v[94:95], v[30:31]
	v_add_f64 v[4:5], v[4:5], v[14:15]
	v_fma_f64 v[8:9], v[92:93], v[28:29], -v[8:9]
	v_add_f64 v[4:5], v[4:5], v[8:9]
	s_waitcnt vmcnt(8) lgkmcnt(7)
	v_mul_f64 v[8:9], v[98:99], v[34:35]
	v_fma_f64 v[8:9], v[96:97], v[32:33], -v[8:9]
	v_fmac_f64_e32 v[134:135], v[82:83], v[16:17]
	v_add_f64 v[16:17], v[128:129], 0
	v_add_f64 v[4:5], v[4:5], v[8:9]
	s_waitcnt vmcnt(7) lgkmcnt(6)
	v_mul_f64 v[8:9], v[102:103], v[38:39]
	v_add_f64 v[16:17], v[16:17], v[130:131]
	v_fma_f64 v[8:9], v[100:101], v[36:37], -v[8:9]
	v_add_f64 v[6:7], v[16:17], v[132:133]
	v_add_f64 v[4:5], v[4:5], v[8:9]
	s_waitcnt vmcnt(6) lgkmcnt(5)
	v_mul_f64 v[8:9], v[106:107], v[42:43]
	v_fmac_f64_e32 v[136:137], v[86:87], v[20:21]
	v_add_f64 v[6:7], v[6:7], v[134:135]
	v_fma_f64 v[8:9], v[104:105], v[40:41], -v[8:9]
	v_mul_f64 v[140:141], v[92:93], v[30:31]
	v_fmac_f64_e32 v[138:139], v[90:91], v[24:25]
	v_add_f64 v[6:7], v[6:7], v[136:137]
	v_add_f64 v[4:5], v[4:5], v[8:9]
	s_waitcnt vmcnt(5) lgkmcnt(4)
	v_mul_f64 v[8:9], v[110:111], v[46:47]
	v_mul_f64 v[142:143], v[96:97], v[34:35]
	v_fmac_f64_e32 v[140:141], v[94:95], v[28:29]
	v_add_f64 v[6:7], v[6:7], v[138:139]
	v_fma_f64 v[8:9], v[108:109], v[44:45], -v[8:9]
	v_mul_f64 v[144:145], v[100:101], v[38:39]
	v_fmac_f64_e32 v[142:143], v[98:99], v[32:33]
	v_add_f64 v[6:7], v[6:7], v[140:141]
	v_add_f64 v[4:5], v[4:5], v[8:9]
	s_waitcnt vmcnt(4) lgkmcnt(3)
	v_mul_f64 v[8:9], v[114:115], v[50:51]
	v_mul_f64 v[146:147], v[104:105], v[42:43]
	v_fmac_f64_e32 v[144:145], v[102:103], v[36:37]
	v_add_f64 v[6:7], v[6:7], v[142:143]
	v_fma_f64 v[8:9], v[112:113], v[48:49], -v[8:9]
	v_mul_f64 v[148:149], v[108:109], v[46:47]
	v_fmac_f64_e32 v[146:147], v[106:107], v[40:41]
	v_add_f64 v[6:7], v[6:7], v[144:145]
	v_add_f64 v[4:5], v[4:5], v[8:9]
	s_waitcnt vmcnt(3) lgkmcnt(2)
	v_mul_f64 v[8:9], v[118:119], v[54:55]
	v_mul_f64 v[150:151], v[112:113], v[50:51]
	v_fmac_f64_e32 v[148:149], v[110:111], v[44:45]
	v_add_f64 v[6:7], v[6:7], v[146:147]
	v_fma_f64 v[8:9], v[116:117], v[52:53], -v[8:9]
	v_mul_f64 v[152:153], v[116:117], v[54:55]
	v_fmac_f64_e32 v[150:151], v[114:115], v[48:49]
	v_add_f64 v[6:7], v[6:7], v[148:149]
	v_add_f64 v[4:5], v[4:5], v[8:9]
	s_waitcnt vmcnt(2) lgkmcnt(1)
	v_mul_f64 v[8:9], v[122:123], v[58:59]
	v_mul_f64 v[154:155], v[120:121], v[58:59]
	v_fmac_f64_e32 v[152:153], v[118:119], v[52:53]
	v_add_f64 v[6:7], v[6:7], v[150:151]
	v_fma_f64 v[8:9], v[120:121], v[56:57], -v[8:9]
	s_waitcnt vmcnt(1) lgkmcnt(0)
	v_mul_f64 v[156:157], v[124:125], v[62:63]
	v_fmac_f64_e32 v[154:155], v[122:123], v[56:57]
	v_add_f64 v[6:7], v[6:7], v[152:153]
	v_add_f64 v[4:5], v[4:5], v[8:9]
	v_mul_f64 v[8:9], v[126:127], v[62:63]
	v_fmac_f64_e32 v[156:157], v[126:127], v[60:61]
	v_add_f64 v[6:7], v[6:7], v[154:155]
	v_fma_f64 v[8:9], v[124:125], v[60:61], -v[8:9]
	v_add_f64 v[6:7], v[6:7], v[156:157]
	v_add_f64 v[4:5], v[4:5], v[8:9]
	s_waitcnt vmcnt(0)
	v_add_f64 v[4:5], v[64:65], -v[4:5]
	v_add_f64 v[6:7], v[66:67], -v[6:7]
	scratch_store_dwordx4 off, v[4:7], off offset:288
	s_and_saveexec_b64 s[0:1], vcc
	s_cbranch_execz .LBB32_179
; %bb.178:
	scratch_load_dwordx4 v[6:9], off, s28
	v_mov_b32_e32 v3, v2
	v_mov_b32_e32 v4, v2
	v_mov_b32_e32 v5, v2
	scratch_store_dwordx4 off, v[2:5], off offset:272
	s_waitcnt vmcnt(1)
	ds_write_b128 v1, v[6:9]
.LBB32_179:
	s_or_b64 exec, exec, s[0:1]
	s_waitcnt lgkmcnt(0)
	; wave barrier
	scratch_load_dwordx4 v[4:7], off, off offset:288
	scratch_load_dwordx4 v[8:11], off, off offset:304
	;; [unrolled: 1-line block ×16, first 2 shown]
	ds_read_b128 v[68:71], v2 offset:800
	ds_read_b128 v[72:75], v2 offset:816
	;; [unrolled: 1-line block ×16, first 2 shown]
	scratch_load_dwordx4 v[132:135], off, off offset:272
	v_cmp_lt_u32_e32 vcc, 15, v0
	s_waitcnt vmcnt(16) lgkmcnt(14)
	v_mul_f64 v[2:3], v[68:69], v[6:7]
	s_waitcnt vmcnt(15)
	v_mul_f64 v[136:137], v[72:73], v[10:11]
	v_fmac_f64_e32 v[2:3], v[70:71], v[4:5]
	s_waitcnt vmcnt(14) lgkmcnt(13)
	v_mul_f64 v[138:139], v[76:77], v[14:15]
	v_fmac_f64_e32 v[136:137], v[74:75], v[8:9]
	v_add_f64 v[2:3], v[2:3], 0
	s_waitcnt vmcnt(13) lgkmcnt(12)
	v_mul_f64 v[140:141], v[80:81], v[18:19]
	v_fmac_f64_e32 v[138:139], v[78:79], v[12:13]
	v_add_f64 v[2:3], v[2:3], v[136:137]
	;; [unrolled: 4-line block ×10, first 2 shown]
	s_waitcnt vmcnt(4) lgkmcnt(3)
	v_mul_f64 v[158:159], v[116:117], v[54:55]
	v_mul_f64 v[6:7], v[70:71], v[6:7]
	v_fmac_f64_e32 v[156:157], v[114:115], v[48:49]
	v_add_f64 v[2:3], v[2:3], v[154:155]
	s_waitcnt vmcnt(3) lgkmcnt(2)
	v_mul_f64 v[160:161], v[120:121], v[58:59]
	v_mul_f64 v[10:11], v[74:75], v[10:11]
	v_fmac_f64_e32 v[158:159], v[118:119], v[52:53]
	v_fma_f64 v[4:5], v[68:69], v[4:5], -v[6:7]
	v_add_f64 v[2:3], v[2:3], v[156:157]
	s_waitcnt vmcnt(2) lgkmcnt(1)
	v_mul_f64 v[162:163], v[124:125], v[62:63]
	v_mul_f64 v[14:15], v[78:79], v[14:15]
	v_fmac_f64_e32 v[160:161], v[122:123], v[56:57]
	v_fma_f64 v[6:7], v[72:73], v[8:9], -v[10:11]
	v_add_f64 v[4:5], v[4:5], 0
	v_add_f64 v[2:3], v[2:3], v[158:159]
	s_waitcnt vmcnt(1) lgkmcnt(0)
	v_mul_f64 v[164:165], v[128:129], v[66:67]
	v_mul_f64 v[18:19], v[82:83], v[18:19]
	v_fmac_f64_e32 v[162:163], v[126:127], v[60:61]
	v_fma_f64 v[8:9], v[76:77], v[12:13], -v[14:15]
	v_add_f64 v[4:5], v[4:5], v[6:7]
	v_add_f64 v[2:3], v[2:3], v[160:161]
	v_mul_f64 v[26:27], v[86:87], v[26:27]
	v_fmac_f64_e32 v[164:165], v[130:131], v[64:65]
	v_fma_f64 v[10:11], v[80:81], v[16:17], -v[18:19]
	v_add_f64 v[4:5], v[4:5], v[8:9]
	v_add_f64 v[2:3], v[2:3], v[162:163]
	v_fma_f64 v[12:13], v[84:85], v[24:25], -v[26:27]
	v_add_f64 v[4:5], v[4:5], v[10:11]
	v_add_f64 v[6:7], v[2:3], v[164:165]
	v_mul_f64 v[2:3], v[90:91], v[22:23]
	v_add_f64 v[4:5], v[4:5], v[12:13]
	v_fma_f64 v[2:3], v[88:89], v[20:21], -v[2:3]
	v_add_f64 v[2:3], v[4:5], v[2:3]
	v_mul_f64 v[4:5], v[94:95], v[30:31]
	v_fma_f64 v[4:5], v[92:93], v[28:29], -v[4:5]
	v_add_f64 v[2:3], v[2:3], v[4:5]
	v_mul_f64 v[4:5], v[98:99], v[34:35]
	;; [unrolled: 3-line block ×10, first 2 shown]
	v_fma_f64 v[4:5], v[128:129], v[64:65], -v[4:5]
	v_add_f64 v[2:3], v[2:3], v[4:5]
	s_waitcnt vmcnt(0)
	v_add_f64 v[2:3], v[132:133], -v[2:3]
	v_add_f64 v[4:5], v[134:135], -v[6:7]
	scratch_store_dwordx4 off, v[2:5], off offset:272
	s_and_saveexec_b64 s[0:1], vcc
	s_cbranch_execz .LBB32_181
; %bb.180:
	scratch_load_dwordx4 v[2:5], off, s27
	v_mov_b32_e32 v6, 0
	v_mov_b32_e32 v7, v6
	;; [unrolled: 1-line block ×4, first 2 shown]
	scratch_store_dwordx4 off, v[6:9], off offset:256
	s_waitcnt vmcnt(1)
	ds_write_b128 v1, v[2:5]
.LBB32_181:
	s_or_b64 exec, exec, s[0:1]
	s_waitcnt lgkmcnt(0)
	; wave barrier
	scratch_load_dwordx4 v[4:7], off, off offset:272
	scratch_load_dwordx4 v[8:11], off, off offset:288
	;; [unrolled: 1-line block ×18, first 2 shown]
	v_mov_b32_e32 v2, 0
	ds_read_b128 v[76:79], v2 offset:784
	ds_read_b128 v[80:83], v2 offset:800
	;; [unrolled: 1-line block ×17, first 2 shown]
	v_cmp_lt_u32_e32 vcc, 14, v0
	s_waitcnt vmcnt(17) lgkmcnt(14)
	v_mul_f64 v[144:145], v[76:77], v[6:7]
	v_mul_f64 v[6:7], v[78:79], v[6:7]
	s_waitcnt vmcnt(16)
	v_mul_f64 v[146:147], v[80:81], v[10:11]
	v_mul_f64 v[10:11], v[82:83], v[10:11]
	v_fmac_f64_e32 v[144:145], v[78:79], v[4:5]
	v_fma_f64 v[4:5], v[76:77], v[4:5], -v[6:7]
	s_waitcnt vmcnt(15)
	v_mul_f64 v[148:149], v[84:85], v[18:19]
	v_mul_f64 v[18:19], v[86:87], v[18:19]
	v_fma_f64 v[6:7], v[80:81], v[8:9], -v[10:11]
	v_add_f64 v[4:5], v[4:5], 0
	s_waitcnt vmcnt(14) lgkmcnt(13)
	v_mul_f64 v[150:151], v[88:89], v[14:15]
	v_mul_f64 v[14:15], v[90:91], v[14:15]
	v_fmac_f64_e32 v[146:147], v[82:83], v[8:9]
	v_fma_f64 v[8:9], v[84:85], v[16:17], -v[18:19]
	v_add_f64 v[4:5], v[4:5], v[6:7]
	v_add_f64 v[4:5], v[4:5], v[8:9]
	v_fma_f64 v[8:9], v[88:89], v[12:13], -v[14:15]
	v_add_f64 v[4:5], v[4:5], v[8:9]
	s_waitcnt vmcnt(13) lgkmcnt(12)
	v_mul_f64 v[8:9], v[94:95], v[22:23]
	v_fma_f64 v[8:9], v[92:93], v[20:21], -v[8:9]
	v_add_f64 v[4:5], v[4:5], v[8:9]
	s_waitcnt vmcnt(12) lgkmcnt(11)
	v_mul_f64 v[8:9], v[98:99], v[26:27]
	;; [unrolled: 4-line block ×5, first 2 shown]
	v_fma_f64 v[8:9], v[108:109], v[36:37], -v[8:9]
	v_add_f64 v[10:11], v[144:145], 0
	v_add_f64 v[4:5], v[4:5], v[8:9]
	s_waitcnt vmcnt(8) lgkmcnt(7)
	v_mul_f64 v[8:9], v[114:115], v[42:43]
	v_fmac_f64_e32 v[148:149], v[86:87], v[16:17]
	v_add_f64 v[10:11], v[10:11], v[146:147]
	v_fma_f64 v[8:9], v[112:113], v[40:41], -v[8:9]
	v_mul_f64 v[152:153], v[92:93], v[22:23]
	v_fmac_f64_e32 v[150:151], v[90:91], v[12:13]
	v_add_f64 v[6:7], v[10:11], v[148:149]
	v_add_f64 v[4:5], v[4:5], v[8:9]
	s_waitcnt vmcnt(7) lgkmcnt(6)
	v_mul_f64 v[8:9], v[118:119], v[46:47]
	v_mul_f64 v[154:155], v[96:97], v[26:27]
	v_fmac_f64_e32 v[152:153], v[94:95], v[20:21]
	v_add_f64 v[6:7], v[6:7], v[150:151]
	v_fma_f64 v[8:9], v[116:117], v[44:45], -v[8:9]
	v_mul_f64 v[156:157], v[100:101], v[30:31]
	v_fmac_f64_e32 v[154:155], v[98:99], v[24:25]
	v_add_f64 v[6:7], v[6:7], v[152:153]
	v_add_f64 v[4:5], v[4:5], v[8:9]
	s_waitcnt vmcnt(6) lgkmcnt(5)
	v_mul_f64 v[8:9], v[122:123], v[50:51]
	;; [unrolled: 10-line block ×6, first 2 shown]
	v_mul_f64 v[174:175], v[136:137], v[66:67]
	v_fmac_f64_e32 v[172:173], v[134:135], v[60:61]
	v_add_f64 v[6:7], v[6:7], v[170:171]
	v_fma_f64 v[8:9], v[136:137], v[64:65], -v[8:9]
	s_waitcnt vmcnt(1) lgkmcnt(0)
	v_mul_f64 v[176:177], v[140:141], v[70:71]
	v_fmac_f64_e32 v[174:175], v[138:139], v[64:65]
	v_add_f64 v[6:7], v[6:7], v[172:173]
	v_add_f64 v[4:5], v[4:5], v[8:9]
	v_mul_f64 v[8:9], v[142:143], v[70:71]
	v_fmac_f64_e32 v[176:177], v[142:143], v[68:69]
	v_add_f64 v[6:7], v[6:7], v[174:175]
	v_fma_f64 v[8:9], v[140:141], v[68:69], -v[8:9]
	v_add_f64 v[6:7], v[6:7], v[176:177]
	v_add_f64 v[4:5], v[4:5], v[8:9]
	s_waitcnt vmcnt(0)
	v_add_f64 v[4:5], v[72:73], -v[4:5]
	v_add_f64 v[6:7], v[74:75], -v[6:7]
	scratch_store_dwordx4 off, v[4:7], off offset:256
	s_and_saveexec_b64 s[0:1], vcc
	s_cbranch_execz .LBB32_183
; %bb.182:
	scratch_load_dwordx4 v[6:9], off, s48
	v_mov_b32_e32 v3, v2
	v_mov_b32_e32 v4, v2
	v_mov_b32_e32 v5, v2
	scratch_store_dwordx4 off, v[2:5], off offset:240
	s_waitcnt vmcnt(1)
	ds_write_b128 v1, v[6:9]
.LBB32_183:
	s_or_b64 exec, exec, s[0:1]
	s_waitcnt lgkmcnt(0)
	; wave barrier
	scratch_load_dwordx4 v[4:7], off, off offset:256
	scratch_load_dwordx4 v[12:15], off, off offset:272
	;; [unrolled: 1-line block ×18, first 2 shown]
	ds_read_b128 v[76:79], v2 offset:768
	ds_read_b128 v[80:83], v2 offset:784
	;; [unrolled: 1-line block ×18, first 2 shown]
	scratch_load_dwordx4 v[148:151], off, off offset:240
	v_cmp_lt_u32_e32 vcc, 13, v0
	s_waitcnt vmcnt(18) lgkmcnt(14)
	v_mul_f64 v[2:3], v[76:77], v[6:7]
	s_waitcnt vmcnt(17)
	v_mul_f64 v[152:153], v[80:81], v[14:15]
	v_fmac_f64_e32 v[2:3], v[78:79], v[4:5]
	s_waitcnt vmcnt(16)
	v_mul_f64 v[154:155], v[84:85], v[10:11]
	v_fmac_f64_e32 v[152:153], v[82:83], v[12:13]
	v_add_f64 v[2:3], v[2:3], 0
	s_waitcnt vmcnt(15)
	v_mul_f64 v[156:157], v[88:89], v[18:19]
	v_fmac_f64_e32 v[154:155], v[86:87], v[8:9]
	v_add_f64 v[2:3], v[2:3], v[152:153]
	s_waitcnt vmcnt(14) lgkmcnt(13)
	v_mul_f64 v[158:159], v[92:93], v[22:23]
	v_fmac_f64_e32 v[156:157], v[90:91], v[16:17]
	v_add_f64 v[2:3], v[2:3], v[154:155]
	s_waitcnt vmcnt(13) lgkmcnt(12)
	;; [unrolled: 4-line block ×13, first 2 shown]
	v_mul_f64 v[182:183], v[140:141], v[70:71]
	v_mul_f64 v[6:7], v[78:79], v[6:7]
	v_fmac_f64_e32 v[180:181], v[138:139], v[64:65]
	v_add_f64 v[2:3], v[2:3], v[178:179]
	s_waitcnt vmcnt(1) lgkmcnt(0)
	v_mul_f64 v[184:185], v[144:145], v[74:75]
	v_mul_f64 v[14:15], v[82:83], v[14:15]
	v_fmac_f64_e32 v[182:183], v[142:143], v[68:69]
	v_fma_f64 v[4:5], v[76:77], v[4:5], -v[6:7]
	v_add_f64 v[2:3], v[2:3], v[180:181]
	v_mul_f64 v[10:11], v[86:87], v[10:11]
	v_fmac_f64_e32 v[184:185], v[146:147], v[72:73]
	v_fma_f64 v[6:7], v[80:81], v[12:13], -v[14:15]
	v_add_f64 v[4:5], v[4:5], 0
	v_add_f64 v[2:3], v[2:3], v[182:183]
	;; [unrolled: 1-line block ×4, first 2 shown]
	v_fma_f64 v[2:3], v[84:85], v[8:9], -v[10:11]
	v_add_f64 v[2:3], v[4:5], v[2:3]
	v_mul_f64 v[4:5], v[90:91], v[18:19]
	v_fma_f64 v[4:5], v[88:89], v[16:17], -v[4:5]
	v_add_f64 v[2:3], v[2:3], v[4:5]
	v_mul_f64 v[4:5], v[94:95], v[22:23]
	;; [unrolled: 3-line block ×15, first 2 shown]
	v_fma_f64 v[4:5], v[144:145], v[72:73], -v[4:5]
	v_add_f64 v[2:3], v[2:3], v[4:5]
	s_waitcnt vmcnt(0)
	v_add_f64 v[2:3], v[148:149], -v[2:3]
	v_add_f64 v[4:5], v[150:151], -v[6:7]
	scratch_store_dwordx4 off, v[2:5], off offset:240
	s_and_saveexec_b64 s[0:1], vcc
	s_cbranch_execz .LBB32_185
; %bb.184:
	scratch_load_dwordx4 v[2:5], off, s47
	v_mov_b32_e32 v6, 0
	v_mov_b32_e32 v7, v6
	;; [unrolled: 1-line block ×4, first 2 shown]
	scratch_store_dwordx4 off, v[6:9], off offset:224
	s_waitcnt vmcnt(1)
	ds_write_b128 v1, v[2:5]
.LBB32_185:
	s_or_b64 exec, exec, s[0:1]
	v_mov_b32_e32 v2, 0
	s_waitcnt lgkmcnt(0)
	; wave barrier
	ds_read_b128 v[16:19], v2 offset:752
	ds_read_b128 v[12:15], v2 offset:768
	;; [unrolled: 1-line block ×4, first 2 shown]
	scratch_load_dwordx4 v[20:23], off, off offset:240
	scratch_load_dwordx4 v[40:43], off, off offset:304
	;; [unrolled: 1-line block ×13, first 2 shown]
	v_cmp_lt_u32_e32 vcc, 12, v0
	scratch_load_dwordx4 v[48:51], off, off offset:320
	scratch_load_dwordx4 v[56:59], off, off offset:336
	;; [unrolled: 1-line block ×3, first 2 shown]
	s_waitcnt vmcnt(15) lgkmcnt(3)
	v_mul_f64 v[24:25], v[16:17], v[22:23]
	v_fmac_f64_e32 v[24:25], v[18:19], v[20:21]
	v_add_f64 v[28:29], v[24:25], 0
	scratch_load_dwordx4 v[24:27], off, off offset:256
	v_mul_f64 v[18:19], v[18:19], v[22:23]
	v_fma_f64 v[16:17], v[16:17], v[20:21], -v[18:19]
	v_add_f64 v[16:17], v[16:17], 0
	s_waitcnt vmcnt(0) lgkmcnt(2)
	v_mul_f64 v[30:31], v[12:13], v[26:27]
	v_fmac_f64_e32 v[30:31], v[14:15], v[24:25]
	v_add_f64 v[32:33], v[28:29], v[30:31]
	scratch_load_dwordx4 v[28:31], off, off offset:272
	v_mul_f64 v[14:15], v[14:15], v[26:27]
	v_fma_f64 v[12:13], v[12:13], v[24:25], -v[14:15]
	v_add_f64 v[12:13], v[16:17], v[12:13]
	;; [unrolled: 8-line block ×3, first 2 shown]
	s_waitcnt vmcnt(0) lgkmcnt(0)
	v_mul_f64 v[38:39], v[4:5], v[34:35]
	v_fmac_f64_e32 v[38:39], v[6:7], v[32:33]
	v_add_f64 v[44:45], v[36:37], v[38:39]
	ds_read_b128 v[36:39], v2 offset:816
	v_mul_f64 v[6:7], v[6:7], v[34:35]
	v_fma_f64 v[4:5], v[4:5], v[32:33], -v[6:7]
	v_add_f64 v[4:5], v[8:9], v[4:5]
	s_waitcnt lgkmcnt(0)
	v_mul_f64 v[46:47], v[36:37], v[42:43]
	v_fmac_f64_e32 v[46:47], v[38:39], v[40:41]
	v_add_f64 v[52:53], v[44:45], v[46:47]
	ds_read_b128 v[44:47], v2 offset:832
	v_mul_f64 v[6:7], v[38:39], v[42:43]
	v_fma_f64 v[6:7], v[36:37], v[40:41], -v[6:7]
	v_add_f64 v[4:5], v[4:5], v[6:7]
	s_waitcnt lgkmcnt(0)
	;; [unrolled: 8-line block ×15, first 2 shown]
	v_mul_f64 v[6:7], v[152:153], v[156:157]
	v_fma_f64 v[6:7], v[150:151], v[154:155], -v[6:7]
	v_add_f64 v[8:9], v[4:5], v[6:7]
	scratch_load_dwordx4 v[4:7], off, off offset:224
	v_mul_f64 v[158:159], v[150:151], v[156:157]
	v_fmac_f64_e32 v[158:159], v[152:153], v[154:155]
	v_add_f64 v[88:89], v[88:89], v[158:159]
	s_waitcnt vmcnt(0)
	v_add_f64 v[4:5], v[4:5], -v[8:9]
	v_add_f64 v[6:7], v[6:7], -v[88:89]
	scratch_store_dwordx4 off, v[4:7], off offset:224
	s_and_saveexec_b64 s[0:1], vcc
	s_cbranch_execz .LBB32_187
; %bb.186:
	scratch_load_dwordx4 v[6:9], off, s46
	v_mov_b32_e32 v3, v2
	v_mov_b32_e32 v4, v2
	;; [unrolled: 1-line block ×3, first 2 shown]
	scratch_store_dwordx4 off, v[2:5], off offset:208
	s_waitcnt vmcnt(1)
	ds_write_b128 v1, v[6:9]
.LBB32_187:
	s_or_b64 exec, exec, s[0:1]
	s_waitcnt lgkmcnt(0)
	; wave barrier
	ds_read_b128 v[16:19], v2 offset:736
	ds_read_b128 v[12:15], v2 offset:752
	;; [unrolled: 1-line block ×4, first 2 shown]
	scratch_load_dwordx4 v[20:23], off, off offset:224
	scratch_load_dwordx4 v[40:43], off, off offset:288
	;; [unrolled: 1-line block ×14, first 2 shown]
	v_cmp_lt_u32_e32 vcc, 11, v0
	scratch_load_dwordx4 v[48:51], off, off offset:304
	scratch_load_dwordx4 v[56:59], off, off offset:320
	;; [unrolled: 1-line block ×3, first 2 shown]
	s_waitcnt vmcnt(16) lgkmcnt(3)
	v_mul_f64 v[24:25], v[16:17], v[22:23]
	v_fmac_f64_e32 v[24:25], v[18:19], v[20:21]
	v_add_f64 v[28:29], v[24:25], 0
	scratch_load_dwordx4 v[24:27], off, off offset:240
	s_waitcnt vmcnt(0) lgkmcnt(2)
	v_mul_f64 v[30:31], v[12:13], v[26:27]
	v_fmac_f64_e32 v[30:31], v[14:15], v[24:25]
	v_add_f64 v[32:33], v[28:29], v[30:31]
	scratch_load_dwordx4 v[28:31], off, off offset:256
	v_mul_f64 v[14:15], v[14:15], v[26:27]
	v_fma_f64 v[12:13], v[12:13], v[24:25], -v[14:15]
	s_waitcnt vmcnt(0) lgkmcnt(1)
	v_mul_f64 v[34:35], v[8:9], v[30:31]
	v_fmac_f64_e32 v[34:35], v[10:11], v[28:29]
	v_add_f64 v[36:37], v[32:33], v[34:35]
	scratch_load_dwordx4 v[32:35], off, off offset:272
	v_mul_f64 v[10:11], v[10:11], v[30:31]
	v_fma_f64 v[8:9], v[8:9], v[28:29], -v[10:11]
	s_waitcnt vmcnt(0) lgkmcnt(0)
	v_mul_f64 v[38:39], v[4:5], v[34:35]
	v_fmac_f64_e32 v[38:39], v[6:7], v[32:33]
	v_add_f64 v[44:45], v[36:37], v[38:39]
	ds_read_b128 v[36:39], v2 offset:800
	v_mul_f64 v[6:7], v[6:7], v[34:35]
	v_fma_f64 v[4:5], v[4:5], v[32:33], -v[6:7]
	s_waitcnt lgkmcnt(0)
	v_mul_f64 v[46:47], v[36:37], v[42:43]
	v_fmac_f64_e32 v[46:47], v[38:39], v[40:41]
	v_add_f64 v[52:53], v[44:45], v[46:47]
	ds_read_b128 v[44:47], v2 offset:816
	s_waitcnt lgkmcnt(0)
	v_mul_f64 v[54:55], v[44:45], v[50:51]
	v_fmac_f64_e32 v[54:55], v[46:47], v[48:49]
	v_add_f64 v[60:61], v[52:53], v[54:55]
	ds_read_b128 v[52:55], v2 offset:832
	;; [unrolled: 5-line block ×15, first 2 shown]
	s_waitcnt lgkmcnt(0)
	v_mul_f64 v[2:3], v[158:159], v[164:165]
	v_fmac_f64_e32 v[2:3], v[160:161], v[162:163]
	v_add_f64 v[96:97], v[96:97], v[2:3]
	v_mul_f64 v[2:3], v[18:19], v[22:23]
	v_fma_f64 v[2:3], v[16:17], v[20:21], -v[2:3]
	v_add_f64 v[2:3], v[2:3], 0
	v_add_f64 v[2:3], v[2:3], v[12:13]
	;; [unrolled: 1-line block ×4, first 2 shown]
	v_mul_f64 v[4:5], v[38:39], v[42:43]
	v_fma_f64 v[4:5], v[36:37], v[40:41], -v[4:5]
	v_add_f64 v[2:3], v[2:3], v[4:5]
	v_mul_f64 v[4:5], v[46:47], v[50:51]
	v_fma_f64 v[4:5], v[44:45], v[48:49], -v[4:5]
	v_add_f64 v[2:3], v[2:3], v[4:5]
	;; [unrolled: 3-line block ×16, first 2 shown]
	scratch_load_dwordx4 v[2:5], off, off offset:208
	s_waitcnt vmcnt(0)
	v_add_f64 v[2:3], v[2:3], -v[6:7]
	v_add_f64 v[4:5], v[4:5], -v[96:97]
	scratch_store_dwordx4 off, v[2:5], off offset:208
	s_and_saveexec_b64 s[0:1], vcc
	s_cbranch_execz .LBB32_189
; %bb.188:
	scratch_load_dwordx4 v[2:5], off, s26
	v_mov_b32_e32 v6, 0
	v_mov_b32_e32 v7, v6
	;; [unrolled: 1-line block ×4, first 2 shown]
	scratch_store_dwordx4 off, v[6:9], off offset:192
	s_waitcnt vmcnt(1)
	ds_write_b128 v1, v[2:5]
.LBB32_189:
	s_or_b64 exec, exec, s[0:1]
	v_mov_b32_e32 v2, 0
	s_waitcnt lgkmcnt(0)
	; wave barrier
	ds_read_b128 v[16:19], v2 offset:720
	ds_read_b128 v[12:15], v2 offset:736
	;; [unrolled: 1-line block ×4, first 2 shown]
	scratch_load_dwordx4 v[20:23], off, off offset:208
	scratch_load_dwordx4 v[40:43], off, off offset:272
	;; [unrolled: 1-line block ×15, first 2 shown]
	v_cmp_lt_u32_e32 vcc, 10, v0
	scratch_load_dwordx4 v[48:51], off, off offset:288
	scratch_load_dwordx4 v[56:59], off, off offset:304
	;; [unrolled: 1-line block ×3, first 2 shown]
	s_waitcnt vmcnt(17) lgkmcnt(3)
	v_mul_f64 v[24:25], v[16:17], v[22:23]
	v_fmac_f64_e32 v[24:25], v[18:19], v[20:21]
	v_add_f64 v[28:29], v[24:25], 0
	scratch_load_dwordx4 v[24:27], off, off offset:224
	v_mul_f64 v[18:19], v[18:19], v[22:23]
	v_fma_f64 v[16:17], v[16:17], v[20:21], -v[18:19]
	v_add_f64 v[16:17], v[16:17], 0
	s_waitcnt vmcnt(0) lgkmcnt(2)
	v_mul_f64 v[30:31], v[12:13], v[26:27]
	v_fmac_f64_e32 v[30:31], v[14:15], v[24:25]
	v_add_f64 v[32:33], v[28:29], v[30:31]
	scratch_load_dwordx4 v[28:31], off, off offset:240
	v_mul_f64 v[14:15], v[14:15], v[26:27]
	v_fma_f64 v[12:13], v[12:13], v[24:25], -v[14:15]
	v_add_f64 v[12:13], v[16:17], v[12:13]
	;; [unrolled: 8-line block ×3, first 2 shown]
	s_waitcnt vmcnt(0) lgkmcnt(0)
	v_mul_f64 v[38:39], v[4:5], v[34:35]
	v_fmac_f64_e32 v[38:39], v[6:7], v[32:33]
	v_add_f64 v[44:45], v[36:37], v[38:39]
	ds_read_b128 v[36:39], v2 offset:784
	v_mul_f64 v[6:7], v[6:7], v[34:35]
	v_fma_f64 v[4:5], v[4:5], v[32:33], -v[6:7]
	v_add_f64 v[4:5], v[8:9], v[4:5]
	s_waitcnt lgkmcnt(0)
	v_mul_f64 v[46:47], v[36:37], v[42:43]
	v_fmac_f64_e32 v[46:47], v[38:39], v[40:41]
	v_add_f64 v[52:53], v[44:45], v[46:47]
	ds_read_b128 v[44:47], v2 offset:800
	v_mul_f64 v[6:7], v[38:39], v[42:43]
	v_fma_f64 v[6:7], v[36:37], v[40:41], -v[6:7]
	v_add_f64 v[4:5], v[4:5], v[6:7]
	s_waitcnt lgkmcnt(0)
	;; [unrolled: 8-line block ×17, first 2 shown]
	v_mul_f64 v[6:7], v[168:169], v[172:173]
	v_fma_f64 v[6:7], v[166:167], v[170:171], -v[6:7]
	v_add_f64 v[8:9], v[4:5], v[6:7]
	scratch_load_dwordx4 v[4:7], off, off offset:192
	v_mul_f64 v[174:175], v[166:167], v[172:173]
	v_fmac_f64_e32 v[174:175], v[168:169], v[170:171]
	v_add_f64 v[104:105], v[104:105], v[174:175]
	s_waitcnt vmcnt(0)
	v_add_f64 v[4:5], v[4:5], -v[8:9]
	v_add_f64 v[6:7], v[6:7], -v[104:105]
	scratch_store_dwordx4 off, v[4:7], off offset:192
	s_and_saveexec_b64 s[0:1], vcc
	s_cbranch_execz .LBB32_191
; %bb.190:
	scratch_load_dwordx4 v[6:9], off, s24
	v_mov_b32_e32 v3, v2
	v_mov_b32_e32 v4, v2
	;; [unrolled: 1-line block ×3, first 2 shown]
	scratch_store_dwordx4 off, v[2:5], off offset:176
	s_waitcnt vmcnt(1)
	ds_write_b128 v1, v[6:9]
.LBB32_191:
	s_or_b64 exec, exec, s[0:1]
	s_waitcnt lgkmcnt(0)
	; wave barrier
	ds_read_b128 v[16:19], v2 offset:704
	ds_read_b128 v[12:15], v2 offset:720
	;; [unrolled: 1-line block ×4, first 2 shown]
	scratch_load_dwordx4 v[20:23], off, off offset:192
	scratch_load_dwordx4 v[40:43], off, off offset:256
	;; [unrolled: 1-line block ×16, first 2 shown]
	v_cmp_lt_u32_e32 vcc, 9, v0
	scratch_load_dwordx4 v[48:51], off, off offset:272
	scratch_load_dwordx4 v[56:59], off, off offset:288
	;; [unrolled: 1-line block ×3, first 2 shown]
	s_waitcnt vmcnt(18) lgkmcnt(3)
	v_mul_f64 v[24:25], v[16:17], v[22:23]
	v_fmac_f64_e32 v[24:25], v[18:19], v[20:21]
	v_add_f64 v[28:29], v[24:25], 0
	scratch_load_dwordx4 v[24:27], off, off offset:208
	s_waitcnt vmcnt(0) lgkmcnt(2)
	v_mul_f64 v[30:31], v[12:13], v[26:27]
	v_fmac_f64_e32 v[30:31], v[14:15], v[24:25]
	v_add_f64 v[32:33], v[28:29], v[30:31]
	scratch_load_dwordx4 v[28:31], off, off offset:224
	v_mul_f64 v[14:15], v[14:15], v[26:27]
	v_fma_f64 v[12:13], v[12:13], v[24:25], -v[14:15]
	s_waitcnt vmcnt(0) lgkmcnt(1)
	v_mul_f64 v[34:35], v[8:9], v[30:31]
	v_fmac_f64_e32 v[34:35], v[10:11], v[28:29]
	v_add_f64 v[36:37], v[32:33], v[34:35]
	scratch_load_dwordx4 v[32:35], off, off offset:240
	v_mul_f64 v[10:11], v[10:11], v[30:31]
	v_fma_f64 v[8:9], v[8:9], v[28:29], -v[10:11]
	s_waitcnt vmcnt(0) lgkmcnt(0)
	v_mul_f64 v[38:39], v[4:5], v[34:35]
	v_fmac_f64_e32 v[38:39], v[6:7], v[32:33]
	v_add_f64 v[44:45], v[36:37], v[38:39]
	ds_read_b128 v[36:39], v2 offset:768
	v_mul_f64 v[6:7], v[6:7], v[34:35]
	v_fma_f64 v[4:5], v[4:5], v[32:33], -v[6:7]
	s_waitcnt lgkmcnt(0)
	v_mul_f64 v[46:47], v[36:37], v[42:43]
	v_fmac_f64_e32 v[46:47], v[38:39], v[40:41]
	v_add_f64 v[52:53], v[44:45], v[46:47]
	ds_read_b128 v[44:47], v2 offset:784
	s_waitcnt lgkmcnt(0)
	v_mul_f64 v[54:55], v[44:45], v[50:51]
	v_fmac_f64_e32 v[54:55], v[46:47], v[48:49]
	v_add_f64 v[60:61], v[52:53], v[54:55]
	ds_read_b128 v[52:55], v2 offset:800
	s_waitcnt lgkmcnt(0)
	v_mul_f64 v[62:63], v[52:53], v[58:59]
	v_fmac_f64_e32 v[62:63], v[54:55], v[56:57]
	v_add_f64 v[68:69], v[60:61], v[62:63]
	ds_read_b128 v[60:63], v2 offset:816
	s_waitcnt lgkmcnt(0)
	v_mul_f64 v[70:71], v[60:61], v[66:67]
	v_fmac_f64_e32 v[70:71], v[62:63], v[64:65]
	v_add_f64 v[76:77], v[68:69], v[70:71]
	ds_read_b128 v[68:71], v2 offset:832
	s_waitcnt lgkmcnt(0)
	v_mul_f64 v[78:79], v[68:69], v[74:75]
	v_fmac_f64_e32 v[78:79], v[70:71], v[72:73]
	v_add_f64 v[84:85], v[76:77], v[78:79]
	ds_read_b128 v[76:79], v2 offset:848
	s_waitcnt lgkmcnt(0)
	v_mul_f64 v[86:87], v[76:77], v[82:83]
	v_fmac_f64_e32 v[86:87], v[78:79], v[80:81]
	v_add_f64 v[92:93], v[84:85], v[86:87]
	ds_read_b128 v[84:87], v2 offset:864
	s_waitcnt lgkmcnt(0)
	v_mul_f64 v[94:95], v[84:85], v[90:91]
	v_fmac_f64_e32 v[94:95], v[86:87], v[88:89]
	v_add_f64 v[100:101], v[92:93], v[94:95]
	ds_read_b128 v[92:95], v2 offset:880
	s_waitcnt lgkmcnt(0)
	v_mul_f64 v[102:103], v[92:93], v[98:99]
	v_fmac_f64_e32 v[102:103], v[94:95], v[96:97]
	v_add_f64 v[108:109], v[100:101], v[102:103]
	ds_read_b128 v[100:103], v2 offset:896
	s_waitcnt lgkmcnt(0)
	v_mul_f64 v[110:111], v[100:101], v[106:107]
	v_fmac_f64_e32 v[110:111], v[102:103], v[104:105]
	v_add_f64 v[116:117], v[108:109], v[110:111]
	ds_read_b128 v[108:111], v2 offset:912
	s_waitcnt lgkmcnt(0)
	v_mul_f64 v[118:119], v[108:109], v[114:115]
	v_fmac_f64_e32 v[118:119], v[110:111], v[112:113]
	v_add_f64 v[120:121], v[116:117], v[118:119]
	ds_read_b128 v[116:119], v2 offset:928
	s_waitcnt lgkmcnt(0)
	v_mul_f64 v[126:127], v[116:117], v[124:125]
	v_fmac_f64_e32 v[126:127], v[118:119], v[122:123]
	v_add_f64 v[120:121], v[120:121], v[126:127]
	ds_read_b128 v[126:129], v2 offset:944
	s_waitcnt lgkmcnt(0)
	v_mul_f64 v[134:135], v[126:127], v[132:133]
	v_fmac_f64_e32 v[134:135], v[128:129], v[130:131]
	v_add_f64 v[120:121], v[120:121], v[134:135]
	ds_read_b128 v[134:137], v2 offset:960
	s_waitcnt lgkmcnt(0)
	v_mul_f64 v[142:143], v[134:135], v[140:141]
	v_fmac_f64_e32 v[142:143], v[136:137], v[138:139]
	v_add_f64 v[120:121], v[120:121], v[142:143]
	ds_read_b128 v[142:145], v2 offset:976
	s_waitcnt lgkmcnt(0)
	v_mul_f64 v[150:151], v[142:143], v[148:149]
	v_fmac_f64_e32 v[150:151], v[144:145], v[146:147]
	v_add_f64 v[120:121], v[120:121], v[150:151]
	ds_read_b128 v[150:153], v2 offset:992
	s_waitcnt lgkmcnt(0)
	v_mul_f64 v[158:159], v[150:151], v[156:157]
	v_fmac_f64_e32 v[158:159], v[152:153], v[154:155]
	v_add_f64 v[120:121], v[120:121], v[158:159]
	ds_read_b128 v[158:161], v2 offset:1008
	s_waitcnt lgkmcnt(0)
	v_mul_f64 v[166:167], v[158:159], v[164:165]
	v_fmac_f64_e32 v[166:167], v[160:161], v[162:163]
	v_add_f64 v[120:121], v[120:121], v[166:167]
	ds_read_b128 v[166:169], v2 offset:1024
	s_waitcnt lgkmcnt(0)
	v_mul_f64 v[174:175], v[166:167], v[172:173]
	v_fmac_f64_e32 v[174:175], v[168:169], v[170:171]
	v_add_f64 v[120:121], v[120:121], v[174:175]
	ds_read_b128 v[174:177], v2 offset:1040
	s_waitcnt lgkmcnt(0)
	v_mul_f64 v[2:3], v[174:175], v[180:181]
	v_fmac_f64_e32 v[2:3], v[176:177], v[178:179]
	v_add_f64 v[120:121], v[120:121], v[2:3]
	v_mul_f64 v[2:3], v[18:19], v[22:23]
	v_fma_f64 v[2:3], v[16:17], v[20:21], -v[2:3]
	v_add_f64 v[2:3], v[2:3], 0
	v_add_f64 v[2:3], v[2:3], v[12:13]
	;; [unrolled: 1-line block ×4, first 2 shown]
	v_mul_f64 v[4:5], v[38:39], v[42:43]
	v_fma_f64 v[4:5], v[36:37], v[40:41], -v[4:5]
	v_add_f64 v[2:3], v[2:3], v[4:5]
	v_mul_f64 v[4:5], v[46:47], v[50:51]
	v_fma_f64 v[4:5], v[44:45], v[48:49], -v[4:5]
	v_add_f64 v[2:3], v[2:3], v[4:5]
	v_mul_f64 v[4:5], v[54:55], v[58:59]
	v_fma_f64 v[4:5], v[52:53], v[56:57], -v[4:5]
	v_add_f64 v[2:3], v[2:3], v[4:5]
	v_mul_f64 v[4:5], v[62:63], v[66:67]
	v_fma_f64 v[4:5], v[60:61], v[64:65], -v[4:5]
	v_add_f64 v[2:3], v[2:3], v[4:5]
	v_mul_f64 v[4:5], v[70:71], v[74:75]
	v_fma_f64 v[4:5], v[68:69], v[72:73], -v[4:5]
	v_add_f64 v[2:3], v[2:3], v[4:5]
	v_mul_f64 v[4:5], v[78:79], v[82:83]
	v_fma_f64 v[4:5], v[76:77], v[80:81], -v[4:5]
	v_add_f64 v[2:3], v[2:3], v[4:5]
	v_mul_f64 v[4:5], v[86:87], v[90:91]
	v_fma_f64 v[4:5], v[84:85], v[88:89], -v[4:5]
	v_add_f64 v[2:3], v[2:3], v[4:5]
	v_mul_f64 v[4:5], v[94:95], v[98:99]
	v_fma_f64 v[4:5], v[92:93], v[96:97], -v[4:5]
	v_add_f64 v[2:3], v[2:3], v[4:5]
	v_mul_f64 v[4:5], v[102:103], v[106:107]
	v_fma_f64 v[4:5], v[100:101], v[104:105], -v[4:5]
	v_add_f64 v[2:3], v[2:3], v[4:5]
	v_mul_f64 v[4:5], v[110:111], v[114:115]
	v_fma_f64 v[4:5], v[108:109], v[112:113], -v[4:5]
	v_add_f64 v[2:3], v[2:3], v[4:5]
	v_mul_f64 v[4:5], v[118:119], v[124:125]
	v_fma_f64 v[4:5], v[116:117], v[122:123], -v[4:5]
	v_add_f64 v[2:3], v[2:3], v[4:5]
	v_mul_f64 v[4:5], v[128:129], v[132:133]
	v_fma_f64 v[4:5], v[126:127], v[130:131], -v[4:5]
	v_add_f64 v[2:3], v[2:3], v[4:5]
	v_mul_f64 v[4:5], v[136:137], v[140:141]
	v_fma_f64 v[4:5], v[134:135], v[138:139], -v[4:5]
	v_add_f64 v[2:3], v[2:3], v[4:5]
	v_mul_f64 v[4:5], v[144:145], v[148:149]
	v_fma_f64 v[4:5], v[142:143], v[146:147], -v[4:5]
	v_add_f64 v[2:3], v[2:3], v[4:5]
	v_mul_f64 v[4:5], v[152:153], v[156:157]
	v_fma_f64 v[4:5], v[150:151], v[154:155], -v[4:5]
	v_add_f64 v[2:3], v[2:3], v[4:5]
	v_mul_f64 v[4:5], v[160:161], v[164:165]
	v_fma_f64 v[4:5], v[158:159], v[162:163], -v[4:5]
	v_add_f64 v[2:3], v[2:3], v[4:5]
	v_mul_f64 v[4:5], v[168:169], v[172:173]
	v_fma_f64 v[4:5], v[166:167], v[170:171], -v[4:5]
	v_add_f64 v[2:3], v[2:3], v[4:5]
	v_mul_f64 v[4:5], v[176:177], v[180:181]
	v_fma_f64 v[4:5], v[174:175], v[178:179], -v[4:5]
	v_add_f64 v[6:7], v[2:3], v[4:5]
	scratch_load_dwordx4 v[2:5], off, off offset:176
	s_waitcnt vmcnt(0)
	v_add_f64 v[2:3], v[2:3], -v[6:7]
	v_add_f64 v[4:5], v[4:5], -v[120:121]
	scratch_store_dwordx4 off, v[2:5], off offset:176
	s_and_saveexec_b64 s[0:1], vcc
	s_cbranch_execz .LBB32_193
; %bb.192:
	scratch_load_dwordx4 v[2:5], off, s22
	v_mov_b32_e32 v6, 0
	v_mov_b32_e32 v7, v6
	;; [unrolled: 1-line block ×4, first 2 shown]
	scratch_store_dwordx4 off, v[6:9], off offset:160
	s_waitcnt vmcnt(1)
	ds_write_b128 v1, v[2:5]
.LBB32_193:
	s_or_b64 exec, exec, s[0:1]
	v_mov_b32_e32 v2, 0
	s_waitcnt lgkmcnt(0)
	; wave barrier
	ds_read_b128 v[16:19], v2 offset:688
	ds_read_b128 v[12:15], v2 offset:704
	;; [unrolled: 1-line block ×4, first 2 shown]
	scratch_load_dwordx4 v[20:23], off, off offset:176
	scratch_load_dwordx4 v[40:43], off, off offset:240
	;; [unrolled: 1-line block ×17, first 2 shown]
	v_cmp_lt_u32_e32 vcc, 8, v0
	scratch_load_dwordx4 v[48:51], off, off offset:256
	scratch_load_dwordx4 v[56:59], off, off offset:272
	;; [unrolled: 1-line block ×3, first 2 shown]
	s_waitcnt vmcnt(19) lgkmcnt(3)
	v_mul_f64 v[24:25], v[16:17], v[22:23]
	v_fmac_f64_e32 v[24:25], v[18:19], v[20:21]
	v_add_f64 v[28:29], v[24:25], 0
	scratch_load_dwordx4 v[24:27], off, off offset:192
	v_mul_f64 v[18:19], v[18:19], v[22:23]
	v_fma_f64 v[16:17], v[16:17], v[20:21], -v[18:19]
	v_add_f64 v[16:17], v[16:17], 0
	s_waitcnt vmcnt(0) lgkmcnt(2)
	v_mul_f64 v[30:31], v[12:13], v[26:27]
	v_fmac_f64_e32 v[30:31], v[14:15], v[24:25]
	v_add_f64 v[32:33], v[28:29], v[30:31]
	scratch_load_dwordx4 v[28:31], off, off offset:208
	v_mul_f64 v[14:15], v[14:15], v[26:27]
	v_fma_f64 v[12:13], v[12:13], v[24:25], -v[14:15]
	v_add_f64 v[12:13], v[16:17], v[12:13]
	;; [unrolled: 8-line block ×3, first 2 shown]
	s_waitcnt vmcnt(0) lgkmcnt(0)
	v_mul_f64 v[38:39], v[4:5], v[34:35]
	v_fmac_f64_e32 v[38:39], v[6:7], v[32:33]
	v_add_f64 v[44:45], v[36:37], v[38:39]
	ds_read_b128 v[36:39], v2 offset:752
	v_mul_f64 v[6:7], v[6:7], v[34:35]
	v_fma_f64 v[4:5], v[4:5], v[32:33], -v[6:7]
	v_add_f64 v[4:5], v[8:9], v[4:5]
	s_waitcnt lgkmcnt(0)
	v_mul_f64 v[46:47], v[36:37], v[42:43]
	v_fmac_f64_e32 v[46:47], v[38:39], v[40:41]
	v_add_f64 v[52:53], v[44:45], v[46:47]
	ds_read_b128 v[44:47], v2 offset:768
	v_mul_f64 v[6:7], v[38:39], v[42:43]
	v_fma_f64 v[6:7], v[36:37], v[40:41], -v[6:7]
	v_add_f64 v[4:5], v[4:5], v[6:7]
	s_waitcnt lgkmcnt(0)
	;; [unrolled: 8-line block ×19, first 2 shown]
	v_mul_f64 v[6:7], v[184:185], v[188:189]
	v_fma_f64 v[6:7], v[182:183], v[186:187], -v[6:7]
	v_add_f64 v[8:9], v[4:5], v[6:7]
	scratch_load_dwordx4 v[4:7], off, off offset:160
	v_mul_f64 v[190:191], v[182:183], v[188:189]
	v_fmac_f64_e32 v[190:191], v[184:185], v[186:187]
	v_add_f64 v[128:129], v[128:129], v[190:191]
	s_waitcnt vmcnt(0)
	v_add_f64 v[4:5], v[4:5], -v[8:9]
	v_add_f64 v[6:7], v[6:7], -v[128:129]
	scratch_store_dwordx4 off, v[4:7], off offset:160
	s_and_saveexec_b64 s[0:1], vcc
	s_cbranch_execz .LBB32_195
; %bb.194:
	scratch_load_dwordx4 v[6:9], off, s15
	v_mov_b32_e32 v3, v2
	v_mov_b32_e32 v4, v2
	;; [unrolled: 1-line block ×3, first 2 shown]
	scratch_store_dwordx4 off, v[2:5], off offset:144
	s_waitcnt vmcnt(1)
	ds_write_b128 v1, v[6:9]
.LBB32_195:
	s_or_b64 exec, exec, s[0:1]
	s_waitcnt lgkmcnt(0)
	; wave barrier
	ds_read_b128 v[16:19], v2 offset:672
	ds_read_b128 v[12:15], v2 offset:688
	;; [unrolled: 1-line block ×4, first 2 shown]
	scratch_load_dwordx4 v[20:23], off, off offset:160
	scratch_load_dwordx4 v[40:43], off, off offset:224
	;; [unrolled: 1-line block ×18, first 2 shown]
	v_cmp_lt_u32_e32 vcc, 7, v0
	scratch_load_dwordx4 v[48:51], off, off offset:240
	scratch_load_dwordx4 v[56:59], off, off offset:256
	;; [unrolled: 1-line block ×3, first 2 shown]
	s_waitcnt vmcnt(20) lgkmcnt(3)
	v_mul_f64 v[24:25], v[16:17], v[22:23]
	v_fmac_f64_e32 v[24:25], v[18:19], v[20:21]
	v_add_f64 v[28:29], v[24:25], 0
	scratch_load_dwordx4 v[24:27], off, off offset:176
	s_waitcnt vmcnt(0) lgkmcnt(2)
	v_mul_f64 v[30:31], v[12:13], v[26:27]
	v_fmac_f64_e32 v[30:31], v[14:15], v[24:25]
	v_add_f64 v[32:33], v[28:29], v[30:31]
	scratch_load_dwordx4 v[28:31], off, off offset:192
	v_mul_f64 v[14:15], v[14:15], v[26:27]
	v_fma_f64 v[12:13], v[12:13], v[24:25], -v[14:15]
	s_waitcnt vmcnt(0) lgkmcnt(1)
	v_mul_f64 v[34:35], v[8:9], v[30:31]
	v_fmac_f64_e32 v[34:35], v[10:11], v[28:29]
	v_add_f64 v[36:37], v[32:33], v[34:35]
	scratch_load_dwordx4 v[32:35], off, off offset:208
	v_mul_f64 v[10:11], v[10:11], v[30:31]
	v_fma_f64 v[8:9], v[8:9], v[28:29], -v[10:11]
	s_waitcnt vmcnt(0) lgkmcnt(0)
	v_mul_f64 v[38:39], v[4:5], v[34:35]
	v_fmac_f64_e32 v[38:39], v[6:7], v[32:33]
	v_add_f64 v[44:45], v[36:37], v[38:39]
	ds_read_b128 v[36:39], v2 offset:736
	v_mul_f64 v[6:7], v[6:7], v[34:35]
	v_fma_f64 v[4:5], v[4:5], v[32:33], -v[6:7]
	s_waitcnt lgkmcnt(0)
	v_mul_f64 v[46:47], v[36:37], v[42:43]
	v_fmac_f64_e32 v[46:47], v[38:39], v[40:41]
	v_add_f64 v[52:53], v[44:45], v[46:47]
	ds_read_b128 v[44:47], v2 offset:752
	s_waitcnt lgkmcnt(0)
	v_mul_f64 v[54:55], v[44:45], v[50:51]
	v_fmac_f64_e32 v[54:55], v[46:47], v[48:49]
	v_add_f64 v[60:61], v[52:53], v[54:55]
	ds_read_b128 v[52:55], v2 offset:768
	s_waitcnt lgkmcnt(0)
	v_mul_f64 v[62:63], v[52:53], v[58:59]
	v_fmac_f64_e32 v[62:63], v[54:55], v[56:57]
	v_add_f64 v[68:69], v[60:61], v[62:63]
	ds_read_b128 v[60:63], v2 offset:784
	s_waitcnt lgkmcnt(0)
	v_mul_f64 v[70:71], v[60:61], v[66:67]
	v_fmac_f64_e32 v[70:71], v[62:63], v[64:65]
	v_add_f64 v[76:77], v[68:69], v[70:71]
	ds_read_b128 v[68:71], v2 offset:800
	s_waitcnt lgkmcnt(0)
	v_mul_f64 v[78:79], v[68:69], v[74:75]
	v_fmac_f64_e32 v[78:79], v[70:71], v[72:73]
	v_add_f64 v[84:85], v[76:77], v[78:79]
	ds_read_b128 v[76:79], v2 offset:816
	s_waitcnt lgkmcnt(0)
	v_mul_f64 v[86:87], v[76:77], v[82:83]
	v_fmac_f64_e32 v[86:87], v[78:79], v[80:81]
	v_add_f64 v[92:93], v[84:85], v[86:87]
	ds_read_b128 v[84:87], v2 offset:832
	s_waitcnt lgkmcnt(0)
	v_mul_f64 v[94:95], v[84:85], v[90:91]
	v_fmac_f64_e32 v[94:95], v[86:87], v[88:89]
	v_add_f64 v[100:101], v[92:93], v[94:95]
	ds_read_b128 v[92:95], v2 offset:848
	s_waitcnt lgkmcnt(0)
	v_mul_f64 v[102:103], v[92:93], v[98:99]
	v_fmac_f64_e32 v[102:103], v[94:95], v[96:97]
	v_add_f64 v[108:109], v[100:101], v[102:103]
	ds_read_b128 v[100:103], v2 offset:864
	s_waitcnt lgkmcnt(0)
	v_mul_f64 v[110:111], v[100:101], v[106:107]
	v_fmac_f64_e32 v[110:111], v[102:103], v[104:105]
	v_add_f64 v[116:117], v[108:109], v[110:111]
	ds_read_b128 v[108:111], v2 offset:880
	s_waitcnt lgkmcnt(0)
	v_mul_f64 v[118:119], v[108:109], v[114:115]
	v_fmac_f64_e32 v[118:119], v[110:111], v[112:113]
	v_add_f64 v[124:125], v[116:117], v[118:119]
	ds_read_b128 v[116:119], v2 offset:896
	s_waitcnt lgkmcnt(0)
	v_mul_f64 v[126:127], v[116:117], v[122:123]
	v_fmac_f64_e32 v[126:127], v[118:119], v[120:121]
	v_add_f64 v[132:133], v[124:125], v[126:127]
	ds_read_b128 v[124:127], v2 offset:912
	s_waitcnt lgkmcnt(0)
	v_mul_f64 v[134:135], v[124:125], v[130:131]
	v_fmac_f64_e32 v[134:135], v[126:127], v[128:129]
	v_add_f64 v[140:141], v[132:133], v[134:135]
	ds_read_b128 v[132:135], v2 offset:928
	s_waitcnt lgkmcnt(0)
	v_mul_f64 v[142:143], v[132:133], v[138:139]
	v_fmac_f64_e32 v[142:143], v[134:135], v[136:137]
	v_add_f64 v[148:149], v[140:141], v[142:143]
	ds_read_b128 v[140:143], v2 offset:944
	s_waitcnt lgkmcnt(0)
	v_mul_f64 v[150:151], v[140:141], v[146:147]
	v_fmac_f64_e32 v[150:151], v[142:143], v[144:145]
	v_add_f64 v[148:149], v[148:149], v[150:151]
	ds_read_b128 v[150:153], v2 offset:960
	s_waitcnt lgkmcnt(0)
	v_mul_f64 v[158:159], v[150:151], v[156:157]
	v_fmac_f64_e32 v[158:159], v[152:153], v[154:155]
	v_add_f64 v[148:149], v[148:149], v[158:159]
	ds_read_b128 v[158:161], v2 offset:976
	s_waitcnt lgkmcnt(0)
	v_mul_f64 v[166:167], v[158:159], v[164:165]
	v_fmac_f64_e32 v[166:167], v[160:161], v[162:163]
	v_add_f64 v[148:149], v[148:149], v[166:167]
	ds_read_b128 v[166:169], v2 offset:992
	s_waitcnt lgkmcnt(0)
	v_mul_f64 v[174:175], v[166:167], v[172:173]
	v_fmac_f64_e32 v[174:175], v[168:169], v[170:171]
	v_add_f64 v[148:149], v[148:149], v[174:175]
	ds_read_b128 v[174:177], v2 offset:1008
	s_waitcnt lgkmcnt(0)
	v_mul_f64 v[182:183], v[174:175], v[180:181]
	v_fmac_f64_e32 v[182:183], v[176:177], v[178:179]
	v_add_f64 v[148:149], v[148:149], v[182:183]
	ds_read_b128 v[182:185], v2 offset:1024
	s_waitcnt lgkmcnt(0)
	v_mul_f64 v[190:191], v[182:183], v[188:189]
	v_fmac_f64_e32 v[190:191], v[184:185], v[186:187]
	v_add_f64 v[148:149], v[148:149], v[190:191]
	ds_read_b128 v[190:193], v2 offset:1040
	s_waitcnt lgkmcnt(0)
	v_mul_f64 v[2:3], v[190:191], v[196:197]
	v_fmac_f64_e32 v[2:3], v[192:193], v[194:195]
	v_add_f64 v[148:149], v[148:149], v[2:3]
	v_mul_f64 v[2:3], v[18:19], v[22:23]
	v_fma_f64 v[2:3], v[16:17], v[20:21], -v[2:3]
	v_add_f64 v[2:3], v[2:3], 0
	v_add_f64 v[2:3], v[2:3], v[12:13]
	;; [unrolled: 1-line block ×4, first 2 shown]
	v_mul_f64 v[4:5], v[38:39], v[42:43]
	v_fma_f64 v[4:5], v[36:37], v[40:41], -v[4:5]
	v_add_f64 v[2:3], v[2:3], v[4:5]
	v_mul_f64 v[4:5], v[46:47], v[50:51]
	v_fma_f64 v[4:5], v[44:45], v[48:49], -v[4:5]
	v_add_f64 v[2:3], v[2:3], v[4:5]
	;; [unrolled: 3-line block ×20, first 2 shown]
	scratch_load_dwordx4 v[2:5], off, off offset:144
	s_waitcnt vmcnt(0)
	v_add_f64 v[2:3], v[2:3], -v[6:7]
	v_add_f64 v[4:5], v[4:5], -v[148:149]
	scratch_store_dwordx4 off, v[2:5], off offset:144
	s_and_saveexec_b64 s[0:1], vcc
	s_cbranch_execz .LBB32_197
; %bb.196:
	scratch_load_dwordx4 v[2:5], off, s25
	v_mov_b32_e32 v6, 0
	v_mov_b32_e32 v7, v6
	;; [unrolled: 1-line block ×4, first 2 shown]
	scratch_store_dwordx4 off, v[6:9], off offset:128
	s_waitcnt vmcnt(1)
	ds_write_b128 v1, v[2:5]
.LBB32_197:
	s_or_b64 exec, exec, s[0:1]
	v_mov_b32_e32 v2, 0
	s_waitcnt lgkmcnt(0)
	; wave barrier
	ds_read_b128 v[16:19], v2 offset:656
	ds_read_b128 v[12:15], v2 offset:672
	;; [unrolled: 1-line block ×4, first 2 shown]
	scratch_load_dwordx4 v[20:23], off, off offset:144
	scratch_load_dwordx4 v[40:43], off, off offset:208
	;; [unrolled: 1-line block ×19, first 2 shown]
	v_cmp_lt_u32_e32 vcc, 6, v0
	scratch_load_dwordx4 v[48:51], off, off offset:224
	scratch_load_dwordx4 v[56:59], off, off offset:240
	;; [unrolled: 1-line block ×3, first 2 shown]
	s_waitcnt vmcnt(21) lgkmcnt(3)
	v_mul_f64 v[24:25], v[16:17], v[22:23]
	v_fmac_f64_e32 v[24:25], v[18:19], v[20:21]
	v_add_f64 v[28:29], v[24:25], 0
	scratch_load_dwordx4 v[24:27], off, off offset:160
	v_mul_f64 v[18:19], v[18:19], v[22:23]
	v_fma_f64 v[16:17], v[16:17], v[20:21], -v[18:19]
	v_add_f64 v[16:17], v[16:17], 0
	s_waitcnt vmcnt(0) lgkmcnt(2)
	v_mul_f64 v[30:31], v[12:13], v[26:27]
	v_fmac_f64_e32 v[30:31], v[14:15], v[24:25]
	v_add_f64 v[32:33], v[28:29], v[30:31]
	scratch_load_dwordx4 v[28:31], off, off offset:176
	v_mul_f64 v[14:15], v[14:15], v[26:27]
	v_fma_f64 v[12:13], v[12:13], v[24:25], -v[14:15]
	v_add_f64 v[12:13], v[16:17], v[12:13]
	;; [unrolled: 8-line block ×3, first 2 shown]
	s_waitcnt vmcnt(0) lgkmcnt(0)
	v_mul_f64 v[38:39], v[4:5], v[34:35]
	v_fmac_f64_e32 v[38:39], v[6:7], v[32:33]
	v_add_f64 v[44:45], v[36:37], v[38:39]
	ds_read_b128 v[36:39], v2 offset:720
	v_mul_f64 v[6:7], v[6:7], v[34:35]
	v_fma_f64 v[4:5], v[4:5], v[32:33], -v[6:7]
	v_add_f64 v[4:5], v[8:9], v[4:5]
	s_waitcnt lgkmcnt(0)
	v_mul_f64 v[46:47], v[36:37], v[42:43]
	v_fmac_f64_e32 v[46:47], v[38:39], v[40:41]
	v_add_f64 v[52:53], v[44:45], v[46:47]
	ds_read_b128 v[44:47], v2 offset:736
	v_mul_f64 v[6:7], v[38:39], v[42:43]
	v_fma_f64 v[6:7], v[36:37], v[40:41], -v[6:7]
	v_add_f64 v[4:5], v[4:5], v[6:7]
	s_waitcnt lgkmcnt(0)
	;; [unrolled: 8-line block ×21, first 2 shown]
	v_mul_f64 v[6:7], v[200:201], v[204:205]
	v_fma_f64 v[6:7], v[198:199], v[202:203], -v[6:7]
	v_add_f64 v[8:9], v[4:5], v[6:7]
	scratch_load_dwordx4 v[4:7], off, off offset:128
	v_mul_f64 v[206:207], v[198:199], v[204:205]
	v_fmac_f64_e32 v[206:207], v[200:201], v[202:203]
	v_add_f64 v[144:145], v[144:145], v[206:207]
	s_waitcnt vmcnt(0)
	v_add_f64 v[4:5], v[4:5], -v[8:9]
	v_add_f64 v[6:7], v[6:7], -v[144:145]
	scratch_store_dwordx4 off, v[4:7], off offset:128
	s_and_saveexec_b64 s[0:1], vcc
	s_cbranch_execz .LBB32_199
; %bb.198:
	scratch_load_dwordx4 v[6:9], off, s23
	v_mov_b32_e32 v3, v2
	v_mov_b32_e32 v4, v2
	;; [unrolled: 1-line block ×3, first 2 shown]
	scratch_store_dwordx4 off, v[2:5], off offset:112
	s_waitcnt vmcnt(1)
	ds_write_b128 v1, v[6:9]
.LBB32_199:
	s_or_b64 exec, exec, s[0:1]
	s_waitcnt lgkmcnt(0)
	; wave barrier
	ds_read_b128 v[16:19], v2 offset:640
	ds_read_b128 v[12:15], v2 offset:656
	;; [unrolled: 1-line block ×4, first 2 shown]
	scratch_load_dwordx4 v[20:23], off, off offset:128
	scratch_load_dwordx4 v[40:43], off, off offset:192
	;; [unrolled: 1-line block ×20, first 2 shown]
	v_cmp_lt_u32_e32 vcc, 5, v0
	scratch_load_dwordx4 v[48:51], off, off offset:208
	scratch_load_dwordx4 v[56:59], off, off offset:224
	;; [unrolled: 1-line block ×3, first 2 shown]
	s_waitcnt vmcnt(22) lgkmcnt(3)
	v_mul_f64 v[24:25], v[16:17], v[22:23]
	v_fmac_f64_e32 v[24:25], v[18:19], v[20:21]
	v_add_f64 v[28:29], v[24:25], 0
	scratch_load_dwordx4 v[24:27], off, off offset:144
	s_waitcnt vmcnt(0) lgkmcnt(2)
	v_mul_f64 v[30:31], v[12:13], v[26:27]
	v_fmac_f64_e32 v[30:31], v[14:15], v[24:25]
	v_add_f64 v[32:33], v[28:29], v[30:31]
	scratch_load_dwordx4 v[28:31], off, off offset:160
	v_mul_f64 v[14:15], v[14:15], v[26:27]
	v_fma_f64 v[12:13], v[12:13], v[24:25], -v[14:15]
	s_waitcnt vmcnt(0) lgkmcnt(1)
	v_mul_f64 v[34:35], v[8:9], v[30:31]
	v_fmac_f64_e32 v[34:35], v[10:11], v[28:29]
	v_add_f64 v[36:37], v[32:33], v[34:35]
	scratch_load_dwordx4 v[32:35], off, off offset:176
	v_mul_f64 v[10:11], v[10:11], v[30:31]
	v_fma_f64 v[8:9], v[8:9], v[28:29], -v[10:11]
	s_waitcnt vmcnt(0) lgkmcnt(0)
	v_mul_f64 v[38:39], v[4:5], v[34:35]
	v_fmac_f64_e32 v[38:39], v[6:7], v[32:33]
	v_add_f64 v[44:45], v[36:37], v[38:39]
	ds_read_b128 v[36:39], v2 offset:704
	v_mul_f64 v[6:7], v[6:7], v[34:35]
	v_fma_f64 v[4:5], v[4:5], v[32:33], -v[6:7]
	s_waitcnt lgkmcnt(0)
	v_mul_f64 v[46:47], v[36:37], v[42:43]
	v_fmac_f64_e32 v[46:47], v[38:39], v[40:41]
	v_add_f64 v[52:53], v[44:45], v[46:47]
	ds_read_b128 v[44:47], v2 offset:720
	s_waitcnt lgkmcnt(0)
	v_mul_f64 v[54:55], v[44:45], v[50:51]
	v_fmac_f64_e32 v[54:55], v[46:47], v[48:49]
	v_add_f64 v[60:61], v[52:53], v[54:55]
	ds_read_b128 v[52:55], v2 offset:736
	;; [unrolled: 5-line block ×21, first 2 shown]
	s_waitcnt lgkmcnt(0)
	v_mul_f64 v[2:3], v[206:207], v[212:213]
	v_fmac_f64_e32 v[2:3], v[208:209], v[210:211]
	v_add_f64 v[168:169], v[168:169], v[2:3]
	v_mul_f64 v[2:3], v[18:19], v[22:23]
	v_fma_f64 v[2:3], v[16:17], v[20:21], -v[2:3]
	v_add_f64 v[2:3], v[2:3], 0
	v_add_f64 v[2:3], v[2:3], v[12:13]
	;; [unrolled: 1-line block ×4, first 2 shown]
	v_mul_f64 v[4:5], v[38:39], v[42:43]
	v_fma_f64 v[4:5], v[36:37], v[40:41], -v[4:5]
	v_add_f64 v[2:3], v[2:3], v[4:5]
	v_mul_f64 v[4:5], v[46:47], v[50:51]
	v_fma_f64 v[4:5], v[44:45], v[48:49], -v[4:5]
	v_add_f64 v[2:3], v[2:3], v[4:5]
	;; [unrolled: 3-line block ×22, first 2 shown]
	scratch_load_dwordx4 v[2:5], off, off offset:112
	s_waitcnt vmcnt(0)
	v_add_f64 v[2:3], v[2:3], -v[6:7]
	v_add_f64 v[4:5], v[4:5], -v[168:169]
	scratch_store_dwordx4 off, v[2:5], off offset:112
	s_and_saveexec_b64 s[0:1], vcc
	s_cbranch_execz .LBB32_201
; %bb.200:
	scratch_load_dwordx4 v[2:5], off, s21
	v_mov_b32_e32 v6, 0
	v_mov_b32_e32 v7, v6
	;; [unrolled: 1-line block ×4, first 2 shown]
	scratch_store_dwordx4 off, v[6:9], off offset:96
	s_waitcnt vmcnt(1)
	ds_write_b128 v1, v[2:5]
.LBB32_201:
	s_or_b64 exec, exec, s[0:1]
	v_mov_b32_e32 v2, 0
	s_waitcnt lgkmcnt(0)
	; wave barrier
	ds_read_b128 v[16:19], v2 offset:624
	ds_read_b128 v[12:15], v2 offset:640
	;; [unrolled: 1-line block ×4, first 2 shown]
	scratch_load_dwordx4 v[20:23], off, off offset:112
	scratch_load_dwordx4 v[40:43], off, off offset:176
	;; [unrolled: 1-line block ×21, first 2 shown]
	v_cmp_lt_u32_e32 vcc, 4, v0
	scratch_load_dwordx4 v[48:51], off, off offset:192
	scratch_load_dwordx4 v[56:59], off, off offset:208
	;; [unrolled: 1-line block ×3, first 2 shown]
	s_waitcnt vmcnt(23) lgkmcnt(3)
	v_mul_f64 v[24:25], v[16:17], v[22:23]
	v_fmac_f64_e32 v[24:25], v[18:19], v[20:21]
	v_add_f64 v[28:29], v[24:25], 0
	scratch_load_dwordx4 v[24:27], off, off offset:128
	v_mul_f64 v[18:19], v[18:19], v[22:23]
	v_fma_f64 v[16:17], v[16:17], v[20:21], -v[18:19]
	v_add_f64 v[16:17], v[16:17], 0
	s_waitcnt vmcnt(0) lgkmcnt(2)
	v_mul_f64 v[30:31], v[12:13], v[26:27]
	v_fmac_f64_e32 v[30:31], v[14:15], v[24:25]
	v_add_f64 v[32:33], v[28:29], v[30:31]
	scratch_load_dwordx4 v[28:31], off, off offset:144
	v_mul_f64 v[14:15], v[14:15], v[26:27]
	v_fma_f64 v[12:13], v[12:13], v[24:25], -v[14:15]
	v_add_f64 v[12:13], v[16:17], v[12:13]
	;; [unrolled: 8-line block ×3, first 2 shown]
	s_waitcnt vmcnt(0) lgkmcnt(0)
	v_mul_f64 v[38:39], v[4:5], v[34:35]
	v_fmac_f64_e32 v[38:39], v[6:7], v[32:33]
	v_add_f64 v[44:45], v[36:37], v[38:39]
	ds_read_b128 v[36:39], v2 offset:688
	v_mul_f64 v[6:7], v[6:7], v[34:35]
	v_fma_f64 v[4:5], v[4:5], v[32:33], -v[6:7]
	v_add_f64 v[4:5], v[8:9], v[4:5]
	s_waitcnt lgkmcnt(0)
	v_mul_f64 v[46:47], v[36:37], v[42:43]
	v_fmac_f64_e32 v[46:47], v[38:39], v[40:41]
	v_add_f64 v[52:53], v[44:45], v[46:47]
	ds_read_b128 v[44:47], v2 offset:704
	v_mul_f64 v[6:7], v[38:39], v[42:43]
	v_fma_f64 v[6:7], v[36:37], v[40:41], -v[6:7]
	v_add_f64 v[4:5], v[4:5], v[6:7]
	s_waitcnt lgkmcnt(0)
	;; [unrolled: 8-line block ×23, first 2 shown]
	v_mul_f64 v[6:7], v[216:217], v[220:221]
	v_fma_f64 v[6:7], v[214:215], v[218:219], -v[6:7]
	v_add_f64 v[8:9], v[4:5], v[6:7]
	scratch_load_dwordx4 v[4:7], off, off offset:96
	v_mul_f64 v[222:223], v[214:215], v[220:221]
	v_fmac_f64_e32 v[222:223], v[216:217], v[218:219]
	v_add_f64 v[160:161], v[160:161], v[222:223]
	s_waitcnt vmcnt(0)
	v_add_f64 v[4:5], v[4:5], -v[8:9]
	v_add_f64 v[6:7], v[6:7], -v[160:161]
	scratch_store_dwordx4 off, v[4:7], off offset:96
	s_and_saveexec_b64 s[0:1], vcc
	s_cbranch_execz .LBB32_203
; %bb.202:
	scratch_load_dwordx4 v[6:9], off, s14
	v_mov_b32_e32 v3, v2
	v_mov_b32_e32 v4, v2
	;; [unrolled: 1-line block ×3, first 2 shown]
	scratch_store_dwordx4 off, v[2:5], off offset:80
	s_waitcnt vmcnt(1)
	ds_write_b128 v1, v[6:9]
.LBB32_203:
	s_or_b64 exec, exec, s[0:1]
	s_waitcnt lgkmcnt(0)
	; wave barrier
	ds_read_b128 v[16:19], v2 offset:608
	ds_read_b128 v[12:15], v2 offset:624
	;; [unrolled: 1-line block ×4, first 2 shown]
	scratch_load_dwordx4 v[20:23], off, off offset:96
	scratch_load_dwordx4 v[40:43], off, off offset:160
	;; [unrolled: 1-line block ×22, first 2 shown]
	v_cmp_lt_u32_e32 vcc, 3, v0
	scratch_load_dwordx4 v[48:51], off, off offset:176
	scratch_load_dwordx4 v[56:59], off, off offset:192
	;; [unrolled: 1-line block ×3, first 2 shown]
	s_waitcnt vmcnt(24) lgkmcnt(3)
	v_mul_f64 v[24:25], v[16:17], v[22:23]
	v_fmac_f64_e32 v[24:25], v[18:19], v[20:21]
	v_add_f64 v[28:29], v[24:25], 0
	scratch_load_dwordx4 v[24:27], off, off offset:112
	s_waitcnt vmcnt(0) lgkmcnt(2)
	v_mul_f64 v[30:31], v[12:13], v[26:27]
	v_fmac_f64_e32 v[30:31], v[14:15], v[24:25]
	v_add_f64 v[32:33], v[28:29], v[30:31]
	scratch_load_dwordx4 v[28:31], off, off offset:128
	v_mul_f64 v[14:15], v[14:15], v[26:27]
	v_fma_f64 v[12:13], v[12:13], v[24:25], -v[14:15]
	s_waitcnt vmcnt(0) lgkmcnt(1)
	v_mul_f64 v[34:35], v[8:9], v[30:31]
	v_fmac_f64_e32 v[34:35], v[10:11], v[28:29]
	v_add_f64 v[36:37], v[32:33], v[34:35]
	scratch_load_dwordx4 v[32:35], off, off offset:144
	v_mul_f64 v[10:11], v[10:11], v[30:31]
	v_fma_f64 v[8:9], v[8:9], v[28:29], -v[10:11]
	s_waitcnt vmcnt(0) lgkmcnt(0)
	v_mul_f64 v[38:39], v[4:5], v[34:35]
	v_fmac_f64_e32 v[38:39], v[6:7], v[32:33]
	v_add_f64 v[44:45], v[36:37], v[38:39]
	ds_read_b128 v[36:39], v2 offset:672
	v_mul_f64 v[6:7], v[6:7], v[34:35]
	v_fma_f64 v[4:5], v[4:5], v[32:33], -v[6:7]
	s_waitcnt lgkmcnt(0)
	v_mul_f64 v[46:47], v[36:37], v[42:43]
	v_fmac_f64_e32 v[46:47], v[38:39], v[40:41]
	v_add_f64 v[52:53], v[44:45], v[46:47]
	ds_read_b128 v[44:47], v2 offset:688
	s_waitcnt lgkmcnt(0)
	v_mul_f64 v[54:55], v[44:45], v[50:51]
	v_fmac_f64_e32 v[54:55], v[46:47], v[48:49]
	v_add_f64 v[60:61], v[52:53], v[54:55]
	ds_read_b128 v[52:55], v2 offset:704
	;; [unrolled: 5-line block ×23, first 2 shown]
	s_waitcnt lgkmcnt(0)
	v_mul_f64 v[2:3], v[222:223], v[228:229]
	v_fmac_f64_e32 v[2:3], v[224:225], v[226:227]
	v_add_f64 v[176:177], v[176:177], v[2:3]
	v_mul_f64 v[2:3], v[18:19], v[22:23]
	v_fma_f64 v[2:3], v[16:17], v[20:21], -v[2:3]
	v_add_f64 v[2:3], v[2:3], 0
	v_add_f64 v[2:3], v[2:3], v[12:13]
	;; [unrolled: 1-line block ×4, first 2 shown]
	v_mul_f64 v[4:5], v[38:39], v[42:43]
	v_fma_f64 v[4:5], v[36:37], v[40:41], -v[4:5]
	v_add_f64 v[2:3], v[2:3], v[4:5]
	v_mul_f64 v[4:5], v[46:47], v[50:51]
	v_fma_f64 v[4:5], v[44:45], v[48:49], -v[4:5]
	v_add_f64 v[2:3], v[2:3], v[4:5]
	;; [unrolled: 3-line block ×24, first 2 shown]
	scratch_load_dwordx4 v[2:5], off, off offset:80
	s_waitcnt vmcnt(0)
	v_add_f64 v[2:3], v[2:3], -v[6:7]
	v_add_f64 v[4:5], v[4:5], -v[176:177]
	scratch_store_dwordx4 off, v[2:5], off offset:80
	s_and_saveexec_b64 s[0:1], vcc
	s_cbranch_execz .LBB32_205
; %bb.204:
	scratch_load_dwordx4 v[2:5], off, s13
	v_mov_b32_e32 v6, 0
	v_mov_b32_e32 v7, v6
	;; [unrolled: 1-line block ×4, first 2 shown]
	scratch_store_dwordx4 off, v[6:9], off offset:64
	s_waitcnt vmcnt(1)
	ds_write_b128 v1, v[2:5]
.LBB32_205:
	s_or_b64 exec, exec, s[0:1]
	v_mov_b32_e32 v2, 0
	s_waitcnt lgkmcnt(0)
	; wave barrier
	ds_read_b128 v[16:19], v2 offset:592
	ds_read_b128 v[12:15], v2 offset:608
	;; [unrolled: 1-line block ×4, first 2 shown]
	scratch_load_dwordx4 v[20:23], off, off offset:80
	scratch_load_dwordx4 v[40:43], off, off offset:144
	;; [unrolled: 1-line block ×23, first 2 shown]
	v_cmp_lt_u32_e32 vcc, 2, v0
	scratch_load_dwordx4 v[48:51], off, off offset:160
	scratch_load_dwordx4 v[56:59], off, off offset:176
	;; [unrolled: 1-line block ×3, first 2 shown]
	s_waitcnt vmcnt(25) lgkmcnt(3)
	v_mul_f64 v[24:25], v[16:17], v[22:23]
	v_fmac_f64_e32 v[24:25], v[18:19], v[20:21]
	v_add_f64 v[28:29], v[24:25], 0
	scratch_load_dwordx4 v[24:27], off, off offset:96
	v_mul_f64 v[18:19], v[18:19], v[22:23]
	v_fma_f64 v[16:17], v[16:17], v[20:21], -v[18:19]
	v_add_f64 v[16:17], v[16:17], 0
	s_waitcnt vmcnt(0) lgkmcnt(2)
	v_mul_f64 v[30:31], v[12:13], v[26:27]
	v_fmac_f64_e32 v[30:31], v[14:15], v[24:25]
	v_add_f64 v[32:33], v[28:29], v[30:31]
	scratch_load_dwordx4 v[28:31], off, off offset:112
	v_mul_f64 v[14:15], v[14:15], v[26:27]
	v_fma_f64 v[12:13], v[12:13], v[24:25], -v[14:15]
	v_add_f64 v[12:13], v[16:17], v[12:13]
	;; [unrolled: 8-line block ×3, first 2 shown]
	s_waitcnt vmcnt(0) lgkmcnt(0)
	v_mul_f64 v[38:39], v[4:5], v[34:35]
	v_fmac_f64_e32 v[38:39], v[6:7], v[32:33]
	v_add_f64 v[44:45], v[36:37], v[38:39]
	ds_read_b128 v[36:39], v2 offset:656
	v_mul_f64 v[6:7], v[6:7], v[34:35]
	v_fma_f64 v[4:5], v[4:5], v[32:33], -v[6:7]
	v_add_f64 v[4:5], v[8:9], v[4:5]
	s_waitcnt lgkmcnt(0)
	v_mul_f64 v[46:47], v[36:37], v[42:43]
	v_fmac_f64_e32 v[46:47], v[38:39], v[40:41]
	v_add_f64 v[52:53], v[44:45], v[46:47]
	ds_read_b128 v[44:47], v2 offset:672
	v_mul_f64 v[6:7], v[38:39], v[42:43]
	v_fma_f64 v[6:7], v[36:37], v[40:41], -v[6:7]
	v_add_f64 v[4:5], v[4:5], v[6:7]
	s_waitcnt lgkmcnt(0)
	;; [unrolled: 8-line block ×25, first 2 shown]
	v_mul_f64 v[6:7], v[232:233], v[236:237]
	v_fma_f64 v[6:7], v[230:231], v[234:235], -v[6:7]
	v_add_f64 v[8:9], v[4:5], v[6:7]
	scratch_load_dwordx4 v[4:7], off, off offset:64
	v_mul_f64 v[238:239], v[230:231], v[236:237]
	v_fmac_f64_e32 v[238:239], v[232:233], v[234:235]
	v_add_f64 v[176:177], v[176:177], v[238:239]
	s_waitcnt vmcnt(0)
	v_add_f64 v[4:5], v[4:5], -v[8:9]
	v_add_f64 v[6:7], v[6:7], -v[176:177]
	scratch_store_dwordx4 off, v[4:7], off offset:64
	s_and_saveexec_b64 s[0:1], vcc
	s_cbranch_execz .LBB32_207
; %bb.206:
	scratch_load_dwordx4 v[6:9], off, s12
	v_mov_b32_e32 v3, v2
	v_mov_b32_e32 v4, v2
	;; [unrolled: 1-line block ×3, first 2 shown]
	scratch_store_dwordx4 off, v[2:5], off offset:48
	s_waitcnt vmcnt(1)
	ds_write_b128 v1, v[6:9]
.LBB32_207:
	s_or_b64 exec, exec, s[0:1]
	s_waitcnt lgkmcnt(0)
	; wave barrier
	ds_read_b128 v[16:19], v2 offset:576
	ds_read_b128 v[12:15], v2 offset:592
	;; [unrolled: 1-line block ×4, first 2 shown]
	scratch_load_dwordx4 v[20:23], off, off offset:64
	scratch_load_dwordx4 v[40:43], off, off offset:128
	;; [unrolled: 1-line block ×24, first 2 shown]
	v_cmp_lt_u32_e32 vcc, 1, v0
	scratch_load_dwordx4 v[48:51], off, off offset:144
	scratch_load_dwordx4 v[56:59], off, off offset:160
	;; [unrolled: 1-line block ×3, first 2 shown]
	ds_read_b128 v[242:245], v2 offset:1040
	s_waitcnt vmcnt(26) lgkmcnt(4)
	v_mul_f64 v[24:25], v[16:17], v[22:23]
	v_fmac_f64_e32 v[24:25], v[18:19], v[20:21]
	v_add_f64 v[28:29], v[24:25], 0
	scratch_load_dwordx4 v[24:27], off, off offset:80
	s_waitcnt vmcnt(0) lgkmcnt(3)
	v_mul_f64 v[30:31], v[12:13], v[26:27]
	v_fmac_f64_e32 v[30:31], v[14:15], v[24:25]
	v_add_f64 v[32:33], v[28:29], v[30:31]
	scratch_load_dwordx4 v[28:31], off, off offset:96
	v_mul_f64 v[14:15], v[14:15], v[26:27]
	v_fma_f64 v[12:13], v[12:13], v[24:25], -v[14:15]
	s_waitcnt vmcnt(0) lgkmcnt(2)
	v_mul_f64 v[34:35], v[8:9], v[30:31]
	v_fmac_f64_e32 v[34:35], v[10:11], v[28:29]
	v_add_f64 v[36:37], v[32:33], v[34:35]
	scratch_load_dwordx4 v[32:35], off, off offset:112
	v_mul_f64 v[10:11], v[10:11], v[30:31]
	v_fma_f64 v[8:9], v[8:9], v[28:29], -v[10:11]
	s_waitcnt vmcnt(0) lgkmcnt(1)
	v_mul_f64 v[38:39], v[4:5], v[34:35]
	v_fmac_f64_e32 v[38:39], v[6:7], v[32:33]
	v_add_f64 v[44:45], v[36:37], v[38:39]
	ds_read_b128 v[36:39], v2 offset:640
	v_mul_f64 v[6:7], v[6:7], v[34:35]
	v_fma_f64 v[4:5], v[4:5], v[32:33], -v[6:7]
	s_waitcnt lgkmcnt(0)
	v_mul_f64 v[46:47], v[36:37], v[42:43]
	v_fmac_f64_e32 v[46:47], v[38:39], v[40:41]
	v_add_f64 v[52:53], v[44:45], v[46:47]
	ds_read_b128 v[44:47], v2 offset:656
	s_waitcnt lgkmcnt(0)
	v_mul_f64 v[54:55], v[44:45], v[50:51]
	v_fmac_f64_e32 v[54:55], v[46:47], v[48:49]
	v_add_f64 v[60:61], v[52:53], v[54:55]
	ds_read_b128 v[52:55], v2 offset:672
	s_waitcnt lgkmcnt(0)
	v_mul_f64 v[62:63], v[52:53], v[58:59]
	v_fmac_f64_e32 v[62:63], v[54:55], v[56:57]
	v_add_f64 v[68:69], v[60:61], v[62:63]
	ds_read_b128 v[60:63], v2 offset:688
	s_waitcnt lgkmcnt(0)
	v_mul_f64 v[70:71], v[60:61], v[66:67]
	v_fmac_f64_e32 v[70:71], v[62:63], v[64:65]
	v_add_f64 v[76:77], v[68:69], v[70:71]
	ds_read_b128 v[68:71], v2 offset:704
	s_waitcnt lgkmcnt(0)
	v_mul_f64 v[78:79], v[68:69], v[74:75]
	v_fmac_f64_e32 v[78:79], v[70:71], v[72:73]
	v_add_f64 v[84:85], v[76:77], v[78:79]
	ds_read_b128 v[76:79], v2 offset:720
	s_waitcnt lgkmcnt(0)
	v_mul_f64 v[86:87], v[76:77], v[82:83]
	v_fmac_f64_e32 v[86:87], v[78:79], v[80:81]
	v_add_f64 v[92:93], v[84:85], v[86:87]
	ds_read_b128 v[84:87], v2 offset:736
	s_waitcnt lgkmcnt(0)
	v_mul_f64 v[94:95], v[84:85], v[90:91]
	v_fmac_f64_e32 v[94:95], v[86:87], v[88:89]
	v_add_f64 v[100:101], v[92:93], v[94:95]
	ds_read_b128 v[92:95], v2 offset:752
	s_waitcnt lgkmcnt(0)
	v_mul_f64 v[102:103], v[92:93], v[98:99]
	v_fmac_f64_e32 v[102:103], v[94:95], v[96:97]
	v_add_f64 v[108:109], v[100:101], v[102:103]
	ds_read_b128 v[100:103], v2 offset:768
	s_waitcnt lgkmcnt(0)
	v_mul_f64 v[110:111], v[100:101], v[106:107]
	v_fmac_f64_e32 v[110:111], v[102:103], v[104:105]
	v_add_f64 v[116:117], v[108:109], v[110:111]
	ds_read_b128 v[108:111], v2 offset:784
	s_waitcnt lgkmcnt(0)
	v_mul_f64 v[118:119], v[108:109], v[114:115]
	v_fmac_f64_e32 v[118:119], v[110:111], v[112:113]
	v_add_f64 v[124:125], v[116:117], v[118:119]
	ds_read_b128 v[116:119], v2 offset:800
	s_waitcnt lgkmcnt(0)
	v_mul_f64 v[126:127], v[116:117], v[122:123]
	v_fmac_f64_e32 v[126:127], v[118:119], v[120:121]
	v_add_f64 v[132:133], v[124:125], v[126:127]
	ds_read_b128 v[124:127], v2 offset:816
	s_waitcnt lgkmcnt(0)
	v_mul_f64 v[134:135], v[124:125], v[130:131]
	v_fmac_f64_e32 v[134:135], v[126:127], v[128:129]
	v_add_f64 v[140:141], v[132:133], v[134:135]
	ds_read_b128 v[132:135], v2 offset:832
	s_waitcnt lgkmcnt(0)
	v_mul_f64 v[142:143], v[132:133], v[138:139]
	v_fmac_f64_e32 v[142:143], v[134:135], v[136:137]
	v_add_f64 v[148:149], v[140:141], v[142:143]
	ds_read_b128 v[140:143], v2 offset:848
	s_waitcnt lgkmcnt(0)
	v_mul_f64 v[150:151], v[140:141], v[146:147]
	v_fmac_f64_e32 v[150:151], v[142:143], v[144:145]
	v_add_f64 v[156:157], v[148:149], v[150:151]
	ds_read_b128 v[148:151], v2 offset:864
	s_waitcnt lgkmcnt(0)
	v_mul_f64 v[158:159], v[148:149], v[154:155]
	v_fmac_f64_e32 v[158:159], v[150:151], v[152:153]
	v_add_f64 v[164:165], v[156:157], v[158:159]
	ds_read_b128 v[156:159], v2 offset:880
	s_waitcnt lgkmcnt(0)
	v_mul_f64 v[166:167], v[156:157], v[162:163]
	v_fmac_f64_e32 v[166:167], v[158:159], v[160:161]
	v_add_f64 v[172:173], v[164:165], v[166:167]
	ds_read_b128 v[164:167], v2 offset:896
	s_waitcnt lgkmcnt(0)
	v_mul_f64 v[174:175], v[164:165], v[170:171]
	v_fmac_f64_e32 v[174:175], v[166:167], v[168:169]
	v_add_f64 v[180:181], v[172:173], v[174:175]
	ds_read_b128 v[172:175], v2 offset:912
	s_waitcnt lgkmcnt(0)
	v_mul_f64 v[182:183], v[172:173], v[178:179]
	v_fmac_f64_e32 v[182:183], v[174:175], v[176:177]
	v_add_f64 v[184:185], v[180:181], v[182:183]
	ds_read_b128 v[180:183], v2 offset:928
	s_waitcnt lgkmcnt(0)
	v_mul_f64 v[190:191], v[180:181], v[188:189]
	v_fmac_f64_e32 v[190:191], v[182:183], v[186:187]
	v_add_f64 v[184:185], v[184:185], v[190:191]
	ds_read_b128 v[190:193], v2 offset:944
	s_waitcnt lgkmcnt(0)
	v_mul_f64 v[198:199], v[190:191], v[196:197]
	v_fmac_f64_e32 v[198:199], v[192:193], v[194:195]
	v_add_f64 v[184:185], v[184:185], v[198:199]
	ds_read_b128 v[198:201], v2 offset:960
	s_waitcnt lgkmcnt(0)
	v_mul_f64 v[206:207], v[198:199], v[204:205]
	v_fmac_f64_e32 v[206:207], v[200:201], v[202:203]
	v_add_f64 v[184:185], v[184:185], v[206:207]
	ds_read_b128 v[206:209], v2 offset:976
	s_waitcnt lgkmcnt(0)
	v_mul_f64 v[214:215], v[206:207], v[212:213]
	v_fmac_f64_e32 v[214:215], v[208:209], v[210:211]
	v_add_f64 v[184:185], v[184:185], v[214:215]
	ds_read_b128 v[214:217], v2 offset:992
	s_waitcnt lgkmcnt(0)
	v_mul_f64 v[222:223], v[214:215], v[220:221]
	v_fmac_f64_e32 v[222:223], v[216:217], v[218:219]
	v_add_f64 v[184:185], v[184:185], v[222:223]
	ds_read_b128 v[222:225], v2 offset:1008
	s_waitcnt lgkmcnt(0)
	v_mul_f64 v[230:231], v[222:223], v[228:229]
	v_fmac_f64_e32 v[230:231], v[224:225], v[226:227]
	v_add_f64 v[184:185], v[184:185], v[230:231]
	ds_read_b128 v[230:233], v2 offset:1024
	v_mul_f64 v[2:3], v[242:243], v[248:249]
	v_fmac_f64_e32 v[2:3], v[244:245], v[246:247]
	s_waitcnt lgkmcnt(0)
	v_mul_f64 v[238:239], v[230:231], v[236:237]
	v_fmac_f64_e32 v[238:239], v[232:233], v[234:235]
	v_add_f64 v[184:185], v[184:185], v[238:239]
	v_add_f64 v[184:185], v[184:185], v[2:3]
	v_mul_f64 v[2:3], v[18:19], v[22:23]
	v_fma_f64 v[2:3], v[16:17], v[20:21], -v[2:3]
	v_add_f64 v[2:3], v[2:3], 0
	v_add_f64 v[2:3], v[2:3], v[12:13]
	;; [unrolled: 1-line block ×4, first 2 shown]
	v_mul_f64 v[4:5], v[38:39], v[42:43]
	v_fma_f64 v[4:5], v[36:37], v[40:41], -v[4:5]
	v_add_f64 v[2:3], v[2:3], v[4:5]
	v_mul_f64 v[4:5], v[46:47], v[50:51]
	v_fma_f64 v[4:5], v[44:45], v[48:49], -v[4:5]
	v_add_f64 v[2:3], v[2:3], v[4:5]
	;; [unrolled: 3-line block ×26, first 2 shown]
	scratch_load_dwordx4 v[2:5], off, off offset:48
	s_waitcnt vmcnt(0)
	v_add_f64 v[2:3], v[2:3], -v[6:7]
	v_add_f64 v[4:5], v[4:5], -v[184:185]
	scratch_store_dwordx4 off, v[2:5], off offset:48
	s_and_saveexec_b64 s[0:1], vcc
	s_cbranch_execz .LBB32_209
; %bb.208:
	scratch_load_dwordx4 v[2:5], off, s20
	v_mov_b32_e32 v6, 0
	v_mov_b32_e32 v7, v6
	;; [unrolled: 1-line block ×4, first 2 shown]
	scratch_store_dwordx4 off, v[6:9], off offset:32
	s_waitcnt vmcnt(1)
	ds_write_b128 v1, v[2:5]
.LBB32_209:
	s_or_b64 exec, exec, s[0:1]
	s_waitcnt lgkmcnt(0)
	; wave barrier
	scratch_load_dwordx4 v[16:19], off, off offset:48
	scratch_load_dwordx4 v[12:15], off, off offset:64
	;; [unrolled: 1-line block ×32, first 2 shown]
	v_mov_b32_e32 v2, 0
	ds_read_b128 v[132:135], v2 offset:560
	ds_read_b128 v[136:139], v2 offset:576
	;; [unrolled: 1-line block ×17, first 2 shown]
	v_cmp_ne_u32_e32 vcc, 0, v0
	s_waitcnt vmcnt(31) lgkmcnt(14)
	v_mul_f64 v[200:201], v[132:133], v[18:19]
	s_waitcnt vmcnt(30)
	v_mul_f64 v[202:203], v[136:137], v[14:15]
	v_fmac_f64_e32 v[200:201], v[134:135], v[16:17]
	s_waitcnt vmcnt(29)
	v_mul_f64 v[204:205], v[140:141], v[10:11]
	v_fmac_f64_e32 v[202:203], v[138:139], v[12:13]
	v_add_f64 v[200:201], v[200:201], 0
	s_waitcnt vmcnt(28) lgkmcnt(13)
	v_mul_f64 v[206:207], v[144:145], v[6:7]
	v_fmac_f64_e32 v[204:205], v[142:143], v[8:9]
	v_add_f64 v[200:201], v[200:201], v[202:203]
	s_waitcnt vmcnt(27) lgkmcnt(12)
	;; [unrolled: 4-line block ×12, first 2 shown]
	v_mul_f64 v[228:229], v[188:189], v[62:63]
	v_fmac_f64_e32 v[226:227], v[186:187], v[56:57]
	v_add_f64 v[200:201], v[200:201], v[224:225]
	v_fmac_f64_e32 v[228:229], v[190:191], v[60:61]
	v_add_f64 v[200:201], v[200:201], v[226:227]
	s_waitcnt vmcnt(16) lgkmcnt(1)
	v_mul_f64 v[202:203], v[192:193], v[66:67]
	v_add_f64 v[200:201], v[200:201], v[228:229]
	v_fmac_f64_e32 v[202:203], v[194:195], v[64:65]
	s_waitcnt vmcnt(15) lgkmcnt(0)
	v_mul_f64 v[206:207], v[196:197], v[70:71]
	v_add_f64 v[204:205], v[200:201], v[202:203]
	ds_read_b128 v[200:203], v2 offset:832
	v_fmac_f64_e32 v[206:207], v[198:199], v[68:69]
	v_add_f64 v[208:209], v[204:205], v[206:207]
	ds_read_b128 v[204:207], v2 offset:848
	v_mul_f64 v[18:19], v[134:135], v[18:19]
	s_waitcnt vmcnt(14) lgkmcnt(1)
	v_mul_f64 v[210:211], v[200:201], v[74:75]
	v_fmac_f64_e32 v[210:211], v[202:203], v[72:73]
	v_add_f64 v[212:213], v[208:209], v[210:211]
	s_waitcnt vmcnt(13) lgkmcnt(0)
	v_mul_f64 v[214:215], v[204:205], v[78:79]
	ds_read_b128 v[208:211], v2 offset:864
	v_fmac_f64_e32 v[214:215], v[206:207], v[76:77]
	v_add_f64 v[216:217], v[212:213], v[214:215]
	ds_read_b128 v[212:215], v2 offset:880
	v_fma_f64 v[244:245], v[132:133], v[16:17], -v[18:19]
	s_waitcnt vmcnt(12) lgkmcnt(1)
	v_mul_f64 v[218:219], v[208:209], v[82:83]
	v_fmac_f64_e32 v[218:219], v[210:211], v[80:81]
	v_add_f64 v[220:221], v[216:217], v[218:219]
	s_waitcnt vmcnt(11) lgkmcnt(0)
	v_mul_f64 v[222:223], v[212:213], v[86:87]
	ds_read_b128 v[216:219], v2 offset:896
	v_fmac_f64_e32 v[222:223], v[214:215], v[84:85]
	v_add_f64 v[224:225], v[220:221], v[222:223]
	ds_read_b128 v[220:223], v2 offset:912
	ds_read_b128 v[16:19], v2 offset:992
	s_waitcnt vmcnt(10) lgkmcnt(2)
	v_mul_f64 v[226:227], v[216:217], v[90:91]
	v_fmac_f64_e32 v[226:227], v[218:219], v[88:89]
	v_add_f64 v[228:229], v[224:225], v[226:227]
	s_waitcnt vmcnt(9) lgkmcnt(1)
	v_mul_f64 v[230:231], v[220:221], v[94:95]
	ds_read_b128 v[224:227], v2 offset:928
	v_fmac_f64_e32 v[230:231], v[222:223], v[92:93]
	v_add_f64 v[232:233], v[228:229], v[230:231]
	ds_read_b128 v[228:231], v2 offset:944
	v_mul_f64 v[14:15], v[138:139], v[14:15]
	s_waitcnt vmcnt(8) lgkmcnt(1)
	v_mul_f64 v[234:235], v[224:225], v[98:99]
	v_fmac_f64_e32 v[234:235], v[226:227], v[96:97]
	v_add_f64 v[236:237], v[232:233], v[234:235]
	s_waitcnt vmcnt(7) lgkmcnt(0)
	v_mul_f64 v[238:239], v[228:229], v[102:103]
	ds_read_b128 v[232:235], v2 offset:960
	v_fmac_f64_e32 v[238:239], v[230:231], v[100:101]
	v_add_f64 v[242:243], v[236:237], v[238:239]
	ds_read_b128 v[236:239], v2 offset:976
	v_fma_f64 v[136:137], v[136:137], v[12:13], -v[14:15]
	s_waitcnt vmcnt(6) lgkmcnt(1)
	v_mul_f64 v[132:133], v[232:233], v[106:107]
	v_fmac_f64_e32 v[132:133], v[234:235], v[104:105]
	v_add_f64 v[132:133], v[242:243], v[132:133]
	s_waitcnt vmcnt(5) lgkmcnt(0)
	v_mul_f64 v[134:135], v[236:237], v[110:111]
	v_fmac_f64_e32 v[134:135], v[238:239], v[108:109]
	v_add_f64 v[132:133], v[132:133], v[134:135]
	ds_read_b128 v[12:15], v2 offset:1008
	s_waitcnt vmcnt(4)
	v_mul_f64 v[134:135], v[16:17], v[114:115]
	v_fmac_f64_e32 v[134:135], v[18:19], v[112:113]
	v_add_f64 v[138:139], v[132:133], v[134:135]
	ds_read_b128 v[132:135], v2 offset:1024
	v_mul_f64 v[10:11], v[142:143], v[10:11]
	v_fma_f64 v[140:141], v[140:141], v[8:9], -v[10:11]
	ds_read_b128 v[8:11], v2 offset:1040
	s_waitcnt vmcnt(3) lgkmcnt(2)
	v_mul_f64 v[142:143], v[12:13], v[118:119]
	v_fmac_f64_e32 v[142:143], v[14:15], v[116:117]
	v_add_f64 v[138:139], v[138:139], v[142:143]
	s_waitcnt vmcnt(2) lgkmcnt(1)
	v_mul_f64 v[142:143], v[132:133], v[122:123]
	v_fmac_f64_e32 v[142:143], v[134:135], v[120:121]
	v_add_f64 v[138:139], v[138:139], v[142:143]
	;; [unrolled: 4-line block ×3, first 2 shown]
	v_add_f64 v[142:143], v[244:245], 0
	v_add_f64 v[136:137], v[142:143], v[136:137]
	v_mul_f64 v[6:7], v[146:147], v[6:7]
	v_add_f64 v[136:137], v[136:137], v[140:141]
	v_fma_f64 v[4:5], v[144:145], v[4:5], -v[6:7]
	v_mul_f64 v[6:7], v[150:151], v[22:23]
	v_add_f64 v[4:5], v[136:137], v[4:5]
	v_fma_f64 v[6:7], v[148:149], v[20:21], -v[6:7]
	v_add_f64 v[4:5], v[4:5], v[6:7]
	v_mul_f64 v[6:7], v[154:155], v[26:27]
	v_fma_f64 v[6:7], v[152:153], v[24:25], -v[6:7]
	v_add_f64 v[4:5], v[4:5], v[6:7]
	v_mul_f64 v[6:7], v[158:159], v[30:31]
	;; [unrolled: 3-line block ×26, first 2 shown]
	v_fma_f64 v[6:7], v[8:9], v[124:125], -v[6:7]
	v_add_f64 v[4:5], v[4:5], v[6:7]
	s_waitcnt vmcnt(0)
	v_add_f64 v[4:5], v[128:129], -v[4:5]
	v_add_f64 v[6:7], v[130:131], -v[138:139]
	scratch_store_dwordx4 off, v[4:7], off offset:32
	s_and_saveexec_b64 s[0:1], vcc
	s_cbranch_execz .LBB32_211
; %bb.210:
	scratch_load_dwordx4 v[6:9], off, off offset:16
	v_mov_b32_e32 v3, v2
	v_mov_b32_e32 v4, v2
	;; [unrolled: 1-line block ×3, first 2 shown]
	scratch_store_dwordx4 off, v[2:5], off offset:16
	s_waitcnt vmcnt(1)
	ds_write_b128 v1, v[6:9]
.LBB32_211:
	s_or_b64 exec, exec, s[0:1]
	s_waitcnt lgkmcnt(0)
	; wave barrier
	scratch_load_dwordx4 v[176:179], off, off offset:32
	scratch_load_dwordx4 v[180:183], off, off offset:48
	;; [unrolled: 1-line block ×16, first 2 shown]
	ds_read_b128 v[232:235], v2 offset:544
	ds_read_b128 v[228:231], v2 offset:560
	scratch_load_dwordx4 v[56:59], off, off offset:288
	ds_read_b128 v[236:239], v2 offset:576
	ds_read_b128 v[72:75], v2 offset:592
	ds_read_b128 v[68:71], v2 offset:608
	scratch_load_dwordx4 v[60:63], off, off offset:304
	ds_read_b128 v[88:91], v2 offset:624
	;; [unrolled: 4-line block ×5, first 2 shown]
	ds_read_b128 v[128:131], v2 offset:784
	ds_read_b128 v[124:127], v2 offset:800
	scratch_load_dwordx4 v[120:123], off, off offset:368
	scratch_load_dwordx4 v[136:139], off, off offset:384
	;; [unrolled: 1-line block ×12, first 2 shown]
	s_and_b64 vcc, exec, s[18:19]
	s_waitcnt vmcnt(32) lgkmcnt(14)
	v_mul_f64 v[0:1], v[232:233], v[178:179]
	s_waitcnt vmcnt(31)
	v_mul_f64 v[188:189], v[228:229], v[182:183]
	v_fmac_f64_e32 v[0:1], v[234:235], v[176:177]
	s_waitcnt vmcnt(30)
	v_mul_f64 v[190:191], v[236:237], v[186:187]
	v_fmac_f64_e32 v[188:189], v[230:231], v[180:181]
	v_add_f64 v[0:1], v[0:1], 0
	s_waitcnt vmcnt(29) lgkmcnt(13)
	v_mul_f64 v[192:193], v[72:73], v[6:7]
	v_fmac_f64_e32 v[190:191], v[238:239], v[184:185]
	v_add_f64 v[0:1], v[0:1], v[188:189]
	s_waitcnt vmcnt(28) lgkmcnt(12)
	;; [unrolled: 4-line block ×11, first 2 shown]
	v_mul_f64 v[212:213], v[108:109], v[46:47]
	v_fmac_f64_e32 v[210:211], v[114:115], v[40:41]
	v_add_f64 v[0:1], v[0:1], v[208:209]
	ds_read_b128 v[188:191], v2 offset:816
	s_waitcnt vmcnt(18) lgkmcnt(3)
	v_mul_f64 v[214:215], v[132:133], v[50:51]
	v_fmac_f64_e32 v[212:213], v[110:111], v[44:45]
	v_add_f64 v[0:1], v[0:1], v[210:211]
	s_waitcnt vmcnt(17) lgkmcnt(2)
	v_mul_f64 v[216:217], v[128:129], v[54:55]
	v_fmac_f64_e32 v[214:215], v[134:135], v[48:49]
	v_add_f64 v[0:1], v[0:1], v[212:213]
	v_add_f64 v[0:1], v[0:1], v[214:215]
	v_fmac_f64_e32 v[216:217], v[130:131], v[52:53]
	s_waitcnt vmcnt(16) lgkmcnt(1)
	v_mul_f64 v[192:193], v[124:125], v[58:59]
	v_add_f64 v[0:1], v[0:1], v[216:217]
	v_fmac_f64_e32 v[192:193], v[126:127], v[56:57]
	v_add_f64 v[0:1], v[0:1], v[192:193]
	ds_read_b128 v[192:195], v2 offset:832
	s_waitcnt vmcnt(15) lgkmcnt(1)
	v_mul_f64 v[196:197], v[188:189], v[62:63]
	v_fmac_f64_e32 v[196:197], v[190:191], v[60:61]
	v_add_f64 v[0:1], v[0:1], v[196:197]
	ds_read_b128 v[196:199], v2 offset:848
	s_waitcnt vmcnt(14) lgkmcnt(1)
	v_mul_f64 v[200:201], v[192:193], v[66:67]
	;; [unrolled: 5-line block ×9, first 2 shown]
	v_mul_f64 v[178:179], v[234:235], v[178:179]
	v_fmac_f64_e32 v[242:243], v[222:223], v[148:149]
	v_fma_f64 v[234:235], v[232:233], v[176:177], -v[178:179]
	ds_read_b128 v[176:179], v2 offset:976
	v_mul_f64 v[182:183], v[230:231], v[182:183]
	v_add_f64 v[0:1], v[0:1], v[242:243]
	v_fma_f64 v[242:243], v[228:229], v[180:181], -v[182:183]
	ds_read_b128 v[180:183], v2 offset:992
	s_waitcnt vmcnt(6) lgkmcnt(2)
	v_mul_f64 v[232:233], v[224:225], v[154:155]
	v_fmac_f64_e32 v[232:233], v[226:227], v[152:153]
	s_waitcnt vmcnt(5) lgkmcnt(1)
	v_mul_f64 v[228:229], v[176:177], v[158:159]
	v_add_f64 v[0:1], v[0:1], v[232:233]
	v_fmac_f64_e32 v[228:229], v[178:179], v[156:157]
	s_waitcnt vmcnt(4) lgkmcnt(0)
	v_mul_f64 v[232:233], v[180:181], v[162:163]
	v_add_f64 v[0:1], v[0:1], v[228:229]
	v_fmac_f64_e32 v[232:233], v[182:183], v[160:161]
	v_add_f64 v[232:233], v[0:1], v[232:233]
	v_mul_f64 v[0:1], v[238:239], v[186:187]
	v_add_f64 v[234:235], v[234:235], 0
	v_fma_f64 v[236:237], v[236:237], v[184:185], -v[0:1]
	v_add_f64 v[234:235], v[234:235], v[242:243]
	v_mul_f64 v[6:7], v[74:75], v[6:7]
	v_add_f64 v[234:235], v[234:235], v[236:237]
	v_fma_f64 v[4:5], v[72:73], v[4:5], -v[6:7]
	v_mul_f64 v[6:7], v[70:71], v[10:11]
	v_add_f64 v[4:5], v[234:235], v[4:5]
	v_fma_f64 v[6:7], v[68:69], v[8:9], -v[6:7]
	v_add_f64 v[4:5], v[4:5], v[6:7]
	v_mul_f64 v[6:7], v[90:91], v[14:15]
	v_fma_f64 v[6:7], v[88:89], v[12:13], -v[6:7]
	v_add_f64 v[4:5], v[4:5], v[6:7]
	v_mul_f64 v[6:7], v[86:87], v[18:19]
	v_fma_f64 v[6:7], v[84:85], v[16:17], -v[6:7]
	v_add_f64 v[4:5], v[4:5], v[6:7]
	v_mul_f64 v[6:7], v[82:83], v[22:23]
	v_fma_f64 v[6:7], v[80:81], v[20:21], -v[6:7]
	v_add_f64 v[4:5], v[4:5], v[6:7]
	v_mul_f64 v[6:7], v[102:103], v[26:27]
	v_fma_f64 v[6:7], v[100:101], v[24:25], -v[6:7]
	v_add_f64 v[4:5], v[4:5], v[6:7]
	v_mul_f64 v[6:7], v[98:99], v[30:31]
	v_fma_f64 v[6:7], v[96:97], v[28:29], -v[6:7]
	v_add_f64 v[4:5], v[4:5], v[6:7]
	v_mul_f64 v[6:7], v[94:95], v[34:35]
	v_fma_f64 v[6:7], v[92:93], v[32:33], -v[6:7]
	v_add_f64 v[4:5], v[4:5], v[6:7]
	v_mul_f64 v[6:7], v[118:119], v[38:39]
	v_fma_f64 v[6:7], v[116:117], v[36:37], -v[6:7]
	v_add_f64 v[4:5], v[4:5], v[6:7]
	v_mul_f64 v[6:7], v[114:115], v[42:43]
	v_fma_f64 v[6:7], v[112:113], v[40:41], -v[6:7]
	v_add_f64 v[4:5], v[4:5], v[6:7]
	v_mul_f64 v[6:7], v[110:111], v[46:47]
	v_fma_f64 v[6:7], v[108:109], v[44:45], -v[6:7]
	v_add_f64 v[4:5], v[4:5], v[6:7]
	v_mul_f64 v[6:7], v[134:135], v[50:51]
	v_fma_f64 v[6:7], v[132:133], v[48:49], -v[6:7]
	v_add_f64 v[4:5], v[4:5], v[6:7]
	v_mul_f64 v[6:7], v[130:131], v[54:55]
	v_fma_f64 v[6:7], v[128:129], v[52:53], -v[6:7]
	v_add_f64 v[4:5], v[4:5], v[6:7]
	v_mul_f64 v[6:7], v[126:127], v[58:59]
	v_fma_f64 v[6:7], v[124:125], v[56:57], -v[6:7]
	v_add_f64 v[4:5], v[4:5], v[6:7]
	v_mul_f64 v[6:7], v[190:191], v[62:63]
	v_fma_f64 v[6:7], v[188:189], v[60:61], -v[6:7]
	v_add_f64 v[4:5], v[4:5], v[6:7]
	v_mul_f64 v[6:7], v[194:195], v[66:67]
	v_fma_f64 v[6:7], v[192:193], v[64:65], -v[6:7]
	v_add_f64 v[4:5], v[4:5], v[6:7]
	v_mul_f64 v[6:7], v[198:199], v[78:79]
	v_fma_f64 v[6:7], v[196:197], v[76:77], -v[6:7]
	v_add_f64 v[4:5], v[4:5], v[6:7]
	v_mul_f64 v[6:7], v[202:203], v[106:107]
	v_fma_f64 v[6:7], v[200:201], v[104:105], -v[6:7]
	v_add_f64 v[4:5], v[4:5], v[6:7]
	v_mul_f64 v[6:7], v[206:207], v[122:123]
	v_fma_f64 v[6:7], v[204:205], v[120:121], -v[6:7]
	v_add_f64 v[4:5], v[4:5], v[6:7]
	v_mul_f64 v[6:7], v[210:211], v[138:139]
	v_fma_f64 v[6:7], v[208:209], v[136:137], -v[6:7]
	v_add_f64 v[4:5], v[4:5], v[6:7]
	v_mul_f64 v[6:7], v[214:215], v[142:143]
	v_fma_f64 v[6:7], v[212:213], v[140:141], -v[6:7]
	v_add_f64 v[4:5], v[4:5], v[6:7]
	v_mul_f64 v[6:7], v[218:219], v[146:147]
	v_fma_f64 v[6:7], v[216:217], v[144:145], -v[6:7]
	v_add_f64 v[4:5], v[4:5], v[6:7]
	v_mul_f64 v[6:7], v[222:223], v[150:151]
	ds_read_b128 v[228:231], v2 offset:1008
	ds_read_b128 v[184:187], v2 offset:1024
	v_fma_f64 v[6:7], v[220:221], v[148:149], -v[6:7]
	v_add_f64 v[4:5], v[4:5], v[6:7]
	v_mul_f64 v[6:7], v[226:227], v[154:155]
	v_fma_f64 v[6:7], v[224:225], v[152:153], -v[6:7]
	v_add_f64 v[4:5], v[4:5], v[6:7]
	v_mul_f64 v[6:7], v[178:179], v[158:159]
	ds_read_b128 v[0:3], v2 offset:1040
	v_fma_f64 v[6:7], v[176:177], v[156:157], -v[6:7]
	s_waitcnt vmcnt(3) lgkmcnt(2)
	v_mul_f64 v[238:239], v[228:229], v[166:167]
	v_add_f64 v[4:5], v[4:5], v[6:7]
	v_mul_f64 v[6:7], v[182:183], v[162:163]
	v_fmac_f64_e32 v[238:239], v[230:231], v[164:165]
	v_fma_f64 v[6:7], v[180:181], v[160:161], -v[6:7]
	v_add_f64 v[232:233], v[232:233], v[238:239]
	s_waitcnt vmcnt(2) lgkmcnt(1)
	v_mul_f64 v[238:239], v[184:185], v[170:171]
	v_add_f64 v[4:5], v[4:5], v[6:7]
	v_mul_f64 v[6:7], v[230:231], v[166:167]
	v_fmac_f64_e32 v[238:239], v[186:187], v[168:169]
	v_fma_f64 v[6:7], v[228:229], v[164:165], -v[6:7]
	v_add_f64 v[232:233], v[232:233], v[238:239]
	s_waitcnt vmcnt(1) lgkmcnt(0)
	v_mul_f64 v[238:239], v[0:1], v[174:175]
	v_add_f64 v[4:5], v[4:5], v[6:7]
	v_mul_f64 v[6:7], v[186:187], v[170:171]
	v_fmac_f64_e32 v[238:239], v[2:3], v[172:173]
	v_fma_f64 v[6:7], v[184:185], v[168:169], -v[6:7]
	v_mul_f64 v[2:3], v[2:3], v[174:175]
	v_add_f64 v[4:5], v[4:5], v[6:7]
	v_fma_f64 v[0:1], v[0:1], v[172:173], -v[2:3]
	v_add_f64 v[232:233], v[232:233], v[238:239]
	v_add_f64 v[0:1], v[4:5], v[0:1]
	s_waitcnt vmcnt(0)
	v_add_f64 v[0:1], v[244:245], -v[0:1]
	v_add_f64 v[2:3], v[246:247], -v[232:233]
	scratch_store_dwordx4 off, v[0:3], off offset:16
	s_cbranch_vccz .LBB32_276
; %bb.212:
	s_nop 0
	v_mov_b32_e32 v0, 0
	global_load_dword v1, v0, s[16:17] offset:124
	s_waitcnt vmcnt(0)
	v_readfirstlane_b32 s0, v1
	s_add_i32 s0, s0, -1
	s_cmp_lg_u32 s0, 31
	s_cbranch_scc0 .LBB32_214
; %bb.213:
	s_lshl_b32 s0, s0, 4
	s_add_i32 s0, s0, 16
	scratch_load_dwordx4 v[2:5], off, s0
	scratch_load_dwordx4 v[6:9], off, s44
	s_waitcnt vmcnt(1)
	scratch_store_dwordx4 off, v[2:5], s44
	s_waitcnt vmcnt(1)
	scratch_store_dwordx4 off, v[6:9], s0
.LBB32_214:
	global_load_dword v0, v0, s[16:17] offset:120
	s_waitcnt vmcnt(0)
	v_readfirstlane_b32 s0, v0
	s_add_i32 s0, s0, -1
	s_cmp_eq_u32 s0, 30
	s_cbranch_scc1 .LBB32_216
; %bb.215:
	s_lshl_b32 s0, s0, 4
	s_add_i32 s0, s0, 16
	scratch_load_dwordx4 v[0:3], off, s0
	scratch_load_dwordx4 v[4:7], off, s43
	s_waitcnt vmcnt(1)
	scratch_store_dwordx4 off, v[0:3], s43
	s_waitcnt vmcnt(1)
	scratch_store_dwordx4 off, v[4:7], s0
.LBB32_216:
	v_mov_b32_e32 v0, 0
	global_load_dword v1, v0, s[16:17] offset:116
	s_waitcnt vmcnt(0)
	v_readfirstlane_b32 s0, v1
	s_add_i32 s0, s0, -1
	s_cmp_eq_u32 s0, 29
	s_cbranch_scc1 .LBB32_218
; %bb.217:
	s_lshl_b32 s0, s0, 4
	s_add_i32 s0, s0, 16
	scratch_load_dwordx4 v[2:5], off, s0
	scratch_load_dwordx4 v[6:9], off, s42
	s_waitcnt vmcnt(1)
	scratch_store_dwordx4 off, v[2:5], s42
	s_waitcnt vmcnt(1)
	scratch_store_dwordx4 off, v[6:9], s0
.LBB32_218:
	global_load_dword v0, v0, s[16:17] offset:112
	s_waitcnt vmcnt(0)
	v_readfirstlane_b32 s0, v0
	s_add_i32 s0, s0, -1
	s_cmp_eq_u32 s0, 28
	s_cbranch_scc1 .LBB32_220
; %bb.219:
	s_lshl_b32 s0, s0, 4
	s_add_i32 s0, s0, 16
	scratch_load_dwordx4 v[0:3], off, s0
	scratch_load_dwordx4 v[4:7], off, s41
	s_waitcnt vmcnt(1)
	scratch_store_dwordx4 off, v[0:3], s41
	s_waitcnt vmcnt(1)
	scratch_store_dwordx4 off, v[4:7], s0
.LBB32_220:
	v_mov_b32_e32 v0, 0
	global_load_dword v1, v0, s[16:17] offset:108
	s_waitcnt vmcnt(0)
	v_readfirstlane_b32 s0, v1
	s_add_i32 s0, s0, -1
	s_cmp_eq_u32 s0, 27
	s_cbranch_scc1 .LBB32_222
; %bb.221:
	s_lshl_b32 s0, s0, 4
	s_add_i32 s0, s0, 16
	scratch_load_dwordx4 v[2:5], off, s0
	scratch_load_dwordx4 v[6:9], off, s40
	s_waitcnt vmcnt(1)
	scratch_store_dwordx4 off, v[2:5], s40
	s_waitcnt vmcnt(1)
	scratch_store_dwordx4 off, v[6:9], s0
.LBB32_222:
	;; [unrolled: 33-line block ×15, first 2 shown]
	global_load_dword v0, v0, s[16:17]
	s_waitcnt vmcnt(0)
	v_readfirstlane_b32 s0, v0
	s_add_i32 s0, s0, -1
	s_cmp_eq_u32 s0, 0
	s_cbranch_scc1 .LBB32_276
; %bb.275:
	s_lshl_b32 s0, s0, 4
	s_add_i32 s0, s0, 16
	scratch_load_dwordx4 v[0:3], off, s0
	scratch_load_dwordx4 v[4:7], off, off offset:16
	s_waitcnt vmcnt(1)
	scratch_store_dwordx4 off, v[0:3], off offset:16
	s_waitcnt vmcnt(1)
	scratch_store_dwordx4 off, v[4:7], s0
.LBB32_276:
	scratch_load_dwordx4 v[0:3], off, off offset:16
	s_nop 0
	scratch_load_dwordx4 v[4:7], off, s20
	scratch_load_dwordx4 v[8:11], off, s12
	;; [unrolled: 1-line block ×14, first 2 shown]
                                        ; kill: killed $sgpr48
                                        ; kill: killed $sgpr20
                                        ; kill: killed $sgpr25
                                        ; kill: killed $sgpr47
                                        ; kill: killed $sgpr23
                                        ; kill: killed $sgpr46
                                        ; kill: killed $sgpr21
                                        ; kill: killed $sgpr26
                                        ; kill: killed $sgpr14
                                        ; kill: killed $sgpr24
                                        ; kill: killed $sgpr13
                                        ; kill: killed $sgpr22
                                        ; kill: killed $sgpr12
                                        ; kill: killed $sgpr15
	scratch_load_dwordx4 v[60:63], off, s27
	scratch_load_dwordx4 v[64:67], off, s28
	;; [unrolled: 1-line block ×18, first 2 shown]
	v_accvgpr_read_b32 v133, a1
	v_accvgpr_read_b32 v132, a0
	s_waitcnt vmcnt(32)
	global_store_dwordx4 v[132:133], v[0:3], off
	s_nop 1
	v_accvgpr_read_b32 v0, a2
	v_accvgpr_read_b32 v1, a3
	s_waitcnt vmcnt(32)
	global_store_dwordx4 v[0:1], v[4:7], off
	v_accvgpr_read_b32 v0, a4
	v_accvgpr_read_b32 v1, a5
	s_waitcnt vmcnt(32)
	global_store_dwordx4 v[0:1], v[8:11], off
	;; [unrolled: 4-line block ×28, first 2 shown]
	s_waitcnt vmcnt(32)
	global_store_dwordx4 v[250:251], v[116:119], off
	s_waitcnt vmcnt(32)
	global_store_dwordx4 v[252:253], v[120:123], off
	;; [unrolled: 2-line block ×4, first 2 shown]
	s_endpgm
	.section	.rodata,"a",@progbits
	.p2align	6, 0x0
	.amdhsa_kernel _ZN9rocsolver6v33100L18getri_kernel_smallILi33E19rocblas_complex_numIdEPS3_EEvT1_iilPiilS6_bb
		.amdhsa_group_segment_fixed_size 1064
		.amdhsa_private_segment_fixed_size 560
		.amdhsa_kernarg_size 60
		.amdhsa_user_sgpr_count 2
		.amdhsa_user_sgpr_dispatch_ptr 0
		.amdhsa_user_sgpr_queue_ptr 0
		.amdhsa_user_sgpr_kernarg_segment_ptr 1
		.amdhsa_user_sgpr_dispatch_id 0
		.amdhsa_user_sgpr_kernarg_preload_length 0
		.amdhsa_user_sgpr_kernarg_preload_offset 0
		.amdhsa_user_sgpr_private_segment_size 0
		.amdhsa_uses_dynamic_stack 0
		.amdhsa_enable_private_segment 1
		.amdhsa_system_sgpr_workgroup_id_x 1
		.amdhsa_system_sgpr_workgroup_id_y 0
		.amdhsa_system_sgpr_workgroup_id_z 0
		.amdhsa_system_sgpr_workgroup_info 0
		.amdhsa_system_vgpr_workitem_id 0
		.amdhsa_next_free_vgpr 314
		.amdhsa_next_free_sgpr 49
		.amdhsa_accum_offset 256
		.amdhsa_reserve_vcc 1
		.amdhsa_float_round_mode_32 0
		.amdhsa_float_round_mode_16_64 0
		.amdhsa_float_denorm_mode_32 3
		.amdhsa_float_denorm_mode_16_64 3
		.amdhsa_dx10_clamp 1
		.amdhsa_ieee_mode 1
		.amdhsa_fp16_overflow 0
		.amdhsa_tg_split 0
		.amdhsa_exception_fp_ieee_invalid_op 0
		.amdhsa_exception_fp_denorm_src 0
		.amdhsa_exception_fp_ieee_div_zero 0
		.amdhsa_exception_fp_ieee_overflow 0
		.amdhsa_exception_fp_ieee_underflow 0
		.amdhsa_exception_fp_ieee_inexact 0
		.amdhsa_exception_int_div_zero 0
	.end_amdhsa_kernel
	.section	.text._ZN9rocsolver6v33100L18getri_kernel_smallILi33E19rocblas_complex_numIdEPS3_EEvT1_iilPiilS6_bb,"axG",@progbits,_ZN9rocsolver6v33100L18getri_kernel_smallILi33E19rocblas_complex_numIdEPS3_EEvT1_iilPiilS6_bb,comdat
.Lfunc_end32:
	.size	_ZN9rocsolver6v33100L18getri_kernel_smallILi33E19rocblas_complex_numIdEPS3_EEvT1_iilPiilS6_bb, .Lfunc_end32-_ZN9rocsolver6v33100L18getri_kernel_smallILi33E19rocblas_complex_numIdEPS3_EEvT1_iilPiilS6_bb
                                        ; -- End function
	.set _ZN9rocsolver6v33100L18getri_kernel_smallILi33E19rocblas_complex_numIdEPS3_EEvT1_iilPiilS6_bb.num_vgpr, 256
	.set _ZN9rocsolver6v33100L18getri_kernel_smallILi33E19rocblas_complex_numIdEPS3_EEvT1_iilPiilS6_bb.num_agpr, 58
	.set _ZN9rocsolver6v33100L18getri_kernel_smallILi33E19rocblas_complex_numIdEPS3_EEvT1_iilPiilS6_bb.numbered_sgpr, 49
	.set _ZN9rocsolver6v33100L18getri_kernel_smallILi33E19rocblas_complex_numIdEPS3_EEvT1_iilPiilS6_bb.num_named_barrier, 0
	.set _ZN9rocsolver6v33100L18getri_kernel_smallILi33E19rocblas_complex_numIdEPS3_EEvT1_iilPiilS6_bb.private_seg_size, 560
	.set _ZN9rocsolver6v33100L18getri_kernel_smallILi33E19rocblas_complex_numIdEPS3_EEvT1_iilPiilS6_bb.uses_vcc, 1
	.set _ZN9rocsolver6v33100L18getri_kernel_smallILi33E19rocblas_complex_numIdEPS3_EEvT1_iilPiilS6_bb.uses_flat_scratch, 0
	.set _ZN9rocsolver6v33100L18getri_kernel_smallILi33E19rocblas_complex_numIdEPS3_EEvT1_iilPiilS6_bb.has_dyn_sized_stack, 0
	.set _ZN9rocsolver6v33100L18getri_kernel_smallILi33E19rocblas_complex_numIdEPS3_EEvT1_iilPiilS6_bb.has_recursion, 0
	.set _ZN9rocsolver6v33100L18getri_kernel_smallILi33E19rocblas_complex_numIdEPS3_EEvT1_iilPiilS6_bb.has_indirect_call, 0
	.section	.AMDGPU.csdata,"",@progbits
; Kernel info:
; codeLenInByte = 50376
; TotalNumSgprs: 55
; NumVgprs: 256
; NumAgprs: 58
; TotalNumVgprs: 314
; ScratchSize: 560
; MemoryBound: 0
; FloatMode: 240
; IeeeMode: 1
; LDSByteSize: 1064 bytes/workgroup (compile time only)
; SGPRBlocks: 6
; VGPRBlocks: 39
; NumSGPRsForWavesPerEU: 55
; NumVGPRsForWavesPerEU: 314
; AccumOffset: 256
; Occupancy: 1
; WaveLimiterHint : 1
; COMPUTE_PGM_RSRC2:SCRATCH_EN: 1
; COMPUTE_PGM_RSRC2:USER_SGPR: 2
; COMPUTE_PGM_RSRC2:TRAP_HANDLER: 0
; COMPUTE_PGM_RSRC2:TGID_X_EN: 1
; COMPUTE_PGM_RSRC2:TGID_Y_EN: 0
; COMPUTE_PGM_RSRC2:TGID_Z_EN: 0
; COMPUTE_PGM_RSRC2:TIDIG_COMP_CNT: 0
; COMPUTE_PGM_RSRC3_GFX90A:ACCUM_OFFSET: 63
; COMPUTE_PGM_RSRC3_GFX90A:TG_SPLIT: 0
	.section	.text._ZN9rocsolver6v33100L18getri_kernel_smallILi34E19rocblas_complex_numIdEPS3_EEvT1_iilPiilS6_bb,"axG",@progbits,_ZN9rocsolver6v33100L18getri_kernel_smallILi34E19rocblas_complex_numIdEPS3_EEvT1_iilPiilS6_bb,comdat
	.globl	_ZN9rocsolver6v33100L18getri_kernel_smallILi34E19rocblas_complex_numIdEPS3_EEvT1_iilPiilS6_bb ; -- Begin function _ZN9rocsolver6v33100L18getri_kernel_smallILi34E19rocblas_complex_numIdEPS3_EEvT1_iilPiilS6_bb
	.p2align	8
	.type	_ZN9rocsolver6v33100L18getri_kernel_smallILi34E19rocblas_complex_numIdEPS3_EEvT1_iilPiilS6_bb,@function
_ZN9rocsolver6v33100L18getri_kernel_smallILi34E19rocblas_complex_numIdEPS3_EEvT1_iilPiilS6_bb: ; @_ZN9rocsolver6v33100L18getri_kernel_smallILi34E19rocblas_complex_numIdEPS3_EEvT1_iilPiilS6_bb
; %bb.0:
	v_cmp_gt_u32_e32 vcc, 34, v0
	s_and_saveexec_b64 s[4:5], vcc
	s_cbranch_execz .LBB33_150
; %bb.1:
	s_load_dword s8, s[0:1], 0x38
	s_load_dwordx4 s[12:15], s[0:1], 0x10
	s_load_dwordx4 s[4:7], s[0:1], 0x28
                                        ; implicit-def: $sgpr16_sgpr17
	s_waitcnt lgkmcnt(0)
	s_bitcmp1_b32 s8, 8
	s_cselect_b64 s[18:19], -1, 0
	s_ashr_i32 s3, s2, 31
	s_bfe_u32 s8, s8, 0x10008
	s_cmp_eq_u32 s8, 0
	s_cbranch_scc1 .LBB33_3
; %bb.2:
	s_load_dword s8, s[0:1], 0x20
	s_mul_i32 s9, s4, s3
	s_mul_hi_u32 s10, s4, s2
	s_mul_i32 s5, s5, s2
	s_add_i32 s10, s10, s9
	s_add_i32 s5, s10, s5
	s_mul_i32 s4, s4, s2
	s_waitcnt lgkmcnt(0)
	s_ashr_i32 s9, s8, 31
	s_lshl_b64 s[4:5], s[4:5], 2
	s_add_u32 s10, s14, s4
	s_addc_u32 s11, s15, s5
	s_lshl_b64 s[4:5], s[8:9], 2
	s_add_u32 s16, s10, s4
	s_addc_u32 s17, s11, s5
.LBB33_3:
	s_load_dwordx4 s[8:11], s[0:1], 0x0
	s_load_dword s4, s[0:1], 0x38
	s_mul_i32 s5, s12, s3
	s_mul_hi_u32 s14, s12, s2
	s_add_i32 s5, s14, s5
	s_waitcnt lgkmcnt(0)
	s_ashr_i32 s1, s10, 31
	s_mov_b32 s0, s10
	s_mul_i32 s10, s13, s2
	s_add_i32 s13, s5, s10
	s_mul_i32 s12, s12, s2
	s_lshl_b64 s[12:13], s[12:13], 4
	s_add_u32 s5, s8, s12
	s_addc_u32 s8, s9, s13
	s_lshl_b64 s[0:1], s[0:1], 4
	s_add_u32 s0, s5, s0
	s_addc_u32 s1, s8, s1
	s_add_i32 s5, s11, s11
	v_add_u32_e32 v14, s5, v0
	v_ashrrev_i32_e32 v15, 31, v14
	v_lshl_add_u64 v[10:11], v[14:15], 4, s[0:1]
	v_add_u32_e32 v14, s11, v14
	v_add_u32_e32 v22, s11, v14
	v_ashrrev_i32_e32 v23, 31, v22
	v_lshl_add_u64 v[18:19], v[22:23], 4, s[0:1]
	v_add_u32_e32 v22, s11, v22
	;; [unrolled: 4-line block ×3, first 2 shown]
	v_ashrrev_i32_e32 v31, 31, v30
	v_lshl_add_u64 v[32:33], v[30:31], 4, s[0:1]
	v_add_u32_e32 v30, s11, v30
	v_add_u32_e32 v40, s11, v30
	;; [unrolled: 1-line block ×6, first 2 shown]
	v_ashrrev_i32_e32 v57, 31, v56
	v_lshl_add_u64 v[58:59], v[56:57], 4, s[0:1]
	v_add_u32_e32 v56, s11, v56
	v_add_u32_e32 v64, s11, v56
	;; [unrolled: 1-line block ×5, first 2 shown]
	v_ashrrev_i32_e32 v81, 31, v80
	v_lshl_add_u64 v[76:77], v[80:81], 4, s[0:1]
	v_add_u32_e32 v80, s11, v80
	v_add_u32_e32 v88, s11, v80
	v_ashrrev_i32_e32 v89, 31, v88
	v_lshl_add_u64 v[84:85], v[88:89], 4, s[0:1]
	v_add_u32_e32 v88, s11, v88
	v_add_u32_e32 v96, s11, v88
	;; [unrolled: 4-line block ×5, first 2 shown]
	v_ashrrev_i32_e32 v121, 31, v120
	v_lshl_add_u64 v[116:117], v[120:121], 4, s[0:1]
	v_add_u32_e32 v120, s11, v120
	v_lshlrev_b32_e32 v38, 4, v0
	v_mov_b32_e32 v39, 0
	v_add_u32_e32 v128, s11, v120
	v_lshl_add_u64 v[6:7], s[0:1], 0, v[38:39]
	v_ashrrev_i32_e32 v129, 31, v128
	s_ashr_i32 s9, s11, 31
	s_mov_b32 s8, s11
	v_accvgpr_write_b32 a0, v6
	v_ashrrev_i32_e32 v15, 31, v14
	v_ashrrev_i32_e32 v23, 31, v22
	;; [unrolled: 1-line block ×17, first 2 shown]
	v_lshl_add_u64 v[252:253], v[128:129], 4, s[0:1]
	v_add_u32_e32 v128, s11, v128
	v_accvgpr_write_b32 a1, v7
	v_lshl_add_u64 v[6:7], s[8:9], 4, v[6:7]
	v_lshl_add_u64 v[16:17], v[14:15], 4, s[0:1]
	;; [unrolled: 1-line block ×18, first 2 shown]
	v_ashrrev_i32_e32 v129, 31, v128
	v_add_u32_e32 v136, s11, v128
	v_accvgpr_write_b32 a2, v6
	v_accvgpr_write_b32 a4, v10
	;; [unrolled: 1-line block ×29, first 2 shown]
	v_lshl_add_u64 v[254:255], v[128:129], 4, s[0:1]
	v_ashrrev_i32_e32 v137, 31, v136
	global_load_dwordx4 v[2:5], v38, s[0:1]
	v_accvgpr_write_b32 a3, v7
	global_load_dwordx4 v[6:9], v[6:7], off
	v_accvgpr_write_b32 a5, v11
	global_load_dwordx4 v[10:13], v[10:11], off
	;; [unrolled: 2-line block ×29, first 2 shown]
	s_nop 0
	global_load_dwordx4 v[124:127], v[252:253], off
	v_lshl_add_u64 v[240:241], v[136:137], 4, s[0:1]
	global_load_dwordx4 v[128:131], v[254:255], off
	global_load_dwordx4 v[132:135], v[240:241], off
	v_add_u32_e32 v136, s11, v136
	v_ashrrev_i32_e32 v137, 31, v136
	v_lshl_add_u64 v[242:243], v[136:137], 4, s[0:1]
	global_load_dwordx4 v[136:139], v[242:243], off
	s_movk_i32 s0, 0x50
	s_add_i32 s21, s0, 16
	s_movk_i32 s0, 0x60
	s_add_i32 s23, s0, 16
	;; [unrolled: 2-line block ×29, first 2 shown]
	s_mov_b32 s20, 32
	s_mov_b32 s12, 48
	;; [unrolled: 1-line block ×3, first 2 shown]
	s_movk_i32 s14, 0x50
	s_bitcmp0_b32 s4, 0
	s_mov_b64 s[4:5], -1
	s_waitcnt vmcnt(33)
	scratch_store_dwordx4 off, v[2:5], off offset:16
	s_waitcnt vmcnt(33)
	scratch_store_dwordx4 off, v[6:9], off offset:32
	;; [unrolled: 2-line block ×34, first 2 shown]
	s_cbranch_scc1 .LBB33_148
; %bb.4:
	v_cmp_eq_u32_e64 s[0:1], 0, v0
	s_and_saveexec_b64 s[4:5], s[0:1]
; %bb.5:
	v_mov_b32_e32 v1, 0
	ds_write_b32 v1, v1 offset:1088
; %bb.6:
	s_or_b64 exec, exec, s[4:5]
	s_waitcnt lgkmcnt(0)
	; wave barrier
	scratch_load_dwordx4 v[2:5], v38, off offset:16
	s_waitcnt vmcnt(0)
	v_cmp_eq_f64_e32 vcc, 0, v[2:3]
	v_cmp_eq_f64_e64 s[4:5], 0, v[4:5]
	s_and_b64 s[4:5], vcc, s[4:5]
	s_and_saveexec_b64 s[8:9], s[4:5]
	s_cbranch_execz .LBB33_10
; %bb.7:
	v_mov_b32_e32 v1, 0
	ds_read_b32 v3, v1 offset:1088
	v_add_u32_e32 v2, 1, v0
	s_waitcnt lgkmcnt(0)
	v_readfirstlane_b32 s4, v3
	s_cmp_eq_u32 s4, 0
	s_cselect_b64 s[10:11], -1, 0
	v_cmp_gt_i32_e32 vcc, s4, v2
	s_or_b64 s[10:11], s[10:11], vcc
	s_and_b64 exec, exec, s[10:11]
	s_cbranch_execz .LBB33_10
; %bb.8:
	s_mov_b64 s[10:11], 0
	v_mov_b32_e32 v3, s4
.LBB33_9:                               ; =>This Inner Loop Header: Depth=1
	ds_cmpst_rtn_b32 v3, v1, v3, v2 offset:1088
	s_waitcnt lgkmcnt(0)
	v_cmp_ne_u32_e32 vcc, 0, v3
	v_cmp_le_i32_e64 s[4:5], v3, v2
	s_and_b64 s[4:5], vcc, s[4:5]
	s_and_b64 s[4:5], exec, s[4:5]
	s_or_b64 s[10:11], s[4:5], s[10:11]
	s_andn2_b64 exec, exec, s[10:11]
	s_cbranch_execnz .LBB33_9
.LBB33_10:
	s_or_b64 exec, exec, s[8:9]
	v_mov_b32_e32 v2, 0
	; wave barrier
	ds_read_b32 v1, v2 offset:1088
	s_and_saveexec_b64 s[4:5], s[0:1]
	s_cbranch_execz .LBB33_12
; %bb.11:
	s_lshl_b64 s[8:9], s[2:3], 2
	s_add_u32 s8, s6, s8
	s_addc_u32 s9, s7, s9
	s_waitcnt lgkmcnt(0)
	global_store_dword v2, v1, s[8:9]
.LBB33_12:
	s_or_b64 exec, exec, s[4:5]
	s_waitcnt lgkmcnt(0)
	v_cmp_ne_u32_e32 vcc, 0, v1
	s_mov_b64 s[4:5], 0
	s_cbranch_vccnz .LBB33_148
; %bb.13:
	v_add_u32_e32 v14, 16, v38
	scratch_load_dwordx4 v[2:5], v14, off
                                        ; implicit-def: $vgpr6_vgpr7
                                        ; implicit-def: $vgpr10_vgpr11
	s_waitcnt vmcnt(0)
	v_cmp_ngt_f64_e64 s[4:5], |v[2:3]|, |v[4:5]|
	s_and_saveexec_b64 s[8:9], s[4:5]
	s_xor_b64 s[4:5], exec, s[8:9]
	s_cbranch_execz .LBB33_15
; %bb.14:
	v_div_scale_f64 v[6:7], s[8:9], v[4:5], v[4:5], v[2:3]
	v_rcp_f64_e32 v[8:9], v[6:7]
	v_div_scale_f64 v[10:11], vcc, v[2:3], v[4:5], v[2:3]
	v_fma_f64 v[12:13], -v[6:7], v[8:9], 1.0
	v_fmac_f64_e32 v[8:9], v[8:9], v[12:13]
	v_fma_f64 v[12:13], -v[6:7], v[8:9], 1.0
	v_fmac_f64_e32 v[8:9], v[8:9], v[12:13]
	v_mul_f64 v[12:13], v[10:11], v[8:9]
	v_fma_f64 v[6:7], -v[6:7], v[12:13], v[10:11]
	v_div_fmas_f64 v[6:7], v[6:7], v[8:9], v[12:13]
	v_div_fixup_f64 v[6:7], v[6:7], v[4:5], v[2:3]
	v_fmac_f64_e32 v[4:5], v[2:3], v[6:7]
	v_div_scale_f64 v[2:3], s[8:9], v[4:5], v[4:5], 1.0
	v_rcp_f64_e32 v[8:9], v[2:3]
	s_nop 0
	v_fma_f64 v[10:11], -v[2:3], v[8:9], 1.0
	v_fmac_f64_e32 v[8:9], v[8:9], v[10:11]
	v_fma_f64 v[10:11], -v[2:3], v[8:9], 1.0
	v_fmac_f64_e32 v[8:9], v[8:9], v[10:11]
	v_div_scale_f64 v[10:11], vcc, 1.0, v[4:5], 1.0
	v_mul_f64 v[12:13], v[10:11], v[8:9]
	v_fma_f64 v[2:3], -v[2:3], v[12:13], v[10:11]
	s_nop 1
	v_div_fmas_f64 v[2:3], v[2:3], v[8:9], v[12:13]
	v_div_fixup_f64 v[8:9], v[2:3], v[4:5], 1.0
	v_mul_f64 v[6:7], v[6:7], v[8:9]
	v_xor_b32_e32 v9, 0x80000000, v9
	v_xor_b32_e32 v11, 0x80000000, v7
	v_mov_b32_e32 v10, v6
                                        ; implicit-def: $vgpr2_vgpr3
.LBB33_15:
	s_andn2_saveexec_b64 s[4:5], s[4:5]
	s_cbranch_execz .LBB33_17
; %bb.16:
	v_div_scale_f64 v[6:7], s[8:9], v[2:3], v[2:3], v[4:5]
	v_rcp_f64_e32 v[8:9], v[6:7]
	v_div_scale_f64 v[10:11], vcc, v[4:5], v[2:3], v[4:5]
	v_fma_f64 v[12:13], -v[6:7], v[8:9], 1.0
	v_fmac_f64_e32 v[8:9], v[8:9], v[12:13]
	v_fma_f64 v[12:13], -v[6:7], v[8:9], 1.0
	v_fmac_f64_e32 v[8:9], v[8:9], v[12:13]
	v_mul_f64 v[12:13], v[10:11], v[8:9]
	v_fma_f64 v[6:7], -v[6:7], v[12:13], v[10:11]
	v_div_fmas_f64 v[6:7], v[6:7], v[8:9], v[12:13]
	v_div_fixup_f64 v[8:9], v[6:7], v[2:3], v[4:5]
	v_fmac_f64_e32 v[2:3], v[4:5], v[8:9]
	v_div_scale_f64 v[4:5], s[8:9], v[2:3], v[2:3], 1.0
	v_rcp_f64_e32 v[6:7], v[4:5]
	s_nop 0
	v_fma_f64 v[10:11], -v[4:5], v[6:7], 1.0
	v_fmac_f64_e32 v[6:7], v[6:7], v[10:11]
	v_fma_f64 v[10:11], -v[4:5], v[6:7], 1.0
	v_fmac_f64_e32 v[6:7], v[6:7], v[10:11]
	v_div_scale_f64 v[10:11], vcc, 1.0, v[2:3], 1.0
	v_mul_f64 v[12:13], v[10:11], v[6:7]
	v_fma_f64 v[4:5], -v[4:5], v[12:13], v[10:11]
	s_nop 1
	v_div_fmas_f64 v[4:5], v[4:5], v[6:7], v[12:13]
	v_div_fixup_f64 v[6:7], v[4:5], v[2:3], 1.0
	v_xor_b32_e32 v11, 0x80000000, v7
	v_mov_b32_e32 v10, v6
	v_mul_f64 v[8:9], v[8:9], -v[6:7]
.LBB33_17:
	s_or_b64 exec, exec, s[4:5]
	scratch_store_dwordx4 v14, v[6:9], off
	scratch_load_dwordx4 v[2:5], off, s20
	v_xor_b32_e32 v13, 0x80000000, v9
	v_mov_b32_e32 v12, v8
	v_add_u32_e32 v1, 0x220, v38
	ds_write_b128 v38, v[10:13]
	s_waitcnt vmcnt(0)
	ds_write_b128 v38, v[2:5] offset:544
	s_waitcnt lgkmcnt(0)
	; wave barrier
	s_and_saveexec_b64 s[4:5], s[0:1]
	s_cbranch_execz .LBB33_19
; %bb.18:
	scratch_load_dwordx4 v[2:5], v14, off
	ds_read_b128 v[6:9], v1
	v_mov_b32_e32 v10, 0
	ds_read_b128 v[10:13], v10 offset:16
	s_waitcnt vmcnt(0) lgkmcnt(1)
	v_mul_f64 v[16:17], v[8:9], v[4:5]
	v_mul_f64 v[4:5], v[6:7], v[4:5]
	v_fma_f64 v[6:7], v[6:7], v[2:3], -v[16:17]
	v_fmac_f64_e32 v[4:5], v[8:9], v[2:3]
	v_add_f64 v[2:3], v[6:7], 0
	v_add_f64 v[6:7], v[4:5], 0
	s_waitcnt lgkmcnt(0)
	v_mul_f64 v[8:9], v[6:7], v[12:13]
	v_mul_f64 v[4:5], v[2:3], v[12:13]
	v_fma_f64 v[2:3], v[2:3], v[10:11], -v[8:9]
	v_fmac_f64_e32 v[4:5], v[6:7], v[10:11]
	scratch_store_dwordx4 off, v[2:5], off offset:32
.LBB33_19:
	s_or_b64 exec, exec, s[4:5]
	; wave barrier
	scratch_load_dwordx4 v[2:5], off, s12
	v_cmp_gt_u32_e32 vcc, 2, v0
	s_waitcnt vmcnt(0)
	ds_write_b128 v1, v[2:5]
	s_waitcnt lgkmcnt(0)
	; wave barrier
	s_and_saveexec_b64 s[4:5], vcc
	s_cbranch_execz .LBB33_23
; %bb.20:
	scratch_load_dwordx4 v[2:5], v14, off
	ds_read_b128 v[6:9], v1
	s_waitcnt vmcnt(0) lgkmcnt(0)
	v_mul_f64 v[10:11], v[8:9], v[4:5]
	v_mul_f64 v[12:13], v[6:7], v[4:5]
	v_fma_f64 v[4:5], v[6:7], v[2:3], -v[10:11]
	v_fmac_f64_e32 v[12:13], v[8:9], v[2:3]
	v_add_f64 v[4:5], v[4:5], 0
	v_add_f64 v[2:3], v[12:13], 0
	s_and_saveexec_b64 s[8:9], s[0:1]
	s_cbranch_execz .LBB33_22
; %bb.21:
	scratch_load_dwordx4 v[6:9], off, off offset:32
	v_mov_b32_e32 v10, 0
	ds_read_b128 v[10:13], v10 offset:560
	s_waitcnt vmcnt(0) lgkmcnt(0)
	v_mul_f64 v[14:15], v[10:11], v[8:9]
	v_mul_f64 v[8:9], v[12:13], v[8:9]
	v_fmac_f64_e32 v[14:15], v[12:13], v[6:7]
	v_fma_f64 v[6:7], v[10:11], v[6:7], -v[8:9]
	v_add_f64 v[2:3], v[2:3], v[14:15]
	v_add_f64 v[4:5], v[4:5], v[6:7]
.LBB33_22:
	s_or_b64 exec, exec, s[8:9]
	v_mov_b32_e32 v6, 0
	ds_read_b128 v[6:9], v6 offset:32
	s_waitcnt lgkmcnt(0)
	v_mul_f64 v[12:13], v[2:3], v[8:9]
	v_mul_f64 v[10:11], v[4:5], v[8:9]
	v_fma_f64 v[8:9], v[4:5], v[6:7], -v[12:13]
	v_fmac_f64_e32 v[10:11], v[2:3], v[6:7]
	scratch_store_dwordx4 off, v[8:11], off offset:48
.LBB33_23:
	s_or_b64 exec, exec, s[4:5]
	; wave barrier
	scratch_load_dwordx4 v[2:5], off, s13
	v_cmp_gt_u32_e32 vcc, 3, v0
	v_add_u32_e32 v6, -1, v0
	s_waitcnt vmcnt(0)
	ds_write_b128 v1, v[2:5]
	s_waitcnt lgkmcnt(0)
	; wave barrier
	s_and_saveexec_b64 s[0:1], vcc
	s_cbranch_execz .LBB33_27
; %bb.24:
	v_add_u32_e32 v7, -1, v0
	v_add_u32_e32 v8, 0x220, v38
	v_add_u32_e32 v9, 16, v38
	v_mov_b64_e32 v[2:3], 0
	s_mov_b64 s[4:5], 0
	v_mov_b64_e32 v[4:5], 0
.LBB33_25:                              ; =>This Inner Loop Header: Depth=1
	scratch_load_dwordx4 v[10:13], v9, off
	ds_read_b128 v[14:17], v8
	v_add_u32_e32 v7, 1, v7
	v_cmp_lt_u32_e32 vcc, 1, v7
	v_add_u32_e32 v8, 16, v8
	v_add_u32_e32 v9, 16, v9
	s_or_b64 s[4:5], vcc, s[4:5]
	s_waitcnt vmcnt(0) lgkmcnt(0)
	v_mul_f64 v[18:19], v[16:17], v[12:13]
	v_mul_f64 v[12:13], v[14:15], v[12:13]
	v_fma_f64 v[14:15], v[14:15], v[10:11], -v[18:19]
	v_fmac_f64_e32 v[12:13], v[16:17], v[10:11]
	v_add_f64 v[4:5], v[4:5], v[14:15]
	v_add_f64 v[2:3], v[2:3], v[12:13]
	s_andn2_b64 exec, exec, s[4:5]
	s_cbranch_execnz .LBB33_25
; %bb.26:
	s_or_b64 exec, exec, s[4:5]
	v_mov_b32_e32 v7, 0
	ds_read_b128 v[8:11], v7 offset:48
	s_waitcnt lgkmcnt(0)
	v_mul_f64 v[14:15], v[2:3], v[10:11]
	v_mul_f64 v[12:13], v[4:5], v[10:11]
	v_fma_f64 v[10:11], v[4:5], v[8:9], -v[14:15]
	v_fmac_f64_e32 v[12:13], v[2:3], v[8:9]
	scratch_store_dwordx4 off, v[10:13], off offset:64
.LBB33_27:
	s_or_b64 exec, exec, s[0:1]
	; wave barrier
	scratch_load_dwordx4 v[2:5], off, s14
	v_cmp_gt_u32_e32 vcc, 4, v0
	s_waitcnt vmcnt(0)
	ds_write_b128 v1, v[2:5]
	s_waitcnt lgkmcnt(0)
	; wave barrier
	s_and_saveexec_b64 s[0:1], vcc
	s_cbranch_execz .LBB33_31
; %bb.28:
	v_add_u32_e32 v7, -1, v0
	v_add_u32_e32 v8, 0x220, v38
	v_add_u32_e32 v9, 16, v38
	v_mov_b64_e32 v[2:3], 0
	s_mov_b64 s[4:5], 0
	v_mov_b64_e32 v[4:5], 0
.LBB33_29:                              ; =>This Inner Loop Header: Depth=1
	scratch_load_dwordx4 v[10:13], v9, off
	ds_read_b128 v[14:17], v8
	v_add_u32_e32 v7, 1, v7
	v_cmp_lt_u32_e32 vcc, 2, v7
	v_add_u32_e32 v8, 16, v8
	v_add_u32_e32 v9, 16, v9
	s_or_b64 s[4:5], vcc, s[4:5]
	s_waitcnt vmcnt(0) lgkmcnt(0)
	v_mul_f64 v[18:19], v[16:17], v[12:13]
	v_mul_f64 v[12:13], v[14:15], v[12:13]
	v_fma_f64 v[14:15], v[14:15], v[10:11], -v[18:19]
	v_fmac_f64_e32 v[12:13], v[16:17], v[10:11]
	v_add_f64 v[4:5], v[4:5], v[14:15]
	v_add_f64 v[2:3], v[2:3], v[12:13]
	s_andn2_b64 exec, exec, s[4:5]
	s_cbranch_execnz .LBB33_29
; %bb.30:
	s_or_b64 exec, exec, s[4:5]
	v_mov_b32_e32 v7, 0
	ds_read_b128 v[8:11], v7 offset:64
	s_waitcnt lgkmcnt(0)
	v_mul_f64 v[14:15], v[2:3], v[10:11]
	v_mul_f64 v[12:13], v[4:5], v[10:11]
	v_fma_f64 v[10:11], v[4:5], v[8:9], -v[14:15]
	v_fmac_f64_e32 v[12:13], v[2:3], v[8:9]
	scratch_store_dwordx4 off, v[10:13], off offset:80
.LBB33_31:
	s_or_b64 exec, exec, s[0:1]
	; wave barrier
	scratch_load_dwordx4 v[2:5], off, s21
	v_cmp_gt_u32_e32 vcc, 5, v0
	;; [unrolled: 45-line block ×19, first 2 shown]
	s_waitcnt vmcnt(0)
	ds_write_b128 v1, v[2:5]
	s_waitcnt lgkmcnt(0)
	; wave barrier
	s_and_saveexec_b64 s[0:1], vcc
	s_cbranch_execz .LBB33_103
; %bb.100:
	v_add_u32_e32 v7, -1, v0
	v_add_u32_e32 v8, 0x220, v38
	v_add_u32_e32 v9, 16, v38
	v_mov_b64_e32 v[2:3], 0
	s_mov_b64 s[4:5], 0
	v_mov_b64_e32 v[4:5], 0
.LBB33_101:                             ; =>This Inner Loop Header: Depth=1
	scratch_load_dwordx4 v[10:13], v9, off
	ds_read_b128 v[14:17], v8
	v_add_u32_e32 v7, 1, v7
	v_cmp_lt_u32_e32 vcc, 20, v7
	v_add_u32_e32 v8, 16, v8
	v_add_u32_e32 v9, 16, v9
	s_or_b64 s[4:5], vcc, s[4:5]
	s_waitcnt vmcnt(0) lgkmcnt(0)
	v_mul_f64 v[18:19], v[16:17], v[12:13]
	v_mul_f64 v[12:13], v[14:15], v[12:13]
	v_fma_f64 v[14:15], v[14:15], v[10:11], -v[18:19]
	v_fmac_f64_e32 v[12:13], v[16:17], v[10:11]
	v_add_f64 v[4:5], v[4:5], v[14:15]
	v_add_f64 v[2:3], v[2:3], v[12:13]
	s_andn2_b64 exec, exec, s[4:5]
	s_cbranch_execnz .LBB33_101
; %bb.102:
	s_or_b64 exec, exec, s[4:5]
	v_mov_b32_e32 v7, 0
	ds_read_b128 v[8:11], v7 offset:352
	s_waitcnt lgkmcnt(0)
	v_mul_f64 v[14:15], v[2:3], v[10:11]
	v_mul_f64 v[12:13], v[4:5], v[10:11]
	v_fma_f64 v[10:11], v[4:5], v[8:9], -v[14:15]
	v_fmac_f64_e32 v[12:13], v[2:3], v[8:9]
	scratch_store_dwordx4 off, v[10:13], off offset:368
.LBB33_103:
	s_or_b64 exec, exec, s[0:1]
	; wave barrier
	scratch_load_dwordx4 v[2:5], off, s36
	v_cmp_gt_u32_e32 vcc, 23, v0
	s_waitcnt vmcnt(0)
	ds_write_b128 v1, v[2:5]
	s_waitcnt lgkmcnt(0)
	; wave barrier
	s_and_saveexec_b64 s[0:1], vcc
	s_cbranch_execz .LBB33_107
; %bb.104:
	v_add_u32_e32 v7, -1, v0
	v_add_u32_e32 v8, 0x220, v38
	v_add_u32_e32 v9, 16, v38
	v_mov_b64_e32 v[2:3], 0
	s_mov_b64 s[4:5], 0
	v_mov_b64_e32 v[4:5], 0
.LBB33_105:                             ; =>This Inner Loop Header: Depth=1
	scratch_load_dwordx4 v[10:13], v9, off
	ds_read_b128 v[14:17], v8
	v_add_u32_e32 v7, 1, v7
	v_cmp_lt_u32_e32 vcc, 21, v7
	v_add_u32_e32 v8, 16, v8
	v_add_u32_e32 v9, 16, v9
	s_or_b64 s[4:5], vcc, s[4:5]
	s_waitcnt vmcnt(0) lgkmcnt(0)
	v_mul_f64 v[18:19], v[16:17], v[12:13]
	v_mul_f64 v[12:13], v[14:15], v[12:13]
	v_fma_f64 v[14:15], v[14:15], v[10:11], -v[18:19]
	v_fmac_f64_e32 v[12:13], v[16:17], v[10:11]
	v_add_f64 v[4:5], v[4:5], v[14:15]
	v_add_f64 v[2:3], v[2:3], v[12:13]
	s_andn2_b64 exec, exec, s[4:5]
	s_cbranch_execnz .LBB33_105
; %bb.106:
	s_or_b64 exec, exec, s[4:5]
	v_mov_b32_e32 v7, 0
	ds_read_b128 v[8:11], v7 offset:368
	s_waitcnt lgkmcnt(0)
	v_mul_f64 v[14:15], v[2:3], v[10:11]
	v_mul_f64 v[12:13], v[4:5], v[10:11]
	v_fma_f64 v[10:11], v[4:5], v[8:9], -v[14:15]
	v_fmac_f64_e32 v[12:13], v[2:3], v[8:9]
	scratch_store_dwordx4 off, v[10:13], off offset:384
.LBB33_107:
	s_or_b64 exec, exec, s[0:1]
	; wave barrier
	scratch_load_dwordx4 v[2:5], off, s37
	v_cmp_gt_u32_e32 vcc, 24, v0
	;; [unrolled: 45-line block ×10, first 2 shown]
	s_waitcnt vmcnt(0)
	ds_write_b128 v1, v[2:5]
	s_waitcnt lgkmcnt(0)
	; wave barrier
	s_and_saveexec_b64 s[0:1], vcc
	s_cbranch_execz .LBB33_143
; %bb.140:
	v_add_u32_e32 v7, -1, v0
	v_add_u32_e32 v8, 0x220, v38
	v_add_u32_e32 v9, 16, v38
	v_mov_b64_e32 v[2:3], 0
	s_mov_b64 s[4:5], 0
	v_mov_b64_e32 v[4:5], 0
.LBB33_141:                             ; =>This Inner Loop Header: Depth=1
	scratch_load_dwordx4 v[10:13], v9, off
	ds_read_b128 v[14:17], v8
	v_add_u32_e32 v7, 1, v7
	v_cmp_lt_u32_e32 vcc, 30, v7
	v_add_u32_e32 v8, 16, v8
	v_add_u32_e32 v9, 16, v9
	s_or_b64 s[4:5], vcc, s[4:5]
	s_waitcnt vmcnt(0) lgkmcnt(0)
	v_mul_f64 v[18:19], v[16:17], v[12:13]
	v_mul_f64 v[12:13], v[14:15], v[12:13]
	v_fma_f64 v[14:15], v[14:15], v[10:11], -v[18:19]
	v_fmac_f64_e32 v[12:13], v[16:17], v[10:11]
	v_add_f64 v[4:5], v[4:5], v[14:15]
	v_add_f64 v[2:3], v[2:3], v[12:13]
	s_andn2_b64 exec, exec, s[4:5]
	s_cbranch_execnz .LBB33_141
; %bb.142:
	s_or_b64 exec, exec, s[4:5]
	v_mov_b32_e32 v7, 0
	ds_read_b128 v[8:11], v7 offset:512
	s_waitcnt lgkmcnt(0)
	v_mul_f64 v[14:15], v[2:3], v[10:11]
	v_mul_f64 v[12:13], v[4:5], v[10:11]
	v_fma_f64 v[10:11], v[4:5], v[8:9], -v[14:15]
	v_fmac_f64_e32 v[12:13], v[2:3], v[8:9]
	scratch_store_dwordx4 off, v[10:13], off offset:528
.LBB33_143:
	s_or_b64 exec, exec, s[0:1]
	; wave barrier
	scratch_load_dwordx4 v[2:5], off, s46
	v_cmp_ne_u32_e32 vcc, 33, v0
	s_waitcnt vmcnt(0)
	ds_write_b128 v1, v[2:5]
	s_waitcnt lgkmcnt(0)
	; wave barrier
	s_and_saveexec_b64 s[0:1], vcc
	s_cbranch_execz .LBB33_147
; %bb.144:
	v_add_u32_e32 v1, 0x220, v38
	v_add_u32_e32 v7, 16, v38
	v_mov_b64_e32 v[2:3], 0
	s_mov_b64 s[4:5], 0
	v_mov_b64_e32 v[4:5], 0
.LBB33_145:                             ; =>This Inner Loop Header: Depth=1
	scratch_load_dwordx4 v[8:11], v7, off
	ds_read_b128 v[12:15], v1
	v_add_u32_e32 v6, 1, v6
	v_cmp_lt_u32_e32 vcc, 31, v6
	v_add_u32_e32 v1, 16, v1
	v_add_u32_e32 v7, 16, v7
	s_or_b64 s[4:5], vcc, s[4:5]
	s_waitcnt vmcnt(0) lgkmcnt(0)
	v_mul_f64 v[16:17], v[14:15], v[10:11]
	v_mul_f64 v[10:11], v[12:13], v[10:11]
	v_fma_f64 v[12:13], v[12:13], v[8:9], -v[16:17]
	v_fmac_f64_e32 v[10:11], v[14:15], v[8:9]
	v_add_f64 v[4:5], v[4:5], v[12:13]
	v_add_f64 v[2:3], v[2:3], v[10:11]
	s_andn2_b64 exec, exec, s[4:5]
	s_cbranch_execnz .LBB33_145
; %bb.146:
	s_or_b64 exec, exec, s[4:5]
	v_mov_b32_e32 v1, 0
	ds_read_b128 v[6:9], v1 offset:528
	s_waitcnt lgkmcnt(0)
	v_mul_f64 v[12:13], v[2:3], v[8:9]
	v_mul_f64 v[10:11], v[4:5], v[8:9]
	v_fma_f64 v[8:9], v[4:5], v[6:7], -v[12:13]
	v_fmac_f64_e32 v[10:11], v[2:3], v[6:7]
	scratch_store_dwordx4 off, v[8:11], off offset:544
.LBB33_147:
	s_or_b64 exec, exec, s[0:1]
	s_mov_b64 s[4:5], -1
	; wave barrier
.LBB33_148:
	s_and_b64 vcc, exec, s[4:5]
	s_cbranch_vccz .LBB33_150
; %bb.149:
	s_lshl_b64 s[0:1], s[2:3], 2
	s_add_u32 s0, s6, s0
	s_addc_u32 s1, s7, s1
	v_mov_b32_e32 v1, 0
	global_load_dword v1, v1, s[0:1]
	s_waitcnt vmcnt(0)
	v_cmp_ne_u32_e32 vcc, 0, v1
	s_cbranch_vccz .LBB33_151
.LBB33_150:
	s_endpgm
.LBB33_151:
	v_mov_b32_e32 v1, 0x220
	v_lshl_add_u32 v1, v0, 4, v1
	v_cmp_eq_u32_e32 vcc, 33, v0
	s_and_saveexec_b64 s[0:1], vcc
	s_cbranch_execz .LBB33_153
; %bb.152:
	scratch_load_dwordx4 v[2:5], off, s45
	v_mov_b32_e32 v6, 0
	v_mov_b32_e32 v7, v6
	;; [unrolled: 1-line block ×4, first 2 shown]
	scratch_store_dwordx4 off, v[6:9], off offset:528
	s_waitcnt vmcnt(1)
	ds_write_b128 v1, v[2:5]
.LBB33_153:
	s_or_b64 exec, exec, s[0:1]
	s_waitcnt lgkmcnt(0)
	; wave barrier
	scratch_load_dwordx4 v[4:7], off, off offset:544
	scratch_load_dwordx4 v[8:11], off, off offset:528
	v_mov_b32_e32 v2, 0
	ds_read_b128 v[12:15], v2 offset:1072
	v_cmp_lt_u32_e32 vcc, 31, v0
	s_waitcnt vmcnt(1) lgkmcnt(0)
	v_mul_f64 v[16:17], v[12:13], v[6:7]
	v_mul_f64 v[6:7], v[14:15], v[6:7]
	v_fmac_f64_e32 v[16:17], v[14:15], v[4:5]
	v_fma_f64 v[4:5], v[12:13], v[4:5], -v[6:7]
	v_add_f64 v[6:7], v[16:17], 0
	v_add_f64 v[4:5], v[4:5], 0
	s_waitcnt vmcnt(0)
	v_add_f64 v[4:5], v[8:9], -v[4:5]
	v_add_f64 v[6:7], v[10:11], -v[6:7]
	scratch_store_dwordx4 off, v[4:7], off offset:528
	s_and_saveexec_b64 s[0:1], vcc
	s_cbranch_execz .LBB33_155
; %bb.154:
	scratch_load_dwordx4 v[6:9], off, s44
	v_mov_b32_e32 v3, v2
	v_mov_b32_e32 v4, v2
	;; [unrolled: 1-line block ×3, first 2 shown]
	scratch_store_dwordx4 off, v[2:5], off offset:512
	s_waitcnt vmcnt(1)
	ds_write_b128 v1, v[6:9]
.LBB33_155:
	s_or_b64 exec, exec, s[0:1]
	s_waitcnt lgkmcnt(0)
	; wave barrier
	scratch_load_dwordx4 v[4:7], off, off offset:528
	scratch_load_dwordx4 v[8:11], off, off offset:544
	;; [unrolled: 1-line block ×3, first 2 shown]
	ds_read_b128 v[16:19], v2 offset:1056
	ds_read_b128 v[20:23], v2 offset:1072
	v_cmp_lt_u32_e32 vcc, 30, v0
	s_waitcnt vmcnt(2) lgkmcnt(1)
	v_mul_f64 v[2:3], v[16:17], v[6:7]
	v_mul_f64 v[6:7], v[18:19], v[6:7]
	s_waitcnt vmcnt(1) lgkmcnt(0)
	v_mul_f64 v[24:25], v[20:21], v[10:11]
	v_mul_f64 v[10:11], v[22:23], v[10:11]
	v_fmac_f64_e32 v[2:3], v[18:19], v[4:5]
	v_fma_f64 v[4:5], v[16:17], v[4:5], -v[6:7]
	v_fmac_f64_e32 v[24:25], v[22:23], v[8:9]
	v_fma_f64 v[6:7], v[20:21], v[8:9], -v[10:11]
	v_add_f64 v[2:3], v[2:3], 0
	v_add_f64 v[4:5], v[4:5], 0
	;; [unrolled: 1-line block ×4, first 2 shown]
	s_waitcnt vmcnt(0)
	v_add_f64 v[2:3], v[12:13], -v[2:3]
	v_add_f64 v[4:5], v[14:15], -v[8:9]
	scratch_store_dwordx4 off, v[2:5], off offset:512
	s_and_saveexec_b64 s[0:1], vcc
	s_cbranch_execz .LBB33_157
; %bb.156:
	scratch_load_dwordx4 v[2:5], off, s43
	v_mov_b32_e32 v6, 0
	v_mov_b32_e32 v7, v6
	;; [unrolled: 1-line block ×4, first 2 shown]
	scratch_store_dwordx4 off, v[6:9], off offset:496
	s_waitcnt vmcnt(1)
	ds_write_b128 v1, v[2:5]
.LBB33_157:
	s_or_b64 exec, exec, s[0:1]
	s_waitcnt lgkmcnt(0)
	; wave barrier
	scratch_load_dwordx4 v[4:7], off, off offset:512
	scratch_load_dwordx4 v[8:11], off, off offset:528
	;; [unrolled: 1-line block ×4, first 2 shown]
	v_mov_b32_e32 v2, 0
	ds_read_b128 v[20:23], v2 offset:1040
	ds_read_b128 v[24:27], v2 offset:1056
	;; [unrolled: 1-line block ×3, first 2 shown]
	v_cmp_lt_u32_e32 vcc, 29, v0
	s_waitcnt vmcnt(3) lgkmcnt(2)
	v_mul_f64 v[32:33], v[20:21], v[6:7]
	v_mul_f64 v[6:7], v[22:23], v[6:7]
	s_waitcnt vmcnt(2) lgkmcnt(1)
	v_mul_f64 v[34:35], v[24:25], v[10:11]
	v_mul_f64 v[10:11], v[26:27], v[10:11]
	v_fmac_f64_e32 v[32:33], v[22:23], v[4:5]
	v_fma_f64 v[4:5], v[20:21], v[4:5], -v[6:7]
	s_waitcnt vmcnt(1) lgkmcnt(0)
	v_mul_f64 v[36:37], v[28:29], v[14:15]
	v_mul_f64 v[14:15], v[30:31], v[14:15]
	v_fmac_f64_e32 v[34:35], v[26:27], v[8:9]
	v_fma_f64 v[6:7], v[24:25], v[8:9], -v[10:11]
	v_add_f64 v[10:11], v[32:33], 0
	v_add_f64 v[4:5], v[4:5], 0
	v_fmac_f64_e32 v[36:37], v[30:31], v[12:13]
	v_fma_f64 v[8:9], v[28:29], v[12:13], -v[14:15]
	v_add_f64 v[10:11], v[10:11], v[34:35]
	v_add_f64 v[4:5], v[4:5], v[6:7]
	;; [unrolled: 1-line block ×4, first 2 shown]
	s_waitcnt vmcnt(0)
	v_add_f64 v[4:5], v[16:17], -v[4:5]
	v_add_f64 v[6:7], v[18:19], -v[6:7]
	scratch_store_dwordx4 off, v[4:7], off offset:496
	s_and_saveexec_b64 s[0:1], vcc
	s_cbranch_execz .LBB33_159
; %bb.158:
	scratch_load_dwordx4 v[6:9], off, s42
	v_mov_b32_e32 v3, v2
	v_mov_b32_e32 v4, v2
	;; [unrolled: 1-line block ×3, first 2 shown]
	scratch_store_dwordx4 off, v[2:5], off offset:480
	s_waitcnt vmcnt(1)
	ds_write_b128 v1, v[6:9]
.LBB33_159:
	s_or_b64 exec, exec, s[0:1]
	s_waitcnt lgkmcnt(0)
	; wave barrier
	scratch_load_dwordx4 v[4:7], off, off offset:496
	scratch_load_dwordx4 v[8:11], off, off offset:512
	scratch_load_dwordx4 v[12:15], off, off offset:528
	scratch_load_dwordx4 v[16:19], off, off offset:544
	scratch_load_dwordx4 v[20:23], off, off offset:480
	ds_read_b128 v[24:27], v2 offset:1024
	ds_read_b128 v[28:31], v2 offset:1040
	;; [unrolled: 1-line block ×4, first 2 shown]
	v_cmp_lt_u32_e32 vcc, 28, v0
	s_waitcnt vmcnt(4) lgkmcnt(3)
	v_mul_f64 v[2:3], v[24:25], v[6:7]
	v_mul_f64 v[6:7], v[26:27], v[6:7]
	s_waitcnt vmcnt(3) lgkmcnt(2)
	v_mul_f64 v[40:41], v[28:29], v[10:11]
	v_mul_f64 v[10:11], v[30:31], v[10:11]
	v_fmac_f64_e32 v[2:3], v[26:27], v[4:5]
	v_fma_f64 v[4:5], v[24:25], v[4:5], -v[6:7]
	s_waitcnt vmcnt(2) lgkmcnt(1)
	v_mul_f64 v[42:43], v[32:33], v[14:15]
	v_mul_f64 v[14:15], v[34:35], v[14:15]
	v_fmac_f64_e32 v[40:41], v[30:31], v[8:9]
	v_fma_f64 v[6:7], v[28:29], v[8:9], -v[10:11]
	v_add_f64 v[2:3], v[2:3], 0
	v_add_f64 v[4:5], v[4:5], 0
	s_waitcnt vmcnt(1) lgkmcnt(0)
	v_mul_f64 v[44:45], v[36:37], v[18:19]
	v_mul_f64 v[18:19], v[38:39], v[18:19]
	v_fmac_f64_e32 v[42:43], v[34:35], v[12:13]
	v_fma_f64 v[8:9], v[32:33], v[12:13], -v[14:15]
	v_add_f64 v[2:3], v[2:3], v[40:41]
	v_add_f64 v[4:5], v[4:5], v[6:7]
	v_fmac_f64_e32 v[44:45], v[38:39], v[16:17]
	v_fma_f64 v[10:11], v[36:37], v[16:17], -v[18:19]
	v_add_f64 v[2:3], v[2:3], v[42:43]
	v_add_f64 v[4:5], v[4:5], v[8:9]
	;; [unrolled: 1-line block ×4, first 2 shown]
	s_waitcnt vmcnt(0)
	v_add_f64 v[2:3], v[20:21], -v[2:3]
	v_add_f64 v[4:5], v[22:23], -v[6:7]
	scratch_store_dwordx4 off, v[2:5], off offset:480
	s_and_saveexec_b64 s[0:1], vcc
	s_cbranch_execz .LBB33_161
; %bb.160:
	scratch_load_dwordx4 v[2:5], off, s41
	v_mov_b32_e32 v6, 0
	v_mov_b32_e32 v7, v6
	;; [unrolled: 1-line block ×4, first 2 shown]
	scratch_store_dwordx4 off, v[6:9], off offset:464
	s_waitcnt vmcnt(1)
	ds_write_b128 v1, v[2:5]
.LBB33_161:
	s_or_b64 exec, exec, s[0:1]
	s_waitcnt lgkmcnt(0)
	; wave barrier
	scratch_load_dwordx4 v[4:7], off, off offset:480
	scratch_load_dwordx4 v[8:11], off, off offset:496
	;; [unrolled: 1-line block ×6, first 2 shown]
	v_mov_b32_e32 v2, 0
	ds_read_b128 v[28:31], v2 offset:1008
	ds_read_b128 v[32:35], v2 offset:1024
	;; [unrolled: 1-line block ×5, first 2 shown]
	v_cmp_lt_u32_e32 vcc, 27, v0
	s_waitcnt vmcnt(5) lgkmcnt(4)
	v_mul_f64 v[48:49], v[28:29], v[6:7]
	v_mul_f64 v[6:7], v[30:31], v[6:7]
	s_waitcnt vmcnt(4) lgkmcnt(3)
	v_mul_f64 v[50:51], v[32:33], v[10:11]
	s_waitcnt vmcnt(3) lgkmcnt(2)
	v_mul_f64 v[52:53], v[36:37], v[14:15]
	v_mul_f64 v[10:11], v[34:35], v[10:11]
	v_mul_f64 v[14:15], v[38:39], v[14:15]
	v_fmac_f64_e32 v[48:49], v[30:31], v[4:5]
	v_fma_f64 v[4:5], v[28:29], v[4:5], -v[6:7]
	v_fmac_f64_e32 v[50:51], v[34:35], v[8:9]
	v_fma_f64 v[6:7], v[32:33], v[8:9], -v[10:11]
	v_fma_f64 v[8:9], v[36:37], v[12:13], -v[14:15]
	v_add_f64 v[14:15], v[48:49], 0
	v_add_f64 v[4:5], v[4:5], 0
	s_waitcnt vmcnt(2) lgkmcnt(1)
	v_mul_f64 v[54:55], v[40:41], v[18:19]
	v_mul_f64 v[18:19], v[42:43], v[18:19]
	v_fmac_f64_e32 v[52:53], v[38:39], v[12:13]
	v_add_f64 v[14:15], v[14:15], v[50:51]
	v_add_f64 v[4:5], v[4:5], v[6:7]
	s_waitcnt vmcnt(1) lgkmcnt(0)
	v_mul_f64 v[56:57], v[44:45], v[22:23]
	v_mul_f64 v[22:23], v[46:47], v[22:23]
	v_fmac_f64_e32 v[54:55], v[42:43], v[16:17]
	v_fma_f64 v[10:11], v[40:41], v[16:17], -v[18:19]
	v_add_f64 v[6:7], v[14:15], v[52:53]
	v_add_f64 v[4:5], v[4:5], v[8:9]
	v_fmac_f64_e32 v[56:57], v[46:47], v[20:21]
	v_fma_f64 v[12:13], v[44:45], v[20:21], -v[22:23]
	v_add_f64 v[6:7], v[6:7], v[54:55]
	v_add_f64 v[4:5], v[4:5], v[10:11]
	;; [unrolled: 1-line block ×4, first 2 shown]
	s_waitcnt vmcnt(0)
	v_add_f64 v[4:5], v[24:25], -v[4:5]
	v_add_f64 v[6:7], v[26:27], -v[6:7]
	scratch_store_dwordx4 off, v[4:7], off offset:464
	s_and_saveexec_b64 s[0:1], vcc
	s_cbranch_execz .LBB33_163
; %bb.162:
	scratch_load_dwordx4 v[6:9], off, s40
	v_mov_b32_e32 v3, v2
	v_mov_b32_e32 v4, v2
	;; [unrolled: 1-line block ×3, first 2 shown]
	scratch_store_dwordx4 off, v[2:5], off offset:448
	s_waitcnt vmcnt(1)
	ds_write_b128 v1, v[6:9]
.LBB33_163:
	s_or_b64 exec, exec, s[0:1]
	s_waitcnt lgkmcnt(0)
	; wave barrier
	ds_read_b128 v[4:7], v2 offset:992
	ds_read_b128 v[8:11], v2 offset:1008
	;; [unrolled: 1-line block ×4, first 2 shown]
	scratch_load_dwordx4 v[20:23], off, off offset:464
	scratch_load_dwordx4 v[40:43], off, off offset:528
	v_cmp_lt_u32_e32 vcc, 26, v0
	scratch_load_dwordx4 v[48:51], off, off offset:544
	s_waitcnt vmcnt(2) lgkmcnt(3)
	v_mul_f64 v[24:25], v[4:5], v[22:23]
	v_fmac_f64_e32 v[24:25], v[6:7], v[20:21]
	v_add_f64 v[28:29], v[24:25], 0
	scratch_load_dwordx4 v[24:27], off, off offset:480
	s_waitcnt vmcnt(0) lgkmcnt(2)
	v_mul_f64 v[30:31], v[8:9], v[26:27]
	v_fmac_f64_e32 v[30:31], v[10:11], v[24:25]
	v_add_f64 v[32:33], v[28:29], v[30:31]
	scratch_load_dwordx4 v[28:31], off, off offset:496
	s_waitcnt vmcnt(0) lgkmcnt(1)
	v_mul_f64 v[34:35], v[12:13], v[30:31]
	v_fmac_f64_e32 v[34:35], v[14:15], v[28:29]
	v_add_f64 v[36:37], v[32:33], v[34:35]
	scratch_load_dwordx4 v[32:35], off, off offset:512
	s_waitcnt vmcnt(0) lgkmcnt(0)
	v_mul_f64 v[38:39], v[16:17], v[34:35]
	v_fmac_f64_e32 v[38:39], v[18:19], v[32:33]
	v_add_f64 v[44:45], v[36:37], v[38:39]
	ds_read_b128 v[36:39], v2 offset:1056
	s_waitcnt lgkmcnt(0)
	v_mul_f64 v[46:47], v[36:37], v[42:43]
	v_fmac_f64_e32 v[46:47], v[38:39], v[40:41]
	v_add_f64 v[52:53], v[44:45], v[46:47]
	ds_read_b128 v[44:47], v2 offset:1072
	s_waitcnt lgkmcnt(0)
	v_mul_f64 v[2:3], v[44:45], v[50:51]
	v_fmac_f64_e32 v[2:3], v[46:47], v[48:49]
	v_add_f64 v[52:53], v[52:53], v[2:3]
	v_mul_f64 v[2:3], v[6:7], v[22:23]
	v_fma_f64 v[2:3], v[4:5], v[20:21], -v[2:3]
	v_mul_f64 v[4:5], v[10:11], v[26:27]
	v_add_f64 v[2:3], v[2:3], 0
	v_fma_f64 v[4:5], v[8:9], v[24:25], -v[4:5]
	v_add_f64 v[2:3], v[2:3], v[4:5]
	v_mul_f64 v[4:5], v[14:15], v[30:31]
	v_fma_f64 v[4:5], v[12:13], v[28:29], -v[4:5]
	v_add_f64 v[2:3], v[2:3], v[4:5]
	v_mul_f64 v[4:5], v[18:19], v[34:35]
	;; [unrolled: 3-line block ×4, first 2 shown]
	v_fma_f64 v[4:5], v[44:45], v[48:49], -v[4:5]
	v_add_f64 v[6:7], v[2:3], v[4:5]
	scratch_load_dwordx4 v[2:5], off, off offset:448
	s_waitcnt vmcnt(0)
	v_add_f64 v[2:3], v[2:3], -v[6:7]
	v_add_f64 v[4:5], v[4:5], -v[52:53]
	scratch_store_dwordx4 off, v[2:5], off offset:448
	s_and_saveexec_b64 s[0:1], vcc
	s_cbranch_execz .LBB33_165
; %bb.164:
	scratch_load_dwordx4 v[2:5], off, s39
	v_mov_b32_e32 v6, 0
	v_mov_b32_e32 v7, v6
	;; [unrolled: 1-line block ×4, first 2 shown]
	scratch_store_dwordx4 off, v[6:9], off offset:432
	s_waitcnt vmcnt(1)
	ds_write_b128 v1, v[2:5]
.LBB33_165:
	s_or_b64 exec, exec, s[0:1]
	s_waitcnt lgkmcnt(0)
	; wave barrier
	scratch_load_dwordx4 v[4:7], off, off offset:448
	scratch_load_dwordx4 v[8:11], off, off offset:464
	;; [unrolled: 1-line block ×8, first 2 shown]
	v_mov_b32_e32 v2, 0
	ds_read_b128 v[36:39], v2 offset:976
	ds_read_b128 v[40:43], v2 offset:992
	;; [unrolled: 1-line block ×7, first 2 shown]
	v_cmp_lt_u32_e32 vcc, 25, v0
	s_waitcnt vmcnt(7) lgkmcnt(6)
	v_mul_f64 v[64:65], v[36:37], v[6:7]
	v_mul_f64 v[6:7], v[38:39], v[6:7]
	s_waitcnt vmcnt(6) lgkmcnt(5)
	v_mul_f64 v[66:67], v[40:41], v[10:11]
	s_waitcnt vmcnt(4) lgkmcnt(3)
	v_mul_f64 v[70:71], v[48:49], v[18:19]
	v_mul_f64 v[10:11], v[42:43], v[10:11]
	;; [unrolled: 1-line block ×3, first 2 shown]
	v_fmac_f64_e32 v[64:65], v[38:39], v[4:5]
	v_fma_f64 v[4:5], v[36:37], v[4:5], -v[6:7]
	v_mul_f64 v[68:69], v[44:45], v[14:15]
	v_mul_f64 v[14:15], v[46:47], v[14:15]
	v_fmac_f64_e32 v[66:67], v[42:43], v[8:9]
	v_fma_f64 v[6:7], v[40:41], v[8:9], -v[10:11]
	v_fma_f64 v[10:11], v[48:49], v[16:17], -v[18:19]
	v_add_f64 v[18:19], v[64:65], 0
	v_add_f64 v[4:5], v[4:5], 0
	v_fmac_f64_e32 v[68:69], v[46:47], v[12:13]
	v_fma_f64 v[8:9], v[44:45], v[12:13], -v[14:15]
	v_add_f64 v[18:19], v[18:19], v[66:67]
	v_add_f64 v[4:5], v[4:5], v[6:7]
	s_waitcnt vmcnt(3) lgkmcnt(2)
	v_mul_f64 v[72:73], v[52:53], v[22:23]
	v_mul_f64 v[22:23], v[54:55], v[22:23]
	v_fmac_f64_e32 v[70:71], v[50:51], v[16:17]
	v_add_f64 v[6:7], v[18:19], v[68:69]
	v_add_f64 v[4:5], v[4:5], v[8:9]
	s_waitcnt vmcnt(2) lgkmcnt(1)
	v_mul_f64 v[74:75], v[56:57], v[26:27]
	v_mul_f64 v[26:27], v[58:59], v[26:27]
	v_fmac_f64_e32 v[72:73], v[54:55], v[20:21]
	v_fma_f64 v[12:13], v[52:53], v[20:21], -v[22:23]
	v_add_f64 v[6:7], v[6:7], v[70:71]
	v_add_f64 v[4:5], v[4:5], v[10:11]
	s_waitcnt vmcnt(1) lgkmcnt(0)
	v_mul_f64 v[76:77], v[60:61], v[30:31]
	v_mul_f64 v[30:31], v[62:63], v[30:31]
	v_fmac_f64_e32 v[74:75], v[58:59], v[24:25]
	v_fma_f64 v[14:15], v[56:57], v[24:25], -v[26:27]
	v_add_f64 v[6:7], v[6:7], v[72:73]
	v_add_f64 v[4:5], v[4:5], v[12:13]
	v_fmac_f64_e32 v[76:77], v[62:63], v[28:29]
	v_fma_f64 v[16:17], v[60:61], v[28:29], -v[30:31]
	v_add_f64 v[6:7], v[6:7], v[74:75]
	v_add_f64 v[4:5], v[4:5], v[14:15]
	;; [unrolled: 1-line block ×4, first 2 shown]
	s_waitcnt vmcnt(0)
	v_add_f64 v[4:5], v[32:33], -v[4:5]
	v_add_f64 v[6:7], v[34:35], -v[6:7]
	scratch_store_dwordx4 off, v[4:7], off offset:432
	s_and_saveexec_b64 s[0:1], vcc
	s_cbranch_execz .LBB33_167
; %bb.166:
	scratch_load_dwordx4 v[6:9], off, s38
	v_mov_b32_e32 v3, v2
	v_mov_b32_e32 v4, v2
	;; [unrolled: 1-line block ×3, first 2 shown]
	scratch_store_dwordx4 off, v[2:5], off offset:416
	s_waitcnt vmcnt(1)
	ds_write_b128 v1, v[6:9]
.LBB33_167:
	s_or_b64 exec, exec, s[0:1]
	s_waitcnt lgkmcnt(0)
	; wave barrier
	scratch_load_dwordx4 v[4:7], off, off offset:432
	scratch_load_dwordx4 v[8:11], off, off offset:448
	scratch_load_dwordx4 v[12:15], off, off offset:464
	scratch_load_dwordx4 v[16:19], off, off offset:480
	scratch_load_dwordx4 v[20:23], off, off offset:496
	scratch_load_dwordx4 v[24:27], off, off offset:512
	scratch_load_dwordx4 v[28:31], off, off offset:528
	scratch_load_dwordx4 v[32:35], off, off offset:544
	scratch_load_dwordx4 v[36:39], off, off offset:416
	ds_read_b128 v[40:43], v2 offset:960
	ds_read_b128 v[44:47], v2 offset:976
	;; [unrolled: 1-line block ×8, first 2 shown]
	v_cmp_lt_u32_e32 vcc, 24, v0
	s_waitcnt vmcnt(8) lgkmcnt(7)
	v_mul_f64 v[2:3], v[40:41], v[6:7]
	v_mul_f64 v[6:7], v[42:43], v[6:7]
	s_waitcnt vmcnt(7) lgkmcnt(6)
	v_mul_f64 v[72:73], v[44:45], v[10:11]
	v_mul_f64 v[10:11], v[46:47], v[10:11]
	v_fmac_f64_e32 v[2:3], v[42:43], v[4:5]
	v_fma_f64 v[4:5], v[40:41], v[4:5], -v[6:7]
	s_waitcnt vmcnt(6) lgkmcnt(5)
	v_mul_f64 v[74:75], v[48:49], v[14:15]
	v_mul_f64 v[14:15], v[50:51], v[14:15]
	v_fmac_f64_e32 v[72:73], v[46:47], v[8:9]
	v_fma_f64 v[6:7], v[44:45], v[8:9], -v[10:11]
	v_add_f64 v[2:3], v[2:3], 0
	v_add_f64 v[4:5], v[4:5], 0
	s_waitcnt vmcnt(5) lgkmcnt(4)
	v_mul_f64 v[76:77], v[52:53], v[18:19]
	v_mul_f64 v[18:19], v[54:55], v[18:19]
	v_fmac_f64_e32 v[74:75], v[50:51], v[12:13]
	v_fma_f64 v[8:9], v[48:49], v[12:13], -v[14:15]
	v_add_f64 v[2:3], v[2:3], v[72:73]
	v_add_f64 v[4:5], v[4:5], v[6:7]
	;; [unrolled: 7-line block ×6, first 2 shown]
	v_fmac_f64_e32 v[84:85], v[70:71], v[32:33]
	v_fma_f64 v[18:19], v[68:69], v[32:33], -v[34:35]
	v_add_f64 v[2:3], v[2:3], v[82:83]
	v_add_f64 v[4:5], v[4:5], v[16:17]
	;; [unrolled: 1-line block ×4, first 2 shown]
	s_waitcnt vmcnt(0)
	v_add_f64 v[2:3], v[36:37], -v[2:3]
	v_add_f64 v[4:5], v[38:39], -v[6:7]
	scratch_store_dwordx4 off, v[2:5], off offset:416
	s_and_saveexec_b64 s[0:1], vcc
	s_cbranch_execz .LBB33_169
; %bb.168:
	scratch_load_dwordx4 v[2:5], off, s37
	v_mov_b32_e32 v6, 0
	v_mov_b32_e32 v7, v6
	;; [unrolled: 1-line block ×4, first 2 shown]
	scratch_store_dwordx4 off, v[6:9], off offset:400
	s_waitcnt vmcnt(1)
	ds_write_b128 v1, v[2:5]
.LBB33_169:
	s_or_b64 exec, exec, s[0:1]
	s_waitcnt lgkmcnt(0)
	; wave barrier
	scratch_load_dwordx4 v[4:7], off, off offset:416
	scratch_load_dwordx4 v[8:11], off, off offset:432
	;; [unrolled: 1-line block ×10, first 2 shown]
	v_mov_b32_e32 v2, 0
	ds_read_b128 v[44:47], v2 offset:944
	ds_read_b128 v[48:51], v2 offset:960
	ds_read_b128 v[52:55], v2 offset:976
	ds_read_b128 v[56:59], v2 offset:992
	ds_read_b128 v[60:63], v2 offset:1008
	ds_read_b128 v[64:67], v2 offset:1024
	ds_read_b128 v[68:71], v2 offset:1040
	ds_read_b128 v[72:75], v2 offset:1056
	ds_read_b128 v[76:79], v2 offset:1072
	v_cmp_lt_u32_e32 vcc, 23, v0
	s_waitcnt vmcnt(9) lgkmcnt(8)
	v_mul_f64 v[80:81], v[44:45], v[6:7]
	v_mul_f64 v[6:7], v[46:47], v[6:7]
	s_waitcnt vmcnt(8) lgkmcnt(7)
	v_mul_f64 v[82:83], v[48:49], v[10:11]
	s_waitcnt vmcnt(7) lgkmcnt(6)
	;; [unrolled: 2-line block ×3, first 2 shown]
	v_mul_f64 v[88:89], v[60:61], v[22:23]
	v_mul_f64 v[10:11], v[50:51], v[10:11]
	;; [unrolled: 1-line block ×4, first 2 shown]
	v_fmac_f64_e32 v[80:81], v[46:47], v[4:5]
	v_fma_f64 v[4:5], v[44:45], v[4:5], -v[6:7]
	v_fmac_f64_e32 v[82:83], v[50:51], v[8:9]
	v_fmac_f64_e32 v[84:85], v[54:55], v[12:13]
	v_fma_f64 v[6:7], v[48:49], v[8:9], -v[10:11]
	v_fma_f64 v[8:9], v[52:53], v[12:13], -v[14:15]
	;; [unrolled: 1-line block ×3, first 2 shown]
	v_add_f64 v[22:23], v[80:81], 0
	v_add_f64 v[4:5], v[4:5], 0
	v_mul_f64 v[86:87], v[56:57], v[18:19]
	v_mul_f64 v[18:19], v[58:59], v[18:19]
	v_add_f64 v[22:23], v[22:23], v[82:83]
	v_add_f64 v[4:5], v[4:5], v[6:7]
	v_fmac_f64_e32 v[86:87], v[58:59], v[16:17]
	v_fma_f64 v[10:11], v[56:57], v[16:17], -v[18:19]
	v_add_f64 v[6:7], v[22:23], v[84:85]
	v_add_f64 v[4:5], v[4:5], v[8:9]
	s_waitcnt vmcnt(4) lgkmcnt(3)
	v_mul_f64 v[90:91], v[64:65], v[26:27]
	v_mul_f64 v[26:27], v[66:67], v[26:27]
	v_fmac_f64_e32 v[88:89], v[62:63], v[20:21]
	v_add_f64 v[6:7], v[6:7], v[86:87]
	v_add_f64 v[4:5], v[4:5], v[10:11]
	s_waitcnt vmcnt(3) lgkmcnt(2)
	v_mul_f64 v[92:93], v[68:69], v[30:31]
	v_mul_f64 v[30:31], v[70:71], v[30:31]
	v_fmac_f64_e32 v[90:91], v[66:67], v[24:25]
	v_fma_f64 v[14:15], v[64:65], v[24:25], -v[26:27]
	v_add_f64 v[6:7], v[6:7], v[88:89]
	v_add_f64 v[4:5], v[4:5], v[12:13]
	s_waitcnt vmcnt(2) lgkmcnt(1)
	v_mul_f64 v[94:95], v[72:73], v[34:35]
	v_mul_f64 v[34:35], v[74:75], v[34:35]
	v_fmac_f64_e32 v[92:93], v[70:71], v[28:29]
	v_fma_f64 v[16:17], v[68:69], v[28:29], -v[30:31]
	;; [unrolled: 7-line block ×3, first 2 shown]
	v_add_f64 v[6:7], v[6:7], v[92:93]
	v_add_f64 v[4:5], v[4:5], v[16:17]
	v_fmac_f64_e32 v[96:97], v[78:79], v[36:37]
	v_fma_f64 v[20:21], v[76:77], v[36:37], -v[38:39]
	v_add_f64 v[6:7], v[6:7], v[94:95]
	v_add_f64 v[4:5], v[4:5], v[18:19]
	;; [unrolled: 1-line block ×4, first 2 shown]
	s_waitcnt vmcnt(0)
	v_add_f64 v[4:5], v[40:41], -v[4:5]
	v_add_f64 v[6:7], v[42:43], -v[6:7]
	scratch_store_dwordx4 off, v[4:7], off offset:400
	s_and_saveexec_b64 s[0:1], vcc
	s_cbranch_execz .LBB33_171
; %bb.170:
	scratch_load_dwordx4 v[6:9], off, s36
	v_mov_b32_e32 v3, v2
	v_mov_b32_e32 v4, v2
	v_mov_b32_e32 v5, v2
	scratch_store_dwordx4 off, v[2:5], off offset:384
	s_waitcnt vmcnt(1)
	ds_write_b128 v1, v[6:9]
.LBB33_171:
	s_or_b64 exec, exec, s[0:1]
	s_waitcnt lgkmcnt(0)
	; wave barrier
	ds_read_b128 v[4:7], v2 offset:928
	ds_read_b128 v[8:11], v2 offset:944
	ds_read_b128 v[12:15], v2 offset:960
	ds_read_b128 v[16:19], v2 offset:976
	scratch_load_dwordx4 v[20:23], off, off offset:400
	scratch_load_dwordx4 v[40:43], off, off offset:464
	;; [unrolled: 1-line block ×4, first 2 shown]
	v_cmp_lt_u32_e32 vcc, 22, v0
	scratch_load_dwordx4 v[48:51], off, off offset:480
	scratch_load_dwordx4 v[56:59], off, off offset:496
	;; [unrolled: 1-line block ×3, first 2 shown]
	s_waitcnt vmcnt(6) lgkmcnt(3)
	v_mul_f64 v[24:25], v[4:5], v[22:23]
	v_fmac_f64_e32 v[24:25], v[6:7], v[20:21]
	v_add_f64 v[28:29], v[24:25], 0
	scratch_load_dwordx4 v[24:27], off, off offset:416
	s_waitcnt vmcnt(0) lgkmcnt(2)
	v_mul_f64 v[30:31], v[8:9], v[26:27]
	v_fmac_f64_e32 v[30:31], v[10:11], v[24:25]
	v_add_f64 v[32:33], v[28:29], v[30:31]
	scratch_load_dwordx4 v[28:31], off, off offset:432
	s_waitcnt vmcnt(0) lgkmcnt(1)
	v_mul_f64 v[34:35], v[12:13], v[30:31]
	v_fmac_f64_e32 v[34:35], v[14:15], v[28:29]
	v_add_f64 v[36:37], v[32:33], v[34:35]
	scratch_load_dwordx4 v[32:35], off, off offset:448
	s_waitcnt vmcnt(0) lgkmcnt(0)
	v_mul_f64 v[38:39], v[16:17], v[34:35]
	v_fmac_f64_e32 v[38:39], v[18:19], v[32:33]
	v_add_f64 v[44:45], v[36:37], v[38:39]
	ds_read_b128 v[36:39], v2 offset:992
	s_waitcnt lgkmcnt(0)
	v_mul_f64 v[46:47], v[36:37], v[42:43]
	v_fmac_f64_e32 v[46:47], v[38:39], v[40:41]
	v_add_f64 v[52:53], v[44:45], v[46:47]
	ds_read_b128 v[44:47], v2 offset:1008
	s_waitcnt lgkmcnt(0)
	;; [unrolled: 5-line block ×6, first 2 shown]
	v_mul_f64 v[2:3], v[76:77], v[82:83]
	v_fmac_f64_e32 v[2:3], v[78:79], v[80:81]
	v_add_f64 v[84:85], v[84:85], v[2:3]
	v_mul_f64 v[2:3], v[6:7], v[22:23]
	v_fma_f64 v[2:3], v[4:5], v[20:21], -v[2:3]
	v_mul_f64 v[4:5], v[10:11], v[26:27]
	v_add_f64 v[2:3], v[2:3], 0
	v_fma_f64 v[4:5], v[8:9], v[24:25], -v[4:5]
	v_add_f64 v[2:3], v[2:3], v[4:5]
	v_mul_f64 v[4:5], v[14:15], v[30:31]
	v_fma_f64 v[4:5], v[12:13], v[28:29], -v[4:5]
	v_add_f64 v[2:3], v[2:3], v[4:5]
	v_mul_f64 v[4:5], v[18:19], v[34:35]
	;; [unrolled: 3-line block ×8, first 2 shown]
	v_fma_f64 v[4:5], v[76:77], v[80:81], -v[4:5]
	v_add_f64 v[6:7], v[2:3], v[4:5]
	scratch_load_dwordx4 v[2:5], off, off offset:384
	s_waitcnt vmcnt(0)
	v_add_f64 v[2:3], v[2:3], -v[6:7]
	v_add_f64 v[4:5], v[4:5], -v[84:85]
	scratch_store_dwordx4 off, v[2:5], off offset:384
	s_and_saveexec_b64 s[0:1], vcc
	s_cbranch_execz .LBB33_173
; %bb.172:
	scratch_load_dwordx4 v[2:5], off, s35
	v_mov_b32_e32 v6, 0
	v_mov_b32_e32 v7, v6
	;; [unrolled: 1-line block ×4, first 2 shown]
	scratch_store_dwordx4 off, v[6:9], off offset:368
	s_waitcnt vmcnt(1)
	ds_write_b128 v1, v[2:5]
.LBB33_173:
	s_or_b64 exec, exec, s[0:1]
	v_mov_b32_e32 v2, 0
	s_waitcnt lgkmcnt(0)
	; wave barrier
	ds_read_b128 v[4:7], v2 offset:912
	ds_read_b128 v[8:11], v2 offset:928
	;; [unrolled: 1-line block ×4, first 2 shown]
	scratch_load_dwordx4 v[20:23], off, off offset:384
	scratch_load_dwordx4 v[40:43], off, off offset:448
	;; [unrolled: 1-line block ×5, first 2 shown]
	v_cmp_lt_u32_e32 vcc, 21, v0
	scratch_load_dwordx4 v[48:51], off, off offset:464
	scratch_load_dwordx4 v[56:59], off, off offset:480
	;; [unrolled: 1-line block ×3, first 2 shown]
	s_waitcnt vmcnt(7) lgkmcnt(3)
	v_mul_f64 v[24:25], v[4:5], v[22:23]
	v_fmac_f64_e32 v[24:25], v[6:7], v[20:21]
	v_add_f64 v[28:29], v[24:25], 0
	scratch_load_dwordx4 v[24:27], off, off offset:400
	v_mul_f64 v[6:7], v[6:7], v[22:23]
	v_fma_f64 v[4:5], v[4:5], v[20:21], -v[6:7]
	v_add_f64 v[4:5], v[4:5], 0
	s_waitcnt vmcnt(0) lgkmcnt(2)
	v_mul_f64 v[30:31], v[8:9], v[26:27]
	v_fmac_f64_e32 v[30:31], v[10:11], v[24:25]
	v_add_f64 v[32:33], v[28:29], v[30:31]
	scratch_load_dwordx4 v[28:31], off, off offset:416
	v_mul_f64 v[6:7], v[10:11], v[26:27]
	v_fma_f64 v[6:7], v[8:9], v[24:25], -v[6:7]
	v_add_f64 v[4:5], v[4:5], v[6:7]
	;; [unrolled: 8-line block ×3, first 2 shown]
	s_waitcnt vmcnt(0) lgkmcnt(0)
	v_mul_f64 v[38:39], v[16:17], v[34:35]
	v_fmac_f64_e32 v[38:39], v[18:19], v[32:33]
	v_add_f64 v[44:45], v[36:37], v[38:39]
	ds_read_b128 v[36:39], v2 offset:976
	v_mul_f64 v[6:7], v[18:19], v[34:35]
	v_fma_f64 v[6:7], v[16:17], v[32:33], -v[6:7]
	v_add_f64 v[4:5], v[4:5], v[6:7]
	s_waitcnt lgkmcnt(0)
	v_mul_f64 v[46:47], v[36:37], v[42:43]
	v_fmac_f64_e32 v[46:47], v[38:39], v[40:41]
	v_add_f64 v[52:53], v[44:45], v[46:47]
	ds_read_b128 v[44:47], v2 offset:992
	v_mul_f64 v[6:7], v[38:39], v[42:43]
	v_fma_f64 v[6:7], v[36:37], v[40:41], -v[6:7]
	v_add_f64 v[4:5], v[4:5], v[6:7]
	s_waitcnt lgkmcnt(0)
	;; [unrolled: 8-line block ×7, first 2 shown]
	v_mul_f64 v[6:7], v[86:87], v[90:91]
	v_fma_f64 v[6:7], v[84:85], v[88:89], -v[6:7]
	v_add_f64 v[8:9], v[4:5], v[6:7]
	scratch_load_dwordx4 v[4:7], off, off offset:368
	v_mul_f64 v[94:95], v[84:85], v[90:91]
	v_fmac_f64_e32 v[94:95], v[86:87], v[88:89]
	v_add_f64 v[92:93], v[92:93], v[94:95]
	s_waitcnt vmcnt(0)
	v_add_f64 v[4:5], v[4:5], -v[8:9]
	v_add_f64 v[6:7], v[6:7], -v[92:93]
	scratch_store_dwordx4 off, v[4:7], off offset:368
	s_and_saveexec_b64 s[0:1], vcc
	s_cbranch_execz .LBB33_175
; %bb.174:
	scratch_load_dwordx4 v[6:9], off, s34
	v_mov_b32_e32 v3, v2
	v_mov_b32_e32 v4, v2
	;; [unrolled: 1-line block ×3, first 2 shown]
	scratch_store_dwordx4 off, v[2:5], off offset:352
	s_waitcnt vmcnt(1)
	ds_write_b128 v1, v[6:9]
.LBB33_175:
	s_or_b64 exec, exec, s[0:1]
	s_waitcnt lgkmcnt(0)
	; wave barrier
	scratch_load_dwordx4 v[4:7], off, off offset:368
	scratch_load_dwordx4 v[8:11], off, off offset:384
	;; [unrolled: 1-line block ×12, first 2 shown]
	ds_read_b128 v[52:55], v2 offset:896
	ds_read_b128 v[56:59], v2 offset:912
	;; [unrolled: 1-line block ×4, first 2 shown]
	scratch_load_dwordx4 v[68:71], off, off offset:352
	ds_read_b128 v[72:75], v2 offset:960
	ds_read_b128 v[76:79], v2 offset:976
	;; [unrolled: 1-line block ×8, first 2 shown]
	v_cmp_lt_u32_e32 vcc, 20, v0
	s_waitcnt vmcnt(12) lgkmcnt(11)
	v_mul_f64 v[2:3], v[52:53], v[6:7]
	s_waitcnt vmcnt(11) lgkmcnt(10)
	v_mul_f64 v[104:105], v[56:57], v[10:11]
	v_fmac_f64_e32 v[2:3], v[54:55], v[4:5]
	s_waitcnt vmcnt(10) lgkmcnt(9)
	v_mul_f64 v[106:107], v[60:61], v[14:15]
	v_mul_f64 v[6:7], v[54:55], v[6:7]
	v_fmac_f64_e32 v[104:105], v[58:59], v[8:9]
	v_add_f64 v[2:3], v[2:3], 0
	s_waitcnt vmcnt(9) lgkmcnt(8)
	v_mul_f64 v[108:109], v[64:65], v[18:19]
	v_mul_f64 v[10:11], v[58:59], v[10:11]
	v_fmac_f64_e32 v[106:107], v[62:63], v[12:13]
	v_fma_f64 v[4:5], v[52:53], v[4:5], -v[6:7]
	v_add_f64 v[2:3], v[2:3], v[104:105]
	s_waitcnt vmcnt(8) lgkmcnt(7)
	v_mul_f64 v[110:111], v[72:73], v[22:23]
	v_mul_f64 v[14:15], v[62:63], v[14:15]
	v_fmac_f64_e32 v[108:109], v[66:67], v[16:17]
	v_fma_f64 v[6:7], v[56:57], v[8:9], -v[10:11]
	v_add_f64 v[4:5], v[4:5], 0
	v_add_f64 v[2:3], v[2:3], v[106:107]
	s_waitcnt vmcnt(7) lgkmcnt(6)
	v_mul_f64 v[112:113], v[76:77], v[26:27]
	v_mul_f64 v[18:19], v[66:67], v[18:19]
	v_fmac_f64_e32 v[110:111], v[74:75], v[20:21]
	v_fma_f64 v[8:9], v[60:61], v[12:13], -v[14:15]
	v_add_f64 v[4:5], v[4:5], v[6:7]
	;; [unrolled: 7-line block ×8, first 2 shown]
	v_add_f64 v[2:3], v[2:3], v[120:121]
	v_mul_f64 v[46:47], v[98:99], v[46:47]
	v_fmac_f64_e32 v[124:125], v[102:103], v[48:49]
	v_fma_f64 v[22:23], v[92:93], v[40:41], -v[42:43]
	v_add_f64 v[4:5], v[4:5], v[20:21]
	v_add_f64 v[2:3], v[2:3], v[122:123]
	;; [unrolled: 1-line block ×4, first 2 shown]
	v_fma_f64 v[2:3], v[96:97], v[44:45], -v[46:47]
	v_add_f64 v[2:3], v[4:5], v[2:3]
	v_mul_f64 v[4:5], v[102:103], v[50:51]
	v_fma_f64 v[4:5], v[100:101], v[48:49], -v[4:5]
	v_add_f64 v[2:3], v[2:3], v[4:5]
	s_waitcnt vmcnt(0)
	v_add_f64 v[2:3], v[68:69], -v[2:3]
	v_add_f64 v[4:5], v[70:71], -v[6:7]
	scratch_store_dwordx4 off, v[2:5], off offset:352
	s_and_saveexec_b64 s[0:1], vcc
	s_cbranch_execz .LBB33_177
; %bb.176:
	scratch_load_dwordx4 v[2:5], off, s33
	v_mov_b32_e32 v6, 0
	v_mov_b32_e32 v7, v6
	;; [unrolled: 1-line block ×4, first 2 shown]
	scratch_store_dwordx4 off, v[6:9], off offset:336
	s_waitcnt vmcnt(1)
	ds_write_b128 v1, v[2:5]
.LBB33_177:
	s_or_b64 exec, exec, s[0:1]
	s_waitcnt lgkmcnt(0)
	; wave barrier
	scratch_load_dwordx4 v[4:7], off, off offset:352
	scratch_load_dwordx4 v[8:11], off, off offset:368
	;; [unrolled: 1-line block ×14, first 2 shown]
	v_mov_b32_e32 v2, 0
	ds_read_b128 v[60:63], v2 offset:880
	ds_read_b128 v[64:67], v2 offset:896
	;; [unrolled: 1-line block ×13, first 2 shown]
	v_cmp_lt_u32_e32 vcc, 19, v0
	s_waitcnt vmcnt(13) lgkmcnt(12)
	v_mul_f64 v[112:113], v[60:61], v[6:7]
	v_mul_f64 v[6:7], v[62:63], v[6:7]
	s_waitcnt vmcnt(12) lgkmcnt(11)
	v_mul_f64 v[114:115], v[64:65], v[10:11]
	v_mul_f64 v[10:11], v[66:67], v[10:11]
	v_fmac_f64_e32 v[112:113], v[62:63], v[4:5]
	v_fma_f64 v[4:5], v[60:61], v[4:5], -v[6:7]
	s_waitcnt vmcnt(11) lgkmcnt(10)
	v_mul_f64 v[116:117], v[68:69], v[14:15]
	v_mul_f64 v[14:15], v[70:71], v[14:15]
	v_fma_f64 v[6:7], v[64:65], v[8:9], -v[10:11]
	v_add_f64 v[4:5], v[4:5], 0
	s_waitcnt vmcnt(10) lgkmcnt(9)
	v_mul_f64 v[118:119], v[72:73], v[18:19]
	v_mul_f64 v[18:19], v[74:75], v[18:19]
	v_fmac_f64_e32 v[114:115], v[66:67], v[8:9]
	v_fma_f64 v[8:9], v[68:69], v[12:13], -v[14:15]
	v_add_f64 v[4:5], v[4:5], v[6:7]
	s_waitcnt vmcnt(9) lgkmcnt(8)
	v_mul_f64 v[120:121], v[76:77], v[22:23]
	v_mul_f64 v[22:23], v[78:79], v[22:23]
	v_fma_f64 v[10:11], v[72:73], v[16:17], -v[18:19]
	v_add_f64 v[4:5], v[4:5], v[8:9]
	s_waitcnt vmcnt(8) lgkmcnt(7)
	v_mul_f64 v[122:123], v[80:81], v[26:27]
	v_mul_f64 v[26:27], v[82:83], v[26:27]
	v_fmac_f64_e32 v[116:117], v[70:71], v[12:13]
	v_fma_f64 v[12:13], v[76:77], v[20:21], -v[22:23]
	v_add_f64 v[22:23], v[112:113], 0
	v_add_f64 v[4:5], v[4:5], v[10:11]
	s_waitcnt vmcnt(7) lgkmcnt(6)
	v_mul_f64 v[124:125], v[84:85], v[30:31]
	v_mul_f64 v[30:31], v[86:87], v[30:31]
	v_fma_f64 v[14:15], v[80:81], v[24:25], -v[26:27]
	v_add_f64 v[22:23], v[22:23], v[114:115]
	v_add_f64 v[4:5], v[4:5], v[12:13]
	s_waitcnt vmcnt(6) lgkmcnt(5)
	v_mul_f64 v[126:127], v[88:89], v[34:35]
	v_mul_f64 v[34:35], v[90:91], v[34:35]
	v_fmac_f64_e32 v[118:119], v[74:75], v[16:17]
	v_fma_f64 v[16:17], v[84:85], v[28:29], -v[30:31]
	v_add_f64 v[6:7], v[22:23], v[116:117]
	v_add_f64 v[4:5], v[4:5], v[14:15]
	s_waitcnt vmcnt(5) lgkmcnt(4)
	v_mul_f64 v[128:129], v[92:93], v[38:39]
	v_mul_f64 v[38:39], v[94:95], v[38:39]
	v_fmac_f64_e32 v[120:121], v[78:79], v[20:21]
	v_fma_f64 v[18:19], v[88:89], v[32:33], -v[34:35]
	v_add_f64 v[6:7], v[6:7], v[118:119]
	v_add_f64 v[4:5], v[4:5], v[16:17]
	v_fmac_f64_e32 v[122:123], v[82:83], v[24:25]
	v_fma_f64 v[20:21], v[92:93], v[36:37], -v[38:39]
	v_add_f64 v[6:7], v[6:7], v[120:121]
	v_add_f64 v[4:5], v[4:5], v[18:19]
	s_waitcnt vmcnt(4) lgkmcnt(3)
	v_mul_f64 v[8:9], v[98:99], v[42:43]
	v_fmac_f64_e32 v[124:125], v[86:87], v[28:29]
	v_add_f64 v[6:7], v[6:7], v[122:123]
	v_add_f64 v[4:5], v[4:5], v[20:21]
	v_fma_f64 v[8:9], v[96:97], v[40:41], -v[8:9]
	v_fmac_f64_e32 v[126:127], v[90:91], v[32:33]
	v_add_f64 v[6:7], v[6:7], v[124:125]
	v_add_f64 v[4:5], v[4:5], v[8:9]
	s_waitcnt vmcnt(3) lgkmcnt(2)
	v_mul_f64 v[8:9], v[102:103], v[46:47]
	v_mul_f64 v[130:131], v[96:97], v[42:43]
	v_fmac_f64_e32 v[128:129], v[94:95], v[36:37]
	v_add_f64 v[6:7], v[6:7], v[126:127]
	v_fma_f64 v[8:9], v[100:101], v[44:45], -v[8:9]
	v_mul_f64 v[132:133], v[100:101], v[46:47]
	v_fmac_f64_e32 v[130:131], v[98:99], v[40:41]
	v_add_f64 v[6:7], v[6:7], v[128:129]
	v_add_f64 v[4:5], v[4:5], v[8:9]
	s_waitcnt vmcnt(2) lgkmcnt(1)
	v_mul_f64 v[8:9], v[106:107], v[50:51]
	v_mul_f64 v[134:135], v[104:105], v[50:51]
	v_fmac_f64_e32 v[132:133], v[102:103], v[44:45]
	v_add_f64 v[6:7], v[6:7], v[130:131]
	v_fma_f64 v[8:9], v[104:105], v[48:49], -v[8:9]
	s_waitcnt vmcnt(1) lgkmcnt(0)
	v_mul_f64 v[136:137], v[108:109], v[54:55]
	v_fmac_f64_e32 v[134:135], v[106:107], v[48:49]
	v_add_f64 v[6:7], v[6:7], v[132:133]
	v_add_f64 v[4:5], v[4:5], v[8:9]
	v_mul_f64 v[8:9], v[110:111], v[54:55]
	v_fmac_f64_e32 v[136:137], v[110:111], v[52:53]
	v_add_f64 v[6:7], v[6:7], v[134:135]
	v_fma_f64 v[8:9], v[108:109], v[52:53], -v[8:9]
	v_add_f64 v[6:7], v[6:7], v[136:137]
	v_add_f64 v[4:5], v[4:5], v[8:9]
	s_waitcnt vmcnt(0)
	v_add_f64 v[4:5], v[56:57], -v[4:5]
	v_add_f64 v[6:7], v[58:59], -v[6:7]
	scratch_store_dwordx4 off, v[4:7], off offset:336
	s_and_saveexec_b64 s[0:1], vcc
	s_cbranch_execz .LBB33_179
; %bb.178:
	scratch_load_dwordx4 v[6:9], off, s31
	v_mov_b32_e32 v3, v2
	v_mov_b32_e32 v4, v2
	;; [unrolled: 1-line block ×3, first 2 shown]
	scratch_store_dwordx4 off, v[2:5], off offset:320
	s_waitcnt vmcnt(1)
	ds_write_b128 v1, v[6:9]
.LBB33_179:
	s_or_b64 exec, exec, s[0:1]
	s_waitcnt lgkmcnt(0)
	; wave barrier
	scratch_load_dwordx4 v[4:7], off, off offset:336
	scratch_load_dwordx4 v[8:11], off, off offset:352
	;; [unrolled: 1-line block ×14, first 2 shown]
	ds_read_b128 v[60:63], v2 offset:864
	ds_read_b128 v[64:67], v2 offset:880
	;; [unrolled: 1-line block ×14, first 2 shown]
	scratch_load_dwordx4 v[116:119], off, off offset:320
	v_cmp_lt_u32_e32 vcc, 18, v0
	s_waitcnt vmcnt(14) lgkmcnt(13)
	v_mul_f64 v[2:3], v[60:61], v[6:7]
	s_waitcnt vmcnt(13) lgkmcnt(12)
	v_mul_f64 v[120:121], v[64:65], v[10:11]
	v_fmac_f64_e32 v[2:3], v[62:63], v[4:5]
	s_waitcnt vmcnt(12) lgkmcnt(11)
	v_mul_f64 v[122:123], v[68:69], v[14:15]
	v_fmac_f64_e32 v[120:121], v[66:67], v[8:9]
	v_add_f64 v[2:3], v[2:3], 0
	s_waitcnt vmcnt(11) lgkmcnt(10)
	v_mul_f64 v[124:125], v[72:73], v[18:19]
	v_fmac_f64_e32 v[122:123], v[70:71], v[12:13]
	v_add_f64 v[2:3], v[2:3], v[120:121]
	;; [unrolled: 4-line block ×4, first 2 shown]
	s_waitcnt vmcnt(8) lgkmcnt(7)
	v_mul_f64 v[130:131], v[84:85], v[30:31]
	v_mul_f64 v[6:7], v[62:63], v[6:7]
	v_fmac_f64_e32 v[128:129], v[82:83], v[24:25]
	v_add_f64 v[2:3], v[2:3], v[126:127]
	s_waitcnt vmcnt(7) lgkmcnt(6)
	v_mul_f64 v[132:133], v[88:89], v[34:35]
	v_mul_f64 v[10:11], v[66:67], v[10:11]
	v_fmac_f64_e32 v[130:131], v[86:87], v[28:29]
	v_fma_f64 v[4:5], v[60:61], v[4:5], -v[6:7]
	v_add_f64 v[2:3], v[2:3], v[128:129]
	s_waitcnt vmcnt(6) lgkmcnt(5)
	v_mul_f64 v[134:135], v[92:93], v[38:39]
	v_mul_f64 v[14:15], v[70:71], v[14:15]
	v_fmac_f64_e32 v[132:133], v[90:91], v[32:33]
	v_fma_f64 v[6:7], v[64:65], v[8:9], -v[10:11]
	v_add_f64 v[4:5], v[4:5], 0
	v_add_f64 v[2:3], v[2:3], v[130:131]
	s_waitcnt vmcnt(5) lgkmcnt(4)
	v_mul_f64 v[136:137], v[96:97], v[42:43]
	v_mul_f64 v[18:19], v[74:75], v[18:19]
	v_fmac_f64_e32 v[134:135], v[94:95], v[36:37]
	v_fma_f64 v[8:9], v[68:69], v[12:13], -v[14:15]
	v_add_f64 v[4:5], v[4:5], v[6:7]
	;; [unrolled: 7-line block ×6, first 2 shown]
	v_add_f64 v[2:3], v[2:3], v[140:141]
	v_fmac_f64_e32 v[144:145], v[114:115], v[56:57]
	v_fma_f64 v[18:19], v[88:89], v[32:33], -v[34:35]
	v_add_f64 v[4:5], v[4:5], v[16:17]
	v_add_f64 v[2:3], v[2:3], v[142:143]
	v_add_f64 v[6:7], v[2:3], v[144:145]
	v_add_f64 v[2:3], v[4:5], v[18:19]
	v_mul_f64 v[4:5], v[94:95], v[38:39]
	v_fma_f64 v[4:5], v[92:93], v[36:37], -v[4:5]
	v_add_f64 v[2:3], v[2:3], v[4:5]
	v_mul_f64 v[4:5], v[98:99], v[42:43]
	v_fma_f64 v[4:5], v[96:97], v[40:41], -v[4:5]
	v_add_f64 v[2:3], v[2:3], v[4:5]
	;; [unrolled: 3-line block ×6, first 2 shown]
	s_waitcnt vmcnt(0)
	v_add_f64 v[2:3], v[116:117], -v[2:3]
	v_add_f64 v[4:5], v[118:119], -v[6:7]
	scratch_store_dwordx4 off, v[2:5], off offset:320
	s_and_saveexec_b64 s[0:1], vcc
	s_cbranch_execz .LBB33_181
; %bb.180:
	scratch_load_dwordx4 v[2:5], off, s30
	v_mov_b32_e32 v6, 0
	v_mov_b32_e32 v7, v6
	;; [unrolled: 1-line block ×4, first 2 shown]
	scratch_store_dwordx4 off, v[6:9], off offset:304
	s_waitcnt vmcnt(1)
	ds_write_b128 v1, v[2:5]
.LBB33_181:
	s_or_b64 exec, exec, s[0:1]
	s_waitcnt lgkmcnt(0)
	; wave barrier
	scratch_load_dwordx4 v[4:7], off, off offset:320
	scratch_load_dwordx4 v[8:11], off, off offset:336
	;; [unrolled: 1-line block ×16, first 2 shown]
	v_mov_b32_e32 v2, 0
	ds_read_b128 v[68:71], v2 offset:848
	ds_read_b128 v[72:75], v2 offset:864
	;; [unrolled: 1-line block ×15, first 2 shown]
	v_cmp_lt_u32_e32 vcc, 17, v0
	s_waitcnt vmcnt(15) lgkmcnt(14)
	v_mul_f64 v[128:129], v[68:69], v[6:7]
	v_mul_f64 v[6:7], v[70:71], v[6:7]
	s_waitcnt vmcnt(14) lgkmcnt(13)
	v_mul_f64 v[130:131], v[72:73], v[10:11]
	v_mul_f64 v[10:11], v[74:75], v[10:11]
	v_fmac_f64_e32 v[128:129], v[70:71], v[4:5]
	v_fma_f64 v[4:5], v[68:69], v[4:5], -v[6:7]
	s_waitcnt vmcnt(13) lgkmcnt(12)
	v_mul_f64 v[132:133], v[76:77], v[14:15]
	v_mul_f64 v[14:15], v[78:79], v[14:15]
	v_fma_f64 v[6:7], v[72:73], v[8:9], -v[10:11]
	v_add_f64 v[4:5], v[4:5], 0
	s_waitcnt vmcnt(12) lgkmcnt(11)
	v_mul_f64 v[134:135], v[80:81], v[18:19]
	v_mul_f64 v[18:19], v[82:83], v[18:19]
	v_fmac_f64_e32 v[130:131], v[74:75], v[8:9]
	v_fma_f64 v[8:9], v[76:77], v[12:13], -v[14:15]
	v_add_f64 v[4:5], v[4:5], v[6:7]
	s_waitcnt vmcnt(11) lgkmcnt(10)
	v_mul_f64 v[136:137], v[84:85], v[22:23]
	v_mul_f64 v[22:23], v[86:87], v[22:23]
	v_fma_f64 v[10:11], v[80:81], v[16:17], -v[18:19]
	v_add_f64 v[4:5], v[4:5], v[8:9]
	s_waitcnt vmcnt(10) lgkmcnt(9)
	v_mul_f64 v[138:139], v[88:89], v[26:27]
	v_mul_f64 v[26:27], v[90:91], v[26:27]
	v_fmac_f64_e32 v[132:133], v[78:79], v[12:13]
	v_fma_f64 v[12:13], v[84:85], v[20:21], -v[22:23]
	v_add_f64 v[4:5], v[4:5], v[10:11]
	v_fma_f64 v[14:15], v[88:89], v[24:25], -v[26:27]
	v_add_f64 v[4:5], v[4:5], v[12:13]
	s_waitcnt vmcnt(9) lgkmcnt(8)
	v_mul_f64 v[8:9], v[94:95], v[30:31]
	v_add_f64 v[4:5], v[4:5], v[14:15]
	v_fma_f64 v[8:9], v[92:93], v[28:29], -v[8:9]
	v_add_f64 v[4:5], v[4:5], v[8:9]
	s_waitcnt vmcnt(8) lgkmcnt(7)
	v_mul_f64 v[8:9], v[98:99], v[34:35]
	v_fma_f64 v[8:9], v[96:97], v[32:33], -v[8:9]
	v_fmac_f64_e32 v[134:135], v[82:83], v[16:17]
	v_add_f64 v[16:17], v[128:129], 0
	v_add_f64 v[4:5], v[4:5], v[8:9]
	s_waitcnt vmcnt(7) lgkmcnt(6)
	v_mul_f64 v[8:9], v[102:103], v[38:39]
	v_add_f64 v[16:17], v[16:17], v[130:131]
	v_fma_f64 v[8:9], v[100:101], v[36:37], -v[8:9]
	v_add_f64 v[6:7], v[16:17], v[132:133]
	v_add_f64 v[4:5], v[4:5], v[8:9]
	s_waitcnt vmcnt(6) lgkmcnt(5)
	v_mul_f64 v[8:9], v[106:107], v[42:43]
	v_fmac_f64_e32 v[136:137], v[86:87], v[20:21]
	v_add_f64 v[6:7], v[6:7], v[134:135]
	v_fma_f64 v[8:9], v[104:105], v[40:41], -v[8:9]
	v_mul_f64 v[140:141], v[92:93], v[30:31]
	v_fmac_f64_e32 v[138:139], v[90:91], v[24:25]
	v_add_f64 v[6:7], v[6:7], v[136:137]
	v_add_f64 v[4:5], v[4:5], v[8:9]
	s_waitcnt vmcnt(5) lgkmcnt(4)
	v_mul_f64 v[8:9], v[110:111], v[46:47]
	v_mul_f64 v[142:143], v[96:97], v[34:35]
	v_fmac_f64_e32 v[140:141], v[94:95], v[28:29]
	v_add_f64 v[6:7], v[6:7], v[138:139]
	v_fma_f64 v[8:9], v[108:109], v[44:45], -v[8:9]
	v_mul_f64 v[144:145], v[100:101], v[38:39]
	v_fmac_f64_e32 v[142:143], v[98:99], v[32:33]
	v_add_f64 v[6:7], v[6:7], v[140:141]
	v_add_f64 v[4:5], v[4:5], v[8:9]
	s_waitcnt vmcnt(4) lgkmcnt(3)
	v_mul_f64 v[8:9], v[114:115], v[50:51]
	;; [unrolled: 10-line block ×4, first 2 shown]
	v_mul_f64 v[154:155], v[120:121], v[58:59]
	v_fmac_f64_e32 v[152:153], v[118:119], v[52:53]
	v_add_f64 v[6:7], v[6:7], v[150:151]
	v_fma_f64 v[8:9], v[120:121], v[56:57], -v[8:9]
	s_waitcnt vmcnt(1) lgkmcnt(0)
	v_mul_f64 v[156:157], v[124:125], v[62:63]
	v_fmac_f64_e32 v[154:155], v[122:123], v[56:57]
	v_add_f64 v[6:7], v[6:7], v[152:153]
	v_add_f64 v[4:5], v[4:5], v[8:9]
	v_mul_f64 v[8:9], v[126:127], v[62:63]
	v_fmac_f64_e32 v[156:157], v[126:127], v[60:61]
	v_add_f64 v[6:7], v[6:7], v[154:155]
	v_fma_f64 v[8:9], v[124:125], v[60:61], -v[8:9]
	v_add_f64 v[6:7], v[6:7], v[156:157]
	v_add_f64 v[4:5], v[4:5], v[8:9]
	s_waitcnt vmcnt(0)
	v_add_f64 v[4:5], v[64:65], -v[4:5]
	v_add_f64 v[6:7], v[66:67], -v[6:7]
	scratch_store_dwordx4 off, v[4:7], off offset:304
	s_and_saveexec_b64 s[0:1], vcc
	s_cbranch_execz .LBB33_183
; %bb.182:
	scratch_load_dwordx4 v[6:9], off, s29
	v_mov_b32_e32 v3, v2
	v_mov_b32_e32 v4, v2
	;; [unrolled: 1-line block ×3, first 2 shown]
	scratch_store_dwordx4 off, v[2:5], off offset:288
	s_waitcnt vmcnt(1)
	ds_write_b128 v1, v[6:9]
.LBB33_183:
	s_or_b64 exec, exec, s[0:1]
	s_waitcnt lgkmcnt(0)
	; wave barrier
	scratch_load_dwordx4 v[4:7], off, off offset:304
	scratch_load_dwordx4 v[8:11], off, off offset:320
	;; [unrolled: 1-line block ×16, first 2 shown]
	ds_read_b128 v[68:71], v2 offset:832
	ds_read_b128 v[72:75], v2 offset:848
	;; [unrolled: 1-line block ×16, first 2 shown]
	scratch_load_dwordx4 v[132:135], off, off offset:288
	v_cmp_lt_u32_e32 vcc, 16, v0
	s_waitcnt vmcnt(16) lgkmcnt(14)
	v_mul_f64 v[2:3], v[68:69], v[6:7]
	s_waitcnt vmcnt(15)
	v_mul_f64 v[136:137], v[72:73], v[10:11]
	v_fmac_f64_e32 v[2:3], v[70:71], v[4:5]
	s_waitcnt vmcnt(14) lgkmcnt(13)
	v_mul_f64 v[138:139], v[76:77], v[14:15]
	v_fmac_f64_e32 v[136:137], v[74:75], v[8:9]
	v_add_f64 v[2:3], v[2:3], 0
	s_waitcnt vmcnt(13) lgkmcnt(12)
	v_mul_f64 v[140:141], v[80:81], v[18:19]
	v_fmac_f64_e32 v[138:139], v[78:79], v[12:13]
	v_add_f64 v[2:3], v[2:3], v[136:137]
	;; [unrolled: 4-line block ×10, first 2 shown]
	s_waitcnt vmcnt(4) lgkmcnt(3)
	v_mul_f64 v[158:159], v[116:117], v[54:55]
	v_mul_f64 v[6:7], v[70:71], v[6:7]
	v_fmac_f64_e32 v[156:157], v[114:115], v[48:49]
	v_add_f64 v[2:3], v[2:3], v[154:155]
	s_waitcnt vmcnt(3) lgkmcnt(2)
	v_mul_f64 v[160:161], v[120:121], v[58:59]
	v_mul_f64 v[10:11], v[74:75], v[10:11]
	v_fmac_f64_e32 v[158:159], v[118:119], v[52:53]
	v_fma_f64 v[4:5], v[68:69], v[4:5], -v[6:7]
	v_add_f64 v[2:3], v[2:3], v[156:157]
	s_waitcnt vmcnt(2) lgkmcnt(1)
	v_mul_f64 v[162:163], v[124:125], v[62:63]
	v_mul_f64 v[14:15], v[78:79], v[14:15]
	v_fmac_f64_e32 v[160:161], v[122:123], v[56:57]
	v_fma_f64 v[6:7], v[72:73], v[8:9], -v[10:11]
	v_add_f64 v[4:5], v[4:5], 0
	v_add_f64 v[2:3], v[2:3], v[158:159]
	s_waitcnt vmcnt(1) lgkmcnt(0)
	v_mul_f64 v[164:165], v[128:129], v[66:67]
	v_mul_f64 v[18:19], v[82:83], v[18:19]
	v_fmac_f64_e32 v[162:163], v[126:127], v[60:61]
	v_fma_f64 v[8:9], v[76:77], v[12:13], -v[14:15]
	v_add_f64 v[4:5], v[4:5], v[6:7]
	v_add_f64 v[2:3], v[2:3], v[160:161]
	v_mul_f64 v[26:27], v[86:87], v[26:27]
	v_fmac_f64_e32 v[164:165], v[130:131], v[64:65]
	v_fma_f64 v[10:11], v[80:81], v[16:17], -v[18:19]
	v_add_f64 v[4:5], v[4:5], v[8:9]
	v_add_f64 v[2:3], v[2:3], v[162:163]
	v_fma_f64 v[12:13], v[84:85], v[24:25], -v[26:27]
	v_add_f64 v[4:5], v[4:5], v[10:11]
	v_add_f64 v[6:7], v[2:3], v[164:165]
	v_mul_f64 v[2:3], v[90:91], v[22:23]
	v_add_f64 v[4:5], v[4:5], v[12:13]
	v_fma_f64 v[2:3], v[88:89], v[20:21], -v[2:3]
	v_add_f64 v[2:3], v[4:5], v[2:3]
	v_mul_f64 v[4:5], v[94:95], v[30:31]
	v_fma_f64 v[4:5], v[92:93], v[28:29], -v[4:5]
	v_add_f64 v[2:3], v[2:3], v[4:5]
	v_mul_f64 v[4:5], v[98:99], v[34:35]
	;; [unrolled: 3-line block ×10, first 2 shown]
	v_fma_f64 v[4:5], v[128:129], v[64:65], -v[4:5]
	v_add_f64 v[2:3], v[2:3], v[4:5]
	s_waitcnt vmcnt(0)
	v_add_f64 v[2:3], v[132:133], -v[2:3]
	v_add_f64 v[4:5], v[134:135], -v[6:7]
	scratch_store_dwordx4 off, v[2:5], off offset:288
	s_and_saveexec_b64 s[0:1], vcc
	s_cbranch_execz .LBB33_185
; %bb.184:
	scratch_load_dwordx4 v[2:5], off, s28
	v_mov_b32_e32 v6, 0
	v_mov_b32_e32 v7, v6
	;; [unrolled: 1-line block ×4, first 2 shown]
	scratch_store_dwordx4 off, v[6:9], off offset:272
	s_waitcnt vmcnt(1)
	ds_write_b128 v1, v[2:5]
.LBB33_185:
	s_or_b64 exec, exec, s[0:1]
	s_waitcnt lgkmcnt(0)
	; wave barrier
	scratch_load_dwordx4 v[4:7], off, off offset:288
	scratch_load_dwordx4 v[8:11], off, off offset:304
	scratch_load_dwordx4 v[16:19], off, off offset:320
	scratch_load_dwordx4 v[12:15], off, off offset:336
	scratch_load_dwordx4 v[20:23], off, off offset:352
	scratch_load_dwordx4 v[24:27], off, off offset:368
	scratch_load_dwordx4 v[28:31], off, off offset:384
	scratch_load_dwordx4 v[32:35], off, off offset:400
	scratch_load_dwordx4 v[36:39], off, off offset:416
	scratch_load_dwordx4 v[40:43], off, off offset:432
	scratch_load_dwordx4 v[44:47], off, off offset:448
	scratch_load_dwordx4 v[48:51], off, off offset:464
	scratch_load_dwordx4 v[52:55], off, off offset:480
	scratch_load_dwordx4 v[56:59], off, off offset:496
	scratch_load_dwordx4 v[60:63], off, off offset:512
	scratch_load_dwordx4 v[64:67], off, off offset:528
	scratch_load_dwordx4 v[68:71], off, off offset:544
	scratch_load_dwordx4 v[72:75], off, off offset:272
	v_mov_b32_e32 v2, 0
	ds_read_b128 v[76:79], v2 offset:816
	ds_read_b128 v[80:83], v2 offset:832
	;; [unrolled: 1-line block ×17, first 2 shown]
	v_cmp_lt_u32_e32 vcc, 15, v0
	s_waitcnt vmcnt(17) lgkmcnt(14)
	v_mul_f64 v[144:145], v[76:77], v[6:7]
	v_mul_f64 v[6:7], v[78:79], v[6:7]
	s_waitcnt vmcnt(16)
	v_mul_f64 v[146:147], v[80:81], v[10:11]
	v_mul_f64 v[10:11], v[82:83], v[10:11]
	v_fmac_f64_e32 v[144:145], v[78:79], v[4:5]
	v_fma_f64 v[4:5], v[76:77], v[4:5], -v[6:7]
	s_waitcnt vmcnt(15)
	v_mul_f64 v[148:149], v[84:85], v[18:19]
	v_mul_f64 v[18:19], v[86:87], v[18:19]
	v_fma_f64 v[6:7], v[80:81], v[8:9], -v[10:11]
	v_add_f64 v[4:5], v[4:5], 0
	s_waitcnt vmcnt(14) lgkmcnt(13)
	v_mul_f64 v[150:151], v[88:89], v[14:15]
	v_mul_f64 v[14:15], v[90:91], v[14:15]
	v_fmac_f64_e32 v[146:147], v[82:83], v[8:9]
	v_fma_f64 v[8:9], v[84:85], v[16:17], -v[18:19]
	v_add_f64 v[4:5], v[4:5], v[6:7]
	v_add_f64 v[4:5], v[4:5], v[8:9]
	v_fma_f64 v[8:9], v[88:89], v[12:13], -v[14:15]
	v_add_f64 v[4:5], v[4:5], v[8:9]
	s_waitcnt vmcnt(13) lgkmcnt(12)
	v_mul_f64 v[8:9], v[94:95], v[22:23]
	v_fma_f64 v[8:9], v[92:93], v[20:21], -v[8:9]
	v_add_f64 v[4:5], v[4:5], v[8:9]
	s_waitcnt vmcnt(12) lgkmcnt(11)
	v_mul_f64 v[8:9], v[98:99], v[26:27]
	;; [unrolled: 4-line block ×5, first 2 shown]
	v_fma_f64 v[8:9], v[108:109], v[36:37], -v[8:9]
	v_add_f64 v[10:11], v[144:145], 0
	v_add_f64 v[4:5], v[4:5], v[8:9]
	s_waitcnt vmcnt(8) lgkmcnt(7)
	v_mul_f64 v[8:9], v[114:115], v[42:43]
	v_fmac_f64_e32 v[148:149], v[86:87], v[16:17]
	v_add_f64 v[10:11], v[10:11], v[146:147]
	v_fma_f64 v[8:9], v[112:113], v[40:41], -v[8:9]
	v_mul_f64 v[152:153], v[92:93], v[22:23]
	v_fmac_f64_e32 v[150:151], v[90:91], v[12:13]
	v_add_f64 v[6:7], v[10:11], v[148:149]
	v_add_f64 v[4:5], v[4:5], v[8:9]
	s_waitcnt vmcnt(7) lgkmcnt(6)
	v_mul_f64 v[8:9], v[118:119], v[46:47]
	v_mul_f64 v[154:155], v[96:97], v[26:27]
	v_fmac_f64_e32 v[152:153], v[94:95], v[20:21]
	v_add_f64 v[6:7], v[6:7], v[150:151]
	v_fma_f64 v[8:9], v[116:117], v[44:45], -v[8:9]
	v_mul_f64 v[156:157], v[100:101], v[30:31]
	v_fmac_f64_e32 v[154:155], v[98:99], v[24:25]
	v_add_f64 v[6:7], v[6:7], v[152:153]
	v_add_f64 v[4:5], v[4:5], v[8:9]
	s_waitcnt vmcnt(6) lgkmcnt(5)
	v_mul_f64 v[8:9], v[122:123], v[50:51]
	;; [unrolled: 10-line block ×6, first 2 shown]
	v_mul_f64 v[174:175], v[136:137], v[66:67]
	v_fmac_f64_e32 v[172:173], v[134:135], v[60:61]
	v_add_f64 v[6:7], v[6:7], v[170:171]
	v_fma_f64 v[8:9], v[136:137], v[64:65], -v[8:9]
	s_waitcnt vmcnt(1) lgkmcnt(0)
	v_mul_f64 v[176:177], v[140:141], v[70:71]
	v_fmac_f64_e32 v[174:175], v[138:139], v[64:65]
	v_add_f64 v[6:7], v[6:7], v[172:173]
	v_add_f64 v[4:5], v[4:5], v[8:9]
	v_mul_f64 v[8:9], v[142:143], v[70:71]
	v_fmac_f64_e32 v[176:177], v[142:143], v[68:69]
	v_add_f64 v[6:7], v[6:7], v[174:175]
	v_fma_f64 v[8:9], v[140:141], v[68:69], -v[8:9]
	v_add_f64 v[6:7], v[6:7], v[176:177]
	v_add_f64 v[4:5], v[4:5], v[8:9]
	s_waitcnt vmcnt(0)
	v_add_f64 v[4:5], v[72:73], -v[4:5]
	v_add_f64 v[6:7], v[74:75], -v[6:7]
	scratch_store_dwordx4 off, v[4:7], off offset:272
	s_and_saveexec_b64 s[0:1], vcc
	s_cbranch_execz .LBB33_187
; %bb.186:
	scratch_load_dwordx4 v[6:9], off, s27
	v_mov_b32_e32 v3, v2
	v_mov_b32_e32 v4, v2
	;; [unrolled: 1-line block ×3, first 2 shown]
	scratch_store_dwordx4 off, v[2:5], off offset:256
	s_waitcnt vmcnt(1)
	ds_write_b128 v1, v[6:9]
.LBB33_187:
	s_or_b64 exec, exec, s[0:1]
	s_waitcnt lgkmcnt(0)
	; wave barrier
	scratch_load_dwordx4 v[4:7], off, off offset:272
	scratch_load_dwordx4 v[12:15], off, off offset:288
	;; [unrolled: 1-line block ×18, first 2 shown]
	ds_read_b128 v[76:79], v2 offset:800
	ds_read_b128 v[80:83], v2 offset:816
	;; [unrolled: 1-line block ×18, first 2 shown]
	scratch_load_dwordx4 v[148:151], off, off offset:256
	v_cmp_lt_u32_e32 vcc, 14, v0
	s_waitcnt vmcnt(18) lgkmcnt(14)
	v_mul_f64 v[2:3], v[76:77], v[6:7]
	s_waitcnt vmcnt(17)
	v_mul_f64 v[152:153], v[80:81], v[14:15]
	v_fmac_f64_e32 v[2:3], v[78:79], v[4:5]
	s_waitcnt vmcnt(16)
	v_mul_f64 v[154:155], v[84:85], v[10:11]
	v_fmac_f64_e32 v[152:153], v[82:83], v[12:13]
	v_add_f64 v[2:3], v[2:3], 0
	s_waitcnt vmcnt(15)
	v_mul_f64 v[156:157], v[88:89], v[18:19]
	v_fmac_f64_e32 v[154:155], v[86:87], v[8:9]
	v_add_f64 v[2:3], v[2:3], v[152:153]
	s_waitcnt vmcnt(14) lgkmcnt(13)
	v_mul_f64 v[158:159], v[92:93], v[22:23]
	v_fmac_f64_e32 v[156:157], v[90:91], v[16:17]
	v_add_f64 v[2:3], v[2:3], v[154:155]
	s_waitcnt vmcnt(13) lgkmcnt(12)
	;; [unrolled: 4-line block ×13, first 2 shown]
	v_mul_f64 v[182:183], v[140:141], v[70:71]
	v_mul_f64 v[6:7], v[78:79], v[6:7]
	v_fmac_f64_e32 v[180:181], v[138:139], v[64:65]
	v_add_f64 v[2:3], v[2:3], v[178:179]
	s_waitcnt vmcnt(1) lgkmcnt(0)
	v_mul_f64 v[184:185], v[144:145], v[74:75]
	v_mul_f64 v[14:15], v[82:83], v[14:15]
	v_fmac_f64_e32 v[182:183], v[142:143], v[68:69]
	v_fma_f64 v[4:5], v[76:77], v[4:5], -v[6:7]
	v_add_f64 v[2:3], v[2:3], v[180:181]
	v_mul_f64 v[10:11], v[86:87], v[10:11]
	v_fmac_f64_e32 v[184:185], v[146:147], v[72:73]
	v_fma_f64 v[6:7], v[80:81], v[12:13], -v[14:15]
	v_add_f64 v[4:5], v[4:5], 0
	v_add_f64 v[2:3], v[2:3], v[182:183]
	;; [unrolled: 1-line block ×4, first 2 shown]
	v_fma_f64 v[2:3], v[84:85], v[8:9], -v[10:11]
	v_add_f64 v[2:3], v[4:5], v[2:3]
	v_mul_f64 v[4:5], v[90:91], v[18:19]
	v_fma_f64 v[4:5], v[88:89], v[16:17], -v[4:5]
	v_add_f64 v[2:3], v[2:3], v[4:5]
	v_mul_f64 v[4:5], v[94:95], v[22:23]
	;; [unrolled: 3-line block ×15, first 2 shown]
	v_fma_f64 v[4:5], v[144:145], v[72:73], -v[4:5]
	v_add_f64 v[2:3], v[2:3], v[4:5]
	s_waitcnt vmcnt(0)
	v_add_f64 v[2:3], v[148:149], -v[2:3]
	v_add_f64 v[4:5], v[150:151], -v[6:7]
	scratch_store_dwordx4 off, v[2:5], off offset:256
	s_and_saveexec_b64 s[0:1], vcc
	s_cbranch_execz .LBB33_189
; %bb.188:
	scratch_load_dwordx4 v[2:5], off, s49
	v_mov_b32_e32 v6, 0
	v_mov_b32_e32 v7, v6
	v_mov_b32_e32 v8, v6
	v_mov_b32_e32 v9, v6
	scratch_store_dwordx4 off, v[6:9], off offset:240
	s_waitcnt vmcnt(1)
	ds_write_b128 v1, v[2:5]
.LBB33_189:
	s_or_b64 exec, exec, s[0:1]
	v_mov_b32_e32 v2, 0
	s_waitcnt lgkmcnt(0)
	; wave barrier
	ds_read_b128 v[16:19], v2 offset:784
	ds_read_b128 v[12:15], v2 offset:800
	;; [unrolled: 1-line block ×4, first 2 shown]
	scratch_load_dwordx4 v[20:23], off, off offset:256
	scratch_load_dwordx4 v[40:43], off, off offset:320
	;; [unrolled: 1-line block ×13, first 2 shown]
	v_cmp_lt_u32_e32 vcc, 13, v0
	scratch_load_dwordx4 v[48:51], off, off offset:336
	scratch_load_dwordx4 v[56:59], off, off offset:352
	;; [unrolled: 1-line block ×3, first 2 shown]
	s_waitcnt vmcnt(15) lgkmcnt(3)
	v_mul_f64 v[24:25], v[16:17], v[22:23]
	v_fmac_f64_e32 v[24:25], v[18:19], v[20:21]
	v_add_f64 v[28:29], v[24:25], 0
	scratch_load_dwordx4 v[24:27], off, off offset:272
	v_mul_f64 v[18:19], v[18:19], v[22:23]
	v_fma_f64 v[16:17], v[16:17], v[20:21], -v[18:19]
	v_add_f64 v[16:17], v[16:17], 0
	s_waitcnt vmcnt(0) lgkmcnt(2)
	v_mul_f64 v[30:31], v[12:13], v[26:27]
	v_fmac_f64_e32 v[30:31], v[14:15], v[24:25]
	v_add_f64 v[32:33], v[28:29], v[30:31]
	scratch_load_dwordx4 v[28:31], off, off offset:288
	v_mul_f64 v[14:15], v[14:15], v[26:27]
	v_fma_f64 v[12:13], v[12:13], v[24:25], -v[14:15]
	v_add_f64 v[12:13], v[16:17], v[12:13]
	;; [unrolled: 8-line block ×3, first 2 shown]
	s_waitcnt vmcnt(0) lgkmcnt(0)
	v_mul_f64 v[38:39], v[4:5], v[34:35]
	v_fmac_f64_e32 v[38:39], v[6:7], v[32:33]
	v_add_f64 v[44:45], v[36:37], v[38:39]
	ds_read_b128 v[36:39], v2 offset:848
	v_mul_f64 v[6:7], v[6:7], v[34:35]
	v_fma_f64 v[4:5], v[4:5], v[32:33], -v[6:7]
	v_add_f64 v[4:5], v[8:9], v[4:5]
	s_waitcnt lgkmcnt(0)
	v_mul_f64 v[46:47], v[36:37], v[42:43]
	v_fmac_f64_e32 v[46:47], v[38:39], v[40:41]
	v_add_f64 v[52:53], v[44:45], v[46:47]
	ds_read_b128 v[44:47], v2 offset:864
	v_mul_f64 v[6:7], v[38:39], v[42:43]
	v_fma_f64 v[6:7], v[36:37], v[40:41], -v[6:7]
	v_add_f64 v[4:5], v[4:5], v[6:7]
	s_waitcnt lgkmcnt(0)
	;; [unrolled: 8-line block ×15, first 2 shown]
	v_mul_f64 v[6:7], v[152:153], v[156:157]
	v_fma_f64 v[6:7], v[150:151], v[154:155], -v[6:7]
	v_add_f64 v[8:9], v[4:5], v[6:7]
	scratch_load_dwordx4 v[4:7], off, off offset:240
	v_mul_f64 v[158:159], v[150:151], v[156:157]
	v_fmac_f64_e32 v[158:159], v[152:153], v[154:155]
	v_add_f64 v[88:89], v[88:89], v[158:159]
	s_waitcnt vmcnt(0)
	v_add_f64 v[4:5], v[4:5], -v[8:9]
	v_add_f64 v[6:7], v[6:7], -v[88:89]
	scratch_store_dwordx4 off, v[4:7], off offset:240
	s_and_saveexec_b64 s[0:1], vcc
	s_cbranch_execz .LBB33_191
; %bb.190:
	scratch_load_dwordx4 v[6:9], off, s48
	v_mov_b32_e32 v3, v2
	v_mov_b32_e32 v4, v2
	;; [unrolled: 1-line block ×3, first 2 shown]
	scratch_store_dwordx4 off, v[2:5], off offset:224
	s_waitcnt vmcnt(1)
	ds_write_b128 v1, v[6:9]
.LBB33_191:
	s_or_b64 exec, exec, s[0:1]
	s_waitcnt lgkmcnt(0)
	; wave barrier
	ds_read_b128 v[16:19], v2 offset:768
	ds_read_b128 v[12:15], v2 offset:784
	;; [unrolled: 1-line block ×4, first 2 shown]
	scratch_load_dwordx4 v[20:23], off, off offset:240
	scratch_load_dwordx4 v[40:43], off, off offset:304
	;; [unrolled: 1-line block ×14, first 2 shown]
	v_cmp_lt_u32_e32 vcc, 12, v0
	scratch_load_dwordx4 v[48:51], off, off offset:320
	scratch_load_dwordx4 v[56:59], off, off offset:336
	;; [unrolled: 1-line block ×3, first 2 shown]
	s_waitcnt vmcnt(16) lgkmcnt(3)
	v_mul_f64 v[24:25], v[16:17], v[22:23]
	v_fmac_f64_e32 v[24:25], v[18:19], v[20:21]
	v_add_f64 v[28:29], v[24:25], 0
	scratch_load_dwordx4 v[24:27], off, off offset:256
	s_waitcnt vmcnt(0) lgkmcnt(2)
	v_mul_f64 v[30:31], v[12:13], v[26:27]
	v_fmac_f64_e32 v[30:31], v[14:15], v[24:25]
	v_add_f64 v[32:33], v[28:29], v[30:31]
	scratch_load_dwordx4 v[28:31], off, off offset:272
	v_mul_f64 v[14:15], v[14:15], v[26:27]
	v_fma_f64 v[12:13], v[12:13], v[24:25], -v[14:15]
	s_waitcnt vmcnt(0) lgkmcnt(1)
	v_mul_f64 v[34:35], v[8:9], v[30:31]
	v_fmac_f64_e32 v[34:35], v[10:11], v[28:29]
	v_add_f64 v[36:37], v[32:33], v[34:35]
	scratch_load_dwordx4 v[32:35], off, off offset:288
	v_mul_f64 v[10:11], v[10:11], v[30:31]
	v_fma_f64 v[8:9], v[8:9], v[28:29], -v[10:11]
	s_waitcnt vmcnt(0) lgkmcnt(0)
	v_mul_f64 v[38:39], v[4:5], v[34:35]
	v_fmac_f64_e32 v[38:39], v[6:7], v[32:33]
	v_add_f64 v[44:45], v[36:37], v[38:39]
	ds_read_b128 v[36:39], v2 offset:832
	v_mul_f64 v[6:7], v[6:7], v[34:35]
	v_fma_f64 v[4:5], v[4:5], v[32:33], -v[6:7]
	s_waitcnt lgkmcnt(0)
	v_mul_f64 v[46:47], v[36:37], v[42:43]
	v_fmac_f64_e32 v[46:47], v[38:39], v[40:41]
	v_add_f64 v[52:53], v[44:45], v[46:47]
	ds_read_b128 v[44:47], v2 offset:848
	s_waitcnt lgkmcnt(0)
	v_mul_f64 v[54:55], v[44:45], v[50:51]
	v_fmac_f64_e32 v[54:55], v[46:47], v[48:49]
	v_add_f64 v[60:61], v[52:53], v[54:55]
	ds_read_b128 v[52:55], v2 offset:864
	;; [unrolled: 5-line block ×15, first 2 shown]
	s_waitcnt lgkmcnt(0)
	v_mul_f64 v[2:3], v[158:159], v[164:165]
	v_fmac_f64_e32 v[2:3], v[160:161], v[162:163]
	v_add_f64 v[96:97], v[96:97], v[2:3]
	v_mul_f64 v[2:3], v[18:19], v[22:23]
	v_fma_f64 v[2:3], v[16:17], v[20:21], -v[2:3]
	v_add_f64 v[2:3], v[2:3], 0
	v_add_f64 v[2:3], v[2:3], v[12:13]
	;; [unrolled: 1-line block ×4, first 2 shown]
	v_mul_f64 v[4:5], v[38:39], v[42:43]
	v_fma_f64 v[4:5], v[36:37], v[40:41], -v[4:5]
	v_add_f64 v[2:3], v[2:3], v[4:5]
	v_mul_f64 v[4:5], v[46:47], v[50:51]
	v_fma_f64 v[4:5], v[44:45], v[48:49], -v[4:5]
	v_add_f64 v[2:3], v[2:3], v[4:5]
	;; [unrolled: 3-line block ×16, first 2 shown]
	scratch_load_dwordx4 v[2:5], off, off offset:224
	s_waitcnt vmcnt(0)
	v_add_f64 v[2:3], v[2:3], -v[6:7]
	v_add_f64 v[4:5], v[4:5], -v[96:97]
	scratch_store_dwordx4 off, v[2:5], off offset:224
	s_and_saveexec_b64 s[0:1], vcc
	s_cbranch_execz .LBB33_193
; %bb.192:
	scratch_load_dwordx4 v[2:5], off, s47
	v_mov_b32_e32 v6, 0
	v_mov_b32_e32 v7, v6
	v_mov_b32_e32 v8, v6
	v_mov_b32_e32 v9, v6
	scratch_store_dwordx4 off, v[6:9], off offset:208
	s_waitcnt vmcnt(1)
	ds_write_b128 v1, v[2:5]
.LBB33_193:
	s_or_b64 exec, exec, s[0:1]
	v_mov_b32_e32 v2, 0
	s_waitcnt lgkmcnt(0)
	; wave barrier
	ds_read_b128 v[16:19], v2 offset:752
	ds_read_b128 v[12:15], v2 offset:768
	;; [unrolled: 1-line block ×4, first 2 shown]
	scratch_load_dwordx4 v[20:23], off, off offset:224
	scratch_load_dwordx4 v[40:43], off, off offset:288
	;; [unrolled: 1-line block ×15, first 2 shown]
	v_cmp_lt_u32_e32 vcc, 11, v0
	scratch_load_dwordx4 v[48:51], off, off offset:304
	scratch_load_dwordx4 v[56:59], off, off offset:320
	;; [unrolled: 1-line block ×3, first 2 shown]
	s_waitcnt vmcnt(17) lgkmcnt(3)
	v_mul_f64 v[24:25], v[16:17], v[22:23]
	v_fmac_f64_e32 v[24:25], v[18:19], v[20:21]
	v_add_f64 v[28:29], v[24:25], 0
	scratch_load_dwordx4 v[24:27], off, off offset:240
	v_mul_f64 v[18:19], v[18:19], v[22:23]
	v_fma_f64 v[16:17], v[16:17], v[20:21], -v[18:19]
	v_add_f64 v[16:17], v[16:17], 0
	s_waitcnt vmcnt(0) lgkmcnt(2)
	v_mul_f64 v[30:31], v[12:13], v[26:27]
	v_fmac_f64_e32 v[30:31], v[14:15], v[24:25]
	v_add_f64 v[32:33], v[28:29], v[30:31]
	scratch_load_dwordx4 v[28:31], off, off offset:256
	v_mul_f64 v[14:15], v[14:15], v[26:27]
	v_fma_f64 v[12:13], v[12:13], v[24:25], -v[14:15]
	v_add_f64 v[12:13], v[16:17], v[12:13]
	;; [unrolled: 8-line block ×3, first 2 shown]
	s_waitcnt vmcnt(0) lgkmcnt(0)
	v_mul_f64 v[38:39], v[4:5], v[34:35]
	v_fmac_f64_e32 v[38:39], v[6:7], v[32:33]
	v_add_f64 v[44:45], v[36:37], v[38:39]
	ds_read_b128 v[36:39], v2 offset:816
	v_mul_f64 v[6:7], v[6:7], v[34:35]
	v_fma_f64 v[4:5], v[4:5], v[32:33], -v[6:7]
	v_add_f64 v[4:5], v[8:9], v[4:5]
	s_waitcnt lgkmcnt(0)
	v_mul_f64 v[46:47], v[36:37], v[42:43]
	v_fmac_f64_e32 v[46:47], v[38:39], v[40:41]
	v_add_f64 v[52:53], v[44:45], v[46:47]
	ds_read_b128 v[44:47], v2 offset:832
	v_mul_f64 v[6:7], v[38:39], v[42:43]
	v_fma_f64 v[6:7], v[36:37], v[40:41], -v[6:7]
	v_add_f64 v[4:5], v[4:5], v[6:7]
	s_waitcnt lgkmcnt(0)
	;; [unrolled: 8-line block ×17, first 2 shown]
	v_mul_f64 v[6:7], v[168:169], v[172:173]
	v_fma_f64 v[6:7], v[166:167], v[170:171], -v[6:7]
	v_add_f64 v[8:9], v[4:5], v[6:7]
	scratch_load_dwordx4 v[4:7], off, off offset:208
	v_mul_f64 v[174:175], v[166:167], v[172:173]
	v_fmac_f64_e32 v[174:175], v[168:169], v[170:171]
	v_add_f64 v[104:105], v[104:105], v[174:175]
	s_waitcnt vmcnt(0)
	v_add_f64 v[4:5], v[4:5], -v[8:9]
	v_add_f64 v[6:7], v[6:7], -v[104:105]
	scratch_store_dwordx4 off, v[4:7], off offset:208
	s_and_saveexec_b64 s[0:1], vcc
	s_cbranch_execz .LBB33_195
; %bb.194:
	scratch_load_dwordx4 v[6:9], off, s26
	v_mov_b32_e32 v3, v2
	v_mov_b32_e32 v4, v2
	;; [unrolled: 1-line block ×3, first 2 shown]
	scratch_store_dwordx4 off, v[2:5], off offset:192
	s_waitcnt vmcnt(1)
	ds_write_b128 v1, v[6:9]
.LBB33_195:
	s_or_b64 exec, exec, s[0:1]
	s_waitcnt lgkmcnt(0)
	; wave barrier
	ds_read_b128 v[16:19], v2 offset:736
	ds_read_b128 v[12:15], v2 offset:752
	;; [unrolled: 1-line block ×4, first 2 shown]
	scratch_load_dwordx4 v[20:23], off, off offset:208
	scratch_load_dwordx4 v[40:43], off, off offset:272
	;; [unrolled: 1-line block ×16, first 2 shown]
	v_cmp_lt_u32_e32 vcc, 10, v0
	scratch_load_dwordx4 v[48:51], off, off offset:288
	scratch_load_dwordx4 v[56:59], off, off offset:304
	;; [unrolled: 1-line block ×3, first 2 shown]
	s_waitcnt vmcnt(18) lgkmcnt(3)
	v_mul_f64 v[24:25], v[16:17], v[22:23]
	v_fmac_f64_e32 v[24:25], v[18:19], v[20:21]
	v_add_f64 v[28:29], v[24:25], 0
	scratch_load_dwordx4 v[24:27], off, off offset:224
	s_waitcnt vmcnt(0) lgkmcnt(2)
	v_mul_f64 v[30:31], v[12:13], v[26:27]
	v_fmac_f64_e32 v[30:31], v[14:15], v[24:25]
	v_add_f64 v[32:33], v[28:29], v[30:31]
	scratch_load_dwordx4 v[28:31], off, off offset:240
	v_mul_f64 v[14:15], v[14:15], v[26:27]
	v_fma_f64 v[12:13], v[12:13], v[24:25], -v[14:15]
	s_waitcnt vmcnt(0) lgkmcnt(1)
	v_mul_f64 v[34:35], v[8:9], v[30:31]
	v_fmac_f64_e32 v[34:35], v[10:11], v[28:29]
	v_add_f64 v[36:37], v[32:33], v[34:35]
	scratch_load_dwordx4 v[32:35], off, off offset:256
	v_mul_f64 v[10:11], v[10:11], v[30:31]
	v_fma_f64 v[8:9], v[8:9], v[28:29], -v[10:11]
	s_waitcnt vmcnt(0) lgkmcnt(0)
	v_mul_f64 v[38:39], v[4:5], v[34:35]
	v_fmac_f64_e32 v[38:39], v[6:7], v[32:33]
	v_add_f64 v[44:45], v[36:37], v[38:39]
	ds_read_b128 v[36:39], v2 offset:800
	v_mul_f64 v[6:7], v[6:7], v[34:35]
	v_fma_f64 v[4:5], v[4:5], v[32:33], -v[6:7]
	s_waitcnt lgkmcnt(0)
	v_mul_f64 v[46:47], v[36:37], v[42:43]
	v_fmac_f64_e32 v[46:47], v[38:39], v[40:41]
	v_add_f64 v[52:53], v[44:45], v[46:47]
	ds_read_b128 v[44:47], v2 offset:816
	s_waitcnt lgkmcnt(0)
	v_mul_f64 v[54:55], v[44:45], v[50:51]
	v_fmac_f64_e32 v[54:55], v[46:47], v[48:49]
	v_add_f64 v[60:61], v[52:53], v[54:55]
	ds_read_b128 v[52:55], v2 offset:832
	;; [unrolled: 5-line block ×17, first 2 shown]
	s_waitcnt lgkmcnt(0)
	v_mul_f64 v[2:3], v[174:175], v[180:181]
	v_fmac_f64_e32 v[2:3], v[176:177], v[178:179]
	v_add_f64 v[120:121], v[120:121], v[2:3]
	v_mul_f64 v[2:3], v[18:19], v[22:23]
	v_fma_f64 v[2:3], v[16:17], v[20:21], -v[2:3]
	v_add_f64 v[2:3], v[2:3], 0
	v_add_f64 v[2:3], v[2:3], v[12:13]
	;; [unrolled: 1-line block ×4, first 2 shown]
	v_mul_f64 v[4:5], v[38:39], v[42:43]
	v_fma_f64 v[4:5], v[36:37], v[40:41], -v[4:5]
	v_add_f64 v[2:3], v[2:3], v[4:5]
	v_mul_f64 v[4:5], v[46:47], v[50:51]
	v_fma_f64 v[4:5], v[44:45], v[48:49], -v[4:5]
	v_add_f64 v[2:3], v[2:3], v[4:5]
	v_mul_f64 v[4:5], v[54:55], v[58:59]
	v_fma_f64 v[4:5], v[52:53], v[56:57], -v[4:5]
	v_add_f64 v[2:3], v[2:3], v[4:5]
	v_mul_f64 v[4:5], v[62:63], v[66:67]
	v_fma_f64 v[4:5], v[60:61], v[64:65], -v[4:5]
	v_add_f64 v[2:3], v[2:3], v[4:5]
	v_mul_f64 v[4:5], v[70:71], v[74:75]
	v_fma_f64 v[4:5], v[68:69], v[72:73], -v[4:5]
	v_add_f64 v[2:3], v[2:3], v[4:5]
	v_mul_f64 v[4:5], v[78:79], v[82:83]
	v_fma_f64 v[4:5], v[76:77], v[80:81], -v[4:5]
	v_add_f64 v[2:3], v[2:3], v[4:5]
	v_mul_f64 v[4:5], v[86:87], v[90:91]
	v_fma_f64 v[4:5], v[84:85], v[88:89], -v[4:5]
	v_add_f64 v[2:3], v[2:3], v[4:5]
	v_mul_f64 v[4:5], v[94:95], v[98:99]
	v_fma_f64 v[4:5], v[92:93], v[96:97], -v[4:5]
	v_add_f64 v[2:3], v[2:3], v[4:5]
	v_mul_f64 v[4:5], v[102:103], v[106:107]
	v_fma_f64 v[4:5], v[100:101], v[104:105], -v[4:5]
	v_add_f64 v[2:3], v[2:3], v[4:5]
	v_mul_f64 v[4:5], v[110:111], v[114:115]
	v_fma_f64 v[4:5], v[108:109], v[112:113], -v[4:5]
	v_add_f64 v[2:3], v[2:3], v[4:5]
	v_mul_f64 v[4:5], v[118:119], v[124:125]
	v_fma_f64 v[4:5], v[116:117], v[122:123], -v[4:5]
	v_add_f64 v[2:3], v[2:3], v[4:5]
	v_mul_f64 v[4:5], v[128:129], v[132:133]
	v_fma_f64 v[4:5], v[126:127], v[130:131], -v[4:5]
	v_add_f64 v[2:3], v[2:3], v[4:5]
	v_mul_f64 v[4:5], v[136:137], v[140:141]
	v_fma_f64 v[4:5], v[134:135], v[138:139], -v[4:5]
	v_add_f64 v[2:3], v[2:3], v[4:5]
	v_mul_f64 v[4:5], v[144:145], v[148:149]
	v_fma_f64 v[4:5], v[142:143], v[146:147], -v[4:5]
	v_add_f64 v[2:3], v[2:3], v[4:5]
	v_mul_f64 v[4:5], v[152:153], v[156:157]
	v_fma_f64 v[4:5], v[150:151], v[154:155], -v[4:5]
	v_add_f64 v[2:3], v[2:3], v[4:5]
	v_mul_f64 v[4:5], v[160:161], v[164:165]
	v_fma_f64 v[4:5], v[158:159], v[162:163], -v[4:5]
	v_add_f64 v[2:3], v[2:3], v[4:5]
	v_mul_f64 v[4:5], v[168:169], v[172:173]
	v_fma_f64 v[4:5], v[166:167], v[170:171], -v[4:5]
	v_add_f64 v[2:3], v[2:3], v[4:5]
	v_mul_f64 v[4:5], v[176:177], v[180:181]
	v_fma_f64 v[4:5], v[174:175], v[178:179], -v[4:5]
	v_add_f64 v[6:7], v[2:3], v[4:5]
	scratch_load_dwordx4 v[2:5], off, off offset:192
	s_waitcnt vmcnt(0)
	v_add_f64 v[2:3], v[2:3], -v[6:7]
	v_add_f64 v[4:5], v[4:5], -v[120:121]
	scratch_store_dwordx4 off, v[2:5], off offset:192
	s_and_saveexec_b64 s[0:1], vcc
	s_cbranch_execz .LBB33_197
; %bb.196:
	scratch_load_dwordx4 v[2:5], off, s24
	v_mov_b32_e32 v6, 0
	v_mov_b32_e32 v7, v6
	;; [unrolled: 1-line block ×4, first 2 shown]
	scratch_store_dwordx4 off, v[6:9], off offset:176
	s_waitcnt vmcnt(1)
	ds_write_b128 v1, v[2:5]
.LBB33_197:
	s_or_b64 exec, exec, s[0:1]
	v_mov_b32_e32 v2, 0
	s_waitcnt lgkmcnt(0)
	; wave barrier
	ds_read_b128 v[16:19], v2 offset:720
	ds_read_b128 v[12:15], v2 offset:736
	;; [unrolled: 1-line block ×4, first 2 shown]
	scratch_load_dwordx4 v[20:23], off, off offset:192
	scratch_load_dwordx4 v[40:43], off, off offset:256
	;; [unrolled: 1-line block ×17, first 2 shown]
	v_cmp_lt_u32_e32 vcc, 9, v0
	scratch_load_dwordx4 v[48:51], off, off offset:272
	scratch_load_dwordx4 v[56:59], off, off offset:288
	scratch_load_dwordx4 v[64:67], off, off offset:304
	s_waitcnt vmcnt(19) lgkmcnt(3)
	v_mul_f64 v[24:25], v[16:17], v[22:23]
	v_fmac_f64_e32 v[24:25], v[18:19], v[20:21]
	v_add_f64 v[28:29], v[24:25], 0
	scratch_load_dwordx4 v[24:27], off, off offset:208
	v_mul_f64 v[18:19], v[18:19], v[22:23]
	v_fma_f64 v[16:17], v[16:17], v[20:21], -v[18:19]
	v_add_f64 v[16:17], v[16:17], 0
	s_waitcnt vmcnt(0) lgkmcnt(2)
	v_mul_f64 v[30:31], v[12:13], v[26:27]
	v_fmac_f64_e32 v[30:31], v[14:15], v[24:25]
	v_add_f64 v[32:33], v[28:29], v[30:31]
	scratch_load_dwordx4 v[28:31], off, off offset:224
	v_mul_f64 v[14:15], v[14:15], v[26:27]
	v_fma_f64 v[12:13], v[12:13], v[24:25], -v[14:15]
	v_add_f64 v[12:13], v[16:17], v[12:13]
	;; [unrolled: 8-line block ×3, first 2 shown]
	s_waitcnt vmcnt(0) lgkmcnt(0)
	v_mul_f64 v[38:39], v[4:5], v[34:35]
	v_fmac_f64_e32 v[38:39], v[6:7], v[32:33]
	v_add_f64 v[44:45], v[36:37], v[38:39]
	ds_read_b128 v[36:39], v2 offset:784
	v_mul_f64 v[6:7], v[6:7], v[34:35]
	v_fma_f64 v[4:5], v[4:5], v[32:33], -v[6:7]
	v_add_f64 v[4:5], v[8:9], v[4:5]
	s_waitcnt lgkmcnt(0)
	v_mul_f64 v[46:47], v[36:37], v[42:43]
	v_fmac_f64_e32 v[46:47], v[38:39], v[40:41]
	v_add_f64 v[52:53], v[44:45], v[46:47]
	ds_read_b128 v[44:47], v2 offset:800
	v_mul_f64 v[6:7], v[38:39], v[42:43]
	v_fma_f64 v[6:7], v[36:37], v[40:41], -v[6:7]
	v_add_f64 v[4:5], v[4:5], v[6:7]
	s_waitcnt lgkmcnt(0)
	;; [unrolled: 8-line block ×19, first 2 shown]
	v_mul_f64 v[6:7], v[184:185], v[188:189]
	v_fma_f64 v[6:7], v[182:183], v[186:187], -v[6:7]
	v_add_f64 v[8:9], v[4:5], v[6:7]
	scratch_load_dwordx4 v[4:7], off, off offset:176
	v_mul_f64 v[190:191], v[182:183], v[188:189]
	v_fmac_f64_e32 v[190:191], v[184:185], v[186:187]
	v_add_f64 v[128:129], v[128:129], v[190:191]
	s_waitcnt vmcnt(0)
	v_add_f64 v[4:5], v[4:5], -v[8:9]
	v_add_f64 v[6:7], v[6:7], -v[128:129]
	scratch_store_dwordx4 off, v[4:7], off offset:176
	s_and_saveexec_b64 s[0:1], vcc
	s_cbranch_execz .LBB33_199
; %bb.198:
	scratch_load_dwordx4 v[6:9], off, s22
	v_mov_b32_e32 v3, v2
	v_mov_b32_e32 v4, v2
	;; [unrolled: 1-line block ×3, first 2 shown]
	scratch_store_dwordx4 off, v[2:5], off offset:160
	s_waitcnt vmcnt(1)
	ds_write_b128 v1, v[6:9]
.LBB33_199:
	s_or_b64 exec, exec, s[0:1]
	s_waitcnt lgkmcnt(0)
	; wave barrier
	ds_read_b128 v[16:19], v2 offset:704
	ds_read_b128 v[12:15], v2 offset:720
	;; [unrolled: 1-line block ×4, first 2 shown]
	scratch_load_dwordx4 v[20:23], off, off offset:176
	scratch_load_dwordx4 v[40:43], off, off offset:240
	;; [unrolled: 1-line block ×18, first 2 shown]
	v_cmp_lt_u32_e32 vcc, 8, v0
	scratch_load_dwordx4 v[48:51], off, off offset:256
	scratch_load_dwordx4 v[56:59], off, off offset:272
	;; [unrolled: 1-line block ×3, first 2 shown]
	s_waitcnt vmcnt(20) lgkmcnt(3)
	v_mul_f64 v[24:25], v[16:17], v[22:23]
	v_fmac_f64_e32 v[24:25], v[18:19], v[20:21]
	v_add_f64 v[28:29], v[24:25], 0
	scratch_load_dwordx4 v[24:27], off, off offset:192
	s_waitcnt vmcnt(0) lgkmcnt(2)
	v_mul_f64 v[30:31], v[12:13], v[26:27]
	v_fmac_f64_e32 v[30:31], v[14:15], v[24:25]
	v_add_f64 v[32:33], v[28:29], v[30:31]
	scratch_load_dwordx4 v[28:31], off, off offset:208
	v_mul_f64 v[14:15], v[14:15], v[26:27]
	v_fma_f64 v[12:13], v[12:13], v[24:25], -v[14:15]
	s_waitcnt vmcnt(0) lgkmcnt(1)
	v_mul_f64 v[34:35], v[8:9], v[30:31]
	v_fmac_f64_e32 v[34:35], v[10:11], v[28:29]
	v_add_f64 v[36:37], v[32:33], v[34:35]
	scratch_load_dwordx4 v[32:35], off, off offset:224
	v_mul_f64 v[10:11], v[10:11], v[30:31]
	v_fma_f64 v[8:9], v[8:9], v[28:29], -v[10:11]
	s_waitcnt vmcnt(0) lgkmcnt(0)
	v_mul_f64 v[38:39], v[4:5], v[34:35]
	v_fmac_f64_e32 v[38:39], v[6:7], v[32:33]
	v_add_f64 v[44:45], v[36:37], v[38:39]
	ds_read_b128 v[36:39], v2 offset:768
	v_mul_f64 v[6:7], v[6:7], v[34:35]
	v_fma_f64 v[4:5], v[4:5], v[32:33], -v[6:7]
	s_waitcnt lgkmcnt(0)
	v_mul_f64 v[46:47], v[36:37], v[42:43]
	v_fmac_f64_e32 v[46:47], v[38:39], v[40:41]
	v_add_f64 v[52:53], v[44:45], v[46:47]
	ds_read_b128 v[44:47], v2 offset:784
	s_waitcnt lgkmcnt(0)
	v_mul_f64 v[54:55], v[44:45], v[50:51]
	v_fmac_f64_e32 v[54:55], v[46:47], v[48:49]
	v_add_f64 v[60:61], v[52:53], v[54:55]
	ds_read_b128 v[52:55], v2 offset:800
	;; [unrolled: 5-line block ×19, first 2 shown]
	s_waitcnt lgkmcnt(0)
	v_mul_f64 v[2:3], v[190:191], v[196:197]
	v_fmac_f64_e32 v[2:3], v[192:193], v[194:195]
	v_add_f64 v[148:149], v[148:149], v[2:3]
	v_mul_f64 v[2:3], v[18:19], v[22:23]
	v_fma_f64 v[2:3], v[16:17], v[20:21], -v[2:3]
	v_add_f64 v[2:3], v[2:3], 0
	v_add_f64 v[2:3], v[2:3], v[12:13]
	;; [unrolled: 1-line block ×4, first 2 shown]
	v_mul_f64 v[4:5], v[38:39], v[42:43]
	v_fma_f64 v[4:5], v[36:37], v[40:41], -v[4:5]
	v_add_f64 v[2:3], v[2:3], v[4:5]
	v_mul_f64 v[4:5], v[46:47], v[50:51]
	v_fma_f64 v[4:5], v[44:45], v[48:49], -v[4:5]
	v_add_f64 v[2:3], v[2:3], v[4:5]
	;; [unrolled: 3-line block ×20, first 2 shown]
	scratch_load_dwordx4 v[2:5], off, off offset:160
	s_waitcnt vmcnt(0)
	v_add_f64 v[2:3], v[2:3], -v[6:7]
	v_add_f64 v[4:5], v[4:5], -v[148:149]
	scratch_store_dwordx4 off, v[2:5], off offset:160
	s_and_saveexec_b64 s[0:1], vcc
	s_cbranch_execz .LBB33_201
; %bb.200:
	scratch_load_dwordx4 v[2:5], off, s15
	v_mov_b32_e32 v6, 0
	v_mov_b32_e32 v7, v6
	;; [unrolled: 1-line block ×4, first 2 shown]
	scratch_store_dwordx4 off, v[6:9], off offset:144
	s_waitcnt vmcnt(1)
	ds_write_b128 v1, v[2:5]
.LBB33_201:
	s_or_b64 exec, exec, s[0:1]
	v_mov_b32_e32 v2, 0
	s_waitcnt lgkmcnt(0)
	; wave barrier
	ds_read_b128 v[16:19], v2 offset:688
	ds_read_b128 v[12:15], v2 offset:704
	;; [unrolled: 1-line block ×4, first 2 shown]
	scratch_load_dwordx4 v[20:23], off, off offset:160
	scratch_load_dwordx4 v[40:43], off, off offset:224
	;; [unrolled: 1-line block ×19, first 2 shown]
	v_cmp_lt_u32_e32 vcc, 7, v0
	scratch_load_dwordx4 v[48:51], off, off offset:240
	scratch_load_dwordx4 v[56:59], off, off offset:256
	;; [unrolled: 1-line block ×3, first 2 shown]
	s_waitcnt vmcnt(21) lgkmcnt(3)
	v_mul_f64 v[24:25], v[16:17], v[22:23]
	v_fmac_f64_e32 v[24:25], v[18:19], v[20:21]
	v_add_f64 v[28:29], v[24:25], 0
	scratch_load_dwordx4 v[24:27], off, off offset:176
	v_mul_f64 v[18:19], v[18:19], v[22:23]
	v_fma_f64 v[16:17], v[16:17], v[20:21], -v[18:19]
	v_add_f64 v[16:17], v[16:17], 0
	s_waitcnt vmcnt(0) lgkmcnt(2)
	v_mul_f64 v[30:31], v[12:13], v[26:27]
	v_fmac_f64_e32 v[30:31], v[14:15], v[24:25]
	v_add_f64 v[32:33], v[28:29], v[30:31]
	scratch_load_dwordx4 v[28:31], off, off offset:192
	v_mul_f64 v[14:15], v[14:15], v[26:27]
	v_fma_f64 v[12:13], v[12:13], v[24:25], -v[14:15]
	v_add_f64 v[12:13], v[16:17], v[12:13]
	;; [unrolled: 8-line block ×3, first 2 shown]
	s_waitcnt vmcnt(0) lgkmcnt(0)
	v_mul_f64 v[38:39], v[4:5], v[34:35]
	v_fmac_f64_e32 v[38:39], v[6:7], v[32:33]
	v_add_f64 v[44:45], v[36:37], v[38:39]
	ds_read_b128 v[36:39], v2 offset:752
	v_mul_f64 v[6:7], v[6:7], v[34:35]
	v_fma_f64 v[4:5], v[4:5], v[32:33], -v[6:7]
	v_add_f64 v[4:5], v[8:9], v[4:5]
	s_waitcnt lgkmcnt(0)
	v_mul_f64 v[46:47], v[36:37], v[42:43]
	v_fmac_f64_e32 v[46:47], v[38:39], v[40:41]
	v_add_f64 v[52:53], v[44:45], v[46:47]
	ds_read_b128 v[44:47], v2 offset:768
	v_mul_f64 v[6:7], v[38:39], v[42:43]
	v_fma_f64 v[6:7], v[36:37], v[40:41], -v[6:7]
	v_add_f64 v[4:5], v[4:5], v[6:7]
	s_waitcnt lgkmcnt(0)
	v_mul_f64 v[54:55], v[44:45], v[50:51]
	v_fmac_f64_e32 v[54:55], v[46:47], v[48:49]
	v_add_f64 v[60:61], v[52:53], v[54:55]
	ds_read_b128 v[52:55], v2 offset:784
	v_mul_f64 v[6:7], v[46:47], v[50:51]
	v_fma_f64 v[6:7], v[44:45], v[48:49], -v[6:7]
	v_add_f64 v[4:5], v[4:5], v[6:7]
	s_waitcnt lgkmcnt(0)
	v_mul_f64 v[62:63], v[52:53], v[58:59]
	v_fmac_f64_e32 v[62:63], v[54:55], v[56:57]
	v_add_f64 v[68:69], v[60:61], v[62:63]
	ds_read_b128 v[60:63], v2 offset:800
	v_mul_f64 v[6:7], v[54:55], v[58:59]
	v_fma_f64 v[6:7], v[52:53], v[56:57], -v[6:7]
	v_add_f64 v[4:5], v[4:5], v[6:7]
	s_waitcnt lgkmcnt(0)
	v_mul_f64 v[70:71], v[60:61], v[66:67]
	v_fmac_f64_e32 v[70:71], v[62:63], v[64:65]
	v_add_f64 v[76:77], v[68:69], v[70:71]
	ds_read_b128 v[68:71], v2 offset:816
	v_mul_f64 v[6:7], v[62:63], v[66:67]
	v_fma_f64 v[6:7], v[60:61], v[64:65], -v[6:7]
	v_add_f64 v[4:5], v[4:5], v[6:7]
	s_waitcnt lgkmcnt(0)
	v_mul_f64 v[78:79], v[68:69], v[74:75]
	v_fmac_f64_e32 v[78:79], v[70:71], v[72:73]
	v_add_f64 v[84:85], v[76:77], v[78:79]
	ds_read_b128 v[76:79], v2 offset:832
	v_mul_f64 v[6:7], v[70:71], v[74:75]
	v_fma_f64 v[6:7], v[68:69], v[72:73], -v[6:7]
	v_add_f64 v[4:5], v[4:5], v[6:7]
	s_waitcnt lgkmcnt(0)
	v_mul_f64 v[86:87], v[76:77], v[82:83]
	v_fmac_f64_e32 v[86:87], v[78:79], v[80:81]
	v_add_f64 v[92:93], v[84:85], v[86:87]
	ds_read_b128 v[84:87], v2 offset:848
	v_mul_f64 v[6:7], v[78:79], v[82:83]
	v_fma_f64 v[6:7], v[76:77], v[80:81], -v[6:7]
	v_add_f64 v[4:5], v[4:5], v[6:7]
	s_waitcnt lgkmcnt(0)
	v_mul_f64 v[94:95], v[84:85], v[90:91]
	v_fmac_f64_e32 v[94:95], v[86:87], v[88:89]
	v_add_f64 v[100:101], v[92:93], v[94:95]
	ds_read_b128 v[92:95], v2 offset:864
	v_mul_f64 v[6:7], v[86:87], v[90:91]
	v_fma_f64 v[6:7], v[84:85], v[88:89], -v[6:7]
	v_add_f64 v[4:5], v[4:5], v[6:7]
	s_waitcnt lgkmcnt(0)
	v_mul_f64 v[102:103], v[92:93], v[98:99]
	v_fmac_f64_e32 v[102:103], v[94:95], v[96:97]
	v_add_f64 v[108:109], v[100:101], v[102:103]
	ds_read_b128 v[100:103], v2 offset:880
	v_mul_f64 v[6:7], v[94:95], v[98:99]
	v_fma_f64 v[6:7], v[92:93], v[96:97], -v[6:7]
	v_add_f64 v[4:5], v[4:5], v[6:7]
	s_waitcnt lgkmcnt(0)
	v_mul_f64 v[110:111], v[100:101], v[106:107]
	v_fmac_f64_e32 v[110:111], v[102:103], v[104:105]
	v_add_f64 v[116:117], v[108:109], v[110:111]
	ds_read_b128 v[108:111], v2 offset:896
	v_mul_f64 v[6:7], v[102:103], v[106:107]
	v_fma_f64 v[6:7], v[100:101], v[104:105], -v[6:7]
	v_add_f64 v[4:5], v[4:5], v[6:7]
	s_waitcnt lgkmcnt(0)
	v_mul_f64 v[118:119], v[108:109], v[114:115]
	v_fmac_f64_e32 v[118:119], v[110:111], v[112:113]
	v_add_f64 v[124:125], v[116:117], v[118:119]
	ds_read_b128 v[116:119], v2 offset:912
	v_mul_f64 v[6:7], v[110:111], v[114:115]
	v_fma_f64 v[6:7], v[108:109], v[112:113], -v[6:7]
	v_add_f64 v[4:5], v[4:5], v[6:7]
	s_waitcnt lgkmcnt(0)
	v_mul_f64 v[126:127], v[116:117], v[122:123]
	v_fmac_f64_e32 v[126:127], v[118:119], v[120:121]
	v_add_f64 v[132:133], v[124:125], v[126:127]
	ds_read_b128 v[124:127], v2 offset:928
	v_mul_f64 v[6:7], v[118:119], v[122:123]
	v_fma_f64 v[6:7], v[116:117], v[120:121], -v[6:7]
	v_add_f64 v[4:5], v[4:5], v[6:7]
	s_waitcnt lgkmcnt(0)
	v_mul_f64 v[134:135], v[124:125], v[130:131]
	v_fmac_f64_e32 v[134:135], v[126:127], v[128:129]
	v_add_f64 v[140:141], v[132:133], v[134:135]
	ds_read_b128 v[132:135], v2 offset:944
	v_mul_f64 v[6:7], v[126:127], v[130:131]
	v_fma_f64 v[6:7], v[124:125], v[128:129], -v[6:7]
	v_add_f64 v[4:5], v[4:5], v[6:7]
	s_waitcnt lgkmcnt(0)
	v_mul_f64 v[142:143], v[132:133], v[138:139]
	v_fmac_f64_e32 v[142:143], v[134:135], v[136:137]
	v_add_f64 v[144:145], v[140:141], v[142:143]
	ds_read_b128 v[140:143], v2 offset:960
	v_mul_f64 v[6:7], v[134:135], v[138:139]
	v_fma_f64 v[6:7], v[132:133], v[136:137], -v[6:7]
	v_add_f64 v[4:5], v[4:5], v[6:7]
	s_waitcnt lgkmcnt(0)
	v_mul_f64 v[150:151], v[140:141], v[148:149]
	v_fmac_f64_e32 v[150:151], v[142:143], v[146:147]
	v_add_f64 v[144:145], v[144:145], v[150:151]
	ds_read_b128 v[150:153], v2 offset:976
	v_mul_f64 v[6:7], v[142:143], v[148:149]
	v_fma_f64 v[6:7], v[140:141], v[146:147], -v[6:7]
	v_add_f64 v[4:5], v[4:5], v[6:7]
	s_waitcnt lgkmcnt(0)
	v_mul_f64 v[158:159], v[150:151], v[156:157]
	v_fmac_f64_e32 v[158:159], v[152:153], v[154:155]
	v_add_f64 v[144:145], v[144:145], v[158:159]
	ds_read_b128 v[158:161], v2 offset:992
	v_mul_f64 v[6:7], v[152:153], v[156:157]
	v_fma_f64 v[6:7], v[150:151], v[154:155], -v[6:7]
	v_add_f64 v[4:5], v[4:5], v[6:7]
	s_waitcnt lgkmcnt(0)
	v_mul_f64 v[166:167], v[158:159], v[164:165]
	v_fmac_f64_e32 v[166:167], v[160:161], v[162:163]
	v_add_f64 v[144:145], v[144:145], v[166:167]
	ds_read_b128 v[166:169], v2 offset:1008
	v_mul_f64 v[6:7], v[160:161], v[164:165]
	v_fma_f64 v[6:7], v[158:159], v[162:163], -v[6:7]
	v_add_f64 v[4:5], v[4:5], v[6:7]
	s_waitcnt lgkmcnt(0)
	v_mul_f64 v[174:175], v[166:167], v[172:173]
	v_fmac_f64_e32 v[174:175], v[168:169], v[170:171]
	v_add_f64 v[144:145], v[144:145], v[174:175]
	ds_read_b128 v[174:177], v2 offset:1024
	v_mul_f64 v[6:7], v[168:169], v[172:173]
	v_fma_f64 v[6:7], v[166:167], v[170:171], -v[6:7]
	v_add_f64 v[4:5], v[4:5], v[6:7]
	s_waitcnt lgkmcnt(0)
	v_mul_f64 v[182:183], v[174:175], v[180:181]
	v_fmac_f64_e32 v[182:183], v[176:177], v[178:179]
	v_add_f64 v[144:145], v[144:145], v[182:183]
	ds_read_b128 v[182:185], v2 offset:1040
	v_mul_f64 v[6:7], v[176:177], v[180:181]
	v_fma_f64 v[6:7], v[174:175], v[178:179], -v[6:7]
	v_add_f64 v[4:5], v[4:5], v[6:7]
	s_waitcnt lgkmcnt(0)
	v_mul_f64 v[190:191], v[182:183], v[188:189]
	v_fmac_f64_e32 v[190:191], v[184:185], v[186:187]
	v_add_f64 v[144:145], v[144:145], v[190:191]
	ds_read_b128 v[190:193], v2 offset:1056
	v_mul_f64 v[6:7], v[184:185], v[188:189]
	v_fma_f64 v[6:7], v[182:183], v[186:187], -v[6:7]
	v_add_f64 v[4:5], v[4:5], v[6:7]
	s_waitcnt lgkmcnt(0)
	v_mul_f64 v[198:199], v[190:191], v[196:197]
	v_fmac_f64_e32 v[198:199], v[192:193], v[194:195]
	v_add_f64 v[144:145], v[144:145], v[198:199]
	ds_read_b128 v[198:201], v2 offset:1072
	v_mul_f64 v[6:7], v[192:193], v[196:197]
	v_fma_f64 v[6:7], v[190:191], v[194:195], -v[6:7]
	v_add_f64 v[4:5], v[4:5], v[6:7]
	s_waitcnt lgkmcnt(0)
	v_mul_f64 v[6:7], v[200:201], v[204:205]
	v_fma_f64 v[6:7], v[198:199], v[202:203], -v[6:7]
	v_add_f64 v[8:9], v[4:5], v[6:7]
	scratch_load_dwordx4 v[4:7], off, off offset:144
	v_mul_f64 v[206:207], v[198:199], v[204:205]
	v_fmac_f64_e32 v[206:207], v[200:201], v[202:203]
	v_add_f64 v[144:145], v[144:145], v[206:207]
	s_waitcnt vmcnt(0)
	v_add_f64 v[4:5], v[4:5], -v[8:9]
	v_add_f64 v[6:7], v[6:7], -v[144:145]
	scratch_store_dwordx4 off, v[4:7], off offset:144
	s_and_saveexec_b64 s[0:1], vcc
	s_cbranch_execz .LBB33_203
; %bb.202:
	scratch_load_dwordx4 v[6:9], off, s25
	v_mov_b32_e32 v3, v2
	v_mov_b32_e32 v4, v2
	;; [unrolled: 1-line block ×3, first 2 shown]
	scratch_store_dwordx4 off, v[2:5], off offset:128
	s_waitcnt vmcnt(1)
	ds_write_b128 v1, v[6:9]
.LBB33_203:
	s_or_b64 exec, exec, s[0:1]
	s_waitcnt lgkmcnt(0)
	; wave barrier
	ds_read_b128 v[16:19], v2 offset:672
	ds_read_b128 v[12:15], v2 offset:688
	;; [unrolled: 1-line block ×4, first 2 shown]
	scratch_load_dwordx4 v[20:23], off, off offset:144
	scratch_load_dwordx4 v[40:43], off, off offset:208
	;; [unrolled: 1-line block ×20, first 2 shown]
	v_cmp_lt_u32_e32 vcc, 6, v0
	scratch_load_dwordx4 v[48:51], off, off offset:224
	scratch_load_dwordx4 v[56:59], off, off offset:240
	;; [unrolled: 1-line block ×3, first 2 shown]
	s_waitcnt vmcnt(22) lgkmcnt(3)
	v_mul_f64 v[24:25], v[16:17], v[22:23]
	v_fmac_f64_e32 v[24:25], v[18:19], v[20:21]
	v_add_f64 v[28:29], v[24:25], 0
	scratch_load_dwordx4 v[24:27], off, off offset:160
	s_waitcnt vmcnt(0) lgkmcnt(2)
	v_mul_f64 v[30:31], v[12:13], v[26:27]
	v_fmac_f64_e32 v[30:31], v[14:15], v[24:25]
	v_add_f64 v[32:33], v[28:29], v[30:31]
	scratch_load_dwordx4 v[28:31], off, off offset:176
	v_mul_f64 v[14:15], v[14:15], v[26:27]
	v_fma_f64 v[12:13], v[12:13], v[24:25], -v[14:15]
	s_waitcnt vmcnt(0) lgkmcnt(1)
	v_mul_f64 v[34:35], v[8:9], v[30:31]
	v_fmac_f64_e32 v[34:35], v[10:11], v[28:29]
	v_add_f64 v[36:37], v[32:33], v[34:35]
	scratch_load_dwordx4 v[32:35], off, off offset:192
	v_mul_f64 v[10:11], v[10:11], v[30:31]
	v_fma_f64 v[8:9], v[8:9], v[28:29], -v[10:11]
	s_waitcnt vmcnt(0) lgkmcnt(0)
	v_mul_f64 v[38:39], v[4:5], v[34:35]
	v_fmac_f64_e32 v[38:39], v[6:7], v[32:33]
	v_add_f64 v[44:45], v[36:37], v[38:39]
	ds_read_b128 v[36:39], v2 offset:736
	v_mul_f64 v[6:7], v[6:7], v[34:35]
	v_fma_f64 v[4:5], v[4:5], v[32:33], -v[6:7]
	s_waitcnt lgkmcnt(0)
	v_mul_f64 v[46:47], v[36:37], v[42:43]
	v_fmac_f64_e32 v[46:47], v[38:39], v[40:41]
	v_add_f64 v[52:53], v[44:45], v[46:47]
	ds_read_b128 v[44:47], v2 offset:752
	s_waitcnt lgkmcnt(0)
	v_mul_f64 v[54:55], v[44:45], v[50:51]
	v_fmac_f64_e32 v[54:55], v[46:47], v[48:49]
	v_add_f64 v[60:61], v[52:53], v[54:55]
	ds_read_b128 v[52:55], v2 offset:768
	;; [unrolled: 5-line block ×21, first 2 shown]
	s_waitcnt lgkmcnt(0)
	v_mul_f64 v[2:3], v[206:207], v[212:213]
	v_fmac_f64_e32 v[2:3], v[208:209], v[210:211]
	v_add_f64 v[168:169], v[168:169], v[2:3]
	v_mul_f64 v[2:3], v[18:19], v[22:23]
	v_fma_f64 v[2:3], v[16:17], v[20:21], -v[2:3]
	v_add_f64 v[2:3], v[2:3], 0
	v_add_f64 v[2:3], v[2:3], v[12:13]
	;; [unrolled: 1-line block ×4, first 2 shown]
	v_mul_f64 v[4:5], v[38:39], v[42:43]
	v_fma_f64 v[4:5], v[36:37], v[40:41], -v[4:5]
	v_add_f64 v[2:3], v[2:3], v[4:5]
	v_mul_f64 v[4:5], v[46:47], v[50:51]
	v_fma_f64 v[4:5], v[44:45], v[48:49], -v[4:5]
	v_add_f64 v[2:3], v[2:3], v[4:5]
	;; [unrolled: 3-line block ×22, first 2 shown]
	scratch_load_dwordx4 v[2:5], off, off offset:128
	s_waitcnt vmcnt(0)
	v_add_f64 v[2:3], v[2:3], -v[6:7]
	v_add_f64 v[4:5], v[4:5], -v[168:169]
	scratch_store_dwordx4 off, v[2:5], off offset:128
	s_and_saveexec_b64 s[0:1], vcc
	s_cbranch_execz .LBB33_205
; %bb.204:
	scratch_load_dwordx4 v[2:5], off, s23
	v_mov_b32_e32 v6, 0
	v_mov_b32_e32 v7, v6
	;; [unrolled: 1-line block ×4, first 2 shown]
	scratch_store_dwordx4 off, v[6:9], off offset:112
	s_waitcnt vmcnt(1)
	ds_write_b128 v1, v[2:5]
.LBB33_205:
	s_or_b64 exec, exec, s[0:1]
	v_mov_b32_e32 v2, 0
	s_waitcnt lgkmcnt(0)
	; wave barrier
	ds_read_b128 v[16:19], v2 offset:656
	ds_read_b128 v[12:15], v2 offset:672
	ds_read_b128 v[8:11], v2 offset:688
	ds_read_b128 v[4:7], v2 offset:704
	scratch_load_dwordx4 v[20:23], off, off offset:128
	scratch_load_dwordx4 v[40:43], off, off offset:192
	;; [unrolled: 1-line block ×21, first 2 shown]
	v_cmp_lt_u32_e32 vcc, 5, v0
	scratch_load_dwordx4 v[48:51], off, off offset:208
	scratch_load_dwordx4 v[56:59], off, off offset:224
	;; [unrolled: 1-line block ×3, first 2 shown]
	s_waitcnt vmcnt(23) lgkmcnt(3)
	v_mul_f64 v[24:25], v[16:17], v[22:23]
	v_fmac_f64_e32 v[24:25], v[18:19], v[20:21]
	v_add_f64 v[28:29], v[24:25], 0
	scratch_load_dwordx4 v[24:27], off, off offset:144
	v_mul_f64 v[18:19], v[18:19], v[22:23]
	v_fma_f64 v[16:17], v[16:17], v[20:21], -v[18:19]
	v_add_f64 v[16:17], v[16:17], 0
	s_waitcnt vmcnt(0) lgkmcnt(2)
	v_mul_f64 v[30:31], v[12:13], v[26:27]
	v_fmac_f64_e32 v[30:31], v[14:15], v[24:25]
	v_add_f64 v[32:33], v[28:29], v[30:31]
	scratch_load_dwordx4 v[28:31], off, off offset:160
	v_mul_f64 v[14:15], v[14:15], v[26:27]
	v_fma_f64 v[12:13], v[12:13], v[24:25], -v[14:15]
	v_add_f64 v[12:13], v[16:17], v[12:13]
	;; [unrolled: 8-line block ×3, first 2 shown]
	s_waitcnt vmcnt(0) lgkmcnt(0)
	v_mul_f64 v[38:39], v[4:5], v[34:35]
	v_fmac_f64_e32 v[38:39], v[6:7], v[32:33]
	v_add_f64 v[44:45], v[36:37], v[38:39]
	ds_read_b128 v[36:39], v2 offset:720
	v_mul_f64 v[6:7], v[6:7], v[34:35]
	v_fma_f64 v[4:5], v[4:5], v[32:33], -v[6:7]
	v_add_f64 v[4:5], v[8:9], v[4:5]
	s_waitcnt lgkmcnt(0)
	v_mul_f64 v[46:47], v[36:37], v[42:43]
	v_fmac_f64_e32 v[46:47], v[38:39], v[40:41]
	v_add_f64 v[52:53], v[44:45], v[46:47]
	ds_read_b128 v[44:47], v2 offset:736
	v_mul_f64 v[6:7], v[38:39], v[42:43]
	v_fma_f64 v[6:7], v[36:37], v[40:41], -v[6:7]
	v_add_f64 v[4:5], v[4:5], v[6:7]
	s_waitcnt lgkmcnt(0)
	;; [unrolled: 8-line block ×23, first 2 shown]
	v_mul_f64 v[6:7], v[216:217], v[220:221]
	v_fma_f64 v[6:7], v[214:215], v[218:219], -v[6:7]
	v_add_f64 v[8:9], v[4:5], v[6:7]
	scratch_load_dwordx4 v[4:7], off, off offset:112
	v_mul_f64 v[222:223], v[214:215], v[220:221]
	v_fmac_f64_e32 v[222:223], v[216:217], v[218:219]
	v_add_f64 v[160:161], v[160:161], v[222:223]
	s_waitcnt vmcnt(0)
	v_add_f64 v[4:5], v[4:5], -v[8:9]
	v_add_f64 v[6:7], v[6:7], -v[160:161]
	scratch_store_dwordx4 off, v[4:7], off offset:112
	s_and_saveexec_b64 s[0:1], vcc
	s_cbranch_execz .LBB33_207
; %bb.206:
	scratch_load_dwordx4 v[6:9], off, s21
	v_mov_b32_e32 v3, v2
	v_mov_b32_e32 v4, v2
	;; [unrolled: 1-line block ×3, first 2 shown]
	scratch_store_dwordx4 off, v[2:5], off offset:96
	s_waitcnt vmcnt(1)
	ds_write_b128 v1, v[6:9]
.LBB33_207:
	s_or_b64 exec, exec, s[0:1]
	s_waitcnt lgkmcnt(0)
	; wave barrier
	ds_read_b128 v[16:19], v2 offset:640
	ds_read_b128 v[12:15], v2 offset:656
	;; [unrolled: 1-line block ×4, first 2 shown]
	scratch_load_dwordx4 v[20:23], off, off offset:112
	scratch_load_dwordx4 v[40:43], off, off offset:176
	;; [unrolled: 1-line block ×22, first 2 shown]
	v_cmp_lt_u32_e32 vcc, 4, v0
	scratch_load_dwordx4 v[48:51], off, off offset:192
	scratch_load_dwordx4 v[56:59], off, off offset:208
	;; [unrolled: 1-line block ×3, first 2 shown]
	s_waitcnt vmcnt(24) lgkmcnt(3)
	v_mul_f64 v[24:25], v[16:17], v[22:23]
	v_fmac_f64_e32 v[24:25], v[18:19], v[20:21]
	v_add_f64 v[28:29], v[24:25], 0
	scratch_load_dwordx4 v[24:27], off, off offset:128
	s_waitcnt vmcnt(0) lgkmcnt(2)
	v_mul_f64 v[30:31], v[12:13], v[26:27]
	v_fmac_f64_e32 v[30:31], v[14:15], v[24:25]
	v_add_f64 v[32:33], v[28:29], v[30:31]
	scratch_load_dwordx4 v[28:31], off, off offset:144
	v_mul_f64 v[14:15], v[14:15], v[26:27]
	v_fma_f64 v[12:13], v[12:13], v[24:25], -v[14:15]
	s_waitcnt vmcnt(0) lgkmcnt(1)
	v_mul_f64 v[34:35], v[8:9], v[30:31]
	v_fmac_f64_e32 v[34:35], v[10:11], v[28:29]
	v_add_f64 v[36:37], v[32:33], v[34:35]
	scratch_load_dwordx4 v[32:35], off, off offset:160
	v_mul_f64 v[10:11], v[10:11], v[30:31]
	v_fma_f64 v[8:9], v[8:9], v[28:29], -v[10:11]
	s_waitcnt vmcnt(0) lgkmcnt(0)
	v_mul_f64 v[38:39], v[4:5], v[34:35]
	v_fmac_f64_e32 v[38:39], v[6:7], v[32:33]
	v_add_f64 v[44:45], v[36:37], v[38:39]
	ds_read_b128 v[36:39], v2 offset:704
	v_mul_f64 v[6:7], v[6:7], v[34:35]
	v_fma_f64 v[4:5], v[4:5], v[32:33], -v[6:7]
	s_waitcnt lgkmcnt(0)
	v_mul_f64 v[46:47], v[36:37], v[42:43]
	v_fmac_f64_e32 v[46:47], v[38:39], v[40:41]
	v_add_f64 v[52:53], v[44:45], v[46:47]
	ds_read_b128 v[44:47], v2 offset:720
	s_waitcnt lgkmcnt(0)
	v_mul_f64 v[54:55], v[44:45], v[50:51]
	v_fmac_f64_e32 v[54:55], v[46:47], v[48:49]
	v_add_f64 v[60:61], v[52:53], v[54:55]
	ds_read_b128 v[52:55], v2 offset:736
	;; [unrolled: 5-line block ×23, first 2 shown]
	s_waitcnt lgkmcnt(0)
	v_mul_f64 v[2:3], v[222:223], v[228:229]
	v_fmac_f64_e32 v[2:3], v[224:225], v[226:227]
	v_add_f64 v[176:177], v[176:177], v[2:3]
	v_mul_f64 v[2:3], v[18:19], v[22:23]
	v_fma_f64 v[2:3], v[16:17], v[20:21], -v[2:3]
	v_add_f64 v[2:3], v[2:3], 0
	v_add_f64 v[2:3], v[2:3], v[12:13]
	;; [unrolled: 1-line block ×4, first 2 shown]
	v_mul_f64 v[4:5], v[38:39], v[42:43]
	v_fma_f64 v[4:5], v[36:37], v[40:41], -v[4:5]
	v_add_f64 v[2:3], v[2:3], v[4:5]
	v_mul_f64 v[4:5], v[46:47], v[50:51]
	v_fma_f64 v[4:5], v[44:45], v[48:49], -v[4:5]
	v_add_f64 v[2:3], v[2:3], v[4:5]
	;; [unrolled: 3-line block ×24, first 2 shown]
	scratch_load_dwordx4 v[2:5], off, off offset:96
	s_waitcnt vmcnt(0)
	v_add_f64 v[2:3], v[2:3], -v[6:7]
	v_add_f64 v[4:5], v[4:5], -v[176:177]
	scratch_store_dwordx4 off, v[2:5], off offset:96
	s_and_saveexec_b64 s[0:1], vcc
	s_cbranch_execz .LBB33_209
; %bb.208:
	scratch_load_dwordx4 v[2:5], off, s14
	v_mov_b32_e32 v6, 0
	v_mov_b32_e32 v7, v6
	;; [unrolled: 1-line block ×4, first 2 shown]
	scratch_store_dwordx4 off, v[6:9], off offset:80
	s_waitcnt vmcnt(1)
	ds_write_b128 v1, v[2:5]
.LBB33_209:
	s_or_b64 exec, exec, s[0:1]
	v_mov_b32_e32 v2, 0
	s_waitcnt lgkmcnt(0)
	; wave barrier
	ds_read_b128 v[16:19], v2 offset:624
	ds_read_b128 v[12:15], v2 offset:640
	;; [unrolled: 1-line block ×4, first 2 shown]
	scratch_load_dwordx4 v[20:23], off, off offset:96
	scratch_load_dwordx4 v[40:43], off, off offset:160
	;; [unrolled: 1-line block ×23, first 2 shown]
	v_cmp_lt_u32_e32 vcc, 3, v0
	scratch_load_dwordx4 v[48:51], off, off offset:176
	scratch_load_dwordx4 v[56:59], off, off offset:192
	;; [unrolled: 1-line block ×3, first 2 shown]
	s_waitcnt vmcnt(25) lgkmcnt(3)
	v_mul_f64 v[24:25], v[16:17], v[22:23]
	v_fmac_f64_e32 v[24:25], v[18:19], v[20:21]
	v_add_f64 v[28:29], v[24:25], 0
	scratch_load_dwordx4 v[24:27], off, off offset:112
	v_mul_f64 v[18:19], v[18:19], v[22:23]
	v_fma_f64 v[16:17], v[16:17], v[20:21], -v[18:19]
	v_add_f64 v[16:17], v[16:17], 0
	s_waitcnt vmcnt(0) lgkmcnt(2)
	v_mul_f64 v[30:31], v[12:13], v[26:27]
	v_fmac_f64_e32 v[30:31], v[14:15], v[24:25]
	v_add_f64 v[32:33], v[28:29], v[30:31]
	scratch_load_dwordx4 v[28:31], off, off offset:128
	v_mul_f64 v[14:15], v[14:15], v[26:27]
	v_fma_f64 v[12:13], v[12:13], v[24:25], -v[14:15]
	v_add_f64 v[12:13], v[16:17], v[12:13]
	s_waitcnt vmcnt(0) lgkmcnt(1)
	v_mul_f64 v[34:35], v[8:9], v[30:31]
	v_fmac_f64_e32 v[34:35], v[10:11], v[28:29]
	v_add_f64 v[36:37], v[32:33], v[34:35]
	scratch_load_dwordx4 v[32:35], off, off offset:144
	v_mul_f64 v[10:11], v[10:11], v[30:31]
	v_fma_f64 v[8:9], v[8:9], v[28:29], -v[10:11]
	v_add_f64 v[8:9], v[12:13], v[8:9]
	s_waitcnt vmcnt(0) lgkmcnt(0)
	v_mul_f64 v[38:39], v[4:5], v[34:35]
	v_fmac_f64_e32 v[38:39], v[6:7], v[32:33]
	v_add_f64 v[44:45], v[36:37], v[38:39]
	ds_read_b128 v[36:39], v2 offset:688
	v_mul_f64 v[6:7], v[6:7], v[34:35]
	v_fma_f64 v[4:5], v[4:5], v[32:33], -v[6:7]
	v_add_f64 v[4:5], v[8:9], v[4:5]
	s_waitcnt lgkmcnt(0)
	v_mul_f64 v[46:47], v[36:37], v[42:43]
	v_fmac_f64_e32 v[46:47], v[38:39], v[40:41]
	v_add_f64 v[52:53], v[44:45], v[46:47]
	ds_read_b128 v[44:47], v2 offset:704
	v_mul_f64 v[6:7], v[38:39], v[42:43]
	v_fma_f64 v[6:7], v[36:37], v[40:41], -v[6:7]
	v_add_f64 v[4:5], v[4:5], v[6:7]
	s_waitcnt lgkmcnt(0)
	v_mul_f64 v[54:55], v[44:45], v[50:51]
	v_fmac_f64_e32 v[54:55], v[46:47], v[48:49]
	v_add_f64 v[60:61], v[52:53], v[54:55]
	ds_read_b128 v[52:55], v2 offset:720
	v_mul_f64 v[6:7], v[46:47], v[50:51]
	v_fma_f64 v[6:7], v[44:45], v[48:49], -v[6:7]
	v_add_f64 v[4:5], v[4:5], v[6:7]
	s_waitcnt lgkmcnt(0)
	v_mul_f64 v[62:63], v[52:53], v[58:59]
	v_fmac_f64_e32 v[62:63], v[54:55], v[56:57]
	v_add_f64 v[68:69], v[60:61], v[62:63]
	ds_read_b128 v[60:63], v2 offset:736
	v_mul_f64 v[6:7], v[54:55], v[58:59]
	v_fma_f64 v[6:7], v[52:53], v[56:57], -v[6:7]
	v_add_f64 v[4:5], v[4:5], v[6:7]
	s_waitcnt lgkmcnt(0)
	v_mul_f64 v[70:71], v[60:61], v[66:67]
	v_fmac_f64_e32 v[70:71], v[62:63], v[64:65]
	v_add_f64 v[76:77], v[68:69], v[70:71]
	ds_read_b128 v[68:71], v2 offset:752
	v_mul_f64 v[6:7], v[62:63], v[66:67]
	v_fma_f64 v[6:7], v[60:61], v[64:65], -v[6:7]
	v_add_f64 v[4:5], v[4:5], v[6:7]
	s_waitcnt lgkmcnt(0)
	v_mul_f64 v[78:79], v[68:69], v[74:75]
	v_fmac_f64_e32 v[78:79], v[70:71], v[72:73]
	v_add_f64 v[84:85], v[76:77], v[78:79]
	ds_read_b128 v[76:79], v2 offset:768
	v_mul_f64 v[6:7], v[70:71], v[74:75]
	v_fma_f64 v[6:7], v[68:69], v[72:73], -v[6:7]
	v_add_f64 v[4:5], v[4:5], v[6:7]
	s_waitcnt lgkmcnt(0)
	v_mul_f64 v[86:87], v[76:77], v[82:83]
	v_fmac_f64_e32 v[86:87], v[78:79], v[80:81]
	v_add_f64 v[92:93], v[84:85], v[86:87]
	ds_read_b128 v[84:87], v2 offset:784
	v_mul_f64 v[6:7], v[78:79], v[82:83]
	v_fma_f64 v[6:7], v[76:77], v[80:81], -v[6:7]
	v_add_f64 v[4:5], v[4:5], v[6:7]
	s_waitcnt lgkmcnt(0)
	v_mul_f64 v[94:95], v[84:85], v[90:91]
	v_fmac_f64_e32 v[94:95], v[86:87], v[88:89]
	v_add_f64 v[100:101], v[92:93], v[94:95]
	ds_read_b128 v[92:95], v2 offset:800
	v_mul_f64 v[6:7], v[86:87], v[90:91]
	v_fma_f64 v[6:7], v[84:85], v[88:89], -v[6:7]
	v_add_f64 v[4:5], v[4:5], v[6:7]
	s_waitcnt lgkmcnt(0)
	v_mul_f64 v[102:103], v[92:93], v[98:99]
	v_fmac_f64_e32 v[102:103], v[94:95], v[96:97]
	v_add_f64 v[108:109], v[100:101], v[102:103]
	ds_read_b128 v[100:103], v2 offset:816
	v_mul_f64 v[6:7], v[94:95], v[98:99]
	v_fma_f64 v[6:7], v[92:93], v[96:97], -v[6:7]
	v_add_f64 v[4:5], v[4:5], v[6:7]
	s_waitcnt lgkmcnt(0)
	v_mul_f64 v[110:111], v[100:101], v[106:107]
	v_fmac_f64_e32 v[110:111], v[102:103], v[104:105]
	v_add_f64 v[116:117], v[108:109], v[110:111]
	ds_read_b128 v[108:111], v2 offset:832
	v_mul_f64 v[6:7], v[102:103], v[106:107]
	v_fma_f64 v[6:7], v[100:101], v[104:105], -v[6:7]
	v_add_f64 v[4:5], v[4:5], v[6:7]
	s_waitcnt lgkmcnt(0)
	v_mul_f64 v[118:119], v[108:109], v[114:115]
	v_fmac_f64_e32 v[118:119], v[110:111], v[112:113]
	v_add_f64 v[124:125], v[116:117], v[118:119]
	ds_read_b128 v[116:119], v2 offset:848
	v_mul_f64 v[6:7], v[110:111], v[114:115]
	v_fma_f64 v[6:7], v[108:109], v[112:113], -v[6:7]
	v_add_f64 v[4:5], v[4:5], v[6:7]
	s_waitcnt lgkmcnt(0)
	v_mul_f64 v[126:127], v[116:117], v[122:123]
	v_fmac_f64_e32 v[126:127], v[118:119], v[120:121]
	v_add_f64 v[132:133], v[124:125], v[126:127]
	ds_read_b128 v[124:127], v2 offset:864
	v_mul_f64 v[6:7], v[118:119], v[122:123]
	v_fma_f64 v[6:7], v[116:117], v[120:121], -v[6:7]
	v_add_f64 v[4:5], v[4:5], v[6:7]
	s_waitcnt lgkmcnt(0)
	v_mul_f64 v[134:135], v[124:125], v[130:131]
	v_fmac_f64_e32 v[134:135], v[126:127], v[128:129]
	v_add_f64 v[140:141], v[132:133], v[134:135]
	ds_read_b128 v[132:135], v2 offset:880
	v_mul_f64 v[6:7], v[126:127], v[130:131]
	v_fma_f64 v[6:7], v[124:125], v[128:129], -v[6:7]
	v_add_f64 v[4:5], v[4:5], v[6:7]
	s_waitcnt lgkmcnt(0)
	v_mul_f64 v[142:143], v[132:133], v[138:139]
	v_fmac_f64_e32 v[142:143], v[134:135], v[136:137]
	v_add_f64 v[148:149], v[140:141], v[142:143]
	ds_read_b128 v[140:143], v2 offset:896
	v_mul_f64 v[6:7], v[134:135], v[138:139]
	v_fma_f64 v[6:7], v[132:133], v[136:137], -v[6:7]
	v_add_f64 v[4:5], v[4:5], v[6:7]
	s_waitcnt lgkmcnt(0)
	v_mul_f64 v[150:151], v[140:141], v[146:147]
	v_fmac_f64_e32 v[150:151], v[142:143], v[144:145]
	v_add_f64 v[156:157], v[148:149], v[150:151]
	ds_read_b128 v[148:151], v2 offset:912
	v_mul_f64 v[6:7], v[142:143], v[146:147]
	v_fma_f64 v[6:7], v[140:141], v[144:145], -v[6:7]
	v_add_f64 v[4:5], v[4:5], v[6:7]
	s_waitcnt lgkmcnt(0)
	v_mul_f64 v[158:159], v[148:149], v[154:155]
	v_fmac_f64_e32 v[158:159], v[150:151], v[152:153]
	v_add_f64 v[164:165], v[156:157], v[158:159]
	ds_read_b128 v[156:159], v2 offset:928
	v_mul_f64 v[6:7], v[150:151], v[154:155]
	v_fma_f64 v[6:7], v[148:149], v[152:153], -v[6:7]
	v_add_f64 v[4:5], v[4:5], v[6:7]
	s_waitcnt lgkmcnt(0)
	v_mul_f64 v[166:167], v[156:157], v[162:163]
	v_fmac_f64_e32 v[166:167], v[158:159], v[160:161]
	v_add_f64 v[172:173], v[164:165], v[166:167]
	ds_read_b128 v[164:167], v2 offset:944
	v_mul_f64 v[6:7], v[158:159], v[162:163]
	v_fma_f64 v[6:7], v[156:157], v[160:161], -v[6:7]
	v_add_f64 v[4:5], v[4:5], v[6:7]
	s_waitcnt lgkmcnt(0)
	v_mul_f64 v[174:175], v[164:165], v[170:171]
	v_fmac_f64_e32 v[174:175], v[166:167], v[168:169]
	v_add_f64 v[176:177], v[172:173], v[174:175]
	ds_read_b128 v[172:175], v2 offset:960
	v_mul_f64 v[6:7], v[166:167], v[170:171]
	v_fma_f64 v[6:7], v[164:165], v[168:169], -v[6:7]
	v_add_f64 v[4:5], v[4:5], v[6:7]
	s_waitcnt lgkmcnt(0)
	v_mul_f64 v[182:183], v[172:173], v[180:181]
	v_fmac_f64_e32 v[182:183], v[174:175], v[178:179]
	v_add_f64 v[176:177], v[176:177], v[182:183]
	ds_read_b128 v[182:185], v2 offset:976
	v_mul_f64 v[6:7], v[174:175], v[180:181]
	v_fma_f64 v[6:7], v[172:173], v[178:179], -v[6:7]
	v_add_f64 v[4:5], v[4:5], v[6:7]
	s_waitcnt lgkmcnt(0)
	v_mul_f64 v[190:191], v[182:183], v[188:189]
	v_fmac_f64_e32 v[190:191], v[184:185], v[186:187]
	v_add_f64 v[176:177], v[176:177], v[190:191]
	ds_read_b128 v[190:193], v2 offset:992
	v_mul_f64 v[6:7], v[184:185], v[188:189]
	v_fma_f64 v[6:7], v[182:183], v[186:187], -v[6:7]
	v_add_f64 v[4:5], v[4:5], v[6:7]
	s_waitcnt lgkmcnt(0)
	v_mul_f64 v[198:199], v[190:191], v[196:197]
	v_fmac_f64_e32 v[198:199], v[192:193], v[194:195]
	v_add_f64 v[176:177], v[176:177], v[198:199]
	ds_read_b128 v[198:201], v2 offset:1008
	v_mul_f64 v[6:7], v[192:193], v[196:197]
	v_fma_f64 v[6:7], v[190:191], v[194:195], -v[6:7]
	v_add_f64 v[4:5], v[4:5], v[6:7]
	s_waitcnt lgkmcnt(0)
	v_mul_f64 v[206:207], v[198:199], v[204:205]
	v_fmac_f64_e32 v[206:207], v[200:201], v[202:203]
	v_add_f64 v[176:177], v[176:177], v[206:207]
	ds_read_b128 v[206:209], v2 offset:1024
	v_mul_f64 v[6:7], v[200:201], v[204:205]
	v_fma_f64 v[6:7], v[198:199], v[202:203], -v[6:7]
	v_add_f64 v[4:5], v[4:5], v[6:7]
	s_waitcnt lgkmcnt(0)
	v_mul_f64 v[214:215], v[206:207], v[212:213]
	v_fmac_f64_e32 v[214:215], v[208:209], v[210:211]
	v_add_f64 v[176:177], v[176:177], v[214:215]
	ds_read_b128 v[214:217], v2 offset:1040
	v_mul_f64 v[6:7], v[208:209], v[212:213]
	v_fma_f64 v[6:7], v[206:207], v[210:211], -v[6:7]
	v_add_f64 v[4:5], v[4:5], v[6:7]
	s_waitcnt lgkmcnt(0)
	v_mul_f64 v[222:223], v[214:215], v[220:221]
	v_fmac_f64_e32 v[222:223], v[216:217], v[218:219]
	v_add_f64 v[176:177], v[176:177], v[222:223]
	ds_read_b128 v[222:225], v2 offset:1056
	v_mul_f64 v[6:7], v[216:217], v[220:221]
	v_fma_f64 v[6:7], v[214:215], v[218:219], -v[6:7]
	v_add_f64 v[4:5], v[4:5], v[6:7]
	s_waitcnt lgkmcnt(0)
	v_mul_f64 v[230:231], v[222:223], v[228:229]
	v_fmac_f64_e32 v[230:231], v[224:225], v[226:227]
	v_add_f64 v[176:177], v[176:177], v[230:231]
	ds_read_b128 v[230:233], v2 offset:1072
	v_mul_f64 v[6:7], v[224:225], v[228:229]
	v_fma_f64 v[6:7], v[222:223], v[226:227], -v[6:7]
	v_add_f64 v[4:5], v[4:5], v[6:7]
	s_waitcnt lgkmcnt(0)
	v_mul_f64 v[6:7], v[232:233], v[236:237]
	v_fma_f64 v[6:7], v[230:231], v[234:235], -v[6:7]
	v_add_f64 v[8:9], v[4:5], v[6:7]
	scratch_load_dwordx4 v[4:7], off, off offset:80
	v_mul_f64 v[238:239], v[230:231], v[236:237]
	v_fmac_f64_e32 v[238:239], v[232:233], v[234:235]
	v_add_f64 v[176:177], v[176:177], v[238:239]
	s_waitcnt vmcnt(0)
	v_add_f64 v[4:5], v[4:5], -v[8:9]
	v_add_f64 v[6:7], v[6:7], -v[176:177]
	scratch_store_dwordx4 off, v[4:7], off offset:80
	s_and_saveexec_b64 s[0:1], vcc
	s_cbranch_execz .LBB33_211
; %bb.210:
	scratch_load_dwordx4 v[6:9], off, s13
	v_mov_b32_e32 v3, v2
	v_mov_b32_e32 v4, v2
	v_mov_b32_e32 v5, v2
	scratch_store_dwordx4 off, v[2:5], off offset:64
	s_waitcnt vmcnt(1)
	ds_write_b128 v1, v[6:9]
.LBB33_211:
	s_or_b64 exec, exec, s[0:1]
	s_waitcnt lgkmcnt(0)
	; wave barrier
	ds_read_b128 v[16:19], v2 offset:608
	ds_read_b128 v[12:15], v2 offset:624
	;; [unrolled: 1-line block ×4, first 2 shown]
	scratch_load_dwordx4 v[20:23], off, off offset:80
	scratch_load_dwordx4 v[40:43], off, off offset:144
	;; [unrolled: 1-line block ×24, first 2 shown]
	v_cmp_lt_u32_e32 vcc, 2, v0
	scratch_load_dwordx4 v[48:51], off, off offset:160
	scratch_load_dwordx4 v[56:59], off, off offset:176
	;; [unrolled: 1-line block ×3, first 2 shown]
	ds_read_b128 v[244:247], v2 offset:1072
	s_waitcnt vmcnt(26) lgkmcnt(4)
	v_mul_f64 v[24:25], v[16:17], v[22:23]
	v_fmac_f64_e32 v[24:25], v[18:19], v[20:21]
	v_add_f64 v[28:29], v[24:25], 0
	scratch_load_dwordx4 v[24:27], off, off offset:96
	s_waitcnt vmcnt(0) lgkmcnt(3)
	v_mul_f64 v[30:31], v[12:13], v[26:27]
	v_fmac_f64_e32 v[30:31], v[14:15], v[24:25]
	v_add_f64 v[32:33], v[28:29], v[30:31]
	scratch_load_dwordx4 v[28:31], off, off offset:112
	v_mul_f64 v[14:15], v[14:15], v[26:27]
	v_fma_f64 v[12:13], v[12:13], v[24:25], -v[14:15]
	s_waitcnt vmcnt(0) lgkmcnt(2)
	v_mul_f64 v[34:35], v[8:9], v[30:31]
	v_fmac_f64_e32 v[34:35], v[10:11], v[28:29]
	v_add_f64 v[36:37], v[32:33], v[34:35]
	scratch_load_dwordx4 v[32:35], off, off offset:128
	v_mul_f64 v[10:11], v[10:11], v[30:31]
	v_fma_f64 v[8:9], v[8:9], v[28:29], -v[10:11]
	s_waitcnt vmcnt(0) lgkmcnt(1)
	v_mul_f64 v[38:39], v[4:5], v[34:35]
	v_fmac_f64_e32 v[38:39], v[6:7], v[32:33]
	v_add_f64 v[44:45], v[36:37], v[38:39]
	ds_read_b128 v[36:39], v2 offset:672
	v_mul_f64 v[6:7], v[6:7], v[34:35]
	v_fma_f64 v[4:5], v[4:5], v[32:33], -v[6:7]
	s_waitcnt lgkmcnt(0)
	v_mul_f64 v[46:47], v[36:37], v[42:43]
	v_fmac_f64_e32 v[46:47], v[38:39], v[40:41]
	v_add_f64 v[52:53], v[44:45], v[46:47]
	ds_read_b128 v[44:47], v2 offset:688
	s_waitcnt lgkmcnt(0)
	v_mul_f64 v[54:55], v[44:45], v[50:51]
	v_fmac_f64_e32 v[54:55], v[46:47], v[48:49]
	v_add_f64 v[60:61], v[52:53], v[54:55]
	ds_read_b128 v[52:55], v2 offset:704
	;; [unrolled: 5-line block ×24, first 2 shown]
	v_mul_f64 v[2:3], v[244:245], v[250:251]
	v_fmac_f64_e32 v[2:3], v[246:247], v[248:249]
	s_waitcnt lgkmcnt(0)
	v_mul_f64 v[238:239], v[230:231], v[236:237]
	v_fmac_f64_e32 v[238:239], v[232:233], v[234:235]
	v_add_f64 v[184:185], v[184:185], v[238:239]
	v_add_f64 v[184:185], v[184:185], v[2:3]
	v_mul_f64 v[2:3], v[18:19], v[22:23]
	v_fma_f64 v[2:3], v[16:17], v[20:21], -v[2:3]
	v_add_f64 v[2:3], v[2:3], 0
	v_add_f64 v[2:3], v[2:3], v[12:13]
	;; [unrolled: 1-line block ×4, first 2 shown]
	v_mul_f64 v[4:5], v[38:39], v[42:43]
	v_fma_f64 v[4:5], v[36:37], v[40:41], -v[4:5]
	v_add_f64 v[2:3], v[2:3], v[4:5]
	v_mul_f64 v[4:5], v[46:47], v[50:51]
	v_fma_f64 v[4:5], v[44:45], v[48:49], -v[4:5]
	v_add_f64 v[2:3], v[2:3], v[4:5]
	;; [unrolled: 3-line block ×26, first 2 shown]
	scratch_load_dwordx4 v[2:5], off, off offset:64
	s_waitcnt vmcnt(0)
	v_add_f64 v[2:3], v[2:3], -v[6:7]
	v_add_f64 v[4:5], v[4:5], -v[184:185]
	scratch_store_dwordx4 off, v[2:5], off offset:64
	s_and_saveexec_b64 s[0:1], vcc
	s_cbranch_execz .LBB33_213
; %bb.212:
	scratch_load_dwordx4 v[2:5], off, s12
	v_mov_b32_e32 v6, 0
	v_mov_b32_e32 v7, v6
	;; [unrolled: 1-line block ×4, first 2 shown]
	scratch_store_dwordx4 off, v[6:9], off offset:48
	s_waitcnt vmcnt(1)
	ds_write_b128 v1, v[2:5]
.LBB33_213:
	s_or_b64 exec, exec, s[0:1]
	s_waitcnt lgkmcnt(0)
	; wave barrier
	scratch_load_dwordx4 v[16:19], off, off offset:64
	scratch_load_dwordx4 v[12:15], off, off offset:80
	;; [unrolled: 1-line block ×32, first 2 shown]
	v_mov_b32_e32 v2, 0
	ds_read_b128 v[132:135], v2 offset:592
	ds_read_b128 v[136:139], v2 offset:608
	ds_read_b128 v[140:143], v2 offset:624
	ds_read_b128 v[144:147], v2 offset:640
	ds_read_b128 v[148:151], v2 offset:656
	ds_read_b128 v[152:155], v2 offset:672
	ds_read_b128 v[156:159], v2 offset:688
	ds_read_b128 v[160:163], v2 offset:704
	ds_read_b128 v[164:167], v2 offset:720
	ds_read_b128 v[168:171], v2 offset:736
	ds_read_b128 v[172:175], v2 offset:752
	ds_read_b128 v[176:179], v2 offset:768
	ds_read_b128 v[180:183], v2 offset:784
	ds_read_b128 v[184:187], v2 offset:800
	ds_read_b128 v[188:191], v2 offset:816
	ds_read_b128 v[192:195], v2 offset:832
	ds_read_b128 v[196:199], v2 offset:848
	v_cmp_lt_u32_e32 vcc, 1, v0
	s_waitcnt vmcnt(31) lgkmcnt(14)
	v_mul_f64 v[200:201], v[132:133], v[18:19]
	s_waitcnt vmcnt(30)
	v_mul_f64 v[202:203], v[136:137], v[14:15]
	v_fmac_f64_e32 v[200:201], v[134:135], v[16:17]
	s_waitcnt vmcnt(29)
	v_mul_f64 v[204:205], v[140:141], v[10:11]
	v_fmac_f64_e32 v[202:203], v[138:139], v[12:13]
	v_add_f64 v[200:201], v[200:201], 0
	s_waitcnt vmcnt(28) lgkmcnt(13)
	v_mul_f64 v[206:207], v[144:145], v[6:7]
	v_fmac_f64_e32 v[204:205], v[142:143], v[8:9]
	v_add_f64 v[200:201], v[200:201], v[202:203]
	s_waitcnt vmcnt(27) lgkmcnt(12)
	;; [unrolled: 4-line block ×12, first 2 shown]
	v_mul_f64 v[228:229], v[188:189], v[62:63]
	v_fmac_f64_e32 v[226:227], v[186:187], v[56:57]
	v_add_f64 v[200:201], v[200:201], v[224:225]
	v_fmac_f64_e32 v[228:229], v[190:191], v[60:61]
	v_add_f64 v[200:201], v[200:201], v[226:227]
	s_waitcnt vmcnt(16) lgkmcnt(1)
	v_mul_f64 v[202:203], v[192:193], v[66:67]
	v_add_f64 v[200:201], v[200:201], v[228:229]
	v_fmac_f64_e32 v[202:203], v[194:195], v[64:65]
	s_waitcnt vmcnt(15) lgkmcnt(0)
	v_mul_f64 v[206:207], v[196:197], v[70:71]
	v_add_f64 v[204:205], v[200:201], v[202:203]
	ds_read_b128 v[200:203], v2 offset:864
	v_fmac_f64_e32 v[206:207], v[198:199], v[68:69]
	v_add_f64 v[208:209], v[204:205], v[206:207]
	ds_read_b128 v[204:207], v2 offset:880
	v_mul_f64 v[18:19], v[134:135], v[18:19]
	s_waitcnt vmcnt(14) lgkmcnt(1)
	v_mul_f64 v[210:211], v[200:201], v[74:75]
	v_fmac_f64_e32 v[210:211], v[202:203], v[72:73]
	v_add_f64 v[212:213], v[208:209], v[210:211]
	s_waitcnt vmcnt(13) lgkmcnt(0)
	v_mul_f64 v[214:215], v[204:205], v[78:79]
	ds_read_b128 v[208:211], v2 offset:896
	v_fmac_f64_e32 v[214:215], v[206:207], v[76:77]
	v_add_f64 v[216:217], v[212:213], v[214:215]
	ds_read_b128 v[212:215], v2 offset:912
	v_fma_f64 v[246:247], v[132:133], v[16:17], -v[18:19]
	s_waitcnt vmcnt(12) lgkmcnt(1)
	v_mul_f64 v[218:219], v[208:209], v[82:83]
	v_fmac_f64_e32 v[218:219], v[210:211], v[80:81]
	v_add_f64 v[220:221], v[216:217], v[218:219]
	s_waitcnt vmcnt(11) lgkmcnt(0)
	v_mul_f64 v[222:223], v[212:213], v[86:87]
	ds_read_b128 v[216:219], v2 offset:928
	v_fmac_f64_e32 v[222:223], v[214:215], v[84:85]
	v_add_f64 v[224:225], v[220:221], v[222:223]
	ds_read_b128 v[220:223], v2 offset:944
	ds_read_b128 v[16:19], v2 offset:1024
	s_waitcnt vmcnt(10) lgkmcnt(2)
	v_mul_f64 v[226:227], v[216:217], v[90:91]
	v_fmac_f64_e32 v[226:227], v[218:219], v[88:89]
	v_add_f64 v[228:229], v[224:225], v[226:227]
	s_waitcnt vmcnt(9) lgkmcnt(1)
	v_mul_f64 v[230:231], v[220:221], v[94:95]
	ds_read_b128 v[224:227], v2 offset:960
	v_fmac_f64_e32 v[230:231], v[222:223], v[92:93]
	v_add_f64 v[232:233], v[228:229], v[230:231]
	ds_read_b128 v[228:231], v2 offset:976
	v_mul_f64 v[14:15], v[138:139], v[14:15]
	s_waitcnt vmcnt(8) lgkmcnt(1)
	v_mul_f64 v[234:235], v[224:225], v[98:99]
	v_fmac_f64_e32 v[234:235], v[226:227], v[96:97]
	v_add_f64 v[236:237], v[232:233], v[234:235]
	s_waitcnt vmcnt(7) lgkmcnt(0)
	v_mul_f64 v[238:239], v[228:229], v[102:103]
	ds_read_b128 v[232:235], v2 offset:992
	v_fmac_f64_e32 v[238:239], v[230:231], v[100:101]
	v_add_f64 v[244:245], v[236:237], v[238:239]
	ds_read_b128 v[236:239], v2 offset:1008
	v_fma_f64 v[136:137], v[136:137], v[12:13], -v[14:15]
	s_waitcnt vmcnt(6) lgkmcnt(1)
	v_mul_f64 v[132:133], v[232:233], v[106:107]
	v_fmac_f64_e32 v[132:133], v[234:235], v[104:105]
	v_add_f64 v[132:133], v[244:245], v[132:133]
	s_waitcnt vmcnt(5) lgkmcnt(0)
	v_mul_f64 v[134:135], v[236:237], v[110:111]
	v_fmac_f64_e32 v[134:135], v[238:239], v[108:109]
	v_add_f64 v[132:133], v[132:133], v[134:135]
	ds_read_b128 v[12:15], v2 offset:1040
	s_waitcnt vmcnt(4)
	v_mul_f64 v[134:135], v[16:17], v[114:115]
	v_fmac_f64_e32 v[134:135], v[18:19], v[112:113]
	v_add_f64 v[138:139], v[132:133], v[134:135]
	ds_read_b128 v[132:135], v2 offset:1056
	v_mul_f64 v[10:11], v[142:143], v[10:11]
	v_fma_f64 v[140:141], v[140:141], v[8:9], -v[10:11]
	ds_read_b128 v[8:11], v2 offset:1072
	s_waitcnt vmcnt(3) lgkmcnt(2)
	v_mul_f64 v[142:143], v[12:13], v[118:119]
	v_fmac_f64_e32 v[142:143], v[14:15], v[116:117]
	v_add_f64 v[138:139], v[138:139], v[142:143]
	s_waitcnt vmcnt(2) lgkmcnt(1)
	v_mul_f64 v[142:143], v[132:133], v[122:123]
	v_fmac_f64_e32 v[142:143], v[134:135], v[120:121]
	v_add_f64 v[138:139], v[138:139], v[142:143]
	;; [unrolled: 4-line block ×3, first 2 shown]
	v_add_f64 v[142:143], v[246:247], 0
	v_add_f64 v[136:137], v[142:143], v[136:137]
	v_mul_f64 v[6:7], v[146:147], v[6:7]
	v_add_f64 v[136:137], v[136:137], v[140:141]
	v_fma_f64 v[4:5], v[144:145], v[4:5], -v[6:7]
	v_mul_f64 v[6:7], v[150:151], v[22:23]
	v_add_f64 v[4:5], v[136:137], v[4:5]
	v_fma_f64 v[6:7], v[148:149], v[20:21], -v[6:7]
	v_add_f64 v[4:5], v[4:5], v[6:7]
	v_mul_f64 v[6:7], v[154:155], v[26:27]
	v_fma_f64 v[6:7], v[152:153], v[24:25], -v[6:7]
	v_add_f64 v[4:5], v[4:5], v[6:7]
	v_mul_f64 v[6:7], v[158:159], v[30:31]
	;; [unrolled: 3-line block ×26, first 2 shown]
	v_fma_f64 v[6:7], v[8:9], v[124:125], -v[6:7]
	v_add_f64 v[4:5], v[4:5], v[6:7]
	s_waitcnt vmcnt(0)
	v_add_f64 v[4:5], v[128:129], -v[4:5]
	v_add_f64 v[6:7], v[130:131], -v[138:139]
	scratch_store_dwordx4 off, v[4:7], off offset:48
	s_and_saveexec_b64 s[0:1], vcc
	s_cbranch_execz .LBB33_215
; %bb.214:
	scratch_load_dwordx4 v[6:9], off, s20
	v_mov_b32_e32 v3, v2
	v_mov_b32_e32 v4, v2
	;; [unrolled: 1-line block ×3, first 2 shown]
	scratch_store_dwordx4 off, v[2:5], off offset:32
	s_waitcnt vmcnt(1)
	ds_write_b128 v1, v[6:9]
.LBB33_215:
	s_or_b64 exec, exec, s[0:1]
	s_waitcnt lgkmcnt(0)
	; wave barrier
	scratch_load_dwordx4 v[140:143], off, off offset:48
	scratch_load_dwordx4 v[148:151], off, off offset:64
	;; [unrolled: 1-line block ×16, first 2 shown]
	ds_read_b128 v[188:191], v2 offset:576
	ds_read_b128 v[184:187], v2 offset:592
	scratch_load_dwordx4 v[56:59], off, off offset:304
	ds_read_b128 v[192:195], v2 offset:608
	ds_read_b128 v[68:71], v2 offset:624
	scratch_load_dwordx4 v[60:63], off, off offset:320
	ds_read_b128 v[88:91], v2 offset:640
	ds_read_b128 v[84:87], v2 offset:656
	;; [unrolled: 1-line block ×4, first 2 shown]
	scratch_load_dwordx4 v[64:67], off, off offset:336
	ds_read_b128 v[100:103], v2 offset:704
	ds_read_b128 v[96:99], v2 offset:720
	scratch_load_dwordx4 v[72:75], off, off offset:352
	ds_read_b128 v[116:119], v2 offset:736
	ds_read_b128 v[112:115], v2 offset:752
	;; [unrolled: 1-line block ×4, first 2 shown]
	scratch_load_dwordx4 v[92:95], off, off offset:368
	ds_read_b128 v[132:135], v2 offset:800
	ds_read_b128 v[128:131], v2 offset:816
	;; [unrolled: 1-line block ×3, first 2 shown]
	scratch_load_dwordx4 v[120:123], off, off offset:384
	scratch_load_dwordx4 v[136:139], off, off offset:400
	scratch_load_dwordx4 v[144:147], off, off offset:416
	scratch_load_dwordx4 v[156:159], off, off offset:432
	scratch_load_dwordx4 v[160:163], off, off offset:448
	scratch_load_dwordx4 v[164:167], off, off offset:464
	scratch_load_dwordx4 v[168:171], off, off offset:480
	scratch_load_dwordx4 v[172:175], off, off offset:496
	scratch_load_dwordx4 v[176:179], off, off offset:512
	scratch_load_dwordx4 v[180:183], off, off offset:528
	scratch_load_dwordx4 v[196:199], off, off offset:544
	v_cmp_ne_u32_e32 vcc, 0, v0
	s_waitcnt vmcnt(31) lgkmcnt(14)
	v_mul_f64 v[200:201], v[188:189], v[142:143]
	s_waitcnt vmcnt(30)
	v_mul_f64 v[202:203], v[184:185], v[150:151]
	v_fmac_f64_e32 v[200:201], v[190:191], v[140:141]
	s_waitcnt vmcnt(29)
	v_mul_f64 v[204:205], v[192:193], v[154:155]
	v_fmac_f64_e32 v[202:203], v[186:187], v[148:149]
	v_add_f64 v[200:201], v[200:201], 0
	s_waitcnt vmcnt(28) lgkmcnt(13)
	v_mul_f64 v[206:207], v[68:69], v[6:7]
	v_fmac_f64_e32 v[204:205], v[194:195], v[152:153]
	v_add_f64 v[200:201], v[200:201], v[202:203]
	s_waitcnt vmcnt(27) lgkmcnt(12)
	;; [unrolled: 4-line block ×13, first 2 shown]
	v_mul_f64 v[230:231], v[128:129], v[54:55]
	v_fmac_f64_e32 v[228:229], v[134:135], v[48:49]
	v_add_f64 v[200:201], v[200:201], v[226:227]
	v_add_f64 v[200:201], v[200:201], v[228:229]
	v_fmac_f64_e32 v[230:231], v[130:131], v[52:53]
	v_add_f64 v[204:205], v[200:201], v[230:231]
	ds_read_b128 v[200:203], v2 offset:848
	s_waitcnt vmcnt(15) lgkmcnt(1)
	v_mul_f64 v[206:207], v[124:125], v[58:59]
	v_fmac_f64_e32 v[206:207], v[126:127], v[56:57]
	v_add_f64 v[208:209], v[204:205], v[206:207]
	ds_read_b128 v[204:207], v2 offset:864
	s_waitcnt vmcnt(14) lgkmcnt(1)
	v_mul_f64 v[210:211], v[200:201], v[62:63]
	;; [unrolled: 5-line block ×10, first 2 shown]
	v_fmac_f64_e32 v[246:247], v[234:235], v[160:161]
	v_mul_f64 v[142:143], v[190:191], v[142:143]
	v_add_f64 v[246:247], v[244:245], v[246:247]
	v_fma_f64 v[244:245], v[188:189], v[140:141], -v[142:143]
	ds_read_b128 v[140:143], v2 offset:1008
	s_waitcnt vmcnt(5) lgkmcnt(1)
	v_mul_f64 v[188:189], v[236:237], v[166:167]
	v_fmac_f64_e32 v[188:189], v[238:239], v[164:165]
	v_mul_f64 v[150:151], v[186:187], v[150:151]
	v_add_f64 v[188:189], v[246:247], v[188:189]
	v_fma_f64 v[246:247], v[184:185], v[148:149], -v[150:151]
	ds_read_b128 v[148:151], v2 offset:1024
	s_waitcnt vmcnt(4) lgkmcnt(1)
	v_mul_f64 v[184:185], v[140:141], v[170:171]
	v_fmac_f64_e32 v[184:185], v[142:143], v[168:169]
	v_add_f64 v[188:189], v[188:189], v[184:185]
	ds_read_b128 v[184:187], v2 offset:1040
	v_mul_f64 v[154:155], v[194:195], v[154:155]
	s_waitcnt vmcnt(3) lgkmcnt(1)
	v_mul_f64 v[190:191], v[148:149], v[174:175]
	v_fma_f64 v[250:251], v[192:193], v[152:153], -v[154:155]
	ds_read_b128 v[152:155], v2 offset:1056
	v_fmac_f64_e32 v[190:191], v[150:151], v[172:173]
	v_add_f64 v[248:249], v[188:189], v[190:191]
	ds_read_b128 v[188:191], v2 offset:1072
	s_waitcnt vmcnt(2) lgkmcnt(2)
	v_mul_f64 v[192:193], v[184:185], v[178:179]
	v_fmac_f64_e32 v[192:193], v[186:187], v[176:177]
	v_add_f64 v[2:3], v[248:249], v[192:193]
	s_waitcnt vmcnt(1) lgkmcnt(1)
	v_mul_f64 v[192:193], v[152:153], v[182:183]
	v_fmac_f64_e32 v[192:193], v[154:155], v[180:181]
	v_add_f64 v[2:3], v[2:3], v[192:193]
	s_waitcnt vmcnt(0) lgkmcnt(0)
	v_mul_f64 v[192:193], v[188:189], v[198:199]
	v_fmac_f64_e32 v[192:193], v[190:191], v[196:197]
	v_add_f64 v[2:3], v[2:3], v[192:193]
	scratch_load_dwordx4 v[192:195], off, off offset:32
	v_add_f64 v[244:245], v[244:245], 0
	v_add_f64 v[244:245], v[244:245], v[246:247]
	v_mul_f64 v[6:7], v[70:71], v[6:7]
	v_add_f64 v[244:245], v[244:245], v[250:251]
	v_fma_f64 v[4:5], v[68:69], v[4:5], -v[6:7]
	v_mul_f64 v[6:7], v[90:91], v[10:11]
	v_add_f64 v[4:5], v[244:245], v[4:5]
	v_fma_f64 v[6:7], v[88:89], v[8:9], -v[6:7]
	v_add_f64 v[4:5], v[4:5], v[6:7]
	v_mul_f64 v[6:7], v[86:87], v[14:15]
	v_fma_f64 v[6:7], v[84:85], v[12:13], -v[6:7]
	v_add_f64 v[4:5], v[4:5], v[6:7]
	v_mul_f64 v[6:7], v[82:83], v[18:19]
	;; [unrolled: 3-line block ×27, first 2 shown]
	v_fma_f64 v[6:7], v[188:189], v[196:197], -v[6:7]
	v_add_f64 v[4:5], v[4:5], v[6:7]
	s_waitcnt vmcnt(0)
	v_add_f64 v[4:5], v[192:193], -v[4:5]
	v_add_f64 v[6:7], v[194:195], -v[2:3]
	scratch_store_dwordx4 off, v[4:7], off offset:32
	s_and_saveexec_b64 s[0:1], vcc
	s_cbranch_execz .LBB33_217
; %bb.216:
	scratch_load_dwordx4 v[2:5], off, off offset:16
	v_mov_b32_e32 v6, 0
	v_mov_b32_e32 v7, v6
	;; [unrolled: 1-line block ×4, first 2 shown]
	scratch_store_dwordx4 off, v[6:9], off offset:16
	s_waitcnt vmcnt(1)
	ds_write_b128 v1, v[2:5]
.LBB33_217:
	s_or_b64 exec, exec, s[0:1]
	s_waitcnt lgkmcnt(0)
	; wave barrier
	scratch_load_dwordx4 v[108:111], off, off offset:32
	scratch_load_dwordx4 v[116:119], off, off offset:48
	;; [unrolled: 1-line block ×33, first 2 shown]
	v_mov_b32_e32 v244, 0
	ds_read_b128 v[224:227], v244 offset:560
	ds_read_b128 v[228:231], v244 offset:576
	ds_read_b128 v[232:235], v244 offset:592
	ds_read_b128 v[236:239], v244 offset:608
	ds_read_b128 v[176:179], v244 offset:624
	ds_read_b128 v[172:175], v244 offset:640
	ds_read_b128 v[168:171], v244 offset:656
	ds_read_b128 v[164:167], v244 offset:672
	ds_read_b128 v[160:163], v244 offset:688
	ds_read_b128 v[156:159], v244 offset:704
	ds_read_b128 v[152:155], v244 offset:720
	ds_read_b128 v[148:151], v244 offset:736
	ds_read_b128 v[144:147], v244 offset:752
	ds_read_b128 v[140:143], v244 offset:768
	ds_read_b128 v[136:139], v244 offset:784
	ds_read_b128 v[132:135], v244 offset:800
	s_and_b64 vcc, exec, s[18:19]
	ds_read_b128 v[216:219], v244 offset:960
	s_waitcnt vmcnt(32) lgkmcnt(14)
	v_mul_f64 v[180:181], v[224:225], v[110:111]
	s_waitcnt vmcnt(31)
	v_mul_f64 v[182:183], v[228:229], v[118:119]
	v_fmac_f64_e32 v[180:181], v[226:227], v[108:109]
	s_waitcnt vmcnt(30)
	v_mul_f64 v[184:185], v[232:233], v[122:123]
	v_fmac_f64_e32 v[182:183], v[230:231], v[116:117]
	v_add_f64 v[180:181], v[180:181], 0
	s_waitcnt vmcnt(29) lgkmcnt(13)
	v_mul_f64 v[186:187], v[236:237], v[126:127]
	v_fmac_f64_e32 v[184:185], v[234:235], v[120:121]
	v_add_f64 v[180:181], v[180:181], v[182:183]
	s_waitcnt vmcnt(28) lgkmcnt(12)
	;; [unrolled: 4-line block ×12, first 2 shown]
	v_mul_f64 v[208:209], v[136:137], v[42:43]
	v_fmac_f64_e32 v[206:207], v[142:143], v[36:37]
	v_add_f64 v[180:181], v[180:181], v[204:205]
	v_fmac_f64_e32 v[208:209], v[138:139], v[40:41]
	v_add_f64 v[180:181], v[180:181], v[206:207]
	v_add_f64 v[184:185], v[180:181], v[208:209]
	ds_read_b128 v[180:183], v244 offset:816
	s_waitcnt vmcnt(17) lgkmcnt(2)
	v_mul_f64 v[186:187], v[132:133], v[46:47]
	v_fmac_f64_e32 v[186:187], v[134:135], v[44:45]
	v_add_f64 v[188:189], v[184:185], v[186:187]
	ds_read_b128 v[184:187], v244 offset:832
	s_waitcnt vmcnt(16) lgkmcnt(1)
	v_mul_f64 v[190:191], v[180:181], v[50:51]
	v_fmac_f64_e32 v[190:191], v[182:183], v[48:49]
	;; [unrolled: 5-line block ×9, first 2 shown]
	v_add_f64 v[220:221], v[220:221], v[222:223]
	v_mul_f64 v[110:111], v[226:227], v[110:111]
	s_waitcnt vmcnt(8) lgkmcnt(0)
	v_mul_f64 v[222:223], v[212:213], v[82:83]
	v_fmac_f64_e32 v[222:223], v[214:215], v[80:81]
	v_add_f64 v[246:247], v[220:221], v[222:223]
	ds_read_b128 v[220:223], v244 offset:976
	v_fma_f64 v[248:249], v[224:225], v[108:109], -v[110:111]
	ds_read_b128 v[108:111], v244 offset:992
	s_waitcnt vmcnt(7)
	v_mul_f64 v[224:225], v[216:217], v[86:87]
	v_fmac_f64_e32 v[224:225], v[218:219], v[84:85]
	s_waitcnt vmcnt(6) lgkmcnt(1)
	v_mul_f64 v[226:227], v[220:221], v[90:91]
	v_add_f64 v[224:225], v[246:247], v[224:225]
	v_fmac_f64_e32 v[226:227], v[222:223], v[88:89]
	v_mul_f64 v[118:119], v[230:231], v[118:119]
	v_add_f64 v[224:225], v[224:225], v[226:227]
	v_fma_f64 v[246:247], v[228:229], v[116:117], -v[118:119]
	ds_read_b128 v[116:119], v244 offset:1008
	s_waitcnt vmcnt(5) lgkmcnt(1)
	v_mul_f64 v[226:227], v[108:109], v[94:95]
	v_fmac_f64_e32 v[226:227], v[110:111], v[92:93]
	v_add_f64 v[228:229], v[224:225], v[226:227]
	ds_read_b128 v[224:227], v244 offset:1024
	v_mul_f64 v[122:123], v[234:235], v[122:123]
	s_waitcnt vmcnt(4) lgkmcnt(1)
	v_mul_f64 v[230:231], v[116:117], v[98:99]
	v_fma_f64 v[234:235], v[232:233], v[120:121], -v[122:123]
	ds_read_b128 v[120:123], v244 offset:1040
	v_fmac_f64_e32 v[230:231], v[118:119], v[96:97]
	v_mul_f64 v[126:127], v[238:239], v[126:127]
	v_add_f64 v[228:229], v[228:229], v[230:231]
	s_waitcnt vmcnt(3) lgkmcnt(1)
	v_mul_f64 v[230:231], v[224:225], v[102:103]
	v_fma_f64 v[236:237], v[236:237], v[124:125], -v[126:127]
	ds_read_b128 v[124:127], v244 offset:1056
	v_fmac_f64_e32 v[230:231], v[226:227], v[100:101]
	v_add_f64 v[232:233], v[228:229], v[230:231]
	ds_read_b128 v[228:231], v244 offset:1072
	s_waitcnt vmcnt(2) lgkmcnt(2)
	v_mul_f64 v[238:239], v[120:121], v[106:107]
	v_fmac_f64_e32 v[238:239], v[122:123], v[104:105]
	v_add_f64 v[232:233], v[232:233], v[238:239]
	s_waitcnt vmcnt(1) lgkmcnt(1)
	v_mul_f64 v[238:239], v[124:125], v[114:115]
	v_fmac_f64_e32 v[238:239], v[126:127], v[112:113]
	v_add_f64 v[232:233], v[232:233], v[238:239]
	;; [unrolled: 4-line block ×3, first 2 shown]
	v_add_f64 v[238:239], v[248:249], 0
	v_add_f64 v[238:239], v[238:239], v[246:247]
	scratch_load_dwordx4 v[246:249], off, off offset:16
	v_add_f64 v[234:235], v[238:239], v[234:235]
	v_mul_f64 v[2:3], v[178:179], v[2:3]
	v_add_f64 v[234:235], v[234:235], v[236:237]
	v_fma_f64 v[0:1], v[176:177], v[0:1], -v[2:3]
	v_mul_f64 v[2:3], v[174:175], v[6:7]
	v_add_f64 v[0:1], v[234:235], v[0:1]
	v_fma_f64 v[2:3], v[172:173], v[4:5], -v[2:3]
	v_add_f64 v[0:1], v[0:1], v[2:3]
	v_mul_f64 v[2:3], v[170:171], v[10:11]
	v_fma_f64 v[2:3], v[168:169], v[8:9], -v[2:3]
	v_add_f64 v[0:1], v[0:1], v[2:3]
	v_mul_f64 v[2:3], v[166:167], v[14:15]
	;; [unrolled: 3-line block ×27, first 2 shown]
	v_fma_f64 v[2:3], v[228:229], v[128:129], -v[2:3]
	v_add_f64 v[0:1], v[0:1], v[2:3]
	s_waitcnt vmcnt(0)
	v_add_f64 v[0:1], v[246:247], -v[0:1]
	v_add_f64 v[2:3], v[248:249], -v[232:233]
	scratch_store_dwordx4 off, v[0:3], off offset:16
	s_cbranch_vccz .LBB33_284
; %bb.218:
	global_load_dword v0, v244, s[16:17] offset:128
	s_waitcnt vmcnt(0)
	v_readfirstlane_b32 s0, v0
	s_add_i32 s0, s0, -1
	s_cmp_lg_u32 s0, 32
	s_cbranch_scc0 .LBB33_220
; %bb.219:
	s_lshl_b32 s0, s0, 4
	s_add_i32 s0, s0, 16
	scratch_load_dwordx4 v[0:3], off, s0
	scratch_load_dwordx4 v[4:7], off, s45
	s_waitcnt vmcnt(1)
	scratch_store_dwordx4 off, v[0:3], s45
	s_waitcnt vmcnt(1)
	scratch_store_dwordx4 off, v[4:7], s0
.LBB33_220:
	v_mov_b32_e32 v0, 0
	global_load_dword v1, v0, s[16:17] offset:124
	s_waitcnt vmcnt(0)
	v_readfirstlane_b32 s0, v1
	s_add_i32 s0, s0, -1
	s_cmp_eq_u32 s0, 31
	s_cbranch_scc1 .LBB33_222
; %bb.221:
	s_lshl_b32 s0, s0, 4
	s_add_i32 s0, s0, 16
	scratch_load_dwordx4 v[2:5], off, s0
	scratch_load_dwordx4 v[6:9], off, s44
	s_waitcnt vmcnt(1)
	scratch_store_dwordx4 off, v[2:5], s44
	s_waitcnt vmcnt(1)
	scratch_store_dwordx4 off, v[6:9], s0
.LBB33_222:
	global_load_dword v0, v0, s[16:17] offset:120
	s_waitcnt vmcnt(0)
	v_readfirstlane_b32 s0, v0
	s_add_i32 s0, s0, -1
	s_cmp_eq_u32 s0, 30
	s_cbranch_scc1 .LBB33_224
; %bb.223:
	s_lshl_b32 s0, s0, 4
	s_add_i32 s0, s0, 16
	scratch_load_dwordx4 v[0:3], off, s0
	scratch_load_dwordx4 v[4:7], off, s43
	s_waitcnt vmcnt(1)
	scratch_store_dwordx4 off, v[0:3], s43
	s_waitcnt vmcnt(1)
	scratch_store_dwordx4 off, v[4:7], s0
.LBB33_224:
	v_mov_b32_e32 v0, 0
	global_load_dword v1, v0, s[16:17] offset:116
	s_waitcnt vmcnt(0)
	v_readfirstlane_b32 s0, v1
	s_add_i32 s0, s0, -1
	s_cmp_eq_u32 s0, 29
	s_cbranch_scc1 .LBB33_226
; %bb.225:
	s_lshl_b32 s0, s0, 4
	s_add_i32 s0, s0, 16
	scratch_load_dwordx4 v[2:5], off, s0
	scratch_load_dwordx4 v[6:9], off, s42
	s_waitcnt vmcnt(1)
	scratch_store_dwordx4 off, v[2:5], s42
	s_waitcnt vmcnt(1)
	scratch_store_dwordx4 off, v[6:9], s0
.LBB33_226:
	global_load_dword v0, v0, s[16:17] offset:112
	s_waitcnt vmcnt(0)
	v_readfirstlane_b32 s0, v0
	s_add_i32 s0, s0, -1
	s_cmp_eq_u32 s0, 28
	s_cbranch_scc1 .LBB33_228
; %bb.227:
	s_lshl_b32 s0, s0, 4
	s_add_i32 s0, s0, 16
	scratch_load_dwordx4 v[0:3], off, s0
	scratch_load_dwordx4 v[4:7], off, s41
	s_waitcnt vmcnt(1)
	scratch_store_dwordx4 off, v[0:3], s41
	s_waitcnt vmcnt(1)
	scratch_store_dwordx4 off, v[4:7], s0
.LBB33_228:
	;; [unrolled: 33-line block ×15, first 2 shown]
	v_mov_b32_e32 v0, 0
	global_load_dword v1, v0, s[16:17] offset:4
	s_waitcnt vmcnt(0)
	v_readfirstlane_b32 s0, v1
	s_add_i32 s0, s0, -1
	s_cmp_eq_u32 s0, 1
	s_cbranch_scc1 .LBB33_282
; %bb.281:
	s_lshl_b32 s0, s0, 4
	s_add_i32 s0, s0, 16
	scratch_load_dwordx4 v[2:5], off, s0
	scratch_load_dwordx4 v[6:9], off, s20
	s_waitcnt vmcnt(1)
	scratch_store_dwordx4 off, v[2:5], s20
	s_waitcnt vmcnt(1)
	scratch_store_dwordx4 off, v[6:9], s0
.LBB33_282:
	global_load_dword v0, v0, s[16:17]
	s_waitcnt vmcnt(0)
	v_readfirstlane_b32 s0, v0
	s_add_i32 s0, s0, -1
	s_cmp_eq_u32 s0, 0
	s_cbranch_scc1 .LBB33_284
; %bb.283:
	s_lshl_b32 s0, s0, 4
	s_add_i32 s0, s0, 16
	scratch_load_dwordx4 v[0:3], off, s0
	scratch_load_dwordx4 v[4:7], off, off offset:16
	s_waitcnt vmcnt(1)
	scratch_store_dwordx4 off, v[0:3], off offset:16
	s_waitcnt vmcnt(1)
	scratch_store_dwordx4 off, v[4:7], s0
.LBB33_284:
	scratch_load_dwordx4 v[0:3], off, off offset:16
	s_nop 0
	scratch_load_dwordx4 v[4:7], off, s20
	scratch_load_dwordx4 v[8:11], off, s12
	;; [unrolled: 1-line block ×14, first 2 shown]
                                        ; kill: killed $sgpr49
                                        ; kill: killed $sgpr20
                                        ; kill: killed $sgpr25
                                        ; kill: killed $sgpr48
                                        ; kill: killed $sgpr23
                                        ; kill: killed $sgpr47
                                        ; kill: killed $sgpr21
                                        ; kill: killed $sgpr26
                                        ; kill: killed $sgpr14
                                        ; kill: killed $sgpr24
                                        ; kill: killed $sgpr13
                                        ; kill: killed $sgpr22
                                        ; kill: killed $sgpr12
                                        ; kill: killed $sgpr15
	scratch_load_dwordx4 v[60:63], off, s27
	scratch_load_dwordx4 v[64:67], off, s28
	;; [unrolled: 1-line block ×19, first 2 shown]
	v_accvgpr_read_b32 v137, a1
	v_accvgpr_read_b32 v136, a0
	s_waitcnt vmcnt(33)
	global_store_dwordx4 v[136:137], v[0:3], off
	s_nop 1
	v_accvgpr_read_b32 v0, a2
	v_accvgpr_read_b32 v1, a3
	s_waitcnt vmcnt(33)
	global_store_dwordx4 v[0:1], v[4:7], off
	v_accvgpr_read_b32 v0, a4
	v_accvgpr_read_b32 v1, a5
	s_waitcnt vmcnt(33)
	global_store_dwordx4 v[0:1], v[8:11], off
	;; [unrolled: 4-line block ×29, first 2 shown]
	s_waitcnt vmcnt(33)
	global_store_dwordx4 v[252:253], v[120:123], off
	s_waitcnt vmcnt(33)
	global_store_dwordx4 v[254:255], v[124:127], off
	;; [unrolled: 2-line block ×4, first 2 shown]
	s_endpgm
	.section	.rodata,"a",@progbits
	.p2align	6, 0x0
	.amdhsa_kernel _ZN9rocsolver6v33100L18getri_kernel_smallILi34E19rocblas_complex_numIdEPS3_EEvT1_iilPiilS6_bb
		.amdhsa_group_segment_fixed_size 1096
		.amdhsa_private_segment_fixed_size 576
		.amdhsa_kernarg_size 60
		.amdhsa_user_sgpr_count 2
		.amdhsa_user_sgpr_dispatch_ptr 0
		.amdhsa_user_sgpr_queue_ptr 0
		.amdhsa_user_sgpr_kernarg_segment_ptr 1
		.amdhsa_user_sgpr_dispatch_id 0
		.amdhsa_user_sgpr_kernarg_preload_length 0
		.amdhsa_user_sgpr_kernarg_preload_offset 0
		.amdhsa_user_sgpr_private_segment_size 0
		.amdhsa_uses_dynamic_stack 0
		.amdhsa_enable_private_segment 1
		.amdhsa_system_sgpr_workgroup_id_x 1
		.amdhsa_system_sgpr_workgroup_id_y 0
		.amdhsa_system_sgpr_workgroup_id_z 0
		.amdhsa_system_sgpr_workgroup_info 0
		.amdhsa_system_vgpr_workitem_id 0
		.amdhsa_next_free_vgpr 316
		.amdhsa_next_free_sgpr 50
		.amdhsa_accum_offset 256
		.amdhsa_reserve_vcc 1
		.amdhsa_float_round_mode_32 0
		.amdhsa_float_round_mode_16_64 0
		.amdhsa_float_denorm_mode_32 3
		.amdhsa_float_denorm_mode_16_64 3
		.amdhsa_dx10_clamp 1
		.amdhsa_ieee_mode 1
		.amdhsa_fp16_overflow 0
		.amdhsa_tg_split 0
		.amdhsa_exception_fp_ieee_invalid_op 0
		.amdhsa_exception_fp_denorm_src 0
		.amdhsa_exception_fp_ieee_div_zero 0
		.amdhsa_exception_fp_ieee_overflow 0
		.amdhsa_exception_fp_ieee_underflow 0
		.amdhsa_exception_fp_ieee_inexact 0
		.amdhsa_exception_int_div_zero 0
	.end_amdhsa_kernel
	.section	.text._ZN9rocsolver6v33100L18getri_kernel_smallILi34E19rocblas_complex_numIdEPS3_EEvT1_iilPiilS6_bb,"axG",@progbits,_ZN9rocsolver6v33100L18getri_kernel_smallILi34E19rocblas_complex_numIdEPS3_EEvT1_iilPiilS6_bb,comdat
.Lfunc_end33:
	.size	_ZN9rocsolver6v33100L18getri_kernel_smallILi34E19rocblas_complex_numIdEPS3_EEvT1_iilPiilS6_bb, .Lfunc_end33-_ZN9rocsolver6v33100L18getri_kernel_smallILi34E19rocblas_complex_numIdEPS3_EEvT1_iilPiilS6_bb
                                        ; -- End function
	.set _ZN9rocsolver6v33100L18getri_kernel_smallILi34E19rocblas_complex_numIdEPS3_EEvT1_iilPiilS6_bb.num_vgpr, 256
	.set _ZN9rocsolver6v33100L18getri_kernel_smallILi34E19rocblas_complex_numIdEPS3_EEvT1_iilPiilS6_bb.num_agpr, 60
	.set _ZN9rocsolver6v33100L18getri_kernel_smallILi34E19rocblas_complex_numIdEPS3_EEvT1_iilPiilS6_bb.numbered_sgpr, 50
	.set _ZN9rocsolver6v33100L18getri_kernel_smallILi34E19rocblas_complex_numIdEPS3_EEvT1_iilPiilS6_bb.num_named_barrier, 0
	.set _ZN9rocsolver6v33100L18getri_kernel_smallILi34E19rocblas_complex_numIdEPS3_EEvT1_iilPiilS6_bb.private_seg_size, 576
	.set _ZN9rocsolver6v33100L18getri_kernel_smallILi34E19rocblas_complex_numIdEPS3_EEvT1_iilPiilS6_bb.uses_vcc, 1
	.set _ZN9rocsolver6v33100L18getri_kernel_smallILi34E19rocblas_complex_numIdEPS3_EEvT1_iilPiilS6_bb.uses_flat_scratch, 0
	.set _ZN9rocsolver6v33100L18getri_kernel_smallILi34E19rocblas_complex_numIdEPS3_EEvT1_iilPiilS6_bb.has_dyn_sized_stack, 0
	.set _ZN9rocsolver6v33100L18getri_kernel_smallILi34E19rocblas_complex_numIdEPS3_EEvT1_iilPiilS6_bb.has_recursion, 0
	.set _ZN9rocsolver6v33100L18getri_kernel_smallILi34E19rocblas_complex_numIdEPS3_EEvT1_iilPiilS6_bb.has_indirect_call, 0
	.section	.AMDGPU.csdata,"",@progbits
; Kernel info:
; codeLenInByte = 52976
; TotalNumSgprs: 56
; NumVgprs: 256
; NumAgprs: 60
; TotalNumVgprs: 316
; ScratchSize: 576
; MemoryBound: 0
; FloatMode: 240
; IeeeMode: 1
; LDSByteSize: 1096 bytes/workgroup (compile time only)
; SGPRBlocks: 6
; VGPRBlocks: 39
; NumSGPRsForWavesPerEU: 56
; NumVGPRsForWavesPerEU: 316
; AccumOffset: 256
; Occupancy: 1
; WaveLimiterHint : 1
; COMPUTE_PGM_RSRC2:SCRATCH_EN: 1
; COMPUTE_PGM_RSRC2:USER_SGPR: 2
; COMPUTE_PGM_RSRC2:TRAP_HANDLER: 0
; COMPUTE_PGM_RSRC2:TGID_X_EN: 1
; COMPUTE_PGM_RSRC2:TGID_Y_EN: 0
; COMPUTE_PGM_RSRC2:TGID_Z_EN: 0
; COMPUTE_PGM_RSRC2:TIDIG_COMP_CNT: 0
; COMPUTE_PGM_RSRC3_GFX90A:ACCUM_OFFSET: 63
; COMPUTE_PGM_RSRC3_GFX90A:TG_SPLIT: 0
	.section	.text._ZN9rocsolver6v33100L18getri_kernel_smallILi35E19rocblas_complex_numIdEPS3_EEvT1_iilPiilS6_bb,"axG",@progbits,_ZN9rocsolver6v33100L18getri_kernel_smallILi35E19rocblas_complex_numIdEPS3_EEvT1_iilPiilS6_bb,comdat
	.globl	_ZN9rocsolver6v33100L18getri_kernel_smallILi35E19rocblas_complex_numIdEPS3_EEvT1_iilPiilS6_bb ; -- Begin function _ZN9rocsolver6v33100L18getri_kernel_smallILi35E19rocblas_complex_numIdEPS3_EEvT1_iilPiilS6_bb
	.p2align	8
	.type	_ZN9rocsolver6v33100L18getri_kernel_smallILi35E19rocblas_complex_numIdEPS3_EEvT1_iilPiilS6_bb,@function
_ZN9rocsolver6v33100L18getri_kernel_smallILi35E19rocblas_complex_numIdEPS3_EEvT1_iilPiilS6_bb: ; @_ZN9rocsolver6v33100L18getri_kernel_smallILi35E19rocblas_complex_numIdEPS3_EEvT1_iilPiilS6_bb
; %bb.0:
	v_cmp_gt_u32_e32 vcc, 35, v0
	s_and_saveexec_b64 s[4:5], vcc
	s_cbranch_execz .LBB34_154
; %bb.1:
	s_load_dword s8, s[0:1], 0x38
	s_load_dwordx4 s[12:15], s[0:1], 0x10
	s_load_dwordx4 s[4:7], s[0:1], 0x28
                                        ; implicit-def: $sgpr16_sgpr17
	s_waitcnt lgkmcnt(0)
	s_bitcmp1_b32 s8, 8
	s_cselect_b64 s[18:19], -1, 0
	s_ashr_i32 s3, s2, 31
	s_bfe_u32 s8, s8, 0x10008
	s_cmp_eq_u32 s8, 0
	s_cbranch_scc1 .LBB34_3
; %bb.2:
	s_load_dword s8, s[0:1], 0x20
	s_mul_i32 s9, s4, s3
	s_mul_hi_u32 s10, s4, s2
	s_mul_i32 s5, s5, s2
	s_add_i32 s10, s10, s9
	s_add_i32 s5, s10, s5
	s_mul_i32 s4, s4, s2
	s_waitcnt lgkmcnt(0)
	s_ashr_i32 s9, s8, 31
	s_lshl_b64 s[4:5], s[4:5], 2
	s_add_u32 s10, s14, s4
	s_addc_u32 s11, s15, s5
	s_lshl_b64 s[4:5], s[8:9], 2
	s_add_u32 s16, s10, s4
	s_addc_u32 s17, s11, s5
.LBB34_3:
	s_load_dwordx4 s[8:11], s[0:1], 0x0
	s_load_dword s4, s[0:1], 0x38
	s_mul_i32 s5, s12, s3
	s_mul_hi_u32 s14, s12, s2
	s_add_i32 s5, s14, s5
	s_waitcnt lgkmcnt(0)
	s_ashr_i32 s1, s10, 31
	s_mov_b32 s0, s10
	s_mul_i32 s10, s13, s2
	s_add_i32 s13, s5, s10
	s_mul_i32 s12, s12, s2
	s_lshl_b64 s[12:13], s[12:13], 4
	s_add_u32 s5, s8, s12
	s_addc_u32 s8, s9, s13
	s_lshl_b64 s[0:1], s[0:1], 4
	s_add_u32 s0, s5, s0
	s_addc_u32 s1, s8, s1
	s_add_i32 s5, s11, s11
	v_add_u32_e32 v14, s5, v0
	v_ashrrev_i32_e32 v15, 31, v14
	v_lshl_add_u64 v[10:11], v[14:15], 4, s[0:1]
	v_add_u32_e32 v14, s11, v14
	v_add_u32_e32 v22, s11, v14
	v_ashrrev_i32_e32 v23, 31, v22
	v_lshl_add_u64 v[18:19], v[22:23], 4, s[0:1]
	v_add_u32_e32 v22, s11, v22
	;; [unrolled: 4-line block ×3, first 2 shown]
	v_ashrrev_i32_e32 v31, 31, v30
	v_lshl_add_u64 v[32:33], v[30:31], 4, s[0:1]
	v_add_u32_e32 v30, s11, v30
	v_add_u32_e32 v38, s11, v30
	;; [unrolled: 1-line block ×6, first 2 shown]
	v_ashrrev_i32_e32 v57, 31, v56
	v_lshl_add_u64 v[58:59], v[56:57], 4, s[0:1]
	v_add_u32_e32 v56, s11, v56
	v_add_u32_e32 v64, s11, v56
	;; [unrolled: 1-line block ×5, first 2 shown]
	v_ashrrev_i32_e32 v81, 31, v80
	v_lshl_add_u64 v[76:77], v[80:81], 4, s[0:1]
	v_add_u32_e32 v80, s11, v80
	v_add_u32_e32 v88, s11, v80
	v_ashrrev_i32_e32 v89, 31, v88
	v_lshl_add_u64 v[84:85], v[88:89], 4, s[0:1]
	v_add_u32_e32 v88, s11, v88
	v_add_u32_e32 v96, s11, v88
	;; [unrolled: 4-line block ×7, first 2 shown]
	v_lshlrev_b32_e32 v46, 4, v0
	v_mov_b32_e32 v47, 0
	v_ashrrev_i32_e32 v137, 31, v136
	v_lshl_add_u64 v[6:7], s[0:1], 0, v[46:47]
	v_lshl_add_u64 v[240:241], v[136:137], 4, s[0:1]
	v_add_u32_e32 v136, s11, v136
	s_ashr_i32 s9, s11, 31
	s_mov_b32 s8, s11
	v_accvgpr_write_b32 a0, v6
	v_ashrrev_i32_e32 v15, 31, v14
	v_ashrrev_i32_e32 v23, 31, v22
	;; [unrolled: 1-line block ×18, first 2 shown]
	v_accvgpr_write_b32 a1, v7
	v_lshl_add_u64 v[6:7], s[8:9], 4, v[6:7]
	v_lshl_add_u64 v[16:17], v[14:15], 4, s[0:1]
	;; [unrolled: 1-line block ×18, first 2 shown]
	v_ashrrev_i32_e32 v129, 31, v128
	v_lshl_add_u64 v[242:243], v[136:137], 4, s[0:1]
	v_add_u32_e32 v136, s11, v136
	v_accvgpr_write_b32 a2, v6
	v_accvgpr_write_b32 a4, v10
	;; [unrolled: 1-line block ×30, first 2 shown]
	v_lshl_add_u64 v[254:255], v[128:129], 4, s[0:1]
	v_ashrrev_i32_e32 v137, 31, v136
	global_load_dwordx4 v[2:5], v46, s[0:1]
	v_accvgpr_write_b32 a3, v7
	global_load_dwordx4 v[6:9], v[6:7], off
	v_accvgpr_write_b32 a5, v11
	global_load_dwordx4 v[10:13], v[10:11], off
	;; [unrolled: 2-line block ×30, first 2 shown]
	s_nop 0
	global_load_dwordx4 v[128:131], v[254:255], off
	global_load_dwordx4 v[132:135], v[240:241], off
	v_lshl_add_u64 v[244:245], v[136:137], 4, s[0:1]
	global_load_dwordx4 v[136:139], v[242:243], off
	global_load_dwordx4 v[140:143], v[244:245], off
	s_movk_i32 s0, 0x50
	s_add_i32 s21, s0, 16
	s_movk_i32 s0, 0x60
	s_add_i32 s23, s0, 16
	;; [unrolled: 2-line block ×30, first 2 shown]
	s_mov_b32 s20, 32
	s_mov_b32 s12, 48
	s_mov_b32 s13, 64
	s_movk_i32 s14, 0x50
	s_bitcmp0_b32 s4, 0
	s_mov_b64 s[4:5], -1
	s_waitcnt vmcnt(34)
	scratch_store_dwordx4 off, v[2:5], off offset:16
	s_waitcnt vmcnt(34)
	scratch_store_dwordx4 off, v[6:9], off offset:32
	;; [unrolled: 2-line block ×35, first 2 shown]
	s_cbranch_scc1 .LBB34_152
; %bb.4:
	v_cmp_eq_u32_e64 s[0:1], 0, v0
	s_and_saveexec_b64 s[4:5], s[0:1]
; %bb.5:
	v_mov_b32_e32 v1, 0
	ds_write_b32 v1, v1 offset:1120
; %bb.6:
	s_or_b64 exec, exec, s[4:5]
	s_waitcnt lgkmcnt(0)
	; wave barrier
	scratch_load_dwordx4 v[2:5], v46, off offset:16
	s_waitcnt vmcnt(0)
	v_cmp_eq_f64_e32 vcc, 0, v[2:3]
	v_cmp_eq_f64_e64 s[4:5], 0, v[4:5]
	s_and_b64 s[4:5], vcc, s[4:5]
	s_and_saveexec_b64 s[8:9], s[4:5]
	s_cbranch_execz .LBB34_10
; %bb.7:
	v_mov_b32_e32 v1, 0
	ds_read_b32 v3, v1 offset:1120
	v_add_u32_e32 v2, 1, v0
	s_waitcnt lgkmcnt(0)
	v_readfirstlane_b32 s4, v3
	s_cmp_eq_u32 s4, 0
	s_cselect_b64 s[10:11], -1, 0
	v_cmp_gt_i32_e32 vcc, s4, v2
	s_or_b64 s[10:11], s[10:11], vcc
	s_and_b64 exec, exec, s[10:11]
	s_cbranch_execz .LBB34_10
; %bb.8:
	s_mov_b64 s[10:11], 0
	v_mov_b32_e32 v3, s4
.LBB34_9:                               ; =>This Inner Loop Header: Depth=1
	ds_cmpst_rtn_b32 v3, v1, v3, v2 offset:1120
	s_waitcnt lgkmcnt(0)
	v_cmp_ne_u32_e32 vcc, 0, v3
	v_cmp_le_i32_e64 s[4:5], v3, v2
	s_and_b64 s[4:5], vcc, s[4:5]
	s_and_b64 s[4:5], exec, s[4:5]
	s_or_b64 s[10:11], s[4:5], s[10:11]
	s_andn2_b64 exec, exec, s[10:11]
	s_cbranch_execnz .LBB34_9
.LBB34_10:
	s_or_b64 exec, exec, s[8:9]
	v_mov_b32_e32 v2, 0
	; wave barrier
	ds_read_b32 v1, v2 offset:1120
	s_and_saveexec_b64 s[4:5], s[0:1]
	s_cbranch_execz .LBB34_12
; %bb.11:
	s_lshl_b64 s[8:9], s[2:3], 2
	s_add_u32 s8, s6, s8
	s_addc_u32 s9, s7, s9
	s_waitcnt lgkmcnt(0)
	global_store_dword v2, v1, s[8:9]
.LBB34_12:
	s_or_b64 exec, exec, s[4:5]
	s_waitcnt lgkmcnt(0)
	v_cmp_ne_u32_e32 vcc, 0, v1
	s_mov_b64 s[4:5], 0
	s_cbranch_vccnz .LBB34_152
; %bb.13:
	v_add_u32_e32 v14, 16, v46
	scratch_load_dwordx4 v[2:5], v14, off
                                        ; implicit-def: $vgpr6_vgpr7
                                        ; implicit-def: $vgpr10_vgpr11
	s_waitcnt vmcnt(0)
	v_cmp_ngt_f64_e64 s[4:5], |v[2:3]|, |v[4:5]|
	s_and_saveexec_b64 s[8:9], s[4:5]
	s_xor_b64 s[4:5], exec, s[8:9]
	s_cbranch_execz .LBB34_15
; %bb.14:
	v_div_scale_f64 v[6:7], s[8:9], v[4:5], v[4:5], v[2:3]
	v_rcp_f64_e32 v[8:9], v[6:7]
	v_div_scale_f64 v[10:11], vcc, v[2:3], v[4:5], v[2:3]
	v_fma_f64 v[12:13], -v[6:7], v[8:9], 1.0
	v_fmac_f64_e32 v[8:9], v[8:9], v[12:13]
	v_fma_f64 v[12:13], -v[6:7], v[8:9], 1.0
	v_fmac_f64_e32 v[8:9], v[8:9], v[12:13]
	v_mul_f64 v[12:13], v[10:11], v[8:9]
	v_fma_f64 v[6:7], -v[6:7], v[12:13], v[10:11]
	v_div_fmas_f64 v[6:7], v[6:7], v[8:9], v[12:13]
	v_div_fixup_f64 v[6:7], v[6:7], v[4:5], v[2:3]
	v_fmac_f64_e32 v[4:5], v[2:3], v[6:7]
	v_div_scale_f64 v[2:3], s[8:9], v[4:5], v[4:5], 1.0
	v_rcp_f64_e32 v[8:9], v[2:3]
	s_nop 0
	v_fma_f64 v[10:11], -v[2:3], v[8:9], 1.0
	v_fmac_f64_e32 v[8:9], v[8:9], v[10:11]
	v_fma_f64 v[10:11], -v[2:3], v[8:9], 1.0
	v_fmac_f64_e32 v[8:9], v[8:9], v[10:11]
	v_div_scale_f64 v[10:11], vcc, 1.0, v[4:5], 1.0
	v_mul_f64 v[12:13], v[10:11], v[8:9]
	v_fma_f64 v[2:3], -v[2:3], v[12:13], v[10:11]
	s_nop 1
	v_div_fmas_f64 v[2:3], v[2:3], v[8:9], v[12:13]
	v_div_fixup_f64 v[8:9], v[2:3], v[4:5], 1.0
	v_mul_f64 v[6:7], v[6:7], v[8:9]
	v_xor_b32_e32 v9, 0x80000000, v9
	v_xor_b32_e32 v11, 0x80000000, v7
	v_mov_b32_e32 v10, v6
                                        ; implicit-def: $vgpr2_vgpr3
.LBB34_15:
	s_andn2_saveexec_b64 s[4:5], s[4:5]
	s_cbranch_execz .LBB34_17
; %bb.16:
	v_div_scale_f64 v[6:7], s[8:9], v[2:3], v[2:3], v[4:5]
	v_rcp_f64_e32 v[8:9], v[6:7]
	v_div_scale_f64 v[10:11], vcc, v[4:5], v[2:3], v[4:5]
	v_fma_f64 v[12:13], -v[6:7], v[8:9], 1.0
	v_fmac_f64_e32 v[8:9], v[8:9], v[12:13]
	v_fma_f64 v[12:13], -v[6:7], v[8:9], 1.0
	v_fmac_f64_e32 v[8:9], v[8:9], v[12:13]
	v_mul_f64 v[12:13], v[10:11], v[8:9]
	v_fma_f64 v[6:7], -v[6:7], v[12:13], v[10:11]
	v_div_fmas_f64 v[6:7], v[6:7], v[8:9], v[12:13]
	v_div_fixup_f64 v[8:9], v[6:7], v[2:3], v[4:5]
	v_fmac_f64_e32 v[2:3], v[4:5], v[8:9]
	v_div_scale_f64 v[4:5], s[8:9], v[2:3], v[2:3], 1.0
	v_rcp_f64_e32 v[6:7], v[4:5]
	s_nop 0
	v_fma_f64 v[10:11], -v[4:5], v[6:7], 1.0
	v_fmac_f64_e32 v[6:7], v[6:7], v[10:11]
	v_fma_f64 v[10:11], -v[4:5], v[6:7], 1.0
	v_fmac_f64_e32 v[6:7], v[6:7], v[10:11]
	v_div_scale_f64 v[10:11], vcc, 1.0, v[2:3], 1.0
	v_mul_f64 v[12:13], v[10:11], v[6:7]
	v_fma_f64 v[4:5], -v[4:5], v[12:13], v[10:11]
	s_nop 1
	v_div_fmas_f64 v[4:5], v[4:5], v[6:7], v[12:13]
	v_div_fixup_f64 v[6:7], v[4:5], v[2:3], 1.0
	v_xor_b32_e32 v11, 0x80000000, v7
	v_mov_b32_e32 v10, v6
	v_mul_f64 v[8:9], v[8:9], -v[6:7]
.LBB34_17:
	s_or_b64 exec, exec, s[4:5]
	scratch_store_dwordx4 v14, v[6:9], off
	scratch_load_dwordx4 v[2:5], off, s20
	v_xor_b32_e32 v13, 0x80000000, v9
	v_mov_b32_e32 v12, v8
	v_add_u32_e32 v1, 0x230, v46
	ds_write_b128 v46, v[10:13]
	s_waitcnt vmcnt(0)
	ds_write_b128 v46, v[2:5] offset:560
	s_waitcnt lgkmcnt(0)
	; wave barrier
	s_and_saveexec_b64 s[4:5], s[0:1]
	s_cbranch_execz .LBB34_19
; %bb.18:
	scratch_load_dwordx4 v[2:5], v14, off
	ds_read_b128 v[6:9], v1
	v_mov_b32_e32 v10, 0
	ds_read_b128 v[10:13], v10 offset:16
	s_waitcnt vmcnt(0) lgkmcnt(1)
	v_mul_f64 v[16:17], v[8:9], v[4:5]
	v_mul_f64 v[4:5], v[6:7], v[4:5]
	v_fma_f64 v[6:7], v[6:7], v[2:3], -v[16:17]
	v_fmac_f64_e32 v[4:5], v[8:9], v[2:3]
	v_add_f64 v[2:3], v[6:7], 0
	v_add_f64 v[6:7], v[4:5], 0
	s_waitcnt lgkmcnt(0)
	v_mul_f64 v[8:9], v[6:7], v[12:13]
	v_mul_f64 v[4:5], v[2:3], v[12:13]
	v_fma_f64 v[2:3], v[2:3], v[10:11], -v[8:9]
	v_fmac_f64_e32 v[4:5], v[6:7], v[10:11]
	scratch_store_dwordx4 off, v[2:5], off offset:32
.LBB34_19:
	s_or_b64 exec, exec, s[4:5]
	; wave barrier
	scratch_load_dwordx4 v[2:5], off, s12
	v_cmp_gt_u32_e32 vcc, 2, v0
	s_waitcnt vmcnt(0)
	ds_write_b128 v1, v[2:5]
	s_waitcnt lgkmcnt(0)
	; wave barrier
	s_and_saveexec_b64 s[4:5], vcc
	s_cbranch_execz .LBB34_23
; %bb.20:
	scratch_load_dwordx4 v[2:5], v14, off
	ds_read_b128 v[6:9], v1
	s_waitcnt vmcnt(0) lgkmcnt(0)
	v_mul_f64 v[10:11], v[8:9], v[4:5]
	v_mul_f64 v[12:13], v[6:7], v[4:5]
	v_fma_f64 v[4:5], v[6:7], v[2:3], -v[10:11]
	v_fmac_f64_e32 v[12:13], v[8:9], v[2:3]
	v_add_f64 v[4:5], v[4:5], 0
	v_add_f64 v[2:3], v[12:13], 0
	s_and_saveexec_b64 s[8:9], s[0:1]
	s_cbranch_execz .LBB34_22
; %bb.21:
	scratch_load_dwordx4 v[6:9], off, off offset:32
	v_mov_b32_e32 v10, 0
	ds_read_b128 v[10:13], v10 offset:576
	s_waitcnt vmcnt(0) lgkmcnt(0)
	v_mul_f64 v[14:15], v[10:11], v[8:9]
	v_mul_f64 v[8:9], v[12:13], v[8:9]
	v_fmac_f64_e32 v[14:15], v[12:13], v[6:7]
	v_fma_f64 v[6:7], v[10:11], v[6:7], -v[8:9]
	v_add_f64 v[2:3], v[2:3], v[14:15]
	v_add_f64 v[4:5], v[4:5], v[6:7]
.LBB34_22:
	s_or_b64 exec, exec, s[8:9]
	v_mov_b32_e32 v6, 0
	ds_read_b128 v[6:9], v6 offset:32
	s_waitcnt lgkmcnt(0)
	v_mul_f64 v[12:13], v[2:3], v[8:9]
	v_mul_f64 v[10:11], v[4:5], v[8:9]
	v_fma_f64 v[8:9], v[4:5], v[6:7], -v[12:13]
	v_fmac_f64_e32 v[10:11], v[2:3], v[6:7]
	scratch_store_dwordx4 off, v[8:11], off offset:48
.LBB34_23:
	s_or_b64 exec, exec, s[4:5]
	; wave barrier
	scratch_load_dwordx4 v[2:5], off, s13
	v_cmp_gt_u32_e32 vcc, 3, v0
	v_add_u32_e32 v6, -1, v0
	s_waitcnt vmcnt(0)
	ds_write_b128 v1, v[2:5]
	s_waitcnt lgkmcnt(0)
	; wave barrier
	s_and_saveexec_b64 s[0:1], vcc
	s_cbranch_execz .LBB34_27
; %bb.24:
	v_add_u32_e32 v7, -1, v0
	v_add_u32_e32 v8, 0x230, v46
	v_add_u32_e32 v9, 16, v46
	v_mov_b64_e32 v[2:3], 0
	s_mov_b64 s[4:5], 0
	v_mov_b64_e32 v[4:5], 0
.LBB34_25:                              ; =>This Inner Loop Header: Depth=1
	scratch_load_dwordx4 v[10:13], v9, off
	ds_read_b128 v[14:17], v8
	v_add_u32_e32 v7, 1, v7
	v_cmp_lt_u32_e32 vcc, 1, v7
	v_add_u32_e32 v8, 16, v8
	v_add_u32_e32 v9, 16, v9
	s_or_b64 s[4:5], vcc, s[4:5]
	s_waitcnt vmcnt(0) lgkmcnt(0)
	v_mul_f64 v[18:19], v[16:17], v[12:13]
	v_mul_f64 v[12:13], v[14:15], v[12:13]
	v_fma_f64 v[14:15], v[14:15], v[10:11], -v[18:19]
	v_fmac_f64_e32 v[12:13], v[16:17], v[10:11]
	v_add_f64 v[4:5], v[4:5], v[14:15]
	v_add_f64 v[2:3], v[2:3], v[12:13]
	s_andn2_b64 exec, exec, s[4:5]
	s_cbranch_execnz .LBB34_25
; %bb.26:
	s_or_b64 exec, exec, s[4:5]
	v_mov_b32_e32 v7, 0
	ds_read_b128 v[8:11], v7 offset:48
	s_waitcnt lgkmcnt(0)
	v_mul_f64 v[14:15], v[2:3], v[10:11]
	v_mul_f64 v[12:13], v[4:5], v[10:11]
	v_fma_f64 v[10:11], v[4:5], v[8:9], -v[14:15]
	v_fmac_f64_e32 v[12:13], v[2:3], v[8:9]
	scratch_store_dwordx4 off, v[10:13], off offset:64
.LBB34_27:
	s_or_b64 exec, exec, s[0:1]
	; wave barrier
	scratch_load_dwordx4 v[2:5], off, s14
	v_cmp_gt_u32_e32 vcc, 4, v0
	s_waitcnt vmcnt(0)
	ds_write_b128 v1, v[2:5]
	s_waitcnt lgkmcnt(0)
	; wave barrier
	s_and_saveexec_b64 s[0:1], vcc
	s_cbranch_execz .LBB34_31
; %bb.28:
	v_add_u32_e32 v7, -1, v0
	v_add_u32_e32 v8, 0x230, v46
	v_add_u32_e32 v9, 16, v46
	v_mov_b64_e32 v[2:3], 0
	s_mov_b64 s[4:5], 0
	v_mov_b64_e32 v[4:5], 0
.LBB34_29:                              ; =>This Inner Loop Header: Depth=1
	scratch_load_dwordx4 v[10:13], v9, off
	ds_read_b128 v[14:17], v8
	v_add_u32_e32 v7, 1, v7
	v_cmp_lt_u32_e32 vcc, 2, v7
	v_add_u32_e32 v8, 16, v8
	v_add_u32_e32 v9, 16, v9
	s_or_b64 s[4:5], vcc, s[4:5]
	s_waitcnt vmcnt(0) lgkmcnt(0)
	v_mul_f64 v[18:19], v[16:17], v[12:13]
	v_mul_f64 v[12:13], v[14:15], v[12:13]
	v_fma_f64 v[14:15], v[14:15], v[10:11], -v[18:19]
	v_fmac_f64_e32 v[12:13], v[16:17], v[10:11]
	v_add_f64 v[4:5], v[4:5], v[14:15]
	v_add_f64 v[2:3], v[2:3], v[12:13]
	s_andn2_b64 exec, exec, s[4:5]
	s_cbranch_execnz .LBB34_29
; %bb.30:
	s_or_b64 exec, exec, s[4:5]
	v_mov_b32_e32 v7, 0
	ds_read_b128 v[8:11], v7 offset:64
	s_waitcnt lgkmcnt(0)
	v_mul_f64 v[14:15], v[2:3], v[10:11]
	v_mul_f64 v[12:13], v[4:5], v[10:11]
	v_fma_f64 v[10:11], v[4:5], v[8:9], -v[14:15]
	v_fmac_f64_e32 v[12:13], v[2:3], v[8:9]
	scratch_store_dwordx4 off, v[10:13], off offset:80
.LBB34_31:
	s_or_b64 exec, exec, s[0:1]
	; wave barrier
	scratch_load_dwordx4 v[2:5], off, s21
	v_cmp_gt_u32_e32 vcc, 5, v0
	;; [unrolled: 45-line block ×19, first 2 shown]
	s_waitcnt vmcnt(0)
	ds_write_b128 v1, v[2:5]
	s_waitcnt lgkmcnt(0)
	; wave barrier
	s_and_saveexec_b64 s[0:1], vcc
	s_cbranch_execz .LBB34_103
; %bb.100:
	v_add_u32_e32 v7, -1, v0
	v_add_u32_e32 v8, 0x230, v46
	v_add_u32_e32 v9, 16, v46
	v_mov_b64_e32 v[2:3], 0
	s_mov_b64 s[4:5], 0
	v_mov_b64_e32 v[4:5], 0
.LBB34_101:                             ; =>This Inner Loop Header: Depth=1
	scratch_load_dwordx4 v[10:13], v9, off
	ds_read_b128 v[14:17], v8
	v_add_u32_e32 v7, 1, v7
	v_cmp_lt_u32_e32 vcc, 20, v7
	v_add_u32_e32 v8, 16, v8
	v_add_u32_e32 v9, 16, v9
	s_or_b64 s[4:5], vcc, s[4:5]
	s_waitcnt vmcnt(0) lgkmcnt(0)
	v_mul_f64 v[18:19], v[16:17], v[12:13]
	v_mul_f64 v[12:13], v[14:15], v[12:13]
	v_fma_f64 v[14:15], v[14:15], v[10:11], -v[18:19]
	v_fmac_f64_e32 v[12:13], v[16:17], v[10:11]
	v_add_f64 v[4:5], v[4:5], v[14:15]
	v_add_f64 v[2:3], v[2:3], v[12:13]
	s_andn2_b64 exec, exec, s[4:5]
	s_cbranch_execnz .LBB34_101
; %bb.102:
	s_or_b64 exec, exec, s[4:5]
	v_mov_b32_e32 v7, 0
	ds_read_b128 v[8:11], v7 offset:352
	s_waitcnt lgkmcnt(0)
	v_mul_f64 v[14:15], v[2:3], v[10:11]
	v_mul_f64 v[12:13], v[4:5], v[10:11]
	v_fma_f64 v[10:11], v[4:5], v[8:9], -v[14:15]
	v_fmac_f64_e32 v[12:13], v[2:3], v[8:9]
	scratch_store_dwordx4 off, v[10:13], off offset:368
.LBB34_103:
	s_or_b64 exec, exec, s[0:1]
	; wave barrier
	scratch_load_dwordx4 v[2:5], off, s36
	v_cmp_gt_u32_e32 vcc, 23, v0
	s_waitcnt vmcnt(0)
	ds_write_b128 v1, v[2:5]
	s_waitcnt lgkmcnt(0)
	; wave barrier
	s_and_saveexec_b64 s[0:1], vcc
	s_cbranch_execz .LBB34_107
; %bb.104:
	v_add_u32_e32 v7, -1, v0
	v_add_u32_e32 v8, 0x230, v46
	v_add_u32_e32 v9, 16, v46
	v_mov_b64_e32 v[2:3], 0
	s_mov_b64 s[4:5], 0
	v_mov_b64_e32 v[4:5], 0
.LBB34_105:                             ; =>This Inner Loop Header: Depth=1
	scratch_load_dwordx4 v[10:13], v9, off
	ds_read_b128 v[14:17], v8
	v_add_u32_e32 v7, 1, v7
	v_cmp_lt_u32_e32 vcc, 21, v7
	v_add_u32_e32 v8, 16, v8
	v_add_u32_e32 v9, 16, v9
	s_or_b64 s[4:5], vcc, s[4:5]
	s_waitcnt vmcnt(0) lgkmcnt(0)
	v_mul_f64 v[18:19], v[16:17], v[12:13]
	v_mul_f64 v[12:13], v[14:15], v[12:13]
	v_fma_f64 v[14:15], v[14:15], v[10:11], -v[18:19]
	v_fmac_f64_e32 v[12:13], v[16:17], v[10:11]
	v_add_f64 v[4:5], v[4:5], v[14:15]
	v_add_f64 v[2:3], v[2:3], v[12:13]
	s_andn2_b64 exec, exec, s[4:5]
	s_cbranch_execnz .LBB34_105
; %bb.106:
	s_or_b64 exec, exec, s[4:5]
	v_mov_b32_e32 v7, 0
	ds_read_b128 v[8:11], v7 offset:368
	s_waitcnt lgkmcnt(0)
	v_mul_f64 v[14:15], v[2:3], v[10:11]
	v_mul_f64 v[12:13], v[4:5], v[10:11]
	v_fma_f64 v[10:11], v[4:5], v[8:9], -v[14:15]
	v_fmac_f64_e32 v[12:13], v[2:3], v[8:9]
	scratch_store_dwordx4 off, v[10:13], off offset:384
.LBB34_107:
	s_or_b64 exec, exec, s[0:1]
	; wave barrier
	scratch_load_dwordx4 v[2:5], off, s37
	v_cmp_gt_u32_e32 vcc, 24, v0
	;; [unrolled: 45-line block ×11, first 2 shown]
	s_waitcnt vmcnt(0)
	ds_write_b128 v1, v[2:5]
	s_waitcnt lgkmcnt(0)
	; wave barrier
	s_and_saveexec_b64 s[0:1], vcc
	s_cbranch_execz .LBB34_147
; %bb.144:
	v_add_u32_e32 v7, -1, v0
	v_add_u32_e32 v8, 0x230, v46
	v_add_u32_e32 v9, 16, v46
	v_mov_b64_e32 v[2:3], 0
	s_mov_b64 s[4:5], 0
	v_mov_b64_e32 v[4:5], 0
.LBB34_145:                             ; =>This Inner Loop Header: Depth=1
	scratch_load_dwordx4 v[10:13], v9, off
	ds_read_b128 v[14:17], v8
	v_add_u32_e32 v7, 1, v7
	v_cmp_lt_u32_e32 vcc, 31, v7
	v_add_u32_e32 v8, 16, v8
	v_add_u32_e32 v9, 16, v9
	s_or_b64 s[4:5], vcc, s[4:5]
	s_waitcnt vmcnt(0) lgkmcnt(0)
	v_mul_f64 v[18:19], v[16:17], v[12:13]
	v_mul_f64 v[12:13], v[14:15], v[12:13]
	v_fma_f64 v[14:15], v[14:15], v[10:11], -v[18:19]
	v_fmac_f64_e32 v[12:13], v[16:17], v[10:11]
	v_add_f64 v[4:5], v[4:5], v[14:15]
	v_add_f64 v[2:3], v[2:3], v[12:13]
	s_andn2_b64 exec, exec, s[4:5]
	s_cbranch_execnz .LBB34_145
; %bb.146:
	s_or_b64 exec, exec, s[4:5]
	v_mov_b32_e32 v7, 0
	ds_read_b128 v[8:11], v7 offset:528
	s_waitcnt lgkmcnt(0)
	v_mul_f64 v[14:15], v[2:3], v[10:11]
	v_mul_f64 v[12:13], v[4:5], v[10:11]
	v_fma_f64 v[10:11], v[4:5], v[8:9], -v[14:15]
	v_fmac_f64_e32 v[12:13], v[2:3], v[8:9]
	scratch_store_dwordx4 off, v[10:13], off offset:544
.LBB34_147:
	s_or_b64 exec, exec, s[0:1]
	; wave barrier
	scratch_load_dwordx4 v[2:5], off, s47
	v_cmp_ne_u32_e32 vcc, 34, v0
	s_waitcnt vmcnt(0)
	ds_write_b128 v1, v[2:5]
	s_waitcnt lgkmcnt(0)
	; wave barrier
	s_and_saveexec_b64 s[0:1], vcc
	s_cbranch_execz .LBB34_151
; %bb.148:
	v_add_u32_e32 v1, 0x230, v46
	v_add_u32_e32 v7, 16, v46
	v_mov_b64_e32 v[2:3], 0
	s_mov_b64 s[4:5], 0
	v_mov_b64_e32 v[4:5], 0
.LBB34_149:                             ; =>This Inner Loop Header: Depth=1
	scratch_load_dwordx4 v[8:11], v7, off
	ds_read_b128 v[12:15], v1
	v_add_u32_e32 v6, 1, v6
	v_cmp_lt_u32_e32 vcc, 32, v6
	v_add_u32_e32 v1, 16, v1
	v_add_u32_e32 v7, 16, v7
	s_or_b64 s[4:5], vcc, s[4:5]
	s_waitcnt vmcnt(0) lgkmcnt(0)
	v_mul_f64 v[16:17], v[14:15], v[10:11]
	v_mul_f64 v[10:11], v[12:13], v[10:11]
	v_fma_f64 v[12:13], v[12:13], v[8:9], -v[16:17]
	v_fmac_f64_e32 v[10:11], v[14:15], v[8:9]
	v_add_f64 v[4:5], v[4:5], v[12:13]
	v_add_f64 v[2:3], v[2:3], v[10:11]
	s_andn2_b64 exec, exec, s[4:5]
	s_cbranch_execnz .LBB34_149
; %bb.150:
	s_or_b64 exec, exec, s[4:5]
	v_mov_b32_e32 v1, 0
	ds_read_b128 v[6:9], v1 offset:544
	s_waitcnt lgkmcnt(0)
	v_mul_f64 v[12:13], v[2:3], v[8:9]
	v_mul_f64 v[10:11], v[4:5], v[8:9]
	v_fma_f64 v[8:9], v[4:5], v[6:7], -v[12:13]
	v_fmac_f64_e32 v[10:11], v[2:3], v[6:7]
	scratch_store_dwordx4 off, v[8:11], off offset:560
.LBB34_151:
	s_or_b64 exec, exec, s[0:1]
	s_mov_b64 s[4:5], -1
	; wave barrier
.LBB34_152:
	s_and_b64 vcc, exec, s[4:5]
	s_cbranch_vccz .LBB34_154
; %bb.153:
	s_lshl_b64 s[0:1], s[2:3], 2
	s_add_u32 s0, s6, s0
	s_addc_u32 s1, s7, s1
	v_mov_b32_e32 v1, 0
	global_load_dword v1, v1, s[0:1]
	s_waitcnt vmcnt(0)
	v_cmp_ne_u32_e32 vcc, 0, v1
	s_cbranch_vccz .LBB34_155
.LBB34_154:
	s_endpgm
.LBB34_155:
	v_mov_b32_e32 v1, 0x230
	v_lshl_add_u32 v1, v0, 4, v1
	v_cmp_eq_u32_e32 vcc, 34, v0
	s_and_saveexec_b64 s[0:1], vcc
	s_cbranch_execz .LBB34_157
; %bb.156:
	scratch_load_dwordx4 v[2:5], off, s46
	v_mov_b32_e32 v6, 0
	v_mov_b32_e32 v7, v6
	;; [unrolled: 1-line block ×4, first 2 shown]
	scratch_store_dwordx4 off, v[6:9], off offset:544
	s_waitcnt vmcnt(1)
	ds_write_b128 v1, v[2:5]
.LBB34_157:
	s_or_b64 exec, exec, s[0:1]
	s_waitcnt lgkmcnt(0)
	; wave barrier
	scratch_load_dwordx4 v[4:7], off, off offset:560
	scratch_load_dwordx4 v[8:11], off, off offset:544
	v_mov_b32_e32 v2, 0
	ds_read_b128 v[12:15], v2 offset:1104
	v_cmp_lt_u32_e32 vcc, 32, v0
	s_waitcnt vmcnt(1) lgkmcnt(0)
	v_mul_f64 v[16:17], v[12:13], v[6:7]
	v_mul_f64 v[6:7], v[14:15], v[6:7]
	v_fmac_f64_e32 v[16:17], v[14:15], v[4:5]
	v_fma_f64 v[4:5], v[12:13], v[4:5], -v[6:7]
	v_add_f64 v[6:7], v[16:17], 0
	v_add_f64 v[4:5], v[4:5], 0
	s_waitcnt vmcnt(0)
	v_add_f64 v[4:5], v[8:9], -v[4:5]
	v_add_f64 v[6:7], v[10:11], -v[6:7]
	scratch_store_dwordx4 off, v[4:7], off offset:544
	s_and_saveexec_b64 s[0:1], vcc
	s_cbranch_execz .LBB34_159
; %bb.158:
	scratch_load_dwordx4 v[6:9], off, s45
	v_mov_b32_e32 v3, v2
	v_mov_b32_e32 v4, v2
	;; [unrolled: 1-line block ×3, first 2 shown]
	scratch_store_dwordx4 off, v[2:5], off offset:528
	s_waitcnt vmcnt(1)
	ds_write_b128 v1, v[6:9]
.LBB34_159:
	s_or_b64 exec, exec, s[0:1]
	s_waitcnt lgkmcnt(0)
	; wave barrier
	scratch_load_dwordx4 v[4:7], off, off offset:544
	scratch_load_dwordx4 v[8:11], off, off offset:560
	;; [unrolled: 1-line block ×3, first 2 shown]
	ds_read_b128 v[16:19], v2 offset:1088
	ds_read_b128 v[20:23], v2 offset:1104
	v_cmp_lt_u32_e32 vcc, 31, v0
	s_waitcnt vmcnt(2) lgkmcnt(1)
	v_mul_f64 v[2:3], v[16:17], v[6:7]
	v_mul_f64 v[6:7], v[18:19], v[6:7]
	s_waitcnt vmcnt(1) lgkmcnt(0)
	v_mul_f64 v[24:25], v[20:21], v[10:11]
	v_mul_f64 v[10:11], v[22:23], v[10:11]
	v_fmac_f64_e32 v[2:3], v[18:19], v[4:5]
	v_fma_f64 v[4:5], v[16:17], v[4:5], -v[6:7]
	v_fmac_f64_e32 v[24:25], v[22:23], v[8:9]
	v_fma_f64 v[6:7], v[20:21], v[8:9], -v[10:11]
	v_add_f64 v[2:3], v[2:3], 0
	v_add_f64 v[4:5], v[4:5], 0
	;; [unrolled: 1-line block ×4, first 2 shown]
	s_waitcnt vmcnt(0)
	v_add_f64 v[2:3], v[12:13], -v[2:3]
	v_add_f64 v[4:5], v[14:15], -v[8:9]
	scratch_store_dwordx4 off, v[2:5], off offset:528
	s_and_saveexec_b64 s[0:1], vcc
	s_cbranch_execz .LBB34_161
; %bb.160:
	scratch_load_dwordx4 v[2:5], off, s44
	v_mov_b32_e32 v6, 0
	v_mov_b32_e32 v7, v6
	v_mov_b32_e32 v8, v6
	v_mov_b32_e32 v9, v6
	scratch_store_dwordx4 off, v[6:9], off offset:512
	s_waitcnt vmcnt(1)
	ds_write_b128 v1, v[2:5]
.LBB34_161:
	s_or_b64 exec, exec, s[0:1]
	s_waitcnt lgkmcnt(0)
	; wave barrier
	scratch_load_dwordx4 v[4:7], off, off offset:528
	scratch_load_dwordx4 v[8:11], off, off offset:544
	;; [unrolled: 1-line block ×4, first 2 shown]
	v_mov_b32_e32 v2, 0
	ds_read_b128 v[20:23], v2 offset:1072
	ds_read_b128 v[24:27], v2 offset:1088
	;; [unrolled: 1-line block ×3, first 2 shown]
	v_cmp_lt_u32_e32 vcc, 30, v0
	s_waitcnt vmcnt(3) lgkmcnt(2)
	v_mul_f64 v[32:33], v[20:21], v[6:7]
	v_mul_f64 v[6:7], v[22:23], v[6:7]
	s_waitcnt vmcnt(2) lgkmcnt(1)
	v_mul_f64 v[34:35], v[24:25], v[10:11]
	v_mul_f64 v[10:11], v[26:27], v[10:11]
	v_fmac_f64_e32 v[32:33], v[22:23], v[4:5]
	v_fma_f64 v[4:5], v[20:21], v[4:5], -v[6:7]
	s_waitcnt vmcnt(1) lgkmcnt(0)
	v_mul_f64 v[36:37], v[28:29], v[14:15]
	v_mul_f64 v[14:15], v[30:31], v[14:15]
	v_fmac_f64_e32 v[34:35], v[26:27], v[8:9]
	v_fma_f64 v[6:7], v[24:25], v[8:9], -v[10:11]
	v_add_f64 v[10:11], v[32:33], 0
	v_add_f64 v[4:5], v[4:5], 0
	v_fmac_f64_e32 v[36:37], v[30:31], v[12:13]
	v_fma_f64 v[8:9], v[28:29], v[12:13], -v[14:15]
	v_add_f64 v[10:11], v[10:11], v[34:35]
	v_add_f64 v[4:5], v[4:5], v[6:7]
	;; [unrolled: 1-line block ×4, first 2 shown]
	s_waitcnt vmcnt(0)
	v_add_f64 v[4:5], v[16:17], -v[4:5]
	v_add_f64 v[6:7], v[18:19], -v[6:7]
	scratch_store_dwordx4 off, v[4:7], off offset:512
	s_and_saveexec_b64 s[0:1], vcc
	s_cbranch_execz .LBB34_163
; %bb.162:
	scratch_load_dwordx4 v[6:9], off, s43
	v_mov_b32_e32 v3, v2
	v_mov_b32_e32 v4, v2
	;; [unrolled: 1-line block ×3, first 2 shown]
	scratch_store_dwordx4 off, v[2:5], off offset:496
	s_waitcnt vmcnt(1)
	ds_write_b128 v1, v[6:9]
.LBB34_163:
	s_or_b64 exec, exec, s[0:1]
	s_waitcnt lgkmcnt(0)
	; wave barrier
	scratch_load_dwordx4 v[4:7], off, off offset:512
	scratch_load_dwordx4 v[8:11], off, off offset:528
	;; [unrolled: 1-line block ×5, first 2 shown]
	ds_read_b128 v[24:27], v2 offset:1056
	ds_read_b128 v[28:31], v2 offset:1072
	;; [unrolled: 1-line block ×4, first 2 shown]
	v_cmp_lt_u32_e32 vcc, 29, v0
	s_waitcnt vmcnt(4) lgkmcnt(3)
	v_mul_f64 v[2:3], v[24:25], v[6:7]
	v_mul_f64 v[6:7], v[26:27], v[6:7]
	s_waitcnt vmcnt(3) lgkmcnt(2)
	v_mul_f64 v[40:41], v[28:29], v[10:11]
	v_mul_f64 v[10:11], v[30:31], v[10:11]
	v_fmac_f64_e32 v[2:3], v[26:27], v[4:5]
	v_fma_f64 v[4:5], v[24:25], v[4:5], -v[6:7]
	s_waitcnt vmcnt(2) lgkmcnt(1)
	v_mul_f64 v[42:43], v[32:33], v[14:15]
	v_mul_f64 v[14:15], v[34:35], v[14:15]
	v_fmac_f64_e32 v[40:41], v[30:31], v[8:9]
	v_fma_f64 v[6:7], v[28:29], v[8:9], -v[10:11]
	v_add_f64 v[2:3], v[2:3], 0
	v_add_f64 v[4:5], v[4:5], 0
	s_waitcnt vmcnt(1) lgkmcnt(0)
	v_mul_f64 v[44:45], v[36:37], v[18:19]
	v_mul_f64 v[18:19], v[38:39], v[18:19]
	v_fmac_f64_e32 v[42:43], v[34:35], v[12:13]
	v_fma_f64 v[8:9], v[32:33], v[12:13], -v[14:15]
	v_add_f64 v[2:3], v[2:3], v[40:41]
	v_add_f64 v[4:5], v[4:5], v[6:7]
	v_fmac_f64_e32 v[44:45], v[38:39], v[16:17]
	v_fma_f64 v[10:11], v[36:37], v[16:17], -v[18:19]
	v_add_f64 v[2:3], v[2:3], v[42:43]
	v_add_f64 v[4:5], v[4:5], v[8:9]
	;; [unrolled: 1-line block ×4, first 2 shown]
	s_waitcnt vmcnt(0)
	v_add_f64 v[2:3], v[20:21], -v[2:3]
	v_add_f64 v[4:5], v[22:23], -v[6:7]
	scratch_store_dwordx4 off, v[2:5], off offset:496
	s_and_saveexec_b64 s[0:1], vcc
	s_cbranch_execz .LBB34_165
; %bb.164:
	scratch_load_dwordx4 v[2:5], off, s42
	v_mov_b32_e32 v6, 0
	v_mov_b32_e32 v7, v6
	v_mov_b32_e32 v8, v6
	v_mov_b32_e32 v9, v6
	scratch_store_dwordx4 off, v[6:9], off offset:480
	s_waitcnt vmcnt(1)
	ds_write_b128 v1, v[2:5]
.LBB34_165:
	s_or_b64 exec, exec, s[0:1]
	v_mov_b32_e32 v2, 0
	s_waitcnt lgkmcnt(0)
	; wave barrier
	ds_read_b128 v[4:7], v2 offset:1040
	ds_read_b128 v[8:11], v2 offset:1056
	;; [unrolled: 1-line block ×4, first 2 shown]
	scratch_load_dwordx4 v[20:23], off, off offset:496
	scratch_load_dwordx4 v[40:43], off, off offset:560
	v_cmp_lt_u32_e32 vcc, 28, v0
	s_waitcnt vmcnt(1) lgkmcnt(3)
	v_mul_f64 v[24:25], v[4:5], v[22:23]
	v_fmac_f64_e32 v[24:25], v[6:7], v[20:21]
	v_add_f64 v[28:29], v[24:25], 0
	scratch_load_dwordx4 v[24:27], off, off offset:512
	v_mul_f64 v[6:7], v[6:7], v[22:23]
	v_fma_f64 v[4:5], v[4:5], v[20:21], -v[6:7]
	v_add_f64 v[4:5], v[4:5], 0
	s_waitcnt vmcnt(0) lgkmcnt(2)
	v_mul_f64 v[30:31], v[8:9], v[26:27]
	v_fmac_f64_e32 v[30:31], v[10:11], v[24:25]
	v_add_f64 v[32:33], v[28:29], v[30:31]
	scratch_load_dwordx4 v[28:31], off, off offset:528
	v_mul_f64 v[6:7], v[10:11], v[26:27]
	v_fma_f64 v[6:7], v[8:9], v[24:25], -v[6:7]
	v_add_f64 v[4:5], v[4:5], v[6:7]
	;; [unrolled: 8-line block ×3, first 2 shown]
	s_waitcnt vmcnt(0) lgkmcnt(0)
	v_mul_f64 v[38:39], v[16:17], v[34:35]
	v_fmac_f64_e32 v[38:39], v[18:19], v[32:33]
	v_add_f64 v[44:45], v[36:37], v[38:39]
	ds_read_b128 v[36:39], v2 offset:1104
	v_mul_f64 v[6:7], v[18:19], v[34:35]
	v_fma_f64 v[6:7], v[16:17], v[32:33], -v[6:7]
	v_add_f64 v[4:5], v[4:5], v[6:7]
	s_waitcnt lgkmcnt(0)
	v_mul_f64 v[6:7], v[38:39], v[42:43]
	v_fma_f64 v[6:7], v[36:37], v[40:41], -v[6:7]
	v_add_f64 v[8:9], v[4:5], v[6:7]
	scratch_load_dwordx4 v[4:7], off, off offset:480
	v_mul_f64 v[46:47], v[36:37], v[42:43]
	v_fmac_f64_e32 v[46:47], v[38:39], v[40:41]
	v_add_f64 v[44:45], v[44:45], v[46:47]
	s_waitcnt vmcnt(0)
	v_add_f64 v[4:5], v[4:5], -v[8:9]
	v_add_f64 v[6:7], v[6:7], -v[44:45]
	scratch_store_dwordx4 off, v[4:7], off offset:480
	s_and_saveexec_b64 s[0:1], vcc
	s_cbranch_execz .LBB34_167
; %bb.166:
	scratch_load_dwordx4 v[6:9], off, s41
	v_mov_b32_e32 v3, v2
	v_mov_b32_e32 v4, v2
	;; [unrolled: 1-line block ×3, first 2 shown]
	scratch_store_dwordx4 off, v[2:5], off offset:464
	s_waitcnt vmcnt(1)
	ds_write_b128 v1, v[6:9]
.LBB34_167:
	s_or_b64 exec, exec, s[0:1]
	s_waitcnt lgkmcnt(0)
	; wave barrier
	ds_read_b128 v[4:7], v2 offset:1024
	ds_read_b128 v[8:11], v2 offset:1040
	;; [unrolled: 1-line block ×4, first 2 shown]
	scratch_load_dwordx4 v[20:23], off, off offset:480
	scratch_load_dwordx4 v[40:43], off, off offset:544
	v_cmp_lt_u32_e32 vcc, 27, v0
	scratch_load_dwordx4 v[48:51], off, off offset:560
	s_waitcnt vmcnt(2) lgkmcnt(3)
	v_mul_f64 v[24:25], v[4:5], v[22:23]
	v_fmac_f64_e32 v[24:25], v[6:7], v[20:21]
	v_add_f64 v[28:29], v[24:25], 0
	scratch_load_dwordx4 v[24:27], off, off offset:496
	s_waitcnt vmcnt(0) lgkmcnt(2)
	v_mul_f64 v[30:31], v[8:9], v[26:27]
	v_fmac_f64_e32 v[30:31], v[10:11], v[24:25]
	v_add_f64 v[32:33], v[28:29], v[30:31]
	;; [unrolled: 5-line block ×4, first 2 shown]
	ds_read_b128 v[36:39], v2 offset:1088
	s_waitcnt lgkmcnt(0)
	v_mul_f64 v[46:47], v[36:37], v[42:43]
	v_fmac_f64_e32 v[46:47], v[38:39], v[40:41]
	v_add_f64 v[52:53], v[44:45], v[46:47]
	ds_read_b128 v[44:47], v2 offset:1104
	s_waitcnt lgkmcnt(0)
	v_mul_f64 v[2:3], v[44:45], v[50:51]
	v_fmac_f64_e32 v[2:3], v[46:47], v[48:49]
	v_add_f64 v[52:53], v[52:53], v[2:3]
	v_mul_f64 v[2:3], v[6:7], v[22:23]
	v_fma_f64 v[2:3], v[4:5], v[20:21], -v[2:3]
	v_mul_f64 v[4:5], v[10:11], v[26:27]
	v_add_f64 v[2:3], v[2:3], 0
	v_fma_f64 v[4:5], v[8:9], v[24:25], -v[4:5]
	v_add_f64 v[2:3], v[2:3], v[4:5]
	v_mul_f64 v[4:5], v[14:15], v[30:31]
	v_fma_f64 v[4:5], v[12:13], v[28:29], -v[4:5]
	v_add_f64 v[2:3], v[2:3], v[4:5]
	v_mul_f64 v[4:5], v[18:19], v[34:35]
	;; [unrolled: 3-line block ×4, first 2 shown]
	v_fma_f64 v[4:5], v[44:45], v[48:49], -v[4:5]
	v_add_f64 v[6:7], v[2:3], v[4:5]
	scratch_load_dwordx4 v[2:5], off, off offset:464
	s_waitcnt vmcnt(0)
	v_add_f64 v[2:3], v[2:3], -v[6:7]
	v_add_f64 v[4:5], v[4:5], -v[52:53]
	scratch_store_dwordx4 off, v[2:5], off offset:464
	s_and_saveexec_b64 s[0:1], vcc
	s_cbranch_execz .LBB34_169
; %bb.168:
	scratch_load_dwordx4 v[2:5], off, s40
	v_mov_b32_e32 v6, 0
	v_mov_b32_e32 v7, v6
	;; [unrolled: 1-line block ×4, first 2 shown]
	scratch_store_dwordx4 off, v[6:9], off offset:448
	s_waitcnt vmcnt(1)
	ds_write_b128 v1, v[2:5]
.LBB34_169:
	s_or_b64 exec, exec, s[0:1]
	s_waitcnt lgkmcnt(0)
	; wave barrier
	scratch_load_dwordx4 v[4:7], off, off offset:464
	scratch_load_dwordx4 v[8:11], off, off offset:480
	;; [unrolled: 1-line block ×8, first 2 shown]
	v_mov_b32_e32 v2, 0
	ds_read_b128 v[36:39], v2 offset:1008
	ds_read_b128 v[40:43], v2 offset:1024
	;; [unrolled: 1-line block ×7, first 2 shown]
	v_cmp_lt_u32_e32 vcc, 26, v0
	s_waitcnt vmcnt(7) lgkmcnt(6)
	v_mul_f64 v[64:65], v[36:37], v[6:7]
	v_mul_f64 v[6:7], v[38:39], v[6:7]
	s_waitcnt vmcnt(6) lgkmcnt(5)
	v_mul_f64 v[66:67], v[40:41], v[10:11]
	s_waitcnt vmcnt(4) lgkmcnt(3)
	v_mul_f64 v[70:71], v[48:49], v[18:19]
	v_mul_f64 v[10:11], v[42:43], v[10:11]
	;; [unrolled: 1-line block ×3, first 2 shown]
	v_fmac_f64_e32 v[64:65], v[38:39], v[4:5]
	v_fma_f64 v[4:5], v[36:37], v[4:5], -v[6:7]
	v_mul_f64 v[68:69], v[44:45], v[14:15]
	v_mul_f64 v[14:15], v[46:47], v[14:15]
	v_fmac_f64_e32 v[66:67], v[42:43], v[8:9]
	v_fma_f64 v[6:7], v[40:41], v[8:9], -v[10:11]
	v_fma_f64 v[10:11], v[48:49], v[16:17], -v[18:19]
	v_add_f64 v[18:19], v[64:65], 0
	v_add_f64 v[4:5], v[4:5], 0
	v_fmac_f64_e32 v[68:69], v[46:47], v[12:13]
	v_fma_f64 v[8:9], v[44:45], v[12:13], -v[14:15]
	v_add_f64 v[18:19], v[18:19], v[66:67]
	v_add_f64 v[4:5], v[4:5], v[6:7]
	s_waitcnt vmcnt(3) lgkmcnt(2)
	v_mul_f64 v[72:73], v[52:53], v[22:23]
	v_mul_f64 v[22:23], v[54:55], v[22:23]
	v_fmac_f64_e32 v[70:71], v[50:51], v[16:17]
	v_add_f64 v[6:7], v[18:19], v[68:69]
	v_add_f64 v[4:5], v[4:5], v[8:9]
	s_waitcnt vmcnt(2) lgkmcnt(1)
	v_mul_f64 v[74:75], v[56:57], v[26:27]
	v_mul_f64 v[26:27], v[58:59], v[26:27]
	v_fmac_f64_e32 v[72:73], v[54:55], v[20:21]
	v_fma_f64 v[12:13], v[52:53], v[20:21], -v[22:23]
	v_add_f64 v[6:7], v[6:7], v[70:71]
	v_add_f64 v[4:5], v[4:5], v[10:11]
	s_waitcnt vmcnt(1) lgkmcnt(0)
	v_mul_f64 v[76:77], v[60:61], v[30:31]
	v_mul_f64 v[30:31], v[62:63], v[30:31]
	v_fmac_f64_e32 v[74:75], v[58:59], v[24:25]
	v_fma_f64 v[14:15], v[56:57], v[24:25], -v[26:27]
	v_add_f64 v[6:7], v[6:7], v[72:73]
	v_add_f64 v[4:5], v[4:5], v[12:13]
	v_fmac_f64_e32 v[76:77], v[62:63], v[28:29]
	v_fma_f64 v[16:17], v[60:61], v[28:29], -v[30:31]
	v_add_f64 v[6:7], v[6:7], v[74:75]
	v_add_f64 v[4:5], v[4:5], v[14:15]
	;; [unrolled: 1-line block ×4, first 2 shown]
	s_waitcnt vmcnt(0)
	v_add_f64 v[4:5], v[32:33], -v[4:5]
	v_add_f64 v[6:7], v[34:35], -v[6:7]
	scratch_store_dwordx4 off, v[4:7], off offset:448
	s_and_saveexec_b64 s[0:1], vcc
	s_cbranch_execz .LBB34_171
; %bb.170:
	scratch_load_dwordx4 v[6:9], off, s39
	v_mov_b32_e32 v3, v2
	v_mov_b32_e32 v4, v2
	;; [unrolled: 1-line block ×3, first 2 shown]
	scratch_store_dwordx4 off, v[2:5], off offset:432
	s_waitcnt vmcnt(1)
	ds_write_b128 v1, v[6:9]
.LBB34_171:
	s_or_b64 exec, exec, s[0:1]
	s_waitcnt lgkmcnt(0)
	; wave barrier
	scratch_load_dwordx4 v[4:7], off, off offset:448
	scratch_load_dwordx4 v[8:11], off, off offset:464
	;; [unrolled: 1-line block ×9, first 2 shown]
	ds_read_b128 v[40:43], v2 offset:992
	ds_read_b128 v[44:47], v2 offset:1008
	;; [unrolled: 1-line block ×8, first 2 shown]
	v_cmp_lt_u32_e32 vcc, 25, v0
	s_waitcnt vmcnt(8) lgkmcnt(7)
	v_mul_f64 v[2:3], v[40:41], v[6:7]
	v_mul_f64 v[6:7], v[42:43], v[6:7]
	s_waitcnt vmcnt(7) lgkmcnt(6)
	v_mul_f64 v[72:73], v[44:45], v[10:11]
	v_mul_f64 v[10:11], v[46:47], v[10:11]
	v_fmac_f64_e32 v[2:3], v[42:43], v[4:5]
	v_fma_f64 v[4:5], v[40:41], v[4:5], -v[6:7]
	s_waitcnt vmcnt(6) lgkmcnt(5)
	v_mul_f64 v[74:75], v[48:49], v[14:15]
	v_mul_f64 v[14:15], v[50:51], v[14:15]
	v_fmac_f64_e32 v[72:73], v[46:47], v[8:9]
	v_fma_f64 v[6:7], v[44:45], v[8:9], -v[10:11]
	v_add_f64 v[2:3], v[2:3], 0
	v_add_f64 v[4:5], v[4:5], 0
	s_waitcnt vmcnt(5) lgkmcnt(4)
	v_mul_f64 v[76:77], v[52:53], v[18:19]
	v_mul_f64 v[18:19], v[54:55], v[18:19]
	v_fmac_f64_e32 v[74:75], v[50:51], v[12:13]
	v_fma_f64 v[8:9], v[48:49], v[12:13], -v[14:15]
	v_add_f64 v[2:3], v[2:3], v[72:73]
	v_add_f64 v[4:5], v[4:5], v[6:7]
	;; [unrolled: 7-line block ×6, first 2 shown]
	v_fmac_f64_e32 v[84:85], v[70:71], v[32:33]
	v_fma_f64 v[18:19], v[68:69], v[32:33], -v[34:35]
	v_add_f64 v[2:3], v[2:3], v[82:83]
	v_add_f64 v[4:5], v[4:5], v[16:17]
	;; [unrolled: 1-line block ×4, first 2 shown]
	s_waitcnt vmcnt(0)
	v_add_f64 v[2:3], v[36:37], -v[2:3]
	v_add_f64 v[4:5], v[38:39], -v[6:7]
	scratch_store_dwordx4 off, v[2:5], off offset:432
	s_and_saveexec_b64 s[0:1], vcc
	s_cbranch_execz .LBB34_173
; %bb.172:
	scratch_load_dwordx4 v[2:5], off, s38
	v_mov_b32_e32 v6, 0
	v_mov_b32_e32 v7, v6
	;; [unrolled: 1-line block ×4, first 2 shown]
	scratch_store_dwordx4 off, v[6:9], off offset:416
	s_waitcnt vmcnt(1)
	ds_write_b128 v1, v[2:5]
.LBB34_173:
	s_or_b64 exec, exec, s[0:1]
	v_mov_b32_e32 v2, 0
	s_waitcnt lgkmcnt(0)
	; wave barrier
	ds_read_b128 v[4:7], v2 offset:976
	ds_read_b128 v[8:11], v2 offset:992
	;; [unrolled: 1-line block ×4, first 2 shown]
	scratch_load_dwordx4 v[20:23], off, off offset:432
	scratch_load_dwordx4 v[40:43], off, off offset:496
	;; [unrolled: 1-line block ×3, first 2 shown]
	v_cmp_lt_u32_e32 vcc, 24, v0
	scratch_load_dwordx4 v[48:51], off, off offset:512
	scratch_load_dwordx4 v[56:59], off, off offset:528
	;; [unrolled: 1-line block ×3, first 2 shown]
	s_waitcnt vmcnt(5) lgkmcnt(3)
	v_mul_f64 v[24:25], v[4:5], v[22:23]
	v_fmac_f64_e32 v[24:25], v[6:7], v[20:21]
	v_add_f64 v[28:29], v[24:25], 0
	scratch_load_dwordx4 v[24:27], off, off offset:448
	v_mul_f64 v[6:7], v[6:7], v[22:23]
	v_fma_f64 v[4:5], v[4:5], v[20:21], -v[6:7]
	v_add_f64 v[4:5], v[4:5], 0
	s_waitcnt vmcnt(0) lgkmcnt(2)
	v_mul_f64 v[30:31], v[8:9], v[26:27]
	v_fmac_f64_e32 v[30:31], v[10:11], v[24:25]
	v_add_f64 v[32:33], v[28:29], v[30:31]
	scratch_load_dwordx4 v[28:31], off, off offset:464
	v_mul_f64 v[6:7], v[10:11], v[26:27]
	v_fma_f64 v[6:7], v[8:9], v[24:25], -v[6:7]
	v_add_f64 v[4:5], v[4:5], v[6:7]
	;; [unrolled: 8-line block ×3, first 2 shown]
	s_waitcnt vmcnt(0) lgkmcnt(0)
	v_mul_f64 v[38:39], v[16:17], v[34:35]
	v_fmac_f64_e32 v[38:39], v[18:19], v[32:33]
	v_add_f64 v[44:45], v[36:37], v[38:39]
	ds_read_b128 v[36:39], v2 offset:1040
	v_mul_f64 v[6:7], v[18:19], v[34:35]
	v_fma_f64 v[6:7], v[16:17], v[32:33], -v[6:7]
	v_add_f64 v[4:5], v[4:5], v[6:7]
	s_waitcnt lgkmcnt(0)
	v_mul_f64 v[46:47], v[36:37], v[42:43]
	v_fmac_f64_e32 v[46:47], v[38:39], v[40:41]
	v_add_f64 v[52:53], v[44:45], v[46:47]
	ds_read_b128 v[44:47], v2 offset:1056
	v_mul_f64 v[6:7], v[38:39], v[42:43]
	v_fma_f64 v[6:7], v[36:37], v[40:41], -v[6:7]
	v_add_f64 v[4:5], v[4:5], v[6:7]
	s_waitcnt lgkmcnt(0)
	;; [unrolled: 8-line block ×5, first 2 shown]
	v_mul_f64 v[6:7], v[70:71], v[74:75]
	v_fma_f64 v[6:7], v[68:69], v[72:73], -v[6:7]
	v_add_f64 v[8:9], v[4:5], v[6:7]
	scratch_load_dwordx4 v[4:7], off, off offset:416
	v_mul_f64 v[78:79], v[68:69], v[74:75]
	v_fmac_f64_e32 v[78:79], v[70:71], v[72:73]
	v_add_f64 v[76:77], v[76:77], v[78:79]
	s_waitcnt vmcnt(0)
	v_add_f64 v[4:5], v[4:5], -v[8:9]
	v_add_f64 v[6:7], v[6:7], -v[76:77]
	scratch_store_dwordx4 off, v[4:7], off offset:416
	s_and_saveexec_b64 s[0:1], vcc
	s_cbranch_execz .LBB34_175
; %bb.174:
	scratch_load_dwordx4 v[6:9], off, s37
	v_mov_b32_e32 v3, v2
	v_mov_b32_e32 v4, v2
	;; [unrolled: 1-line block ×3, first 2 shown]
	scratch_store_dwordx4 off, v[2:5], off offset:400
	s_waitcnt vmcnt(1)
	ds_write_b128 v1, v[6:9]
.LBB34_175:
	s_or_b64 exec, exec, s[0:1]
	s_waitcnt lgkmcnt(0)
	; wave barrier
	ds_read_b128 v[4:7], v2 offset:960
	ds_read_b128 v[8:11], v2 offset:976
	;; [unrolled: 1-line block ×4, first 2 shown]
	scratch_load_dwordx4 v[20:23], off, off offset:416
	scratch_load_dwordx4 v[40:43], off, off offset:480
	;; [unrolled: 1-line block ×4, first 2 shown]
	v_cmp_lt_u32_e32 vcc, 23, v0
	scratch_load_dwordx4 v[48:51], off, off offset:496
	scratch_load_dwordx4 v[56:59], off, off offset:512
	;; [unrolled: 1-line block ×3, first 2 shown]
	s_waitcnt vmcnt(6) lgkmcnt(3)
	v_mul_f64 v[24:25], v[4:5], v[22:23]
	v_fmac_f64_e32 v[24:25], v[6:7], v[20:21]
	v_add_f64 v[28:29], v[24:25], 0
	scratch_load_dwordx4 v[24:27], off, off offset:432
	s_waitcnt vmcnt(0) lgkmcnt(2)
	v_mul_f64 v[30:31], v[8:9], v[26:27]
	v_fmac_f64_e32 v[30:31], v[10:11], v[24:25]
	v_add_f64 v[32:33], v[28:29], v[30:31]
	scratch_load_dwordx4 v[28:31], off, off offset:448
	;; [unrolled: 5-line block ×3, first 2 shown]
	s_waitcnt vmcnt(0) lgkmcnt(0)
	v_mul_f64 v[38:39], v[16:17], v[34:35]
	v_fmac_f64_e32 v[38:39], v[18:19], v[32:33]
	v_add_f64 v[44:45], v[36:37], v[38:39]
	ds_read_b128 v[36:39], v2 offset:1024
	s_waitcnt lgkmcnt(0)
	v_mul_f64 v[46:47], v[36:37], v[42:43]
	v_fmac_f64_e32 v[46:47], v[38:39], v[40:41]
	v_add_f64 v[52:53], v[44:45], v[46:47]
	ds_read_b128 v[44:47], v2 offset:1040
	s_waitcnt lgkmcnt(0)
	;; [unrolled: 5-line block ×6, first 2 shown]
	v_mul_f64 v[2:3], v[76:77], v[82:83]
	v_fmac_f64_e32 v[2:3], v[78:79], v[80:81]
	v_add_f64 v[84:85], v[84:85], v[2:3]
	v_mul_f64 v[2:3], v[6:7], v[22:23]
	v_fma_f64 v[2:3], v[4:5], v[20:21], -v[2:3]
	v_mul_f64 v[4:5], v[10:11], v[26:27]
	v_add_f64 v[2:3], v[2:3], 0
	v_fma_f64 v[4:5], v[8:9], v[24:25], -v[4:5]
	v_add_f64 v[2:3], v[2:3], v[4:5]
	v_mul_f64 v[4:5], v[14:15], v[30:31]
	v_fma_f64 v[4:5], v[12:13], v[28:29], -v[4:5]
	v_add_f64 v[2:3], v[2:3], v[4:5]
	v_mul_f64 v[4:5], v[18:19], v[34:35]
	;; [unrolled: 3-line block ×8, first 2 shown]
	v_fma_f64 v[4:5], v[76:77], v[80:81], -v[4:5]
	v_add_f64 v[6:7], v[2:3], v[4:5]
	scratch_load_dwordx4 v[2:5], off, off offset:400
	s_waitcnt vmcnt(0)
	v_add_f64 v[2:3], v[2:3], -v[6:7]
	v_add_f64 v[4:5], v[4:5], -v[84:85]
	scratch_store_dwordx4 off, v[2:5], off offset:400
	s_and_saveexec_b64 s[0:1], vcc
	s_cbranch_execz .LBB34_177
; %bb.176:
	scratch_load_dwordx4 v[2:5], off, s36
	v_mov_b32_e32 v6, 0
	v_mov_b32_e32 v7, v6
	;; [unrolled: 1-line block ×4, first 2 shown]
	scratch_store_dwordx4 off, v[6:9], off offset:384
	s_waitcnt vmcnt(1)
	ds_write_b128 v1, v[2:5]
.LBB34_177:
	s_or_b64 exec, exec, s[0:1]
	v_mov_b32_e32 v2, 0
	s_waitcnt lgkmcnt(0)
	; wave barrier
	ds_read_b128 v[4:7], v2 offset:944
	ds_read_b128 v[8:11], v2 offset:960
	;; [unrolled: 1-line block ×4, first 2 shown]
	scratch_load_dwordx4 v[20:23], off, off offset:400
	scratch_load_dwordx4 v[40:43], off, off offset:464
	;; [unrolled: 1-line block ×5, first 2 shown]
	v_cmp_lt_u32_e32 vcc, 22, v0
	scratch_load_dwordx4 v[48:51], off, off offset:480
	scratch_load_dwordx4 v[56:59], off, off offset:496
	;; [unrolled: 1-line block ×3, first 2 shown]
	s_waitcnt vmcnt(7) lgkmcnt(3)
	v_mul_f64 v[24:25], v[4:5], v[22:23]
	v_fmac_f64_e32 v[24:25], v[6:7], v[20:21]
	v_add_f64 v[28:29], v[24:25], 0
	scratch_load_dwordx4 v[24:27], off, off offset:416
	v_mul_f64 v[6:7], v[6:7], v[22:23]
	v_fma_f64 v[4:5], v[4:5], v[20:21], -v[6:7]
	v_add_f64 v[4:5], v[4:5], 0
	s_waitcnt vmcnt(0) lgkmcnt(2)
	v_mul_f64 v[30:31], v[8:9], v[26:27]
	v_fmac_f64_e32 v[30:31], v[10:11], v[24:25]
	v_add_f64 v[32:33], v[28:29], v[30:31]
	scratch_load_dwordx4 v[28:31], off, off offset:432
	v_mul_f64 v[6:7], v[10:11], v[26:27]
	v_fma_f64 v[6:7], v[8:9], v[24:25], -v[6:7]
	v_add_f64 v[4:5], v[4:5], v[6:7]
	;; [unrolled: 8-line block ×3, first 2 shown]
	s_waitcnt vmcnt(0) lgkmcnt(0)
	v_mul_f64 v[38:39], v[16:17], v[34:35]
	v_fmac_f64_e32 v[38:39], v[18:19], v[32:33]
	v_add_f64 v[44:45], v[36:37], v[38:39]
	ds_read_b128 v[36:39], v2 offset:1008
	v_mul_f64 v[6:7], v[18:19], v[34:35]
	v_fma_f64 v[6:7], v[16:17], v[32:33], -v[6:7]
	v_add_f64 v[4:5], v[4:5], v[6:7]
	s_waitcnt lgkmcnt(0)
	v_mul_f64 v[46:47], v[36:37], v[42:43]
	v_fmac_f64_e32 v[46:47], v[38:39], v[40:41]
	v_add_f64 v[52:53], v[44:45], v[46:47]
	ds_read_b128 v[44:47], v2 offset:1024
	v_mul_f64 v[6:7], v[38:39], v[42:43]
	v_fma_f64 v[6:7], v[36:37], v[40:41], -v[6:7]
	v_add_f64 v[4:5], v[4:5], v[6:7]
	s_waitcnt lgkmcnt(0)
	;; [unrolled: 8-line block ×7, first 2 shown]
	v_mul_f64 v[6:7], v[86:87], v[90:91]
	v_fma_f64 v[6:7], v[84:85], v[88:89], -v[6:7]
	v_add_f64 v[8:9], v[4:5], v[6:7]
	scratch_load_dwordx4 v[4:7], off, off offset:384
	v_mul_f64 v[94:95], v[84:85], v[90:91]
	v_fmac_f64_e32 v[94:95], v[86:87], v[88:89]
	v_add_f64 v[92:93], v[92:93], v[94:95]
	s_waitcnt vmcnt(0)
	v_add_f64 v[4:5], v[4:5], -v[8:9]
	v_add_f64 v[6:7], v[6:7], -v[92:93]
	scratch_store_dwordx4 off, v[4:7], off offset:384
	s_and_saveexec_b64 s[0:1], vcc
	s_cbranch_execz .LBB34_179
; %bb.178:
	scratch_load_dwordx4 v[6:9], off, s35
	v_mov_b32_e32 v3, v2
	v_mov_b32_e32 v4, v2
	;; [unrolled: 1-line block ×3, first 2 shown]
	scratch_store_dwordx4 off, v[2:5], off offset:368
	s_waitcnt vmcnt(1)
	ds_write_b128 v1, v[6:9]
.LBB34_179:
	s_or_b64 exec, exec, s[0:1]
	s_waitcnt lgkmcnt(0)
	; wave barrier
	scratch_load_dwordx4 v[4:7], off, off offset:384
	scratch_load_dwordx4 v[8:11], off, off offset:400
	scratch_load_dwordx4 v[12:15], off, off offset:416
	scratch_load_dwordx4 v[16:19], off, off offset:432
	scratch_load_dwordx4 v[20:23], off, off offset:448
	scratch_load_dwordx4 v[24:27], off, off offset:464
	scratch_load_dwordx4 v[28:31], off, off offset:480
	scratch_load_dwordx4 v[32:35], off, off offset:496
	scratch_load_dwordx4 v[36:39], off, off offset:512
	scratch_load_dwordx4 v[40:43], off, off offset:528
	scratch_load_dwordx4 v[44:47], off, off offset:544
	scratch_load_dwordx4 v[48:51], off, off offset:560
	ds_read_b128 v[52:55], v2 offset:928
	ds_read_b128 v[56:59], v2 offset:944
	ds_read_b128 v[60:63], v2 offset:960
	ds_read_b128 v[64:67], v2 offset:976
	scratch_load_dwordx4 v[68:71], off, off offset:368
	ds_read_b128 v[72:75], v2 offset:992
	ds_read_b128 v[76:79], v2 offset:1008
	;; [unrolled: 1-line block ×8, first 2 shown]
	v_cmp_lt_u32_e32 vcc, 21, v0
	s_waitcnt vmcnt(12) lgkmcnt(11)
	v_mul_f64 v[2:3], v[52:53], v[6:7]
	s_waitcnt vmcnt(11) lgkmcnt(10)
	v_mul_f64 v[104:105], v[56:57], v[10:11]
	v_fmac_f64_e32 v[2:3], v[54:55], v[4:5]
	s_waitcnt vmcnt(10) lgkmcnt(9)
	v_mul_f64 v[106:107], v[60:61], v[14:15]
	v_mul_f64 v[6:7], v[54:55], v[6:7]
	v_fmac_f64_e32 v[104:105], v[58:59], v[8:9]
	v_add_f64 v[2:3], v[2:3], 0
	s_waitcnt vmcnt(9) lgkmcnt(8)
	v_mul_f64 v[108:109], v[64:65], v[18:19]
	v_mul_f64 v[10:11], v[58:59], v[10:11]
	v_fmac_f64_e32 v[106:107], v[62:63], v[12:13]
	v_fma_f64 v[4:5], v[52:53], v[4:5], -v[6:7]
	v_add_f64 v[2:3], v[2:3], v[104:105]
	s_waitcnt vmcnt(8) lgkmcnt(7)
	v_mul_f64 v[110:111], v[72:73], v[22:23]
	v_mul_f64 v[14:15], v[62:63], v[14:15]
	v_fmac_f64_e32 v[108:109], v[66:67], v[16:17]
	v_fma_f64 v[6:7], v[56:57], v[8:9], -v[10:11]
	v_add_f64 v[4:5], v[4:5], 0
	v_add_f64 v[2:3], v[2:3], v[106:107]
	s_waitcnt vmcnt(7) lgkmcnt(6)
	v_mul_f64 v[112:113], v[76:77], v[26:27]
	v_mul_f64 v[18:19], v[66:67], v[18:19]
	v_fmac_f64_e32 v[110:111], v[74:75], v[20:21]
	v_fma_f64 v[8:9], v[60:61], v[12:13], -v[14:15]
	v_add_f64 v[4:5], v[4:5], v[6:7]
	;; [unrolled: 7-line block ×8, first 2 shown]
	v_add_f64 v[2:3], v[2:3], v[120:121]
	v_mul_f64 v[46:47], v[98:99], v[46:47]
	v_fmac_f64_e32 v[124:125], v[102:103], v[48:49]
	v_fma_f64 v[22:23], v[92:93], v[40:41], -v[42:43]
	v_add_f64 v[4:5], v[4:5], v[20:21]
	v_add_f64 v[2:3], v[2:3], v[122:123]
	v_add_f64 v[4:5], v[4:5], v[22:23]
	v_add_f64 v[6:7], v[2:3], v[124:125]
	v_fma_f64 v[2:3], v[96:97], v[44:45], -v[46:47]
	v_add_f64 v[2:3], v[4:5], v[2:3]
	v_mul_f64 v[4:5], v[102:103], v[50:51]
	v_fma_f64 v[4:5], v[100:101], v[48:49], -v[4:5]
	v_add_f64 v[2:3], v[2:3], v[4:5]
	s_waitcnt vmcnt(0)
	v_add_f64 v[2:3], v[68:69], -v[2:3]
	v_add_f64 v[4:5], v[70:71], -v[6:7]
	scratch_store_dwordx4 off, v[2:5], off offset:368
	s_and_saveexec_b64 s[0:1], vcc
	s_cbranch_execz .LBB34_181
; %bb.180:
	scratch_load_dwordx4 v[2:5], off, s34
	v_mov_b32_e32 v6, 0
	v_mov_b32_e32 v7, v6
	;; [unrolled: 1-line block ×4, first 2 shown]
	scratch_store_dwordx4 off, v[6:9], off offset:352
	s_waitcnt vmcnt(1)
	ds_write_b128 v1, v[2:5]
.LBB34_181:
	s_or_b64 exec, exec, s[0:1]
	s_waitcnt lgkmcnt(0)
	; wave barrier
	scratch_load_dwordx4 v[4:7], off, off offset:368
	scratch_load_dwordx4 v[8:11], off, off offset:384
	;; [unrolled: 1-line block ×14, first 2 shown]
	v_mov_b32_e32 v2, 0
	ds_read_b128 v[60:63], v2 offset:912
	ds_read_b128 v[64:67], v2 offset:928
	;; [unrolled: 1-line block ×13, first 2 shown]
	v_cmp_lt_u32_e32 vcc, 20, v0
	s_waitcnt vmcnt(13) lgkmcnt(12)
	v_mul_f64 v[112:113], v[60:61], v[6:7]
	v_mul_f64 v[6:7], v[62:63], v[6:7]
	s_waitcnt vmcnt(12) lgkmcnt(11)
	v_mul_f64 v[114:115], v[64:65], v[10:11]
	v_mul_f64 v[10:11], v[66:67], v[10:11]
	v_fmac_f64_e32 v[112:113], v[62:63], v[4:5]
	v_fma_f64 v[4:5], v[60:61], v[4:5], -v[6:7]
	s_waitcnt vmcnt(11) lgkmcnt(10)
	v_mul_f64 v[116:117], v[68:69], v[14:15]
	v_mul_f64 v[14:15], v[70:71], v[14:15]
	v_fma_f64 v[6:7], v[64:65], v[8:9], -v[10:11]
	v_add_f64 v[4:5], v[4:5], 0
	s_waitcnt vmcnt(10) lgkmcnt(9)
	v_mul_f64 v[118:119], v[72:73], v[18:19]
	v_mul_f64 v[18:19], v[74:75], v[18:19]
	v_fmac_f64_e32 v[114:115], v[66:67], v[8:9]
	v_fma_f64 v[8:9], v[68:69], v[12:13], -v[14:15]
	v_add_f64 v[4:5], v[4:5], v[6:7]
	s_waitcnt vmcnt(9) lgkmcnt(8)
	v_mul_f64 v[120:121], v[76:77], v[22:23]
	v_mul_f64 v[22:23], v[78:79], v[22:23]
	v_fma_f64 v[10:11], v[72:73], v[16:17], -v[18:19]
	v_add_f64 v[4:5], v[4:5], v[8:9]
	s_waitcnt vmcnt(8) lgkmcnt(7)
	v_mul_f64 v[122:123], v[80:81], v[26:27]
	v_mul_f64 v[26:27], v[82:83], v[26:27]
	v_fmac_f64_e32 v[116:117], v[70:71], v[12:13]
	v_fma_f64 v[12:13], v[76:77], v[20:21], -v[22:23]
	v_add_f64 v[22:23], v[112:113], 0
	v_add_f64 v[4:5], v[4:5], v[10:11]
	s_waitcnt vmcnt(7) lgkmcnt(6)
	v_mul_f64 v[124:125], v[84:85], v[30:31]
	v_mul_f64 v[30:31], v[86:87], v[30:31]
	v_fma_f64 v[14:15], v[80:81], v[24:25], -v[26:27]
	v_add_f64 v[22:23], v[22:23], v[114:115]
	v_add_f64 v[4:5], v[4:5], v[12:13]
	s_waitcnt vmcnt(6) lgkmcnt(5)
	v_mul_f64 v[126:127], v[88:89], v[34:35]
	v_mul_f64 v[34:35], v[90:91], v[34:35]
	v_fmac_f64_e32 v[118:119], v[74:75], v[16:17]
	v_fma_f64 v[16:17], v[84:85], v[28:29], -v[30:31]
	v_add_f64 v[6:7], v[22:23], v[116:117]
	v_add_f64 v[4:5], v[4:5], v[14:15]
	s_waitcnt vmcnt(5) lgkmcnt(4)
	v_mul_f64 v[128:129], v[92:93], v[38:39]
	v_mul_f64 v[38:39], v[94:95], v[38:39]
	v_fmac_f64_e32 v[120:121], v[78:79], v[20:21]
	v_fma_f64 v[18:19], v[88:89], v[32:33], -v[34:35]
	v_add_f64 v[6:7], v[6:7], v[118:119]
	v_add_f64 v[4:5], v[4:5], v[16:17]
	v_fmac_f64_e32 v[122:123], v[82:83], v[24:25]
	v_fma_f64 v[20:21], v[92:93], v[36:37], -v[38:39]
	v_add_f64 v[6:7], v[6:7], v[120:121]
	v_add_f64 v[4:5], v[4:5], v[18:19]
	s_waitcnt vmcnt(4) lgkmcnt(3)
	v_mul_f64 v[8:9], v[98:99], v[42:43]
	v_fmac_f64_e32 v[124:125], v[86:87], v[28:29]
	v_add_f64 v[6:7], v[6:7], v[122:123]
	v_add_f64 v[4:5], v[4:5], v[20:21]
	v_fma_f64 v[8:9], v[96:97], v[40:41], -v[8:9]
	v_fmac_f64_e32 v[126:127], v[90:91], v[32:33]
	v_add_f64 v[6:7], v[6:7], v[124:125]
	v_add_f64 v[4:5], v[4:5], v[8:9]
	s_waitcnt vmcnt(3) lgkmcnt(2)
	v_mul_f64 v[8:9], v[102:103], v[46:47]
	v_mul_f64 v[130:131], v[96:97], v[42:43]
	v_fmac_f64_e32 v[128:129], v[94:95], v[36:37]
	v_add_f64 v[6:7], v[6:7], v[126:127]
	v_fma_f64 v[8:9], v[100:101], v[44:45], -v[8:9]
	v_mul_f64 v[132:133], v[100:101], v[46:47]
	v_fmac_f64_e32 v[130:131], v[98:99], v[40:41]
	v_add_f64 v[6:7], v[6:7], v[128:129]
	v_add_f64 v[4:5], v[4:5], v[8:9]
	s_waitcnt vmcnt(2) lgkmcnt(1)
	v_mul_f64 v[8:9], v[106:107], v[50:51]
	v_mul_f64 v[134:135], v[104:105], v[50:51]
	v_fmac_f64_e32 v[132:133], v[102:103], v[44:45]
	v_add_f64 v[6:7], v[6:7], v[130:131]
	v_fma_f64 v[8:9], v[104:105], v[48:49], -v[8:9]
	s_waitcnt vmcnt(1) lgkmcnt(0)
	v_mul_f64 v[136:137], v[108:109], v[54:55]
	v_fmac_f64_e32 v[134:135], v[106:107], v[48:49]
	v_add_f64 v[6:7], v[6:7], v[132:133]
	v_add_f64 v[4:5], v[4:5], v[8:9]
	v_mul_f64 v[8:9], v[110:111], v[54:55]
	v_fmac_f64_e32 v[136:137], v[110:111], v[52:53]
	v_add_f64 v[6:7], v[6:7], v[134:135]
	v_fma_f64 v[8:9], v[108:109], v[52:53], -v[8:9]
	v_add_f64 v[6:7], v[6:7], v[136:137]
	v_add_f64 v[4:5], v[4:5], v[8:9]
	s_waitcnt vmcnt(0)
	v_add_f64 v[4:5], v[56:57], -v[4:5]
	v_add_f64 v[6:7], v[58:59], -v[6:7]
	scratch_store_dwordx4 off, v[4:7], off offset:352
	s_and_saveexec_b64 s[0:1], vcc
	s_cbranch_execz .LBB34_183
; %bb.182:
	scratch_load_dwordx4 v[6:9], off, s33
	v_mov_b32_e32 v3, v2
	v_mov_b32_e32 v4, v2
	;; [unrolled: 1-line block ×3, first 2 shown]
	scratch_store_dwordx4 off, v[2:5], off offset:336
	s_waitcnt vmcnt(1)
	ds_write_b128 v1, v[6:9]
.LBB34_183:
	s_or_b64 exec, exec, s[0:1]
	s_waitcnt lgkmcnt(0)
	; wave barrier
	scratch_load_dwordx4 v[4:7], off, off offset:352
	scratch_load_dwordx4 v[8:11], off, off offset:368
	;; [unrolled: 1-line block ×14, first 2 shown]
	ds_read_b128 v[60:63], v2 offset:896
	ds_read_b128 v[64:67], v2 offset:912
	;; [unrolled: 1-line block ×14, first 2 shown]
	scratch_load_dwordx4 v[116:119], off, off offset:336
	v_cmp_lt_u32_e32 vcc, 19, v0
	s_waitcnt vmcnt(14) lgkmcnt(13)
	v_mul_f64 v[2:3], v[60:61], v[6:7]
	s_waitcnt vmcnt(13) lgkmcnt(12)
	v_mul_f64 v[120:121], v[64:65], v[10:11]
	v_fmac_f64_e32 v[2:3], v[62:63], v[4:5]
	s_waitcnt vmcnt(12) lgkmcnt(11)
	v_mul_f64 v[122:123], v[68:69], v[14:15]
	v_fmac_f64_e32 v[120:121], v[66:67], v[8:9]
	v_add_f64 v[2:3], v[2:3], 0
	s_waitcnt vmcnt(11) lgkmcnt(10)
	v_mul_f64 v[124:125], v[72:73], v[18:19]
	v_fmac_f64_e32 v[122:123], v[70:71], v[12:13]
	v_add_f64 v[2:3], v[2:3], v[120:121]
	;; [unrolled: 4-line block ×4, first 2 shown]
	s_waitcnt vmcnt(8) lgkmcnt(7)
	v_mul_f64 v[130:131], v[84:85], v[30:31]
	v_mul_f64 v[6:7], v[62:63], v[6:7]
	v_fmac_f64_e32 v[128:129], v[82:83], v[24:25]
	v_add_f64 v[2:3], v[2:3], v[126:127]
	s_waitcnt vmcnt(7) lgkmcnt(6)
	v_mul_f64 v[132:133], v[88:89], v[34:35]
	v_mul_f64 v[10:11], v[66:67], v[10:11]
	v_fmac_f64_e32 v[130:131], v[86:87], v[28:29]
	v_fma_f64 v[4:5], v[60:61], v[4:5], -v[6:7]
	v_add_f64 v[2:3], v[2:3], v[128:129]
	s_waitcnt vmcnt(6) lgkmcnt(5)
	v_mul_f64 v[134:135], v[92:93], v[38:39]
	v_mul_f64 v[14:15], v[70:71], v[14:15]
	v_fmac_f64_e32 v[132:133], v[90:91], v[32:33]
	v_fma_f64 v[6:7], v[64:65], v[8:9], -v[10:11]
	v_add_f64 v[4:5], v[4:5], 0
	v_add_f64 v[2:3], v[2:3], v[130:131]
	s_waitcnt vmcnt(5) lgkmcnt(4)
	v_mul_f64 v[136:137], v[96:97], v[42:43]
	v_mul_f64 v[18:19], v[74:75], v[18:19]
	v_fmac_f64_e32 v[134:135], v[94:95], v[36:37]
	v_fma_f64 v[8:9], v[68:69], v[12:13], -v[14:15]
	v_add_f64 v[4:5], v[4:5], v[6:7]
	;; [unrolled: 7-line block ×6, first 2 shown]
	v_add_f64 v[2:3], v[2:3], v[140:141]
	v_fmac_f64_e32 v[144:145], v[114:115], v[56:57]
	v_fma_f64 v[18:19], v[88:89], v[32:33], -v[34:35]
	v_add_f64 v[4:5], v[4:5], v[16:17]
	v_add_f64 v[2:3], v[2:3], v[142:143]
	;; [unrolled: 1-line block ×4, first 2 shown]
	v_mul_f64 v[4:5], v[94:95], v[38:39]
	v_fma_f64 v[4:5], v[92:93], v[36:37], -v[4:5]
	v_add_f64 v[2:3], v[2:3], v[4:5]
	v_mul_f64 v[4:5], v[98:99], v[42:43]
	v_fma_f64 v[4:5], v[96:97], v[40:41], -v[4:5]
	v_add_f64 v[2:3], v[2:3], v[4:5]
	;; [unrolled: 3-line block ×6, first 2 shown]
	s_waitcnt vmcnt(0)
	v_add_f64 v[2:3], v[116:117], -v[2:3]
	v_add_f64 v[4:5], v[118:119], -v[6:7]
	scratch_store_dwordx4 off, v[2:5], off offset:336
	s_and_saveexec_b64 s[0:1], vcc
	s_cbranch_execz .LBB34_185
; %bb.184:
	scratch_load_dwordx4 v[2:5], off, s31
	v_mov_b32_e32 v6, 0
	v_mov_b32_e32 v7, v6
	;; [unrolled: 1-line block ×4, first 2 shown]
	scratch_store_dwordx4 off, v[6:9], off offset:320
	s_waitcnt vmcnt(1)
	ds_write_b128 v1, v[2:5]
.LBB34_185:
	s_or_b64 exec, exec, s[0:1]
	s_waitcnt lgkmcnt(0)
	; wave barrier
	scratch_load_dwordx4 v[4:7], off, off offset:336
	scratch_load_dwordx4 v[8:11], off, off offset:352
	;; [unrolled: 1-line block ×16, first 2 shown]
	v_mov_b32_e32 v2, 0
	ds_read_b128 v[68:71], v2 offset:880
	ds_read_b128 v[72:75], v2 offset:896
	;; [unrolled: 1-line block ×15, first 2 shown]
	v_cmp_lt_u32_e32 vcc, 18, v0
	s_waitcnt vmcnt(15) lgkmcnt(14)
	v_mul_f64 v[128:129], v[68:69], v[6:7]
	v_mul_f64 v[6:7], v[70:71], v[6:7]
	s_waitcnt vmcnt(14) lgkmcnt(13)
	v_mul_f64 v[130:131], v[72:73], v[10:11]
	v_mul_f64 v[10:11], v[74:75], v[10:11]
	v_fmac_f64_e32 v[128:129], v[70:71], v[4:5]
	v_fma_f64 v[4:5], v[68:69], v[4:5], -v[6:7]
	s_waitcnt vmcnt(13) lgkmcnt(12)
	v_mul_f64 v[132:133], v[76:77], v[14:15]
	v_mul_f64 v[14:15], v[78:79], v[14:15]
	v_fma_f64 v[6:7], v[72:73], v[8:9], -v[10:11]
	v_add_f64 v[4:5], v[4:5], 0
	s_waitcnt vmcnt(12) lgkmcnt(11)
	v_mul_f64 v[134:135], v[80:81], v[18:19]
	v_mul_f64 v[18:19], v[82:83], v[18:19]
	v_fmac_f64_e32 v[130:131], v[74:75], v[8:9]
	v_fma_f64 v[8:9], v[76:77], v[12:13], -v[14:15]
	v_add_f64 v[4:5], v[4:5], v[6:7]
	s_waitcnt vmcnt(11) lgkmcnt(10)
	v_mul_f64 v[136:137], v[84:85], v[22:23]
	v_mul_f64 v[22:23], v[86:87], v[22:23]
	v_fma_f64 v[10:11], v[80:81], v[16:17], -v[18:19]
	v_add_f64 v[4:5], v[4:5], v[8:9]
	s_waitcnt vmcnt(10) lgkmcnt(9)
	v_mul_f64 v[138:139], v[88:89], v[26:27]
	v_mul_f64 v[26:27], v[90:91], v[26:27]
	v_fmac_f64_e32 v[132:133], v[78:79], v[12:13]
	v_fma_f64 v[12:13], v[84:85], v[20:21], -v[22:23]
	v_add_f64 v[4:5], v[4:5], v[10:11]
	v_fma_f64 v[14:15], v[88:89], v[24:25], -v[26:27]
	v_add_f64 v[4:5], v[4:5], v[12:13]
	s_waitcnt vmcnt(9) lgkmcnt(8)
	v_mul_f64 v[8:9], v[94:95], v[30:31]
	v_add_f64 v[4:5], v[4:5], v[14:15]
	v_fma_f64 v[8:9], v[92:93], v[28:29], -v[8:9]
	v_add_f64 v[4:5], v[4:5], v[8:9]
	s_waitcnt vmcnt(8) lgkmcnt(7)
	v_mul_f64 v[8:9], v[98:99], v[34:35]
	v_fma_f64 v[8:9], v[96:97], v[32:33], -v[8:9]
	v_fmac_f64_e32 v[134:135], v[82:83], v[16:17]
	v_add_f64 v[16:17], v[128:129], 0
	v_add_f64 v[4:5], v[4:5], v[8:9]
	s_waitcnt vmcnt(7) lgkmcnt(6)
	v_mul_f64 v[8:9], v[102:103], v[38:39]
	v_add_f64 v[16:17], v[16:17], v[130:131]
	v_fma_f64 v[8:9], v[100:101], v[36:37], -v[8:9]
	v_add_f64 v[6:7], v[16:17], v[132:133]
	v_add_f64 v[4:5], v[4:5], v[8:9]
	s_waitcnt vmcnt(6) lgkmcnt(5)
	v_mul_f64 v[8:9], v[106:107], v[42:43]
	v_fmac_f64_e32 v[136:137], v[86:87], v[20:21]
	v_add_f64 v[6:7], v[6:7], v[134:135]
	v_fma_f64 v[8:9], v[104:105], v[40:41], -v[8:9]
	v_mul_f64 v[140:141], v[92:93], v[30:31]
	v_fmac_f64_e32 v[138:139], v[90:91], v[24:25]
	v_add_f64 v[6:7], v[6:7], v[136:137]
	v_add_f64 v[4:5], v[4:5], v[8:9]
	s_waitcnt vmcnt(5) lgkmcnt(4)
	v_mul_f64 v[8:9], v[110:111], v[46:47]
	v_mul_f64 v[142:143], v[96:97], v[34:35]
	v_fmac_f64_e32 v[140:141], v[94:95], v[28:29]
	v_add_f64 v[6:7], v[6:7], v[138:139]
	v_fma_f64 v[8:9], v[108:109], v[44:45], -v[8:9]
	v_mul_f64 v[144:145], v[100:101], v[38:39]
	v_fmac_f64_e32 v[142:143], v[98:99], v[32:33]
	v_add_f64 v[6:7], v[6:7], v[140:141]
	v_add_f64 v[4:5], v[4:5], v[8:9]
	s_waitcnt vmcnt(4) lgkmcnt(3)
	v_mul_f64 v[8:9], v[114:115], v[50:51]
	;; [unrolled: 10-line block ×4, first 2 shown]
	v_mul_f64 v[154:155], v[120:121], v[58:59]
	v_fmac_f64_e32 v[152:153], v[118:119], v[52:53]
	v_add_f64 v[6:7], v[6:7], v[150:151]
	v_fma_f64 v[8:9], v[120:121], v[56:57], -v[8:9]
	s_waitcnt vmcnt(1) lgkmcnt(0)
	v_mul_f64 v[156:157], v[124:125], v[62:63]
	v_fmac_f64_e32 v[154:155], v[122:123], v[56:57]
	v_add_f64 v[6:7], v[6:7], v[152:153]
	v_add_f64 v[4:5], v[4:5], v[8:9]
	v_mul_f64 v[8:9], v[126:127], v[62:63]
	v_fmac_f64_e32 v[156:157], v[126:127], v[60:61]
	v_add_f64 v[6:7], v[6:7], v[154:155]
	v_fma_f64 v[8:9], v[124:125], v[60:61], -v[8:9]
	v_add_f64 v[6:7], v[6:7], v[156:157]
	v_add_f64 v[4:5], v[4:5], v[8:9]
	s_waitcnt vmcnt(0)
	v_add_f64 v[4:5], v[64:65], -v[4:5]
	v_add_f64 v[6:7], v[66:67], -v[6:7]
	scratch_store_dwordx4 off, v[4:7], off offset:320
	s_and_saveexec_b64 s[0:1], vcc
	s_cbranch_execz .LBB34_187
; %bb.186:
	scratch_load_dwordx4 v[6:9], off, s30
	v_mov_b32_e32 v3, v2
	v_mov_b32_e32 v4, v2
	;; [unrolled: 1-line block ×3, first 2 shown]
	scratch_store_dwordx4 off, v[2:5], off offset:304
	s_waitcnt vmcnt(1)
	ds_write_b128 v1, v[6:9]
.LBB34_187:
	s_or_b64 exec, exec, s[0:1]
	s_waitcnt lgkmcnt(0)
	; wave barrier
	scratch_load_dwordx4 v[4:7], off, off offset:320
	scratch_load_dwordx4 v[8:11], off, off offset:336
	;; [unrolled: 1-line block ×16, first 2 shown]
	ds_read_b128 v[68:71], v2 offset:864
	ds_read_b128 v[72:75], v2 offset:880
	ds_read_b128 v[76:79], v2 offset:896
	ds_read_b128 v[80:83], v2 offset:912
	ds_read_b128 v[84:87], v2 offset:928
	ds_read_b128 v[88:91], v2 offset:944
	ds_read_b128 v[92:95], v2 offset:960
	ds_read_b128 v[96:99], v2 offset:976
	ds_read_b128 v[100:103], v2 offset:992
	ds_read_b128 v[104:107], v2 offset:1008
	ds_read_b128 v[108:111], v2 offset:1024
	ds_read_b128 v[112:115], v2 offset:1040
	ds_read_b128 v[116:119], v2 offset:1056
	ds_read_b128 v[120:123], v2 offset:1072
	ds_read_b128 v[124:127], v2 offset:1088
	ds_read_b128 v[128:131], v2 offset:1104
	scratch_load_dwordx4 v[132:135], off, off offset:304
	v_cmp_lt_u32_e32 vcc, 17, v0
	s_waitcnt vmcnt(16) lgkmcnt(14)
	v_mul_f64 v[2:3], v[68:69], v[6:7]
	s_waitcnt vmcnt(15)
	v_mul_f64 v[136:137], v[72:73], v[10:11]
	v_fmac_f64_e32 v[2:3], v[70:71], v[4:5]
	s_waitcnt vmcnt(14) lgkmcnt(13)
	v_mul_f64 v[138:139], v[76:77], v[14:15]
	v_fmac_f64_e32 v[136:137], v[74:75], v[8:9]
	v_add_f64 v[2:3], v[2:3], 0
	s_waitcnt vmcnt(13) lgkmcnt(12)
	v_mul_f64 v[140:141], v[80:81], v[18:19]
	v_fmac_f64_e32 v[138:139], v[78:79], v[12:13]
	v_add_f64 v[2:3], v[2:3], v[136:137]
	s_waitcnt vmcnt(12) lgkmcnt(11)
	v_mul_f64 v[142:143], v[84:85], v[26:27]
	v_fmac_f64_e32 v[140:141], v[82:83], v[16:17]
	v_add_f64 v[2:3], v[2:3], v[138:139]
	s_waitcnt vmcnt(11) lgkmcnt(10)
	v_mul_f64 v[144:145], v[88:89], v[22:23]
	v_fmac_f64_e32 v[142:143], v[86:87], v[24:25]
	v_add_f64 v[2:3], v[2:3], v[140:141]
	s_waitcnt vmcnt(10) lgkmcnt(9)
	v_mul_f64 v[146:147], v[92:93], v[30:31]
	v_fmac_f64_e32 v[144:145], v[90:91], v[20:21]
	v_add_f64 v[2:3], v[2:3], v[142:143]
	s_waitcnt vmcnt(9) lgkmcnt(8)
	v_mul_f64 v[148:149], v[96:97], v[34:35]
	v_fmac_f64_e32 v[146:147], v[94:95], v[28:29]
	v_add_f64 v[2:3], v[2:3], v[144:145]
	s_waitcnt vmcnt(8) lgkmcnt(7)
	v_mul_f64 v[150:151], v[100:101], v[38:39]
	v_fmac_f64_e32 v[148:149], v[98:99], v[32:33]
	v_add_f64 v[2:3], v[2:3], v[146:147]
	s_waitcnt vmcnt(7) lgkmcnt(6)
	v_mul_f64 v[152:153], v[104:105], v[42:43]
	v_fmac_f64_e32 v[150:151], v[102:103], v[36:37]
	v_add_f64 v[2:3], v[2:3], v[148:149]
	s_waitcnt vmcnt(6) lgkmcnt(5)
	v_mul_f64 v[154:155], v[108:109], v[46:47]
	v_fmac_f64_e32 v[152:153], v[106:107], v[40:41]
	v_add_f64 v[2:3], v[2:3], v[150:151]
	s_waitcnt vmcnt(5) lgkmcnt(4)
	v_mul_f64 v[156:157], v[112:113], v[50:51]
	v_fmac_f64_e32 v[154:155], v[110:111], v[44:45]
	v_add_f64 v[2:3], v[2:3], v[152:153]
	s_waitcnt vmcnt(4) lgkmcnt(3)
	v_mul_f64 v[158:159], v[116:117], v[54:55]
	v_mul_f64 v[6:7], v[70:71], v[6:7]
	v_fmac_f64_e32 v[156:157], v[114:115], v[48:49]
	v_add_f64 v[2:3], v[2:3], v[154:155]
	s_waitcnt vmcnt(3) lgkmcnt(2)
	v_mul_f64 v[160:161], v[120:121], v[58:59]
	v_mul_f64 v[10:11], v[74:75], v[10:11]
	v_fmac_f64_e32 v[158:159], v[118:119], v[52:53]
	v_fma_f64 v[4:5], v[68:69], v[4:5], -v[6:7]
	v_add_f64 v[2:3], v[2:3], v[156:157]
	s_waitcnt vmcnt(2) lgkmcnt(1)
	v_mul_f64 v[162:163], v[124:125], v[62:63]
	v_mul_f64 v[14:15], v[78:79], v[14:15]
	v_fmac_f64_e32 v[160:161], v[122:123], v[56:57]
	v_fma_f64 v[6:7], v[72:73], v[8:9], -v[10:11]
	v_add_f64 v[4:5], v[4:5], 0
	v_add_f64 v[2:3], v[2:3], v[158:159]
	s_waitcnt vmcnt(1) lgkmcnt(0)
	v_mul_f64 v[164:165], v[128:129], v[66:67]
	v_mul_f64 v[18:19], v[82:83], v[18:19]
	v_fmac_f64_e32 v[162:163], v[126:127], v[60:61]
	v_fma_f64 v[8:9], v[76:77], v[12:13], -v[14:15]
	v_add_f64 v[4:5], v[4:5], v[6:7]
	v_add_f64 v[2:3], v[2:3], v[160:161]
	v_mul_f64 v[26:27], v[86:87], v[26:27]
	v_fmac_f64_e32 v[164:165], v[130:131], v[64:65]
	v_fma_f64 v[10:11], v[80:81], v[16:17], -v[18:19]
	v_add_f64 v[4:5], v[4:5], v[8:9]
	v_add_f64 v[2:3], v[2:3], v[162:163]
	v_fma_f64 v[12:13], v[84:85], v[24:25], -v[26:27]
	v_add_f64 v[4:5], v[4:5], v[10:11]
	v_add_f64 v[6:7], v[2:3], v[164:165]
	v_mul_f64 v[2:3], v[90:91], v[22:23]
	v_add_f64 v[4:5], v[4:5], v[12:13]
	v_fma_f64 v[2:3], v[88:89], v[20:21], -v[2:3]
	v_add_f64 v[2:3], v[4:5], v[2:3]
	v_mul_f64 v[4:5], v[94:95], v[30:31]
	v_fma_f64 v[4:5], v[92:93], v[28:29], -v[4:5]
	v_add_f64 v[2:3], v[2:3], v[4:5]
	v_mul_f64 v[4:5], v[98:99], v[34:35]
	;; [unrolled: 3-line block ×10, first 2 shown]
	v_fma_f64 v[4:5], v[128:129], v[64:65], -v[4:5]
	v_add_f64 v[2:3], v[2:3], v[4:5]
	s_waitcnt vmcnt(0)
	v_add_f64 v[2:3], v[132:133], -v[2:3]
	v_add_f64 v[4:5], v[134:135], -v[6:7]
	scratch_store_dwordx4 off, v[2:5], off offset:304
	s_and_saveexec_b64 s[0:1], vcc
	s_cbranch_execz .LBB34_189
; %bb.188:
	scratch_load_dwordx4 v[2:5], off, s29
	v_mov_b32_e32 v6, 0
	v_mov_b32_e32 v7, v6
	;; [unrolled: 1-line block ×4, first 2 shown]
	scratch_store_dwordx4 off, v[6:9], off offset:288
	s_waitcnt vmcnt(1)
	ds_write_b128 v1, v[2:5]
.LBB34_189:
	s_or_b64 exec, exec, s[0:1]
	s_waitcnt lgkmcnt(0)
	; wave barrier
	scratch_load_dwordx4 v[4:7], off, off offset:304
	scratch_load_dwordx4 v[8:11], off, off offset:320
	;; [unrolled: 1-line block ×18, first 2 shown]
	v_mov_b32_e32 v2, 0
	ds_read_b128 v[76:79], v2 offset:848
	ds_read_b128 v[80:83], v2 offset:864
	ds_read_b128 v[84:87], v2 offset:880
	ds_read_b128 v[88:91], v2 offset:896
	ds_read_b128 v[92:95], v2 offset:912
	ds_read_b128 v[96:99], v2 offset:928
	ds_read_b128 v[100:103], v2 offset:944
	ds_read_b128 v[104:107], v2 offset:960
	ds_read_b128 v[108:111], v2 offset:976
	ds_read_b128 v[112:115], v2 offset:992
	ds_read_b128 v[116:119], v2 offset:1008
	ds_read_b128 v[120:123], v2 offset:1024
	ds_read_b128 v[124:127], v2 offset:1040
	ds_read_b128 v[128:131], v2 offset:1056
	ds_read_b128 v[132:135], v2 offset:1072
	ds_read_b128 v[136:139], v2 offset:1088
	ds_read_b128 v[140:143], v2 offset:1104
	v_cmp_lt_u32_e32 vcc, 16, v0
	s_waitcnt vmcnt(17) lgkmcnt(14)
	v_mul_f64 v[144:145], v[76:77], v[6:7]
	v_mul_f64 v[6:7], v[78:79], v[6:7]
	s_waitcnt vmcnt(16)
	v_mul_f64 v[146:147], v[80:81], v[10:11]
	v_mul_f64 v[10:11], v[82:83], v[10:11]
	v_fmac_f64_e32 v[144:145], v[78:79], v[4:5]
	v_fma_f64 v[4:5], v[76:77], v[4:5], -v[6:7]
	s_waitcnt vmcnt(15)
	v_mul_f64 v[148:149], v[84:85], v[18:19]
	v_mul_f64 v[18:19], v[86:87], v[18:19]
	v_fma_f64 v[6:7], v[80:81], v[8:9], -v[10:11]
	v_add_f64 v[4:5], v[4:5], 0
	s_waitcnt vmcnt(14) lgkmcnt(13)
	v_mul_f64 v[150:151], v[88:89], v[14:15]
	v_mul_f64 v[14:15], v[90:91], v[14:15]
	v_fmac_f64_e32 v[146:147], v[82:83], v[8:9]
	v_fma_f64 v[8:9], v[84:85], v[16:17], -v[18:19]
	v_add_f64 v[4:5], v[4:5], v[6:7]
	v_add_f64 v[4:5], v[4:5], v[8:9]
	v_fma_f64 v[8:9], v[88:89], v[12:13], -v[14:15]
	v_add_f64 v[4:5], v[4:5], v[8:9]
	s_waitcnt vmcnt(13) lgkmcnt(12)
	v_mul_f64 v[8:9], v[94:95], v[22:23]
	v_fma_f64 v[8:9], v[92:93], v[20:21], -v[8:9]
	v_add_f64 v[4:5], v[4:5], v[8:9]
	s_waitcnt vmcnt(12) lgkmcnt(11)
	v_mul_f64 v[8:9], v[98:99], v[26:27]
	;; [unrolled: 4-line block ×5, first 2 shown]
	v_fma_f64 v[8:9], v[108:109], v[36:37], -v[8:9]
	v_add_f64 v[10:11], v[144:145], 0
	v_add_f64 v[4:5], v[4:5], v[8:9]
	s_waitcnt vmcnt(8) lgkmcnt(7)
	v_mul_f64 v[8:9], v[114:115], v[42:43]
	v_fmac_f64_e32 v[148:149], v[86:87], v[16:17]
	v_add_f64 v[10:11], v[10:11], v[146:147]
	v_fma_f64 v[8:9], v[112:113], v[40:41], -v[8:9]
	v_mul_f64 v[152:153], v[92:93], v[22:23]
	v_fmac_f64_e32 v[150:151], v[90:91], v[12:13]
	v_add_f64 v[6:7], v[10:11], v[148:149]
	v_add_f64 v[4:5], v[4:5], v[8:9]
	s_waitcnt vmcnt(7) lgkmcnt(6)
	v_mul_f64 v[8:9], v[118:119], v[46:47]
	v_mul_f64 v[154:155], v[96:97], v[26:27]
	v_fmac_f64_e32 v[152:153], v[94:95], v[20:21]
	v_add_f64 v[6:7], v[6:7], v[150:151]
	v_fma_f64 v[8:9], v[116:117], v[44:45], -v[8:9]
	v_mul_f64 v[156:157], v[100:101], v[30:31]
	v_fmac_f64_e32 v[154:155], v[98:99], v[24:25]
	v_add_f64 v[6:7], v[6:7], v[152:153]
	v_add_f64 v[4:5], v[4:5], v[8:9]
	s_waitcnt vmcnt(6) lgkmcnt(5)
	v_mul_f64 v[8:9], v[122:123], v[50:51]
	;; [unrolled: 10-line block ×6, first 2 shown]
	v_mul_f64 v[174:175], v[136:137], v[66:67]
	v_fmac_f64_e32 v[172:173], v[134:135], v[60:61]
	v_add_f64 v[6:7], v[6:7], v[170:171]
	v_fma_f64 v[8:9], v[136:137], v[64:65], -v[8:9]
	s_waitcnt vmcnt(1) lgkmcnt(0)
	v_mul_f64 v[176:177], v[140:141], v[70:71]
	v_fmac_f64_e32 v[174:175], v[138:139], v[64:65]
	v_add_f64 v[6:7], v[6:7], v[172:173]
	v_add_f64 v[4:5], v[4:5], v[8:9]
	v_mul_f64 v[8:9], v[142:143], v[70:71]
	v_fmac_f64_e32 v[176:177], v[142:143], v[68:69]
	v_add_f64 v[6:7], v[6:7], v[174:175]
	v_fma_f64 v[8:9], v[140:141], v[68:69], -v[8:9]
	v_add_f64 v[6:7], v[6:7], v[176:177]
	v_add_f64 v[4:5], v[4:5], v[8:9]
	s_waitcnt vmcnt(0)
	v_add_f64 v[4:5], v[72:73], -v[4:5]
	v_add_f64 v[6:7], v[74:75], -v[6:7]
	scratch_store_dwordx4 off, v[4:7], off offset:288
	s_and_saveexec_b64 s[0:1], vcc
	s_cbranch_execz .LBB34_191
; %bb.190:
	scratch_load_dwordx4 v[6:9], off, s28
	v_mov_b32_e32 v3, v2
	v_mov_b32_e32 v4, v2
	;; [unrolled: 1-line block ×3, first 2 shown]
	scratch_store_dwordx4 off, v[2:5], off offset:272
	s_waitcnt vmcnt(1)
	ds_write_b128 v1, v[6:9]
.LBB34_191:
	s_or_b64 exec, exec, s[0:1]
	s_waitcnt lgkmcnt(0)
	; wave barrier
	ds_read_b128 v[16:19], v2 offset:832
	ds_read_b128 v[12:15], v2 offset:848
	;; [unrolled: 1-line block ×4, first 2 shown]
	scratch_load_dwordx4 v[20:23], off, off offset:288
	scratch_load_dwordx4 v[40:43], off, off offset:352
	;; [unrolled: 1-line block ×12, first 2 shown]
	v_cmp_lt_u32_e32 vcc, 15, v0
	scratch_load_dwordx4 v[48:51], off, off offset:368
	scratch_load_dwordx4 v[56:59], off, off offset:384
	;; [unrolled: 1-line block ×3, first 2 shown]
	s_waitcnt vmcnt(14) lgkmcnt(3)
	v_mul_f64 v[24:25], v[16:17], v[22:23]
	v_fmac_f64_e32 v[24:25], v[18:19], v[20:21]
	v_add_f64 v[28:29], v[24:25], 0
	scratch_load_dwordx4 v[24:27], off, off offset:304
	s_waitcnt vmcnt(0) lgkmcnt(2)
	v_mul_f64 v[30:31], v[12:13], v[26:27]
	v_fmac_f64_e32 v[30:31], v[14:15], v[24:25]
	v_add_f64 v[32:33], v[28:29], v[30:31]
	scratch_load_dwordx4 v[28:31], off, off offset:320
	v_mul_f64 v[14:15], v[14:15], v[26:27]
	v_fma_f64 v[12:13], v[12:13], v[24:25], -v[14:15]
	s_waitcnt vmcnt(0) lgkmcnt(1)
	v_mul_f64 v[34:35], v[8:9], v[30:31]
	v_fmac_f64_e32 v[34:35], v[10:11], v[28:29]
	v_add_f64 v[36:37], v[32:33], v[34:35]
	scratch_load_dwordx4 v[32:35], off, off offset:336
	v_mul_f64 v[10:11], v[10:11], v[30:31]
	v_fma_f64 v[8:9], v[8:9], v[28:29], -v[10:11]
	s_waitcnt vmcnt(0) lgkmcnt(0)
	v_mul_f64 v[38:39], v[4:5], v[34:35]
	v_fmac_f64_e32 v[38:39], v[6:7], v[32:33]
	v_add_f64 v[44:45], v[36:37], v[38:39]
	ds_read_b128 v[36:39], v2 offset:896
	v_mul_f64 v[6:7], v[6:7], v[34:35]
	v_fma_f64 v[4:5], v[4:5], v[32:33], -v[6:7]
	s_waitcnt lgkmcnt(0)
	v_mul_f64 v[46:47], v[36:37], v[42:43]
	v_fmac_f64_e32 v[46:47], v[38:39], v[40:41]
	v_add_f64 v[52:53], v[44:45], v[46:47]
	ds_read_b128 v[44:47], v2 offset:912
	s_waitcnt lgkmcnt(0)
	v_mul_f64 v[54:55], v[44:45], v[50:51]
	v_fmac_f64_e32 v[54:55], v[46:47], v[48:49]
	v_add_f64 v[60:61], v[52:53], v[54:55]
	ds_read_b128 v[52:55], v2 offset:928
	s_waitcnt lgkmcnt(0)
	v_mul_f64 v[62:63], v[52:53], v[58:59]
	v_fmac_f64_e32 v[62:63], v[54:55], v[56:57]
	v_add_f64 v[68:69], v[60:61], v[62:63]
	ds_read_b128 v[60:63], v2 offset:944
	s_waitcnt lgkmcnt(0)
	v_mul_f64 v[70:71], v[60:61], v[66:67]
	v_fmac_f64_e32 v[70:71], v[62:63], v[64:65]
	v_add_f64 v[76:77], v[68:69], v[70:71]
	ds_read_b128 v[68:71], v2 offset:960
	s_waitcnt lgkmcnt(0)
	v_mul_f64 v[78:79], v[68:69], v[74:75]
	v_fmac_f64_e32 v[78:79], v[70:71], v[72:73]
	v_add_f64 v[80:81], v[76:77], v[78:79]
	ds_read_b128 v[76:79], v2 offset:976
	s_waitcnt lgkmcnt(0)
	v_mul_f64 v[86:87], v[76:77], v[84:85]
	v_fmac_f64_e32 v[86:87], v[78:79], v[82:83]
	v_add_f64 v[80:81], v[80:81], v[86:87]
	ds_read_b128 v[86:89], v2 offset:992
	s_waitcnt lgkmcnt(0)
	v_mul_f64 v[94:95], v[86:87], v[92:93]
	v_fmac_f64_e32 v[94:95], v[88:89], v[90:91]
	v_add_f64 v[80:81], v[80:81], v[94:95]
	ds_read_b128 v[94:97], v2 offset:1008
	s_waitcnt lgkmcnt(0)
	v_mul_f64 v[102:103], v[94:95], v[100:101]
	v_fmac_f64_e32 v[102:103], v[96:97], v[98:99]
	v_add_f64 v[80:81], v[80:81], v[102:103]
	ds_read_b128 v[102:105], v2 offset:1024
	s_waitcnt lgkmcnt(0)
	v_mul_f64 v[110:111], v[102:103], v[108:109]
	v_fmac_f64_e32 v[110:111], v[104:105], v[106:107]
	v_add_f64 v[80:81], v[80:81], v[110:111]
	ds_read_b128 v[110:113], v2 offset:1040
	s_waitcnt lgkmcnt(0)
	v_mul_f64 v[118:119], v[110:111], v[116:117]
	v_fmac_f64_e32 v[118:119], v[112:113], v[114:115]
	v_add_f64 v[80:81], v[80:81], v[118:119]
	ds_read_b128 v[118:121], v2 offset:1056
	s_waitcnt lgkmcnt(0)
	v_mul_f64 v[126:127], v[118:119], v[124:125]
	v_fmac_f64_e32 v[126:127], v[120:121], v[122:123]
	v_add_f64 v[80:81], v[80:81], v[126:127]
	ds_read_b128 v[126:129], v2 offset:1072
	s_waitcnt lgkmcnt(0)
	v_mul_f64 v[134:135], v[126:127], v[132:133]
	v_fmac_f64_e32 v[134:135], v[128:129], v[130:131]
	v_add_f64 v[80:81], v[80:81], v[134:135]
	ds_read_b128 v[134:137], v2 offset:1088
	s_waitcnt lgkmcnt(0)
	v_mul_f64 v[142:143], v[134:135], v[140:141]
	v_fmac_f64_e32 v[142:143], v[136:137], v[138:139]
	v_add_f64 v[80:81], v[80:81], v[142:143]
	ds_read_b128 v[142:145], v2 offset:1104
	s_waitcnt lgkmcnt(0)
	v_mul_f64 v[2:3], v[142:143], v[148:149]
	v_fmac_f64_e32 v[2:3], v[144:145], v[146:147]
	v_add_f64 v[80:81], v[80:81], v[2:3]
	v_mul_f64 v[2:3], v[18:19], v[22:23]
	v_fma_f64 v[2:3], v[16:17], v[20:21], -v[2:3]
	v_add_f64 v[2:3], v[2:3], 0
	v_add_f64 v[2:3], v[2:3], v[12:13]
	;; [unrolled: 1-line block ×4, first 2 shown]
	v_mul_f64 v[4:5], v[38:39], v[42:43]
	v_fma_f64 v[4:5], v[36:37], v[40:41], -v[4:5]
	v_add_f64 v[2:3], v[2:3], v[4:5]
	v_mul_f64 v[4:5], v[46:47], v[50:51]
	v_fma_f64 v[4:5], v[44:45], v[48:49], -v[4:5]
	v_add_f64 v[2:3], v[2:3], v[4:5]
	;; [unrolled: 3-line block ×14, first 2 shown]
	scratch_load_dwordx4 v[2:5], off, off offset:272
	s_waitcnt vmcnt(0)
	v_add_f64 v[2:3], v[2:3], -v[6:7]
	v_add_f64 v[4:5], v[4:5], -v[80:81]
	scratch_store_dwordx4 off, v[2:5], off offset:272
	s_and_saveexec_b64 s[0:1], vcc
	s_cbranch_execz .LBB34_193
; %bb.192:
	scratch_load_dwordx4 v[2:5], off, s27
	v_mov_b32_e32 v6, 0
	v_mov_b32_e32 v7, v6
	;; [unrolled: 1-line block ×4, first 2 shown]
	scratch_store_dwordx4 off, v[6:9], off offset:256
	s_waitcnt vmcnt(1)
	ds_write_b128 v1, v[2:5]
.LBB34_193:
	s_or_b64 exec, exec, s[0:1]
	v_mov_b32_e32 v2, 0
	s_waitcnt lgkmcnt(0)
	; wave barrier
	ds_read_b128 v[16:19], v2 offset:816
	ds_read_b128 v[12:15], v2 offset:832
	;; [unrolled: 1-line block ×4, first 2 shown]
	scratch_load_dwordx4 v[20:23], off, off offset:272
	scratch_load_dwordx4 v[40:43], off, off offset:336
	;; [unrolled: 1-line block ×13, first 2 shown]
	v_cmp_lt_u32_e32 vcc, 14, v0
	scratch_load_dwordx4 v[48:51], off, off offset:352
	scratch_load_dwordx4 v[56:59], off, off offset:368
	;; [unrolled: 1-line block ×3, first 2 shown]
	s_waitcnt vmcnt(15) lgkmcnt(3)
	v_mul_f64 v[24:25], v[16:17], v[22:23]
	v_fmac_f64_e32 v[24:25], v[18:19], v[20:21]
	v_add_f64 v[28:29], v[24:25], 0
	scratch_load_dwordx4 v[24:27], off, off offset:288
	v_mul_f64 v[18:19], v[18:19], v[22:23]
	v_fma_f64 v[16:17], v[16:17], v[20:21], -v[18:19]
	v_add_f64 v[16:17], v[16:17], 0
	s_waitcnt vmcnt(0) lgkmcnt(2)
	v_mul_f64 v[30:31], v[12:13], v[26:27]
	v_fmac_f64_e32 v[30:31], v[14:15], v[24:25]
	v_add_f64 v[32:33], v[28:29], v[30:31]
	scratch_load_dwordx4 v[28:31], off, off offset:304
	v_mul_f64 v[14:15], v[14:15], v[26:27]
	v_fma_f64 v[12:13], v[12:13], v[24:25], -v[14:15]
	v_add_f64 v[12:13], v[16:17], v[12:13]
	;; [unrolled: 8-line block ×3, first 2 shown]
	s_waitcnt vmcnt(0) lgkmcnt(0)
	v_mul_f64 v[38:39], v[4:5], v[34:35]
	v_fmac_f64_e32 v[38:39], v[6:7], v[32:33]
	v_add_f64 v[44:45], v[36:37], v[38:39]
	ds_read_b128 v[36:39], v2 offset:880
	v_mul_f64 v[6:7], v[6:7], v[34:35]
	v_fma_f64 v[4:5], v[4:5], v[32:33], -v[6:7]
	v_add_f64 v[4:5], v[8:9], v[4:5]
	s_waitcnt lgkmcnt(0)
	v_mul_f64 v[46:47], v[36:37], v[42:43]
	v_fmac_f64_e32 v[46:47], v[38:39], v[40:41]
	v_add_f64 v[52:53], v[44:45], v[46:47]
	ds_read_b128 v[44:47], v2 offset:896
	v_mul_f64 v[6:7], v[38:39], v[42:43]
	v_fma_f64 v[6:7], v[36:37], v[40:41], -v[6:7]
	v_add_f64 v[4:5], v[4:5], v[6:7]
	s_waitcnt lgkmcnt(0)
	;; [unrolled: 8-line block ×15, first 2 shown]
	v_mul_f64 v[6:7], v[152:153], v[156:157]
	v_fma_f64 v[6:7], v[150:151], v[154:155], -v[6:7]
	v_add_f64 v[8:9], v[4:5], v[6:7]
	scratch_load_dwordx4 v[4:7], off, off offset:256
	v_mul_f64 v[158:159], v[150:151], v[156:157]
	v_fmac_f64_e32 v[158:159], v[152:153], v[154:155]
	v_add_f64 v[88:89], v[88:89], v[158:159]
	s_waitcnt vmcnt(0)
	v_add_f64 v[4:5], v[4:5], -v[8:9]
	v_add_f64 v[6:7], v[6:7], -v[88:89]
	scratch_store_dwordx4 off, v[4:7], off offset:256
	s_and_saveexec_b64 s[0:1], vcc
	s_cbranch_execz .LBB34_195
; %bb.194:
	scratch_load_dwordx4 v[6:9], off, s26
	v_mov_b32_e32 v3, v2
	v_mov_b32_e32 v4, v2
	;; [unrolled: 1-line block ×3, first 2 shown]
	scratch_store_dwordx4 off, v[2:5], off offset:240
	s_waitcnt vmcnt(1)
	ds_write_b128 v1, v[6:9]
.LBB34_195:
	s_or_b64 exec, exec, s[0:1]
	s_waitcnt lgkmcnt(0)
	; wave barrier
	ds_read_b128 v[16:19], v2 offset:800
	ds_read_b128 v[12:15], v2 offset:816
	;; [unrolled: 1-line block ×4, first 2 shown]
	scratch_load_dwordx4 v[20:23], off, off offset:256
	scratch_load_dwordx4 v[40:43], off, off offset:320
	;; [unrolled: 1-line block ×14, first 2 shown]
	v_cmp_lt_u32_e32 vcc, 13, v0
	scratch_load_dwordx4 v[48:51], off, off offset:336
	scratch_load_dwordx4 v[56:59], off, off offset:352
	;; [unrolled: 1-line block ×3, first 2 shown]
	s_waitcnt vmcnt(16) lgkmcnt(3)
	v_mul_f64 v[24:25], v[16:17], v[22:23]
	v_fmac_f64_e32 v[24:25], v[18:19], v[20:21]
	v_add_f64 v[28:29], v[24:25], 0
	scratch_load_dwordx4 v[24:27], off, off offset:272
	s_waitcnt vmcnt(0) lgkmcnt(2)
	v_mul_f64 v[30:31], v[12:13], v[26:27]
	v_fmac_f64_e32 v[30:31], v[14:15], v[24:25]
	v_add_f64 v[32:33], v[28:29], v[30:31]
	scratch_load_dwordx4 v[28:31], off, off offset:288
	v_mul_f64 v[14:15], v[14:15], v[26:27]
	v_fma_f64 v[12:13], v[12:13], v[24:25], -v[14:15]
	s_waitcnt vmcnt(0) lgkmcnt(1)
	v_mul_f64 v[34:35], v[8:9], v[30:31]
	v_fmac_f64_e32 v[34:35], v[10:11], v[28:29]
	v_add_f64 v[36:37], v[32:33], v[34:35]
	scratch_load_dwordx4 v[32:35], off, off offset:304
	v_mul_f64 v[10:11], v[10:11], v[30:31]
	v_fma_f64 v[8:9], v[8:9], v[28:29], -v[10:11]
	s_waitcnt vmcnt(0) lgkmcnt(0)
	v_mul_f64 v[38:39], v[4:5], v[34:35]
	v_fmac_f64_e32 v[38:39], v[6:7], v[32:33]
	v_add_f64 v[44:45], v[36:37], v[38:39]
	ds_read_b128 v[36:39], v2 offset:864
	v_mul_f64 v[6:7], v[6:7], v[34:35]
	v_fma_f64 v[4:5], v[4:5], v[32:33], -v[6:7]
	s_waitcnt lgkmcnt(0)
	v_mul_f64 v[46:47], v[36:37], v[42:43]
	v_fmac_f64_e32 v[46:47], v[38:39], v[40:41]
	v_add_f64 v[52:53], v[44:45], v[46:47]
	ds_read_b128 v[44:47], v2 offset:880
	s_waitcnt lgkmcnt(0)
	v_mul_f64 v[54:55], v[44:45], v[50:51]
	v_fmac_f64_e32 v[54:55], v[46:47], v[48:49]
	v_add_f64 v[60:61], v[52:53], v[54:55]
	ds_read_b128 v[52:55], v2 offset:896
	;; [unrolled: 5-line block ×15, first 2 shown]
	s_waitcnt lgkmcnt(0)
	v_mul_f64 v[2:3], v[158:159], v[164:165]
	v_fmac_f64_e32 v[2:3], v[160:161], v[162:163]
	v_add_f64 v[96:97], v[96:97], v[2:3]
	v_mul_f64 v[2:3], v[18:19], v[22:23]
	v_fma_f64 v[2:3], v[16:17], v[20:21], -v[2:3]
	v_add_f64 v[2:3], v[2:3], 0
	v_add_f64 v[2:3], v[2:3], v[12:13]
	;; [unrolled: 1-line block ×4, first 2 shown]
	v_mul_f64 v[4:5], v[38:39], v[42:43]
	v_fma_f64 v[4:5], v[36:37], v[40:41], -v[4:5]
	v_add_f64 v[2:3], v[2:3], v[4:5]
	v_mul_f64 v[4:5], v[46:47], v[50:51]
	v_fma_f64 v[4:5], v[44:45], v[48:49], -v[4:5]
	v_add_f64 v[2:3], v[2:3], v[4:5]
	;; [unrolled: 3-line block ×16, first 2 shown]
	scratch_load_dwordx4 v[2:5], off, off offset:240
	s_waitcnt vmcnt(0)
	v_add_f64 v[2:3], v[2:3], -v[6:7]
	v_add_f64 v[4:5], v[4:5], -v[96:97]
	scratch_store_dwordx4 off, v[2:5], off offset:240
	s_and_saveexec_b64 s[0:1], vcc
	s_cbranch_execz .LBB34_197
; %bb.196:
	scratch_load_dwordx4 v[2:5], off, s50
	v_mov_b32_e32 v6, 0
	v_mov_b32_e32 v7, v6
	;; [unrolled: 1-line block ×4, first 2 shown]
	scratch_store_dwordx4 off, v[6:9], off offset:224
	s_waitcnt vmcnt(1)
	ds_write_b128 v1, v[2:5]
.LBB34_197:
	s_or_b64 exec, exec, s[0:1]
	v_mov_b32_e32 v2, 0
	s_waitcnt lgkmcnt(0)
	; wave barrier
	ds_read_b128 v[16:19], v2 offset:784
	ds_read_b128 v[12:15], v2 offset:800
	;; [unrolled: 1-line block ×4, first 2 shown]
	scratch_load_dwordx4 v[20:23], off, off offset:240
	scratch_load_dwordx4 v[40:43], off, off offset:304
	;; [unrolled: 1-line block ×15, first 2 shown]
	v_cmp_lt_u32_e32 vcc, 12, v0
	scratch_load_dwordx4 v[48:51], off, off offset:320
	scratch_load_dwordx4 v[56:59], off, off offset:336
	;; [unrolled: 1-line block ×3, first 2 shown]
	s_waitcnt vmcnt(17) lgkmcnt(3)
	v_mul_f64 v[24:25], v[16:17], v[22:23]
	v_fmac_f64_e32 v[24:25], v[18:19], v[20:21]
	v_add_f64 v[28:29], v[24:25], 0
	scratch_load_dwordx4 v[24:27], off, off offset:256
	v_mul_f64 v[18:19], v[18:19], v[22:23]
	v_fma_f64 v[16:17], v[16:17], v[20:21], -v[18:19]
	v_add_f64 v[16:17], v[16:17], 0
	s_waitcnt vmcnt(0) lgkmcnt(2)
	v_mul_f64 v[30:31], v[12:13], v[26:27]
	v_fmac_f64_e32 v[30:31], v[14:15], v[24:25]
	v_add_f64 v[32:33], v[28:29], v[30:31]
	scratch_load_dwordx4 v[28:31], off, off offset:272
	v_mul_f64 v[14:15], v[14:15], v[26:27]
	v_fma_f64 v[12:13], v[12:13], v[24:25], -v[14:15]
	v_add_f64 v[12:13], v[16:17], v[12:13]
	;; [unrolled: 8-line block ×3, first 2 shown]
	s_waitcnt vmcnt(0) lgkmcnt(0)
	v_mul_f64 v[38:39], v[4:5], v[34:35]
	v_fmac_f64_e32 v[38:39], v[6:7], v[32:33]
	v_add_f64 v[44:45], v[36:37], v[38:39]
	ds_read_b128 v[36:39], v2 offset:848
	v_mul_f64 v[6:7], v[6:7], v[34:35]
	v_fma_f64 v[4:5], v[4:5], v[32:33], -v[6:7]
	v_add_f64 v[4:5], v[8:9], v[4:5]
	s_waitcnt lgkmcnt(0)
	v_mul_f64 v[46:47], v[36:37], v[42:43]
	v_fmac_f64_e32 v[46:47], v[38:39], v[40:41]
	v_add_f64 v[52:53], v[44:45], v[46:47]
	ds_read_b128 v[44:47], v2 offset:864
	v_mul_f64 v[6:7], v[38:39], v[42:43]
	v_fma_f64 v[6:7], v[36:37], v[40:41], -v[6:7]
	v_add_f64 v[4:5], v[4:5], v[6:7]
	s_waitcnt lgkmcnt(0)
	;; [unrolled: 8-line block ×17, first 2 shown]
	v_mul_f64 v[6:7], v[168:169], v[172:173]
	v_fma_f64 v[6:7], v[166:167], v[170:171], -v[6:7]
	v_add_f64 v[8:9], v[4:5], v[6:7]
	scratch_load_dwordx4 v[4:7], off, off offset:224
	v_mul_f64 v[174:175], v[166:167], v[172:173]
	v_fmac_f64_e32 v[174:175], v[168:169], v[170:171]
	v_add_f64 v[104:105], v[104:105], v[174:175]
	s_waitcnt vmcnt(0)
	v_add_f64 v[4:5], v[4:5], -v[8:9]
	v_add_f64 v[6:7], v[6:7], -v[104:105]
	scratch_store_dwordx4 off, v[4:7], off offset:224
	s_and_saveexec_b64 s[0:1], vcc
	s_cbranch_execz .LBB34_199
; %bb.198:
	scratch_load_dwordx4 v[6:9], off, s49
	v_mov_b32_e32 v3, v2
	v_mov_b32_e32 v4, v2
	;; [unrolled: 1-line block ×3, first 2 shown]
	scratch_store_dwordx4 off, v[2:5], off offset:208
	s_waitcnt vmcnt(1)
	ds_write_b128 v1, v[6:9]
.LBB34_199:
	s_or_b64 exec, exec, s[0:1]
	s_waitcnt lgkmcnt(0)
	; wave barrier
	ds_read_b128 v[16:19], v2 offset:768
	ds_read_b128 v[12:15], v2 offset:784
	;; [unrolled: 1-line block ×4, first 2 shown]
	scratch_load_dwordx4 v[20:23], off, off offset:224
	scratch_load_dwordx4 v[40:43], off, off offset:288
	;; [unrolled: 1-line block ×16, first 2 shown]
	v_cmp_lt_u32_e32 vcc, 11, v0
	scratch_load_dwordx4 v[48:51], off, off offset:304
	scratch_load_dwordx4 v[56:59], off, off offset:320
	scratch_load_dwordx4 v[64:67], off, off offset:336
	s_waitcnt vmcnt(18) lgkmcnt(3)
	v_mul_f64 v[24:25], v[16:17], v[22:23]
	v_fmac_f64_e32 v[24:25], v[18:19], v[20:21]
	v_add_f64 v[28:29], v[24:25], 0
	scratch_load_dwordx4 v[24:27], off, off offset:240
	s_waitcnt vmcnt(0) lgkmcnt(2)
	v_mul_f64 v[30:31], v[12:13], v[26:27]
	v_fmac_f64_e32 v[30:31], v[14:15], v[24:25]
	v_add_f64 v[32:33], v[28:29], v[30:31]
	scratch_load_dwordx4 v[28:31], off, off offset:256
	v_mul_f64 v[14:15], v[14:15], v[26:27]
	v_fma_f64 v[12:13], v[12:13], v[24:25], -v[14:15]
	s_waitcnt vmcnt(0) lgkmcnt(1)
	v_mul_f64 v[34:35], v[8:9], v[30:31]
	v_fmac_f64_e32 v[34:35], v[10:11], v[28:29]
	v_add_f64 v[36:37], v[32:33], v[34:35]
	scratch_load_dwordx4 v[32:35], off, off offset:272
	v_mul_f64 v[10:11], v[10:11], v[30:31]
	v_fma_f64 v[8:9], v[8:9], v[28:29], -v[10:11]
	s_waitcnt vmcnt(0) lgkmcnt(0)
	v_mul_f64 v[38:39], v[4:5], v[34:35]
	v_fmac_f64_e32 v[38:39], v[6:7], v[32:33]
	v_add_f64 v[44:45], v[36:37], v[38:39]
	ds_read_b128 v[36:39], v2 offset:832
	v_mul_f64 v[6:7], v[6:7], v[34:35]
	v_fma_f64 v[4:5], v[4:5], v[32:33], -v[6:7]
	s_waitcnt lgkmcnt(0)
	v_mul_f64 v[46:47], v[36:37], v[42:43]
	v_fmac_f64_e32 v[46:47], v[38:39], v[40:41]
	v_add_f64 v[52:53], v[44:45], v[46:47]
	ds_read_b128 v[44:47], v2 offset:848
	s_waitcnt lgkmcnt(0)
	v_mul_f64 v[54:55], v[44:45], v[50:51]
	v_fmac_f64_e32 v[54:55], v[46:47], v[48:49]
	v_add_f64 v[60:61], v[52:53], v[54:55]
	ds_read_b128 v[52:55], v2 offset:864
	;; [unrolled: 5-line block ×17, first 2 shown]
	s_waitcnt lgkmcnt(0)
	v_mul_f64 v[2:3], v[174:175], v[180:181]
	v_fmac_f64_e32 v[2:3], v[176:177], v[178:179]
	v_add_f64 v[120:121], v[120:121], v[2:3]
	v_mul_f64 v[2:3], v[18:19], v[22:23]
	v_fma_f64 v[2:3], v[16:17], v[20:21], -v[2:3]
	v_add_f64 v[2:3], v[2:3], 0
	v_add_f64 v[2:3], v[2:3], v[12:13]
	;; [unrolled: 1-line block ×4, first 2 shown]
	v_mul_f64 v[4:5], v[38:39], v[42:43]
	v_fma_f64 v[4:5], v[36:37], v[40:41], -v[4:5]
	v_add_f64 v[2:3], v[2:3], v[4:5]
	v_mul_f64 v[4:5], v[46:47], v[50:51]
	v_fma_f64 v[4:5], v[44:45], v[48:49], -v[4:5]
	v_add_f64 v[2:3], v[2:3], v[4:5]
	;; [unrolled: 3-line block ×18, first 2 shown]
	scratch_load_dwordx4 v[2:5], off, off offset:208
	s_waitcnt vmcnt(0)
	v_add_f64 v[2:3], v[2:3], -v[6:7]
	v_add_f64 v[4:5], v[4:5], -v[120:121]
	scratch_store_dwordx4 off, v[2:5], off offset:208
	s_and_saveexec_b64 s[0:1], vcc
	s_cbranch_execz .LBB34_201
; %bb.200:
	scratch_load_dwordx4 v[2:5], off, s48
	v_mov_b32_e32 v6, 0
	v_mov_b32_e32 v7, v6
	;; [unrolled: 1-line block ×4, first 2 shown]
	scratch_store_dwordx4 off, v[6:9], off offset:192
	s_waitcnt vmcnt(1)
	ds_write_b128 v1, v[2:5]
.LBB34_201:
	s_or_b64 exec, exec, s[0:1]
	v_mov_b32_e32 v2, 0
	s_waitcnt lgkmcnt(0)
	; wave barrier
	ds_read_b128 v[16:19], v2 offset:752
	ds_read_b128 v[12:15], v2 offset:768
	;; [unrolled: 1-line block ×4, first 2 shown]
	scratch_load_dwordx4 v[20:23], off, off offset:208
	scratch_load_dwordx4 v[40:43], off, off offset:272
	;; [unrolled: 1-line block ×17, first 2 shown]
	v_cmp_lt_u32_e32 vcc, 10, v0
	scratch_load_dwordx4 v[48:51], off, off offset:288
	scratch_load_dwordx4 v[56:59], off, off offset:304
	;; [unrolled: 1-line block ×3, first 2 shown]
	s_waitcnt vmcnt(19) lgkmcnt(3)
	v_mul_f64 v[24:25], v[16:17], v[22:23]
	v_fmac_f64_e32 v[24:25], v[18:19], v[20:21]
	v_add_f64 v[28:29], v[24:25], 0
	scratch_load_dwordx4 v[24:27], off, off offset:224
	v_mul_f64 v[18:19], v[18:19], v[22:23]
	v_fma_f64 v[16:17], v[16:17], v[20:21], -v[18:19]
	v_add_f64 v[16:17], v[16:17], 0
	s_waitcnt vmcnt(0) lgkmcnt(2)
	v_mul_f64 v[30:31], v[12:13], v[26:27]
	v_fmac_f64_e32 v[30:31], v[14:15], v[24:25]
	v_add_f64 v[32:33], v[28:29], v[30:31]
	scratch_load_dwordx4 v[28:31], off, off offset:240
	v_mul_f64 v[14:15], v[14:15], v[26:27]
	v_fma_f64 v[12:13], v[12:13], v[24:25], -v[14:15]
	v_add_f64 v[12:13], v[16:17], v[12:13]
	;; [unrolled: 8-line block ×3, first 2 shown]
	s_waitcnt vmcnt(0) lgkmcnt(0)
	v_mul_f64 v[38:39], v[4:5], v[34:35]
	v_fmac_f64_e32 v[38:39], v[6:7], v[32:33]
	v_add_f64 v[44:45], v[36:37], v[38:39]
	ds_read_b128 v[36:39], v2 offset:816
	v_mul_f64 v[6:7], v[6:7], v[34:35]
	v_fma_f64 v[4:5], v[4:5], v[32:33], -v[6:7]
	v_add_f64 v[4:5], v[8:9], v[4:5]
	s_waitcnt lgkmcnt(0)
	v_mul_f64 v[46:47], v[36:37], v[42:43]
	v_fmac_f64_e32 v[46:47], v[38:39], v[40:41]
	v_add_f64 v[52:53], v[44:45], v[46:47]
	ds_read_b128 v[44:47], v2 offset:832
	v_mul_f64 v[6:7], v[38:39], v[42:43]
	v_fma_f64 v[6:7], v[36:37], v[40:41], -v[6:7]
	v_add_f64 v[4:5], v[4:5], v[6:7]
	s_waitcnt lgkmcnt(0)
	;; [unrolled: 8-line block ×19, first 2 shown]
	v_mul_f64 v[6:7], v[184:185], v[188:189]
	v_fma_f64 v[6:7], v[182:183], v[186:187], -v[6:7]
	v_add_f64 v[8:9], v[4:5], v[6:7]
	scratch_load_dwordx4 v[4:7], off, off offset:192
	v_mul_f64 v[190:191], v[182:183], v[188:189]
	v_fmac_f64_e32 v[190:191], v[184:185], v[186:187]
	v_add_f64 v[128:129], v[128:129], v[190:191]
	s_waitcnt vmcnt(0)
	v_add_f64 v[4:5], v[4:5], -v[8:9]
	v_add_f64 v[6:7], v[6:7], -v[128:129]
	scratch_store_dwordx4 off, v[4:7], off offset:192
	s_and_saveexec_b64 s[0:1], vcc
	s_cbranch_execz .LBB34_203
; %bb.202:
	scratch_load_dwordx4 v[6:9], off, s24
	v_mov_b32_e32 v3, v2
	v_mov_b32_e32 v4, v2
	;; [unrolled: 1-line block ×3, first 2 shown]
	scratch_store_dwordx4 off, v[2:5], off offset:176
	s_waitcnt vmcnt(1)
	ds_write_b128 v1, v[6:9]
.LBB34_203:
	s_or_b64 exec, exec, s[0:1]
	s_waitcnt lgkmcnt(0)
	; wave barrier
	ds_read_b128 v[16:19], v2 offset:736
	ds_read_b128 v[12:15], v2 offset:752
	;; [unrolled: 1-line block ×4, first 2 shown]
	scratch_load_dwordx4 v[20:23], off, off offset:192
	scratch_load_dwordx4 v[40:43], off, off offset:256
	scratch_load_dwordx4 v[72:75], off, off offset:320
	scratch_load_dwordx4 v[80:83], off, off offset:336
	scratch_load_dwordx4 v[88:91], off, off offset:352
	scratch_load_dwordx4 v[96:99], off, off offset:368
	scratch_load_dwordx4 v[104:107], off, off offset:384
	scratch_load_dwordx4 v[112:115], off, off offset:400
	scratch_load_dwordx4 v[120:123], off, off offset:416
	scratch_load_dwordx4 v[128:131], off, off offset:432
	scratch_load_dwordx4 v[136:139], off, off offset:448
	scratch_load_dwordx4 v[144:147], off, off offset:464
	scratch_load_dwordx4 v[154:157], off, off offset:480
	scratch_load_dwordx4 v[162:165], off, off offset:496
	scratch_load_dwordx4 v[170:173], off, off offset:512
	scratch_load_dwordx4 v[178:181], off, off offset:528
	scratch_load_dwordx4 v[186:189], off, off offset:544
	scratch_load_dwordx4 v[194:197], off, off offset:560
	v_cmp_lt_u32_e32 vcc, 9, v0
	scratch_load_dwordx4 v[48:51], off, off offset:272
	scratch_load_dwordx4 v[56:59], off, off offset:288
	;; [unrolled: 1-line block ×3, first 2 shown]
	s_waitcnt vmcnt(20) lgkmcnt(3)
	v_mul_f64 v[24:25], v[16:17], v[22:23]
	v_fmac_f64_e32 v[24:25], v[18:19], v[20:21]
	v_add_f64 v[28:29], v[24:25], 0
	scratch_load_dwordx4 v[24:27], off, off offset:208
	s_waitcnt vmcnt(0) lgkmcnt(2)
	v_mul_f64 v[30:31], v[12:13], v[26:27]
	v_fmac_f64_e32 v[30:31], v[14:15], v[24:25]
	v_add_f64 v[32:33], v[28:29], v[30:31]
	scratch_load_dwordx4 v[28:31], off, off offset:224
	v_mul_f64 v[14:15], v[14:15], v[26:27]
	v_fma_f64 v[12:13], v[12:13], v[24:25], -v[14:15]
	s_waitcnt vmcnt(0) lgkmcnt(1)
	v_mul_f64 v[34:35], v[8:9], v[30:31]
	v_fmac_f64_e32 v[34:35], v[10:11], v[28:29]
	v_add_f64 v[36:37], v[32:33], v[34:35]
	scratch_load_dwordx4 v[32:35], off, off offset:240
	v_mul_f64 v[10:11], v[10:11], v[30:31]
	v_fma_f64 v[8:9], v[8:9], v[28:29], -v[10:11]
	s_waitcnt vmcnt(0) lgkmcnt(0)
	v_mul_f64 v[38:39], v[4:5], v[34:35]
	v_fmac_f64_e32 v[38:39], v[6:7], v[32:33]
	v_add_f64 v[44:45], v[36:37], v[38:39]
	ds_read_b128 v[36:39], v2 offset:800
	v_mul_f64 v[6:7], v[6:7], v[34:35]
	v_fma_f64 v[4:5], v[4:5], v[32:33], -v[6:7]
	s_waitcnt lgkmcnt(0)
	v_mul_f64 v[46:47], v[36:37], v[42:43]
	v_fmac_f64_e32 v[46:47], v[38:39], v[40:41]
	v_add_f64 v[52:53], v[44:45], v[46:47]
	ds_read_b128 v[44:47], v2 offset:816
	s_waitcnt lgkmcnt(0)
	v_mul_f64 v[54:55], v[44:45], v[50:51]
	v_fmac_f64_e32 v[54:55], v[46:47], v[48:49]
	v_add_f64 v[60:61], v[52:53], v[54:55]
	ds_read_b128 v[52:55], v2 offset:832
	;; [unrolled: 5-line block ×19, first 2 shown]
	s_waitcnt lgkmcnt(0)
	v_mul_f64 v[2:3], v[190:191], v[196:197]
	v_fmac_f64_e32 v[2:3], v[192:193], v[194:195]
	v_add_f64 v[148:149], v[148:149], v[2:3]
	v_mul_f64 v[2:3], v[18:19], v[22:23]
	v_fma_f64 v[2:3], v[16:17], v[20:21], -v[2:3]
	v_add_f64 v[2:3], v[2:3], 0
	v_add_f64 v[2:3], v[2:3], v[12:13]
	;; [unrolled: 1-line block ×4, first 2 shown]
	v_mul_f64 v[4:5], v[38:39], v[42:43]
	v_fma_f64 v[4:5], v[36:37], v[40:41], -v[4:5]
	v_add_f64 v[2:3], v[2:3], v[4:5]
	v_mul_f64 v[4:5], v[46:47], v[50:51]
	v_fma_f64 v[4:5], v[44:45], v[48:49], -v[4:5]
	v_add_f64 v[2:3], v[2:3], v[4:5]
	;; [unrolled: 3-line block ×20, first 2 shown]
	scratch_load_dwordx4 v[2:5], off, off offset:176
	s_waitcnt vmcnt(0)
	v_add_f64 v[2:3], v[2:3], -v[6:7]
	v_add_f64 v[4:5], v[4:5], -v[148:149]
	scratch_store_dwordx4 off, v[2:5], off offset:176
	s_and_saveexec_b64 s[0:1], vcc
	s_cbranch_execz .LBB34_205
; %bb.204:
	scratch_load_dwordx4 v[2:5], off, s22
	v_mov_b32_e32 v6, 0
	v_mov_b32_e32 v7, v6
	;; [unrolled: 1-line block ×4, first 2 shown]
	scratch_store_dwordx4 off, v[6:9], off offset:160
	s_waitcnt vmcnt(1)
	ds_write_b128 v1, v[2:5]
.LBB34_205:
	s_or_b64 exec, exec, s[0:1]
	v_mov_b32_e32 v2, 0
	s_waitcnt lgkmcnt(0)
	; wave barrier
	ds_read_b128 v[16:19], v2 offset:720
	ds_read_b128 v[12:15], v2 offset:736
	;; [unrolled: 1-line block ×4, first 2 shown]
	scratch_load_dwordx4 v[20:23], off, off offset:176
	scratch_load_dwordx4 v[40:43], off, off offset:240
	;; [unrolled: 1-line block ×19, first 2 shown]
	v_cmp_lt_u32_e32 vcc, 8, v0
	scratch_load_dwordx4 v[48:51], off, off offset:256
	scratch_load_dwordx4 v[56:59], off, off offset:272
	;; [unrolled: 1-line block ×3, first 2 shown]
	s_waitcnt vmcnt(21) lgkmcnt(3)
	v_mul_f64 v[24:25], v[16:17], v[22:23]
	v_fmac_f64_e32 v[24:25], v[18:19], v[20:21]
	v_add_f64 v[28:29], v[24:25], 0
	scratch_load_dwordx4 v[24:27], off, off offset:192
	v_mul_f64 v[18:19], v[18:19], v[22:23]
	v_fma_f64 v[16:17], v[16:17], v[20:21], -v[18:19]
	v_add_f64 v[16:17], v[16:17], 0
	s_waitcnt vmcnt(0) lgkmcnt(2)
	v_mul_f64 v[30:31], v[12:13], v[26:27]
	v_fmac_f64_e32 v[30:31], v[14:15], v[24:25]
	v_add_f64 v[32:33], v[28:29], v[30:31]
	scratch_load_dwordx4 v[28:31], off, off offset:208
	v_mul_f64 v[14:15], v[14:15], v[26:27]
	v_fma_f64 v[12:13], v[12:13], v[24:25], -v[14:15]
	v_add_f64 v[12:13], v[16:17], v[12:13]
	;; [unrolled: 8-line block ×3, first 2 shown]
	s_waitcnt vmcnt(0) lgkmcnt(0)
	v_mul_f64 v[38:39], v[4:5], v[34:35]
	v_fmac_f64_e32 v[38:39], v[6:7], v[32:33]
	v_add_f64 v[44:45], v[36:37], v[38:39]
	ds_read_b128 v[36:39], v2 offset:784
	v_mul_f64 v[6:7], v[6:7], v[34:35]
	v_fma_f64 v[4:5], v[4:5], v[32:33], -v[6:7]
	v_add_f64 v[4:5], v[8:9], v[4:5]
	s_waitcnt lgkmcnt(0)
	v_mul_f64 v[46:47], v[36:37], v[42:43]
	v_fmac_f64_e32 v[46:47], v[38:39], v[40:41]
	v_add_f64 v[52:53], v[44:45], v[46:47]
	ds_read_b128 v[44:47], v2 offset:800
	v_mul_f64 v[6:7], v[38:39], v[42:43]
	v_fma_f64 v[6:7], v[36:37], v[40:41], -v[6:7]
	v_add_f64 v[4:5], v[4:5], v[6:7]
	s_waitcnt lgkmcnt(0)
	;; [unrolled: 8-line block ×21, first 2 shown]
	v_mul_f64 v[6:7], v[200:201], v[204:205]
	v_fma_f64 v[6:7], v[198:199], v[202:203], -v[6:7]
	v_add_f64 v[8:9], v[4:5], v[6:7]
	scratch_load_dwordx4 v[4:7], off, off offset:160
	v_mul_f64 v[206:207], v[198:199], v[204:205]
	v_fmac_f64_e32 v[206:207], v[200:201], v[202:203]
	v_add_f64 v[144:145], v[144:145], v[206:207]
	s_waitcnt vmcnt(0)
	v_add_f64 v[4:5], v[4:5], -v[8:9]
	v_add_f64 v[6:7], v[6:7], -v[144:145]
	scratch_store_dwordx4 off, v[4:7], off offset:160
	s_and_saveexec_b64 s[0:1], vcc
	s_cbranch_execz .LBB34_207
; %bb.206:
	scratch_load_dwordx4 v[6:9], off, s15
	v_mov_b32_e32 v3, v2
	v_mov_b32_e32 v4, v2
	;; [unrolled: 1-line block ×3, first 2 shown]
	scratch_store_dwordx4 off, v[2:5], off offset:144
	s_waitcnt vmcnt(1)
	ds_write_b128 v1, v[6:9]
.LBB34_207:
	s_or_b64 exec, exec, s[0:1]
	s_waitcnt lgkmcnt(0)
	; wave barrier
	ds_read_b128 v[16:19], v2 offset:704
	ds_read_b128 v[12:15], v2 offset:720
	;; [unrolled: 1-line block ×4, first 2 shown]
	scratch_load_dwordx4 v[20:23], off, off offset:160
	scratch_load_dwordx4 v[40:43], off, off offset:224
	;; [unrolled: 1-line block ×20, first 2 shown]
	v_cmp_lt_u32_e32 vcc, 7, v0
	scratch_load_dwordx4 v[48:51], off, off offset:240
	scratch_load_dwordx4 v[56:59], off, off offset:256
	;; [unrolled: 1-line block ×3, first 2 shown]
	s_waitcnt vmcnt(22) lgkmcnt(3)
	v_mul_f64 v[24:25], v[16:17], v[22:23]
	v_fmac_f64_e32 v[24:25], v[18:19], v[20:21]
	v_add_f64 v[28:29], v[24:25], 0
	scratch_load_dwordx4 v[24:27], off, off offset:176
	s_waitcnt vmcnt(0) lgkmcnt(2)
	v_mul_f64 v[30:31], v[12:13], v[26:27]
	v_fmac_f64_e32 v[30:31], v[14:15], v[24:25]
	v_add_f64 v[32:33], v[28:29], v[30:31]
	scratch_load_dwordx4 v[28:31], off, off offset:192
	v_mul_f64 v[14:15], v[14:15], v[26:27]
	v_fma_f64 v[12:13], v[12:13], v[24:25], -v[14:15]
	s_waitcnt vmcnt(0) lgkmcnt(1)
	v_mul_f64 v[34:35], v[8:9], v[30:31]
	v_fmac_f64_e32 v[34:35], v[10:11], v[28:29]
	v_add_f64 v[36:37], v[32:33], v[34:35]
	scratch_load_dwordx4 v[32:35], off, off offset:208
	v_mul_f64 v[10:11], v[10:11], v[30:31]
	v_fma_f64 v[8:9], v[8:9], v[28:29], -v[10:11]
	s_waitcnt vmcnt(0) lgkmcnt(0)
	v_mul_f64 v[38:39], v[4:5], v[34:35]
	v_fmac_f64_e32 v[38:39], v[6:7], v[32:33]
	v_add_f64 v[44:45], v[36:37], v[38:39]
	ds_read_b128 v[36:39], v2 offset:768
	v_mul_f64 v[6:7], v[6:7], v[34:35]
	v_fma_f64 v[4:5], v[4:5], v[32:33], -v[6:7]
	s_waitcnt lgkmcnt(0)
	v_mul_f64 v[46:47], v[36:37], v[42:43]
	v_fmac_f64_e32 v[46:47], v[38:39], v[40:41]
	v_add_f64 v[52:53], v[44:45], v[46:47]
	ds_read_b128 v[44:47], v2 offset:784
	s_waitcnt lgkmcnt(0)
	v_mul_f64 v[54:55], v[44:45], v[50:51]
	v_fmac_f64_e32 v[54:55], v[46:47], v[48:49]
	v_add_f64 v[60:61], v[52:53], v[54:55]
	ds_read_b128 v[52:55], v2 offset:800
	;; [unrolled: 5-line block ×21, first 2 shown]
	s_waitcnt lgkmcnt(0)
	v_mul_f64 v[2:3], v[206:207], v[212:213]
	v_fmac_f64_e32 v[2:3], v[208:209], v[210:211]
	v_add_f64 v[168:169], v[168:169], v[2:3]
	v_mul_f64 v[2:3], v[18:19], v[22:23]
	v_fma_f64 v[2:3], v[16:17], v[20:21], -v[2:3]
	v_add_f64 v[2:3], v[2:3], 0
	v_add_f64 v[2:3], v[2:3], v[12:13]
	;; [unrolled: 1-line block ×4, first 2 shown]
	v_mul_f64 v[4:5], v[38:39], v[42:43]
	v_fma_f64 v[4:5], v[36:37], v[40:41], -v[4:5]
	v_add_f64 v[2:3], v[2:3], v[4:5]
	v_mul_f64 v[4:5], v[46:47], v[50:51]
	v_fma_f64 v[4:5], v[44:45], v[48:49], -v[4:5]
	v_add_f64 v[2:3], v[2:3], v[4:5]
	;; [unrolled: 3-line block ×22, first 2 shown]
	scratch_load_dwordx4 v[2:5], off, off offset:144
	s_waitcnt vmcnt(0)
	v_add_f64 v[2:3], v[2:3], -v[6:7]
	v_add_f64 v[4:5], v[4:5], -v[168:169]
	scratch_store_dwordx4 off, v[2:5], off offset:144
	s_and_saveexec_b64 s[0:1], vcc
	s_cbranch_execz .LBB34_209
; %bb.208:
	scratch_load_dwordx4 v[2:5], off, s25
	v_mov_b32_e32 v6, 0
	v_mov_b32_e32 v7, v6
	;; [unrolled: 1-line block ×4, first 2 shown]
	scratch_store_dwordx4 off, v[6:9], off offset:128
	s_waitcnt vmcnt(1)
	ds_write_b128 v1, v[2:5]
.LBB34_209:
	s_or_b64 exec, exec, s[0:1]
	v_mov_b32_e32 v2, 0
	s_waitcnt lgkmcnt(0)
	; wave barrier
	ds_read_b128 v[16:19], v2 offset:688
	ds_read_b128 v[12:15], v2 offset:704
	;; [unrolled: 1-line block ×4, first 2 shown]
	scratch_load_dwordx4 v[20:23], off, off offset:144
	scratch_load_dwordx4 v[40:43], off, off offset:208
	;; [unrolled: 1-line block ×21, first 2 shown]
	v_cmp_lt_u32_e32 vcc, 6, v0
	scratch_load_dwordx4 v[48:51], off, off offset:224
	scratch_load_dwordx4 v[56:59], off, off offset:240
	;; [unrolled: 1-line block ×3, first 2 shown]
	s_waitcnt vmcnt(23) lgkmcnt(3)
	v_mul_f64 v[24:25], v[16:17], v[22:23]
	v_fmac_f64_e32 v[24:25], v[18:19], v[20:21]
	v_add_f64 v[28:29], v[24:25], 0
	scratch_load_dwordx4 v[24:27], off, off offset:160
	v_mul_f64 v[18:19], v[18:19], v[22:23]
	v_fma_f64 v[16:17], v[16:17], v[20:21], -v[18:19]
	v_add_f64 v[16:17], v[16:17], 0
	s_waitcnt vmcnt(0) lgkmcnt(2)
	v_mul_f64 v[30:31], v[12:13], v[26:27]
	v_fmac_f64_e32 v[30:31], v[14:15], v[24:25]
	v_add_f64 v[32:33], v[28:29], v[30:31]
	scratch_load_dwordx4 v[28:31], off, off offset:176
	v_mul_f64 v[14:15], v[14:15], v[26:27]
	v_fma_f64 v[12:13], v[12:13], v[24:25], -v[14:15]
	v_add_f64 v[12:13], v[16:17], v[12:13]
	;; [unrolled: 8-line block ×3, first 2 shown]
	s_waitcnt vmcnt(0) lgkmcnt(0)
	v_mul_f64 v[38:39], v[4:5], v[34:35]
	v_fmac_f64_e32 v[38:39], v[6:7], v[32:33]
	v_add_f64 v[44:45], v[36:37], v[38:39]
	ds_read_b128 v[36:39], v2 offset:752
	v_mul_f64 v[6:7], v[6:7], v[34:35]
	v_fma_f64 v[4:5], v[4:5], v[32:33], -v[6:7]
	v_add_f64 v[4:5], v[8:9], v[4:5]
	s_waitcnt lgkmcnt(0)
	v_mul_f64 v[46:47], v[36:37], v[42:43]
	v_fmac_f64_e32 v[46:47], v[38:39], v[40:41]
	v_add_f64 v[52:53], v[44:45], v[46:47]
	ds_read_b128 v[44:47], v2 offset:768
	v_mul_f64 v[6:7], v[38:39], v[42:43]
	v_fma_f64 v[6:7], v[36:37], v[40:41], -v[6:7]
	v_add_f64 v[4:5], v[4:5], v[6:7]
	s_waitcnt lgkmcnt(0)
	;; [unrolled: 8-line block ×23, first 2 shown]
	v_mul_f64 v[6:7], v[216:217], v[220:221]
	v_fma_f64 v[6:7], v[214:215], v[218:219], -v[6:7]
	v_add_f64 v[8:9], v[4:5], v[6:7]
	scratch_load_dwordx4 v[4:7], off, off offset:128
	v_mul_f64 v[222:223], v[214:215], v[220:221]
	v_fmac_f64_e32 v[222:223], v[216:217], v[218:219]
	v_add_f64 v[160:161], v[160:161], v[222:223]
	s_waitcnt vmcnt(0)
	v_add_f64 v[4:5], v[4:5], -v[8:9]
	v_add_f64 v[6:7], v[6:7], -v[160:161]
	scratch_store_dwordx4 off, v[4:7], off offset:128
	s_and_saveexec_b64 s[0:1], vcc
	s_cbranch_execz .LBB34_211
; %bb.210:
	scratch_load_dwordx4 v[6:9], off, s23
	v_mov_b32_e32 v3, v2
	v_mov_b32_e32 v4, v2
	;; [unrolled: 1-line block ×3, first 2 shown]
	scratch_store_dwordx4 off, v[2:5], off offset:112
	s_waitcnt vmcnt(1)
	ds_write_b128 v1, v[6:9]
.LBB34_211:
	s_or_b64 exec, exec, s[0:1]
	s_waitcnt lgkmcnt(0)
	; wave barrier
	ds_read_b128 v[16:19], v2 offset:672
	ds_read_b128 v[12:15], v2 offset:688
	;; [unrolled: 1-line block ×4, first 2 shown]
	scratch_load_dwordx4 v[20:23], off, off offset:128
	scratch_load_dwordx4 v[40:43], off, off offset:192
	;; [unrolled: 1-line block ×22, first 2 shown]
	v_cmp_lt_u32_e32 vcc, 5, v0
	scratch_load_dwordx4 v[48:51], off, off offset:208
	scratch_load_dwordx4 v[56:59], off, off offset:224
	;; [unrolled: 1-line block ×3, first 2 shown]
	s_waitcnt vmcnt(24) lgkmcnt(3)
	v_mul_f64 v[24:25], v[16:17], v[22:23]
	v_fmac_f64_e32 v[24:25], v[18:19], v[20:21]
	v_add_f64 v[28:29], v[24:25], 0
	scratch_load_dwordx4 v[24:27], off, off offset:144
	s_waitcnt vmcnt(0) lgkmcnt(2)
	v_mul_f64 v[30:31], v[12:13], v[26:27]
	v_fmac_f64_e32 v[30:31], v[14:15], v[24:25]
	v_add_f64 v[32:33], v[28:29], v[30:31]
	scratch_load_dwordx4 v[28:31], off, off offset:160
	v_mul_f64 v[14:15], v[14:15], v[26:27]
	v_fma_f64 v[12:13], v[12:13], v[24:25], -v[14:15]
	s_waitcnt vmcnt(0) lgkmcnt(1)
	v_mul_f64 v[34:35], v[8:9], v[30:31]
	v_fmac_f64_e32 v[34:35], v[10:11], v[28:29]
	v_add_f64 v[36:37], v[32:33], v[34:35]
	scratch_load_dwordx4 v[32:35], off, off offset:176
	v_mul_f64 v[10:11], v[10:11], v[30:31]
	v_fma_f64 v[8:9], v[8:9], v[28:29], -v[10:11]
	s_waitcnt vmcnt(0) lgkmcnt(0)
	v_mul_f64 v[38:39], v[4:5], v[34:35]
	v_fmac_f64_e32 v[38:39], v[6:7], v[32:33]
	v_add_f64 v[44:45], v[36:37], v[38:39]
	ds_read_b128 v[36:39], v2 offset:736
	v_mul_f64 v[6:7], v[6:7], v[34:35]
	v_fma_f64 v[4:5], v[4:5], v[32:33], -v[6:7]
	s_waitcnt lgkmcnt(0)
	v_mul_f64 v[46:47], v[36:37], v[42:43]
	v_fmac_f64_e32 v[46:47], v[38:39], v[40:41]
	v_add_f64 v[52:53], v[44:45], v[46:47]
	ds_read_b128 v[44:47], v2 offset:752
	s_waitcnt lgkmcnt(0)
	v_mul_f64 v[54:55], v[44:45], v[50:51]
	v_fmac_f64_e32 v[54:55], v[46:47], v[48:49]
	v_add_f64 v[60:61], v[52:53], v[54:55]
	ds_read_b128 v[52:55], v2 offset:768
	;; [unrolled: 5-line block ×23, first 2 shown]
	s_waitcnt lgkmcnt(0)
	v_mul_f64 v[2:3], v[222:223], v[228:229]
	v_fmac_f64_e32 v[2:3], v[224:225], v[226:227]
	v_add_f64 v[176:177], v[176:177], v[2:3]
	v_mul_f64 v[2:3], v[18:19], v[22:23]
	v_fma_f64 v[2:3], v[16:17], v[20:21], -v[2:3]
	v_add_f64 v[2:3], v[2:3], 0
	v_add_f64 v[2:3], v[2:3], v[12:13]
	;; [unrolled: 1-line block ×4, first 2 shown]
	v_mul_f64 v[4:5], v[38:39], v[42:43]
	v_fma_f64 v[4:5], v[36:37], v[40:41], -v[4:5]
	v_add_f64 v[2:3], v[2:3], v[4:5]
	v_mul_f64 v[4:5], v[46:47], v[50:51]
	v_fma_f64 v[4:5], v[44:45], v[48:49], -v[4:5]
	v_add_f64 v[2:3], v[2:3], v[4:5]
	;; [unrolled: 3-line block ×24, first 2 shown]
	scratch_load_dwordx4 v[2:5], off, off offset:112
	s_waitcnt vmcnt(0)
	v_add_f64 v[2:3], v[2:3], -v[6:7]
	v_add_f64 v[4:5], v[4:5], -v[176:177]
	scratch_store_dwordx4 off, v[2:5], off offset:112
	s_and_saveexec_b64 s[0:1], vcc
	s_cbranch_execz .LBB34_213
; %bb.212:
	scratch_load_dwordx4 v[2:5], off, s21
	v_mov_b32_e32 v6, 0
	v_mov_b32_e32 v7, v6
	;; [unrolled: 1-line block ×4, first 2 shown]
	scratch_store_dwordx4 off, v[6:9], off offset:96
	s_waitcnt vmcnt(1)
	ds_write_b128 v1, v[2:5]
.LBB34_213:
	s_or_b64 exec, exec, s[0:1]
	v_mov_b32_e32 v2, 0
	s_waitcnt lgkmcnt(0)
	; wave barrier
	ds_read_b128 v[16:19], v2 offset:656
	ds_read_b128 v[12:15], v2 offset:672
	;; [unrolled: 1-line block ×4, first 2 shown]
	scratch_load_dwordx4 v[20:23], off, off offset:112
	scratch_load_dwordx4 v[40:43], off, off offset:176
	;; [unrolled: 1-line block ×23, first 2 shown]
	v_cmp_lt_u32_e32 vcc, 4, v0
	scratch_load_dwordx4 v[48:51], off, off offset:192
	scratch_load_dwordx4 v[56:59], off, off offset:208
	;; [unrolled: 1-line block ×3, first 2 shown]
	s_waitcnt vmcnt(25) lgkmcnt(3)
	v_mul_f64 v[24:25], v[16:17], v[22:23]
	v_fmac_f64_e32 v[24:25], v[18:19], v[20:21]
	v_add_f64 v[28:29], v[24:25], 0
	scratch_load_dwordx4 v[24:27], off, off offset:128
	v_mul_f64 v[18:19], v[18:19], v[22:23]
	v_fma_f64 v[16:17], v[16:17], v[20:21], -v[18:19]
	v_add_f64 v[16:17], v[16:17], 0
	s_waitcnt vmcnt(0) lgkmcnt(2)
	v_mul_f64 v[30:31], v[12:13], v[26:27]
	v_fmac_f64_e32 v[30:31], v[14:15], v[24:25]
	v_add_f64 v[32:33], v[28:29], v[30:31]
	scratch_load_dwordx4 v[28:31], off, off offset:144
	v_mul_f64 v[14:15], v[14:15], v[26:27]
	v_fma_f64 v[12:13], v[12:13], v[24:25], -v[14:15]
	v_add_f64 v[12:13], v[16:17], v[12:13]
	;; [unrolled: 8-line block ×3, first 2 shown]
	s_waitcnt vmcnt(0) lgkmcnt(0)
	v_mul_f64 v[38:39], v[4:5], v[34:35]
	v_fmac_f64_e32 v[38:39], v[6:7], v[32:33]
	v_add_f64 v[44:45], v[36:37], v[38:39]
	ds_read_b128 v[36:39], v2 offset:720
	v_mul_f64 v[6:7], v[6:7], v[34:35]
	v_fma_f64 v[4:5], v[4:5], v[32:33], -v[6:7]
	v_add_f64 v[4:5], v[8:9], v[4:5]
	s_waitcnt lgkmcnt(0)
	v_mul_f64 v[46:47], v[36:37], v[42:43]
	v_fmac_f64_e32 v[46:47], v[38:39], v[40:41]
	v_add_f64 v[52:53], v[44:45], v[46:47]
	ds_read_b128 v[44:47], v2 offset:736
	v_mul_f64 v[6:7], v[38:39], v[42:43]
	v_fma_f64 v[6:7], v[36:37], v[40:41], -v[6:7]
	v_add_f64 v[4:5], v[4:5], v[6:7]
	s_waitcnt lgkmcnt(0)
	;; [unrolled: 8-line block ×25, first 2 shown]
	v_mul_f64 v[6:7], v[232:233], v[236:237]
	v_fma_f64 v[6:7], v[230:231], v[234:235], -v[6:7]
	v_add_f64 v[8:9], v[4:5], v[6:7]
	scratch_load_dwordx4 v[4:7], off, off offset:96
	v_mul_f64 v[238:239], v[230:231], v[236:237]
	v_fmac_f64_e32 v[238:239], v[232:233], v[234:235]
	v_add_f64 v[176:177], v[176:177], v[238:239]
	s_waitcnt vmcnt(0)
	v_add_f64 v[4:5], v[4:5], -v[8:9]
	v_add_f64 v[6:7], v[6:7], -v[176:177]
	scratch_store_dwordx4 off, v[4:7], off offset:96
	s_and_saveexec_b64 s[0:1], vcc
	s_cbranch_execz .LBB34_215
; %bb.214:
	scratch_load_dwordx4 v[6:9], off, s14
	v_mov_b32_e32 v3, v2
	v_mov_b32_e32 v4, v2
	;; [unrolled: 1-line block ×3, first 2 shown]
	scratch_store_dwordx4 off, v[2:5], off offset:80
	s_waitcnt vmcnt(1)
	ds_write_b128 v1, v[6:9]
.LBB34_215:
	s_or_b64 exec, exec, s[0:1]
	s_waitcnt lgkmcnt(0)
	; wave barrier
	ds_read_b128 v[16:19], v2 offset:640
	ds_read_b128 v[12:15], v2 offset:656
	;; [unrolled: 1-line block ×4, first 2 shown]
	scratch_load_dwordx4 v[20:23], off, off offset:96
	scratch_load_dwordx4 v[40:43], off, off offset:160
	;; [unrolled: 1-line block ×24, first 2 shown]
	v_cmp_lt_u32_e32 vcc, 3, v0
	scratch_load_dwordx4 v[48:51], off, off offset:176
	scratch_load_dwordx4 v[56:59], off, off offset:192
	;; [unrolled: 1-line block ×3, first 2 shown]
	ds_read_b128 v[246:249], v2 offset:1104
	s_waitcnt vmcnt(26) lgkmcnt(4)
	v_mul_f64 v[24:25], v[16:17], v[22:23]
	v_fmac_f64_e32 v[24:25], v[18:19], v[20:21]
	v_add_f64 v[28:29], v[24:25], 0
	scratch_load_dwordx4 v[24:27], off, off offset:112
	s_waitcnt vmcnt(0) lgkmcnt(3)
	v_mul_f64 v[30:31], v[12:13], v[26:27]
	v_fmac_f64_e32 v[30:31], v[14:15], v[24:25]
	v_add_f64 v[32:33], v[28:29], v[30:31]
	scratch_load_dwordx4 v[28:31], off, off offset:128
	v_mul_f64 v[14:15], v[14:15], v[26:27]
	v_fma_f64 v[12:13], v[12:13], v[24:25], -v[14:15]
	s_waitcnt vmcnt(0) lgkmcnt(2)
	v_mul_f64 v[34:35], v[8:9], v[30:31]
	v_fmac_f64_e32 v[34:35], v[10:11], v[28:29]
	v_add_f64 v[36:37], v[32:33], v[34:35]
	scratch_load_dwordx4 v[32:35], off, off offset:144
	v_mul_f64 v[10:11], v[10:11], v[30:31]
	v_fma_f64 v[8:9], v[8:9], v[28:29], -v[10:11]
	s_waitcnt vmcnt(0) lgkmcnt(1)
	v_mul_f64 v[38:39], v[4:5], v[34:35]
	v_fmac_f64_e32 v[38:39], v[6:7], v[32:33]
	v_add_f64 v[44:45], v[36:37], v[38:39]
	ds_read_b128 v[36:39], v2 offset:704
	v_mul_f64 v[6:7], v[6:7], v[34:35]
	v_fma_f64 v[4:5], v[4:5], v[32:33], -v[6:7]
	s_waitcnt lgkmcnt(0)
	v_mul_f64 v[46:47], v[36:37], v[42:43]
	v_fmac_f64_e32 v[46:47], v[38:39], v[40:41]
	v_add_f64 v[52:53], v[44:45], v[46:47]
	ds_read_b128 v[44:47], v2 offset:720
	s_waitcnt lgkmcnt(0)
	v_mul_f64 v[54:55], v[44:45], v[50:51]
	v_fmac_f64_e32 v[54:55], v[46:47], v[48:49]
	v_add_f64 v[60:61], v[52:53], v[54:55]
	ds_read_b128 v[52:55], v2 offset:736
	;; [unrolled: 5-line block ×24, first 2 shown]
	v_mul_f64 v[2:3], v[246:247], v[252:253]
	v_fmac_f64_e32 v[2:3], v[248:249], v[250:251]
	s_waitcnt lgkmcnt(0)
	v_mul_f64 v[238:239], v[230:231], v[236:237]
	v_fmac_f64_e32 v[238:239], v[232:233], v[234:235]
	v_add_f64 v[184:185], v[184:185], v[238:239]
	v_add_f64 v[184:185], v[184:185], v[2:3]
	v_mul_f64 v[2:3], v[18:19], v[22:23]
	v_fma_f64 v[2:3], v[16:17], v[20:21], -v[2:3]
	v_add_f64 v[2:3], v[2:3], 0
	v_add_f64 v[2:3], v[2:3], v[12:13]
	;; [unrolled: 1-line block ×4, first 2 shown]
	v_mul_f64 v[4:5], v[38:39], v[42:43]
	v_fma_f64 v[4:5], v[36:37], v[40:41], -v[4:5]
	v_add_f64 v[2:3], v[2:3], v[4:5]
	v_mul_f64 v[4:5], v[46:47], v[50:51]
	v_fma_f64 v[4:5], v[44:45], v[48:49], -v[4:5]
	v_add_f64 v[2:3], v[2:3], v[4:5]
	;; [unrolled: 3-line block ×26, first 2 shown]
	scratch_load_dwordx4 v[2:5], off, off offset:80
	s_waitcnt vmcnt(0)
	v_add_f64 v[2:3], v[2:3], -v[6:7]
	v_add_f64 v[4:5], v[4:5], -v[184:185]
	scratch_store_dwordx4 off, v[2:5], off offset:80
	s_and_saveexec_b64 s[0:1], vcc
	s_cbranch_execz .LBB34_217
; %bb.216:
	scratch_load_dwordx4 v[2:5], off, s13
	v_mov_b32_e32 v6, 0
	v_mov_b32_e32 v7, v6
	;; [unrolled: 1-line block ×4, first 2 shown]
	scratch_store_dwordx4 off, v[6:9], off offset:64
	s_waitcnt vmcnt(1)
	ds_write_b128 v1, v[2:5]
.LBB34_217:
	s_or_b64 exec, exec, s[0:1]
	s_waitcnt lgkmcnt(0)
	; wave barrier
	scratch_load_dwordx4 v[16:19], off, off offset:80
	scratch_load_dwordx4 v[12:15], off, off offset:96
	scratch_load_dwordx4 v[8:11], off, off offset:112
	scratch_load_dwordx4 v[4:7], off, off offset:128
	scratch_load_dwordx4 v[20:23], off, off offset:144
	scratch_load_dwordx4 v[24:27], off, off offset:160
	scratch_load_dwordx4 v[28:31], off, off offset:176
	scratch_load_dwordx4 v[32:35], off, off offset:192
	scratch_load_dwordx4 v[36:39], off, off offset:208
	scratch_load_dwordx4 v[40:43], off, off offset:224
	scratch_load_dwordx4 v[44:47], off, off offset:240
	scratch_load_dwordx4 v[48:51], off, off offset:256
	scratch_load_dwordx4 v[52:55], off, off offset:272
	scratch_load_dwordx4 v[56:59], off, off offset:288
	scratch_load_dwordx4 v[60:63], off, off offset:304
	scratch_load_dwordx4 v[64:67], off, off offset:320
	scratch_load_dwordx4 v[68:71], off, off offset:336
	scratch_load_dwordx4 v[72:75], off, off offset:352
	scratch_load_dwordx4 v[76:79], off, off offset:368
	scratch_load_dwordx4 v[80:83], off, off offset:384
	scratch_load_dwordx4 v[84:87], off, off offset:400
	scratch_load_dwordx4 v[88:91], off, off offset:416
	scratch_load_dwordx4 v[92:95], off, off offset:432
	scratch_load_dwordx4 v[96:99], off, off offset:448
	scratch_load_dwordx4 v[100:103], off, off offset:464
	scratch_load_dwordx4 v[104:107], off, off offset:480
	scratch_load_dwordx4 v[108:111], off, off offset:496
	scratch_load_dwordx4 v[112:115], off, off offset:512
	scratch_load_dwordx4 v[116:119], off, off offset:528
	scratch_load_dwordx4 v[120:123], off, off offset:544
	scratch_load_dwordx4 v[124:127], off, off offset:560
	scratch_load_dwordx4 v[128:131], off, off offset:64
	v_mov_b32_e32 v2, 0
	ds_read_b128 v[132:135], v2 offset:624
	ds_read_b128 v[136:139], v2 offset:640
	;; [unrolled: 1-line block ×17, first 2 shown]
	v_cmp_lt_u32_e32 vcc, 2, v0
	s_waitcnt vmcnt(31) lgkmcnt(14)
	v_mul_f64 v[200:201], v[132:133], v[18:19]
	s_waitcnt vmcnt(30)
	v_mul_f64 v[202:203], v[136:137], v[14:15]
	v_fmac_f64_e32 v[200:201], v[134:135], v[16:17]
	s_waitcnt vmcnt(29)
	v_mul_f64 v[204:205], v[140:141], v[10:11]
	v_fmac_f64_e32 v[202:203], v[138:139], v[12:13]
	v_add_f64 v[200:201], v[200:201], 0
	s_waitcnt vmcnt(28) lgkmcnt(13)
	v_mul_f64 v[206:207], v[144:145], v[6:7]
	v_fmac_f64_e32 v[204:205], v[142:143], v[8:9]
	v_add_f64 v[200:201], v[200:201], v[202:203]
	s_waitcnt vmcnt(27) lgkmcnt(12)
	v_mul_f64 v[208:209], v[148:149], v[22:23]
	v_fmac_f64_e32 v[206:207], v[146:147], v[4:5]
	v_add_f64 v[200:201], v[200:201], v[204:205]
	s_waitcnt vmcnt(26) lgkmcnt(11)
	v_mul_f64 v[210:211], v[152:153], v[26:27]
	v_fmac_f64_e32 v[208:209], v[150:151], v[20:21]
	v_add_f64 v[200:201], v[200:201], v[206:207]
	s_waitcnt vmcnt(25) lgkmcnt(10)
	v_mul_f64 v[212:213], v[156:157], v[30:31]
	v_fmac_f64_e32 v[210:211], v[154:155], v[24:25]
	v_add_f64 v[200:201], v[200:201], v[208:209]
	s_waitcnt vmcnt(24) lgkmcnt(9)
	v_mul_f64 v[214:215], v[160:161], v[34:35]
	v_fmac_f64_e32 v[212:213], v[158:159], v[28:29]
	v_add_f64 v[200:201], v[200:201], v[210:211]
	s_waitcnt vmcnt(23) lgkmcnt(8)
	v_mul_f64 v[216:217], v[164:165], v[38:39]
	v_fmac_f64_e32 v[214:215], v[162:163], v[32:33]
	v_add_f64 v[200:201], v[200:201], v[212:213]
	s_waitcnt vmcnt(22) lgkmcnt(7)
	v_mul_f64 v[218:219], v[168:169], v[42:43]
	v_fmac_f64_e32 v[216:217], v[166:167], v[36:37]
	v_add_f64 v[200:201], v[200:201], v[214:215]
	s_waitcnt vmcnt(21) lgkmcnt(6)
	v_mul_f64 v[220:221], v[172:173], v[46:47]
	v_fmac_f64_e32 v[218:219], v[170:171], v[40:41]
	v_add_f64 v[200:201], v[200:201], v[216:217]
	s_waitcnt vmcnt(20) lgkmcnt(5)
	v_mul_f64 v[222:223], v[176:177], v[50:51]
	v_fmac_f64_e32 v[220:221], v[174:175], v[44:45]
	v_add_f64 v[200:201], v[200:201], v[218:219]
	s_waitcnt vmcnt(19) lgkmcnt(4)
	v_mul_f64 v[224:225], v[180:181], v[54:55]
	v_fmac_f64_e32 v[222:223], v[178:179], v[48:49]
	v_add_f64 v[200:201], v[200:201], v[220:221]
	s_waitcnt vmcnt(18) lgkmcnt(3)
	v_mul_f64 v[226:227], v[184:185], v[58:59]
	v_fmac_f64_e32 v[224:225], v[182:183], v[52:53]
	v_add_f64 v[200:201], v[200:201], v[222:223]
	s_waitcnt vmcnt(17) lgkmcnt(2)
	v_mul_f64 v[228:229], v[188:189], v[62:63]
	v_fmac_f64_e32 v[226:227], v[186:187], v[56:57]
	v_add_f64 v[200:201], v[200:201], v[224:225]
	v_fmac_f64_e32 v[228:229], v[190:191], v[60:61]
	v_add_f64 v[200:201], v[200:201], v[226:227]
	s_waitcnt vmcnt(16) lgkmcnt(1)
	v_mul_f64 v[202:203], v[192:193], v[66:67]
	v_add_f64 v[200:201], v[200:201], v[228:229]
	v_fmac_f64_e32 v[202:203], v[194:195], v[64:65]
	s_waitcnt vmcnt(15) lgkmcnt(0)
	v_mul_f64 v[206:207], v[196:197], v[70:71]
	v_add_f64 v[204:205], v[200:201], v[202:203]
	ds_read_b128 v[200:203], v2 offset:896
	v_fmac_f64_e32 v[206:207], v[198:199], v[68:69]
	v_add_f64 v[208:209], v[204:205], v[206:207]
	ds_read_b128 v[204:207], v2 offset:912
	v_mul_f64 v[18:19], v[134:135], v[18:19]
	s_waitcnt vmcnt(14) lgkmcnt(1)
	v_mul_f64 v[210:211], v[200:201], v[74:75]
	v_fmac_f64_e32 v[210:211], v[202:203], v[72:73]
	v_add_f64 v[212:213], v[208:209], v[210:211]
	s_waitcnt vmcnt(13) lgkmcnt(0)
	v_mul_f64 v[214:215], v[204:205], v[78:79]
	ds_read_b128 v[208:211], v2 offset:928
	v_fmac_f64_e32 v[214:215], v[206:207], v[76:77]
	v_add_f64 v[216:217], v[212:213], v[214:215]
	ds_read_b128 v[212:215], v2 offset:944
	v_fma_f64 v[248:249], v[132:133], v[16:17], -v[18:19]
	s_waitcnt vmcnt(12) lgkmcnt(1)
	v_mul_f64 v[218:219], v[208:209], v[82:83]
	v_fmac_f64_e32 v[218:219], v[210:211], v[80:81]
	v_add_f64 v[220:221], v[216:217], v[218:219]
	s_waitcnt vmcnt(11) lgkmcnt(0)
	v_mul_f64 v[222:223], v[212:213], v[86:87]
	ds_read_b128 v[216:219], v2 offset:960
	v_fmac_f64_e32 v[222:223], v[214:215], v[84:85]
	v_add_f64 v[224:225], v[220:221], v[222:223]
	ds_read_b128 v[220:223], v2 offset:976
	ds_read_b128 v[16:19], v2 offset:1056
	s_waitcnt vmcnt(10) lgkmcnt(2)
	v_mul_f64 v[226:227], v[216:217], v[90:91]
	v_fmac_f64_e32 v[226:227], v[218:219], v[88:89]
	v_add_f64 v[228:229], v[224:225], v[226:227]
	s_waitcnt vmcnt(9) lgkmcnt(1)
	v_mul_f64 v[230:231], v[220:221], v[94:95]
	ds_read_b128 v[224:227], v2 offset:992
	v_fmac_f64_e32 v[230:231], v[222:223], v[92:93]
	v_add_f64 v[232:233], v[228:229], v[230:231]
	ds_read_b128 v[228:231], v2 offset:1008
	v_mul_f64 v[14:15], v[138:139], v[14:15]
	s_waitcnt vmcnt(8) lgkmcnt(1)
	v_mul_f64 v[234:235], v[224:225], v[98:99]
	v_fmac_f64_e32 v[234:235], v[226:227], v[96:97]
	v_add_f64 v[236:237], v[232:233], v[234:235]
	s_waitcnt vmcnt(7) lgkmcnt(0)
	v_mul_f64 v[238:239], v[228:229], v[102:103]
	ds_read_b128 v[232:235], v2 offset:1024
	v_fmac_f64_e32 v[238:239], v[230:231], v[100:101]
	v_add_f64 v[246:247], v[236:237], v[238:239]
	ds_read_b128 v[236:239], v2 offset:1040
	v_fma_f64 v[136:137], v[136:137], v[12:13], -v[14:15]
	s_waitcnt vmcnt(6) lgkmcnt(1)
	v_mul_f64 v[132:133], v[232:233], v[106:107]
	v_fmac_f64_e32 v[132:133], v[234:235], v[104:105]
	v_add_f64 v[132:133], v[246:247], v[132:133]
	s_waitcnt vmcnt(5) lgkmcnt(0)
	v_mul_f64 v[134:135], v[236:237], v[110:111]
	v_fmac_f64_e32 v[134:135], v[238:239], v[108:109]
	v_add_f64 v[132:133], v[132:133], v[134:135]
	ds_read_b128 v[12:15], v2 offset:1072
	s_waitcnt vmcnt(4)
	v_mul_f64 v[134:135], v[16:17], v[114:115]
	v_fmac_f64_e32 v[134:135], v[18:19], v[112:113]
	v_add_f64 v[138:139], v[132:133], v[134:135]
	ds_read_b128 v[132:135], v2 offset:1088
	v_mul_f64 v[10:11], v[142:143], v[10:11]
	v_fma_f64 v[140:141], v[140:141], v[8:9], -v[10:11]
	ds_read_b128 v[8:11], v2 offset:1104
	s_waitcnt vmcnt(3) lgkmcnt(2)
	v_mul_f64 v[142:143], v[12:13], v[118:119]
	v_fmac_f64_e32 v[142:143], v[14:15], v[116:117]
	v_add_f64 v[138:139], v[138:139], v[142:143]
	s_waitcnt vmcnt(2) lgkmcnt(1)
	v_mul_f64 v[142:143], v[132:133], v[122:123]
	v_fmac_f64_e32 v[142:143], v[134:135], v[120:121]
	v_add_f64 v[138:139], v[138:139], v[142:143]
	;; [unrolled: 4-line block ×3, first 2 shown]
	v_add_f64 v[142:143], v[248:249], 0
	v_add_f64 v[136:137], v[142:143], v[136:137]
	v_mul_f64 v[6:7], v[146:147], v[6:7]
	v_add_f64 v[136:137], v[136:137], v[140:141]
	v_fma_f64 v[4:5], v[144:145], v[4:5], -v[6:7]
	v_mul_f64 v[6:7], v[150:151], v[22:23]
	v_add_f64 v[4:5], v[136:137], v[4:5]
	v_fma_f64 v[6:7], v[148:149], v[20:21], -v[6:7]
	v_add_f64 v[4:5], v[4:5], v[6:7]
	v_mul_f64 v[6:7], v[154:155], v[26:27]
	v_fma_f64 v[6:7], v[152:153], v[24:25], -v[6:7]
	v_add_f64 v[4:5], v[4:5], v[6:7]
	v_mul_f64 v[6:7], v[158:159], v[30:31]
	;; [unrolled: 3-line block ×26, first 2 shown]
	v_fma_f64 v[6:7], v[8:9], v[124:125], -v[6:7]
	v_add_f64 v[4:5], v[4:5], v[6:7]
	s_waitcnt vmcnt(0)
	v_add_f64 v[4:5], v[128:129], -v[4:5]
	v_add_f64 v[6:7], v[130:131], -v[138:139]
	scratch_store_dwordx4 off, v[4:7], off offset:64
	s_and_saveexec_b64 s[0:1], vcc
	s_cbranch_execz .LBB34_219
; %bb.218:
	scratch_load_dwordx4 v[6:9], off, s12
	v_mov_b32_e32 v3, v2
	v_mov_b32_e32 v4, v2
	;; [unrolled: 1-line block ×3, first 2 shown]
	scratch_store_dwordx4 off, v[2:5], off offset:48
	s_waitcnt vmcnt(1)
	ds_write_b128 v1, v[6:9]
.LBB34_219:
	s_or_b64 exec, exec, s[0:1]
	s_waitcnt lgkmcnt(0)
	; wave barrier
	scratch_load_dwordx4 v[140:143], off, off offset:64
	scratch_load_dwordx4 v[148:151], off, off offset:80
	;; [unrolled: 1-line block ×16, first 2 shown]
	ds_read_b128 v[188:191], v2 offset:608
	ds_read_b128 v[184:187], v2 offset:624
	scratch_load_dwordx4 v[56:59], off, off offset:320
	ds_read_b128 v[192:195], v2 offset:640
	ds_read_b128 v[68:71], v2 offset:656
	scratch_load_dwordx4 v[60:63], off, off offset:336
	ds_read_b128 v[88:91], v2 offset:672
	ds_read_b128 v[84:87], v2 offset:688
	;; [unrolled: 1-line block ×4, first 2 shown]
	scratch_load_dwordx4 v[64:67], off, off offset:352
	ds_read_b128 v[100:103], v2 offset:736
	ds_read_b128 v[96:99], v2 offset:752
	scratch_load_dwordx4 v[72:75], off, off offset:368
	ds_read_b128 v[116:119], v2 offset:768
	ds_read_b128 v[112:115], v2 offset:784
	;; [unrolled: 1-line block ×4, first 2 shown]
	scratch_load_dwordx4 v[92:95], off, off offset:384
	ds_read_b128 v[132:135], v2 offset:832
	ds_read_b128 v[128:131], v2 offset:848
	;; [unrolled: 1-line block ×3, first 2 shown]
	scratch_load_dwordx4 v[120:123], off, off offset:400
	scratch_load_dwordx4 v[136:139], off, off offset:416
	;; [unrolled: 1-line block ×11, first 2 shown]
	v_cmp_lt_u32_e32 vcc, 1, v0
	s_waitcnt vmcnt(31) lgkmcnt(14)
	v_mul_f64 v[200:201], v[188:189], v[142:143]
	s_waitcnt vmcnt(30)
	v_mul_f64 v[202:203], v[184:185], v[150:151]
	v_fmac_f64_e32 v[200:201], v[190:191], v[140:141]
	s_waitcnt vmcnt(29)
	v_mul_f64 v[204:205], v[192:193], v[154:155]
	v_fmac_f64_e32 v[202:203], v[186:187], v[148:149]
	v_add_f64 v[200:201], v[200:201], 0
	s_waitcnt vmcnt(28) lgkmcnt(13)
	v_mul_f64 v[206:207], v[68:69], v[6:7]
	v_fmac_f64_e32 v[204:205], v[194:195], v[152:153]
	v_add_f64 v[200:201], v[200:201], v[202:203]
	s_waitcnt vmcnt(27) lgkmcnt(12)
	;; [unrolled: 4-line block ×13, first 2 shown]
	v_mul_f64 v[230:231], v[128:129], v[54:55]
	v_fmac_f64_e32 v[228:229], v[134:135], v[48:49]
	v_add_f64 v[200:201], v[200:201], v[226:227]
	v_add_f64 v[200:201], v[200:201], v[228:229]
	v_fmac_f64_e32 v[230:231], v[130:131], v[52:53]
	v_add_f64 v[204:205], v[200:201], v[230:231]
	ds_read_b128 v[200:203], v2 offset:880
	s_waitcnt vmcnt(15) lgkmcnt(1)
	v_mul_f64 v[206:207], v[124:125], v[58:59]
	v_fmac_f64_e32 v[206:207], v[126:127], v[56:57]
	v_add_f64 v[208:209], v[204:205], v[206:207]
	ds_read_b128 v[204:207], v2 offset:896
	s_waitcnt vmcnt(14) lgkmcnt(1)
	v_mul_f64 v[210:211], v[200:201], v[62:63]
	;; [unrolled: 5-line block ×10, first 2 shown]
	v_fmac_f64_e32 v[248:249], v[234:235], v[160:161]
	v_mul_f64 v[142:143], v[190:191], v[142:143]
	v_add_f64 v[248:249], v[246:247], v[248:249]
	v_fma_f64 v[246:247], v[188:189], v[140:141], -v[142:143]
	ds_read_b128 v[140:143], v2 offset:1040
	s_waitcnt vmcnt(5) lgkmcnt(1)
	v_mul_f64 v[188:189], v[236:237], v[166:167]
	v_fmac_f64_e32 v[188:189], v[238:239], v[164:165]
	v_mul_f64 v[150:151], v[186:187], v[150:151]
	v_add_f64 v[188:189], v[248:249], v[188:189]
	v_fma_f64 v[248:249], v[184:185], v[148:149], -v[150:151]
	ds_read_b128 v[148:151], v2 offset:1056
	s_waitcnt vmcnt(4) lgkmcnt(1)
	v_mul_f64 v[184:185], v[140:141], v[170:171]
	v_fmac_f64_e32 v[184:185], v[142:143], v[168:169]
	v_add_f64 v[188:189], v[188:189], v[184:185]
	ds_read_b128 v[184:187], v2 offset:1072
	v_mul_f64 v[154:155], v[194:195], v[154:155]
	s_waitcnt vmcnt(3) lgkmcnt(1)
	v_mul_f64 v[190:191], v[148:149], v[174:175]
	v_fma_f64 v[252:253], v[192:193], v[152:153], -v[154:155]
	ds_read_b128 v[152:155], v2 offset:1088
	v_fmac_f64_e32 v[190:191], v[150:151], v[172:173]
	v_add_f64 v[250:251], v[188:189], v[190:191]
	ds_read_b128 v[188:191], v2 offset:1104
	s_waitcnt vmcnt(2) lgkmcnt(2)
	v_mul_f64 v[192:193], v[184:185], v[178:179]
	v_fmac_f64_e32 v[192:193], v[186:187], v[176:177]
	v_add_f64 v[2:3], v[250:251], v[192:193]
	s_waitcnt vmcnt(1) lgkmcnt(1)
	v_mul_f64 v[192:193], v[152:153], v[182:183]
	v_fmac_f64_e32 v[192:193], v[154:155], v[180:181]
	v_add_f64 v[2:3], v[2:3], v[192:193]
	;; [unrolled: 4-line block ×3, first 2 shown]
	scratch_load_dwordx4 v[192:195], off, off offset:48
	v_add_f64 v[246:247], v[246:247], 0
	v_add_f64 v[246:247], v[246:247], v[248:249]
	v_mul_f64 v[6:7], v[70:71], v[6:7]
	v_add_f64 v[246:247], v[246:247], v[252:253]
	v_fma_f64 v[4:5], v[68:69], v[4:5], -v[6:7]
	v_mul_f64 v[6:7], v[90:91], v[10:11]
	v_add_f64 v[4:5], v[246:247], v[4:5]
	v_fma_f64 v[6:7], v[88:89], v[8:9], -v[6:7]
	v_add_f64 v[4:5], v[4:5], v[6:7]
	v_mul_f64 v[6:7], v[86:87], v[14:15]
	v_fma_f64 v[6:7], v[84:85], v[12:13], -v[6:7]
	v_add_f64 v[4:5], v[4:5], v[6:7]
	v_mul_f64 v[6:7], v[82:83], v[18:19]
	;; [unrolled: 3-line block ×27, first 2 shown]
	v_fma_f64 v[6:7], v[188:189], v[196:197], -v[6:7]
	v_add_f64 v[4:5], v[4:5], v[6:7]
	s_waitcnt vmcnt(0)
	v_add_f64 v[4:5], v[192:193], -v[4:5]
	v_add_f64 v[6:7], v[194:195], -v[2:3]
	scratch_store_dwordx4 off, v[4:7], off offset:48
	s_and_saveexec_b64 s[0:1], vcc
	s_cbranch_execz .LBB34_221
; %bb.220:
	scratch_load_dwordx4 v[2:5], off, s20
	v_mov_b32_e32 v6, 0
	v_mov_b32_e32 v7, v6
	;; [unrolled: 1-line block ×4, first 2 shown]
	scratch_store_dwordx4 off, v[6:9], off offset:32
	s_waitcnt vmcnt(1)
	ds_write_b128 v1, v[2:5]
.LBB34_221:
	s_or_b64 exec, exec, s[0:1]
	s_waitcnt lgkmcnt(0)
	; wave barrier
	scratch_load_dwordx4 v[108:111], off, off offset:48
	scratch_load_dwordx4 v[116:119], off, off offset:64
	;; [unrolled: 1-line block ×33, first 2 shown]
	v_mov_b32_e32 v2, 0
	ds_read_b128 v[220:223], v2 offset:592
	ds_read_b128 v[224:227], v2 offset:608
	;; [unrolled: 1-line block ×16, first 2 shown]
	v_cmp_ne_u32_e32 vcc, 0, v0
	s_waitcnt vmcnt(32) lgkmcnt(14)
	v_mul_f64 v[180:181], v[220:221], v[110:111]
	s_waitcnt vmcnt(31)
	v_mul_f64 v[182:183], v[224:225], v[118:119]
	v_fmac_f64_e32 v[180:181], v[222:223], v[108:109]
	s_waitcnt vmcnt(30) lgkmcnt(13)
	v_mul_f64 v[184:185], v[234:235], v[122:123]
	v_fmac_f64_e32 v[182:183], v[226:227], v[116:117]
	v_add_f64 v[180:181], v[180:181], 0
	s_waitcnt vmcnt(29) lgkmcnt(12)
	v_mul_f64 v[186:187], v[246:247], v[126:127]
	v_fmac_f64_e32 v[184:185], v[236:237], v[120:121]
	v_add_f64 v[180:181], v[180:181], v[182:183]
	;; [unrolled: 4-line block ×13, first 2 shown]
	v_fmac_f64_e32 v[208:209], v[142:143], v[40:41]
	v_add_f64 v[180:181], v[180:181], v[206:207]
	v_add_f64 v[184:185], v[180:181], v[208:209]
	ds_read_b128 v[180:183], v2 offset:848
	s_waitcnt vmcnt(17) lgkmcnt(1)
	v_mul_f64 v[186:187], v[136:137], v[46:47]
	v_fmac_f64_e32 v[186:187], v[138:139], v[44:45]
	v_add_f64 v[188:189], v[184:185], v[186:187]
	ds_read_b128 v[184:187], v2 offset:864
	s_waitcnt vmcnt(16) lgkmcnt(1)
	v_mul_f64 v[190:191], v[180:181], v[50:51]
	v_fmac_f64_e32 v[190:191], v[182:183], v[48:49]
	;; [unrolled: 5-line block ×10, first 2 shown]
	v_mul_f64 v[110:111], v[222:223], v[110:111]
	v_add_f64 v[228:229], v[228:229], v[230:231]
	v_fma_f64 v[230:231], v[220:221], v[108:109], -v[110:111]
	ds_read_b128 v[108:111], v2 offset:1008
	s_waitcnt vmcnt(7) lgkmcnt(1)
	v_mul_f64 v[220:221], v[216:217], v[86:87]
	v_mul_f64 v[118:119], v[226:227], v[118:119]
	v_fmac_f64_e32 v[220:221], v[218:219], v[84:85]
	v_fma_f64 v[232:233], v[224:225], v[116:117], -v[118:119]
	ds_read_b128 v[116:119], v2 offset:1024
	s_waitcnt vmcnt(6) lgkmcnt(1)
	v_mul_f64 v[222:223], v[108:109], v[90:91]
	v_add_f64 v[220:221], v[228:229], v[220:221]
	v_fmac_f64_e32 v[222:223], v[110:111], v[88:89]
	v_add_f64 v[224:225], v[220:221], v[222:223]
	ds_read_b128 v[220:223], v2 offset:1040
	v_mul_f64 v[122:123], v[236:237], v[122:123]
	v_fma_f64 v[234:235], v[234:235], v[120:121], -v[122:123]
	ds_read_b128 v[120:123], v2 offset:1056
	s_waitcnt vmcnt(5) lgkmcnt(2)
	v_mul_f64 v[226:227], v[116:117], v[94:95]
	v_fmac_f64_e32 v[226:227], v[118:119], v[92:93]
	v_mul_f64 v[126:127], v[248:249], v[126:127]
	v_add_f64 v[224:225], v[224:225], v[226:227]
	s_waitcnt vmcnt(4) lgkmcnt(1)
	v_mul_f64 v[226:227], v[220:221], v[98:99]
	v_fma_f64 v[236:237], v[246:247], v[124:125], -v[126:127]
	ds_read_b128 v[124:127], v2 offset:1072
	v_fmac_f64_e32 v[226:227], v[222:223], v[96:97]
	v_add_f64 v[228:229], v[224:225], v[226:227]
	s_waitcnt vmcnt(3) lgkmcnt(1)
	v_mul_f64 v[238:239], v[120:121], v[102:103]
	ds_read_b128 v[224:227], v2 offset:1088
	v_fmac_f64_e32 v[238:239], v[122:123], v[100:101]
	v_mul_f64 v[130:131], v[252:253], v[130:131]
	v_add_f64 v[228:229], v[228:229], v[238:239]
	v_fma_f64 v[238:239], v[250:251], v[128:129], -v[130:131]
	ds_read_b128 v[128:131], v2 offset:1104
	s_waitcnt vmcnt(2) lgkmcnt(2)
	v_mul_f64 v[246:247], v[124:125], v[106:107]
	v_fmac_f64_e32 v[246:247], v[126:127], v[104:105]
	v_add_f64 v[228:229], v[228:229], v[246:247]
	s_waitcnt vmcnt(1) lgkmcnt(1)
	v_mul_f64 v[246:247], v[224:225], v[114:115]
	v_fmac_f64_e32 v[246:247], v[226:227], v[112:113]
	v_add_f64 v[228:229], v[228:229], v[246:247]
	;; [unrolled: 4-line block ×3, first 2 shown]
	scratch_load_dwordx4 v[246:249], off, off offset:32
	v_add_f64 v[230:231], v[230:231], 0
	v_add_f64 v[230:231], v[230:231], v[232:233]
	v_add_f64 v[230:231], v[230:231], v[234:235]
	v_add_f64 v[230:231], v[230:231], v[236:237]
	v_mul_f64 v[6:7], v[178:179], v[6:7]
	v_add_f64 v[230:231], v[230:231], v[238:239]
	v_fma_f64 v[4:5], v[176:177], v[4:5], -v[6:7]
	v_mul_f64 v[6:7], v[174:175], v[10:11]
	v_add_f64 v[4:5], v[230:231], v[4:5]
	v_fma_f64 v[6:7], v[172:173], v[8:9], -v[6:7]
	v_add_f64 v[4:5], v[4:5], v[6:7]
	v_mul_f64 v[6:7], v[170:171], v[14:15]
	v_fma_f64 v[6:7], v[168:169], v[12:13], -v[6:7]
	v_add_f64 v[4:5], v[4:5], v[6:7]
	v_mul_f64 v[6:7], v[166:167], v[18:19]
	;; [unrolled: 3-line block ×26, first 2 shown]
	v_fma_f64 v[6:7], v[128:129], v[132:133], -v[6:7]
	v_add_f64 v[4:5], v[4:5], v[6:7]
	s_waitcnt vmcnt(0)
	v_add_f64 v[4:5], v[246:247], -v[4:5]
	v_add_f64 v[6:7], v[248:249], -v[228:229]
	scratch_store_dwordx4 off, v[4:7], off offset:32
	s_and_saveexec_b64 s[0:1], vcc
	s_cbranch_execz .LBB34_223
; %bb.222:
	scratch_load_dwordx4 v[6:9], off, off offset:16
	v_mov_b32_e32 v3, v2
	v_mov_b32_e32 v4, v2
	;; [unrolled: 1-line block ×3, first 2 shown]
	scratch_store_dwordx4 off, v[2:5], off offset:16
	s_waitcnt vmcnt(1)
	ds_write_b128 v1, v[6:9]
.LBB34_223:
	s_or_b64 exec, exec, s[0:1]
	s_waitcnt lgkmcnt(0)
	; wave barrier
	scratch_load_dwordx4 v[144:147], off, off offset:32
	scratch_load_dwordx4 v[152:155], off, off offset:48
	;; [unrolled: 1-line block ×16, first 2 shown]
	ds_read_b128 v[196:199], v2 offset:576
	ds_read_b128 v[188:191], v2 offset:592
	ds_read_b128 v[180:183], v2 offset:608
	scratch_load_dwordx4 v[48:51], off, off offset:288
	ds_read_b128 v[192:195], v2 offset:624
	ds_read_b128 v[184:187], v2 offset:640
	ds_read_b128 v[64:67], v2 offset:656
	scratch_load_dwordx4 v[52:55], off, off offset:304
	;; [unrolled: 4-line block ×5, first 2 shown]
	ds_read_b128 v[112:115], v2 offset:816
	scratch_load_dwordx4 v[108:111], off, off offset:368
	scratch_load_dwordx4 v[116:119], off, off offset:384
	;; [unrolled: 1-line block ×12, first 2 shown]
	ds_read_b128 v[200:203], v2 offset:832
	s_and_b64 vcc, exec, s[18:19]
	ds_read_b128 v[236:239], v2 offset:976
	s_waitcnt vmcnt(32) lgkmcnt(14)
	v_mul_f64 v[0:1], v[196:197], v[146:147]
	s_waitcnt vmcnt(31)
	v_mul_f64 v[204:205], v[188:189], v[154:155]
	v_fmac_f64_e32 v[0:1], v[198:199], v[144:145]
	s_waitcnt vmcnt(30)
	v_mul_f64 v[206:207], v[180:181], v[158:159]
	v_fmac_f64_e32 v[204:205], v[190:191], v[152:153]
	v_add_f64 v[0:1], v[0:1], 0
	s_waitcnt vmcnt(29)
	v_mul_f64 v[208:209], v[192:193], v[162:163]
	v_fmac_f64_e32 v[206:207], v[182:183], v[156:157]
	v_add_f64 v[0:1], v[0:1], v[204:205]
	s_waitcnt vmcnt(28) lgkmcnt(13)
	v_mul_f64 v[210:211], v[184:185], v[170:171]
	v_fmac_f64_e32 v[208:209], v[194:195], v[160:161]
	v_add_f64 v[0:1], v[0:1], v[206:207]
	s_waitcnt vmcnt(27) lgkmcnt(12)
	;; [unrolled: 4-line block ×11, first 2 shown]
	v_mul_f64 v[230:231], v[96:97], v[42:43]
	v_fmac_f64_e32 v[228:229], v[102:103], v[36:37]
	v_add_f64 v[0:1], v[0:1], v[226:227]
	v_fmac_f64_e32 v[230:231], v[98:99], v[40:41]
	v_add_f64 v[0:1], v[0:1], v[228:229]
	s_waitcnt vmcnt(17) lgkmcnt(2)
	v_mul_f64 v[204:205], v[112:113], v[46:47]
	v_add_f64 v[0:1], v[0:1], v[230:231]
	v_fmac_f64_e32 v[204:205], v[114:115], v[44:45]
	v_add_f64 v[0:1], v[0:1], v[204:205]
	ds_read_b128 v[204:207], v2 offset:848
	s_waitcnt vmcnt(16) lgkmcnt(2)
	v_mul_f64 v[208:209], v[200:201], v[50:51]
	v_fmac_f64_e32 v[208:209], v[202:203], v[48:49]
	v_add_f64 v[0:1], v[0:1], v[208:209]
	ds_read_b128 v[208:211], v2 offset:864
	s_waitcnt vmcnt(15) lgkmcnt(1)
	v_mul_f64 v[212:213], v[204:205], v[54:55]
	;; [unrolled: 5-line block ×7, first 2 shown]
	v_fmac_f64_e32 v[232:233], v[226:227], v[116:117]
	v_add_f64 v[0:1], v[0:1], v[232:233]
	ds_read_b128 v[232:235], v2 offset:960
	v_mul_f64 v[146:147], v[198:199], v[146:147]
	v_fma_f64 v[198:199], v[196:197], v[144:145], -v[146:147]
	ds_read_b128 v[144:147], v2 offset:992
	s_waitcnt vmcnt(9) lgkmcnt(2)
	v_mul_f64 v[246:247], v[228:229], v[122:123]
	v_fmac_f64_e32 v[246:247], v[230:231], v[120:121]
	v_add_f64 v[0:1], v[0:1], v[246:247]
	s_waitcnt vmcnt(8) lgkmcnt(1)
	v_mul_f64 v[246:247], v[232:233], v[126:127]
	v_fmac_f64_e32 v[246:247], v[234:235], v[124:125]
	s_waitcnt vmcnt(7)
	v_mul_f64 v[196:197], v[236:237], v[130:131]
	v_mul_f64 v[154:155], v[190:191], v[154:155]
	v_add_f64 v[0:1], v[0:1], v[246:247]
	v_fmac_f64_e32 v[196:197], v[238:239], v[128:129]
	v_fma_f64 v[246:247], v[188:189], v[152:153], -v[154:155]
	ds_read_b128 v[152:155], v2 offset:1008
	s_waitcnt vmcnt(6) lgkmcnt(1)
	v_mul_f64 v[188:189], v[144:145], v[134:135]
	v_add_f64 v[0:1], v[0:1], v[196:197]
	v_fmac_f64_e32 v[188:189], v[146:147], v[132:133]
	v_add_f64 v[0:1], v[0:1], v[188:189]
	ds_read_b128 v[188:191], v2 offset:1024
	v_mul_f64 v[158:159], v[182:183], v[158:159]
	v_fma_f64 v[248:249], v[180:181], v[156:157], -v[158:159]
	s_waitcnt vmcnt(5) lgkmcnt(1)
	v_mul_f64 v[180:181], v[152:153], v[138:139]
	v_fmac_f64_e32 v[180:181], v[154:155], v[136:137]
	ds_read_b128 v[156:159], v2 offset:1040
	v_add_f64 v[0:1], v[0:1], v[180:181]
	s_waitcnt vmcnt(4) lgkmcnt(1)
	v_mul_f64 v[180:181], v[188:189], v[142:143]
	v_fmac_f64_e32 v[180:181], v[190:191], v[140:141]
	v_add_f64 v[0:1], v[0:1], v[180:181]
	ds_read_b128 v[180:183], v2 offset:1056
	v_mul_f64 v[162:163], v[194:195], v[162:163]
	s_waitcnt vmcnt(3) lgkmcnt(1)
	v_mul_f64 v[196:197], v[156:157], v[150:151]
	v_fma_f64 v[194:195], v[192:193], v[160:161], -v[162:163]
	ds_read_b128 v[160:163], v2 offset:1072
	v_fmac_f64_e32 v[196:197], v[158:159], v[148:149]
	v_mul_f64 v[170:171], v[186:187], v[170:171]
	v_add_f64 v[0:1], v[0:1], v[196:197]
	v_fma_f64 v[196:197], v[184:185], v[168:169], -v[170:171]
	ds_read_b128 v[168:171], v2 offset:1088
	s_waitcnt vmcnt(2) lgkmcnt(2)
	v_mul_f64 v[184:185], v[180:181], v[166:167]
	v_fmac_f64_e32 v[184:185], v[182:183], v[164:165]
	v_add_f64 v[0:1], v[0:1], v[184:185]
	s_waitcnt vmcnt(1) lgkmcnt(1)
	v_mul_f64 v[184:185], v[160:161], v[174:175]
	v_fmac_f64_e32 v[184:185], v[162:163], v[172:173]
	v_add_f64 v[0:1], v[0:1], v[184:185]
	;; [unrolled: 4-line block ×3, first 2 shown]
	scratch_load_dwordx4 v[184:187], off, off offset:560
	v_add_f64 v[198:199], v[198:199], 0
	v_add_f64 v[198:199], v[198:199], v[246:247]
	;; [unrolled: 1-line block ×3, first 2 shown]
	scratch_load_dwordx4 v[246:249], off, off offset:16
	v_add_f64 v[194:195], v[198:199], v[194:195]
	v_mul_f64 v[6:7], v[66:67], v[6:7]
	v_add_f64 v[194:195], v[194:195], v[196:197]
	v_fma_f64 v[4:5], v[64:65], v[4:5], -v[6:7]
	v_mul_f64 v[6:7], v[78:79], v[10:11]
	v_add_f64 v[4:5], v[194:195], v[4:5]
	v_fma_f64 v[6:7], v[76:77], v[8:9], -v[6:7]
	v_add_f64 v[4:5], v[4:5], v[6:7]
	v_mul_f64 v[6:7], v[74:75], v[14:15]
	v_fma_f64 v[6:7], v[72:73], v[12:13], -v[6:7]
	v_add_f64 v[4:5], v[4:5], v[6:7]
	v_mul_f64 v[6:7], v[70:71], v[18:19]
	;; [unrolled: 3-line block ×23, first 2 shown]
	ds_read_b128 v[0:3], v2 offset:1104
	v_fma_f64 v[6:7], v[156:157], v[148:149], -v[6:7]
	v_add_f64 v[4:5], v[4:5], v[6:7]
	v_mul_f64 v[6:7], v[182:183], v[166:167]
	v_fma_f64 v[6:7], v[180:181], v[164:165], -v[6:7]
	v_add_f64 v[4:5], v[4:5], v[6:7]
	v_mul_f64 v[6:7], v[162:163], v[174:175]
	v_fma_f64 v[6:7], v[160:161], v[172:173], -v[6:7]
	s_waitcnt vmcnt(1) lgkmcnt(0)
	v_mul_f64 v[250:251], v[0:1], v[186:187]
	v_add_f64 v[4:5], v[4:5], v[6:7]
	v_mul_f64 v[6:7], v[170:171], v[178:179]
	v_fmac_f64_e32 v[250:251], v[2:3], v[184:185]
	v_fma_f64 v[6:7], v[168:169], v[176:177], -v[6:7]
	v_mul_f64 v[2:3], v[2:3], v[186:187]
	v_add_f64 v[4:5], v[4:5], v[6:7]
	v_fma_f64 v[0:1], v[0:1], v[184:185], -v[2:3]
	v_add_f64 v[192:193], v[192:193], v[250:251]
	v_add_f64 v[0:1], v[4:5], v[0:1]
	s_waitcnt vmcnt(0)
	v_add_f64 v[0:1], v[246:247], -v[0:1]
	v_add_f64 v[2:3], v[248:249], -v[192:193]
	scratch_store_dwordx4 off, v[0:3], off offset:16
	s_cbranch_vccz .LBB34_292
; %bb.224:
	s_nop 0
	v_mov_b32_e32 v0, 0
	global_load_dword v1, v0, s[16:17] offset:132
	s_waitcnt vmcnt(0)
	v_readfirstlane_b32 s0, v1
	s_add_i32 s0, s0, -1
	s_cmp_lg_u32 s0, 33
	s_cbranch_scc0 .LBB34_226
; %bb.225:
	s_lshl_b32 s0, s0, 4
	s_add_i32 s0, s0, 16
	scratch_load_dwordx4 v[2:5], off, s0
	scratch_load_dwordx4 v[6:9], off, s46
	s_waitcnt vmcnt(1)
	scratch_store_dwordx4 off, v[2:5], s46
	s_waitcnt vmcnt(1)
	scratch_store_dwordx4 off, v[6:9], s0
.LBB34_226:
	global_load_dword v0, v0, s[16:17] offset:128
	s_waitcnt vmcnt(0)
	v_readfirstlane_b32 s0, v0
	s_add_i32 s0, s0, -1
	s_cmp_eq_u32 s0, 32
	s_cbranch_scc1 .LBB34_228
; %bb.227:
	s_lshl_b32 s0, s0, 4
	s_add_i32 s0, s0, 16
	scratch_load_dwordx4 v[0:3], off, s0
	scratch_load_dwordx4 v[4:7], off, s45
	s_waitcnt vmcnt(1)
	scratch_store_dwordx4 off, v[0:3], s45
	s_waitcnt vmcnt(1)
	scratch_store_dwordx4 off, v[4:7], s0
.LBB34_228:
	v_mov_b32_e32 v0, 0
	global_load_dword v1, v0, s[16:17] offset:124
	s_waitcnt vmcnt(0)
	v_readfirstlane_b32 s0, v1
	s_add_i32 s0, s0, -1
	s_cmp_eq_u32 s0, 31
	s_cbranch_scc1 .LBB34_230
; %bb.229:
	s_lshl_b32 s0, s0, 4
	s_add_i32 s0, s0, 16
	scratch_load_dwordx4 v[2:5], off, s0
	scratch_load_dwordx4 v[6:9], off, s44
	s_waitcnt vmcnt(1)
	scratch_store_dwordx4 off, v[2:5], s44
	s_waitcnt vmcnt(1)
	scratch_store_dwordx4 off, v[6:9], s0
.LBB34_230:
	global_load_dword v0, v0, s[16:17] offset:120
	s_waitcnt vmcnt(0)
	v_readfirstlane_b32 s0, v0
	s_add_i32 s0, s0, -1
	s_cmp_eq_u32 s0, 30
	s_cbranch_scc1 .LBB34_232
; %bb.231:
	s_lshl_b32 s0, s0, 4
	s_add_i32 s0, s0, 16
	scratch_load_dwordx4 v[0:3], off, s0
	scratch_load_dwordx4 v[4:7], off, s43
	s_waitcnt vmcnt(1)
	scratch_store_dwordx4 off, v[0:3], s43
	s_waitcnt vmcnt(1)
	scratch_store_dwordx4 off, v[4:7], s0
.LBB34_232:
	v_mov_b32_e32 v0, 0
	global_load_dword v1, v0, s[16:17] offset:116
	s_waitcnt vmcnt(0)
	v_readfirstlane_b32 s0, v1
	s_add_i32 s0, s0, -1
	s_cmp_eq_u32 s0, 29
	s_cbranch_scc1 .LBB34_234
; %bb.233:
	s_lshl_b32 s0, s0, 4
	s_add_i32 s0, s0, 16
	scratch_load_dwordx4 v[2:5], off, s0
	scratch_load_dwordx4 v[6:9], off, s42
	s_waitcnt vmcnt(1)
	scratch_store_dwordx4 off, v[2:5], s42
	s_waitcnt vmcnt(1)
	scratch_store_dwordx4 off, v[6:9], s0
.LBB34_234:
	;; [unrolled: 33-line block ×16, first 2 shown]
	global_load_dword v0, v0, s[16:17]
	s_waitcnt vmcnt(0)
	v_readfirstlane_b32 s0, v0
	s_add_i32 s0, s0, -1
	s_cmp_eq_u32 s0, 0
	s_cbranch_scc1 .LBB34_292
; %bb.291:
	s_lshl_b32 s0, s0, 4
	s_add_i32 s0, s0, 16
	scratch_load_dwordx4 v[0:3], off, s0
	scratch_load_dwordx4 v[4:7], off, off offset:16
	s_waitcnt vmcnt(1)
	scratch_store_dwordx4 off, v[0:3], off offset:16
	s_waitcnt vmcnt(1)
	scratch_store_dwordx4 off, v[4:7], s0
.LBB34_292:
	scratch_load_dwordx4 v[0:3], off, off offset:16
	s_nop 0
	scratch_load_dwordx4 v[4:7], off, s20
	scratch_load_dwordx4 v[8:11], off, s12
	;; [unrolled: 1-line block ×13, first 2 shown]
                                        ; kill: killed $sgpr20
                                        ; kill: killed $sgpr25
                                        ; kill: killed $sgpr50
                                        ; kill: killed $sgpr23
                                        ; kill: killed $sgpr49
                                        ; kill: killed $sgpr21
                                        ; kill: killed $sgpr48
                                        ; kill: killed $sgpr14
                                        ; kill: killed $sgpr24
                                        ; kill: killed $sgpr13
                                        ; kill: killed $sgpr22
                                        ; kill: killed $sgpr12
                                        ; kill: killed $sgpr15
	scratch_load_dwordx4 v[56:59], off, s26
	scratch_load_dwordx4 v[60:63], off, s27
	;; [unrolled: 1-line block ×21, first 2 shown]
	v_accvgpr_read_b32 v141, a1
	v_accvgpr_read_b32 v140, a0
	s_waitcnt vmcnt(34)
	global_store_dwordx4 v[140:141], v[0:3], off
	s_nop 1
	v_accvgpr_read_b32 v0, a2
	v_accvgpr_read_b32 v1, a3
	s_waitcnt vmcnt(34)
	global_store_dwordx4 v[0:1], v[4:7], off
	v_accvgpr_read_b32 v0, a4
	v_accvgpr_read_b32 v1, a5
	s_waitcnt vmcnt(34)
	global_store_dwordx4 v[0:1], v[8:11], off
	;; [unrolled: 4-line block ×30, first 2 shown]
	s_waitcnt vmcnt(34)
	global_store_dwordx4 v[254:255], v[124:127], off
	s_waitcnt vmcnt(34)
	global_store_dwordx4 v[240:241], v[128:131], off
	;; [unrolled: 2-line block ×4, first 2 shown]
	s_endpgm
	.section	.rodata,"a",@progbits
	.p2align	6, 0x0
	.amdhsa_kernel _ZN9rocsolver6v33100L18getri_kernel_smallILi35E19rocblas_complex_numIdEPS3_EEvT1_iilPiilS6_bb
		.amdhsa_group_segment_fixed_size 1128
		.amdhsa_private_segment_fixed_size 592
		.amdhsa_kernarg_size 60
		.amdhsa_user_sgpr_count 2
		.amdhsa_user_sgpr_dispatch_ptr 0
		.amdhsa_user_sgpr_queue_ptr 0
		.amdhsa_user_sgpr_kernarg_segment_ptr 1
		.amdhsa_user_sgpr_dispatch_id 0
		.amdhsa_user_sgpr_kernarg_preload_length 0
		.amdhsa_user_sgpr_kernarg_preload_offset 0
		.amdhsa_user_sgpr_private_segment_size 0
		.amdhsa_uses_dynamic_stack 0
		.amdhsa_enable_private_segment 1
		.amdhsa_system_sgpr_workgroup_id_x 1
		.amdhsa_system_sgpr_workgroup_id_y 0
		.amdhsa_system_sgpr_workgroup_id_z 0
		.amdhsa_system_sgpr_workgroup_info 0
		.amdhsa_system_vgpr_workitem_id 0
		.amdhsa_next_free_vgpr 318
		.amdhsa_next_free_sgpr 51
		.amdhsa_accum_offset 256
		.amdhsa_reserve_vcc 1
		.amdhsa_float_round_mode_32 0
		.amdhsa_float_round_mode_16_64 0
		.amdhsa_float_denorm_mode_32 3
		.amdhsa_float_denorm_mode_16_64 3
		.amdhsa_dx10_clamp 1
		.amdhsa_ieee_mode 1
		.amdhsa_fp16_overflow 0
		.amdhsa_tg_split 0
		.amdhsa_exception_fp_ieee_invalid_op 0
		.amdhsa_exception_fp_denorm_src 0
		.amdhsa_exception_fp_ieee_div_zero 0
		.amdhsa_exception_fp_ieee_overflow 0
		.amdhsa_exception_fp_ieee_underflow 0
		.amdhsa_exception_fp_ieee_inexact 0
		.amdhsa_exception_int_div_zero 0
	.end_amdhsa_kernel
	.section	.text._ZN9rocsolver6v33100L18getri_kernel_smallILi35E19rocblas_complex_numIdEPS3_EEvT1_iilPiilS6_bb,"axG",@progbits,_ZN9rocsolver6v33100L18getri_kernel_smallILi35E19rocblas_complex_numIdEPS3_EEvT1_iilPiilS6_bb,comdat
.Lfunc_end34:
	.size	_ZN9rocsolver6v33100L18getri_kernel_smallILi35E19rocblas_complex_numIdEPS3_EEvT1_iilPiilS6_bb, .Lfunc_end34-_ZN9rocsolver6v33100L18getri_kernel_smallILi35E19rocblas_complex_numIdEPS3_EEvT1_iilPiilS6_bb
                                        ; -- End function
	.set _ZN9rocsolver6v33100L18getri_kernel_smallILi35E19rocblas_complex_numIdEPS3_EEvT1_iilPiilS6_bb.num_vgpr, 256
	.set _ZN9rocsolver6v33100L18getri_kernel_smallILi35E19rocblas_complex_numIdEPS3_EEvT1_iilPiilS6_bb.num_agpr, 62
	.set _ZN9rocsolver6v33100L18getri_kernel_smallILi35E19rocblas_complex_numIdEPS3_EEvT1_iilPiilS6_bb.numbered_sgpr, 51
	.set _ZN9rocsolver6v33100L18getri_kernel_smallILi35E19rocblas_complex_numIdEPS3_EEvT1_iilPiilS6_bb.num_named_barrier, 0
	.set _ZN9rocsolver6v33100L18getri_kernel_smallILi35E19rocblas_complex_numIdEPS3_EEvT1_iilPiilS6_bb.private_seg_size, 592
	.set _ZN9rocsolver6v33100L18getri_kernel_smallILi35E19rocblas_complex_numIdEPS3_EEvT1_iilPiilS6_bb.uses_vcc, 1
	.set _ZN9rocsolver6v33100L18getri_kernel_smallILi35E19rocblas_complex_numIdEPS3_EEvT1_iilPiilS6_bb.uses_flat_scratch, 0
	.set _ZN9rocsolver6v33100L18getri_kernel_smallILi35E19rocblas_complex_numIdEPS3_EEvT1_iilPiilS6_bb.has_dyn_sized_stack, 0
	.set _ZN9rocsolver6v33100L18getri_kernel_smallILi35E19rocblas_complex_numIdEPS3_EEvT1_iilPiilS6_bb.has_recursion, 0
	.set _ZN9rocsolver6v33100L18getri_kernel_smallILi35E19rocblas_complex_numIdEPS3_EEvT1_iilPiilS6_bb.has_indirect_call, 0
	.section	.AMDGPU.csdata,"",@progbits
; Kernel info:
; codeLenInByte = 55648
; TotalNumSgprs: 57
; NumVgprs: 256
; NumAgprs: 62
; TotalNumVgprs: 318
; ScratchSize: 592
; MemoryBound: 0
; FloatMode: 240
; IeeeMode: 1
; LDSByteSize: 1128 bytes/workgroup (compile time only)
; SGPRBlocks: 7
; VGPRBlocks: 39
; NumSGPRsForWavesPerEU: 57
; NumVGPRsForWavesPerEU: 318
; AccumOffset: 256
; Occupancy: 1
; WaveLimiterHint : 1
; COMPUTE_PGM_RSRC2:SCRATCH_EN: 1
; COMPUTE_PGM_RSRC2:USER_SGPR: 2
; COMPUTE_PGM_RSRC2:TRAP_HANDLER: 0
; COMPUTE_PGM_RSRC2:TGID_X_EN: 1
; COMPUTE_PGM_RSRC2:TGID_Y_EN: 0
; COMPUTE_PGM_RSRC2:TGID_Z_EN: 0
; COMPUTE_PGM_RSRC2:TIDIG_COMP_CNT: 0
; COMPUTE_PGM_RSRC3_GFX90A:ACCUM_OFFSET: 63
; COMPUTE_PGM_RSRC3_GFX90A:TG_SPLIT: 0
	.section	.text._ZN9rocsolver6v33100L18getri_kernel_smallILi36E19rocblas_complex_numIdEPS3_EEvT1_iilPiilS6_bb,"axG",@progbits,_ZN9rocsolver6v33100L18getri_kernel_smallILi36E19rocblas_complex_numIdEPS3_EEvT1_iilPiilS6_bb,comdat
	.globl	_ZN9rocsolver6v33100L18getri_kernel_smallILi36E19rocblas_complex_numIdEPS3_EEvT1_iilPiilS6_bb ; -- Begin function _ZN9rocsolver6v33100L18getri_kernel_smallILi36E19rocblas_complex_numIdEPS3_EEvT1_iilPiilS6_bb
	.p2align	8
	.type	_ZN9rocsolver6v33100L18getri_kernel_smallILi36E19rocblas_complex_numIdEPS3_EEvT1_iilPiilS6_bb,@function
_ZN9rocsolver6v33100L18getri_kernel_smallILi36E19rocblas_complex_numIdEPS3_EEvT1_iilPiilS6_bb: ; @_ZN9rocsolver6v33100L18getri_kernel_smallILi36E19rocblas_complex_numIdEPS3_EEvT1_iilPiilS6_bb
; %bb.0:
	v_cmp_gt_u32_e32 vcc, 36, v0
	s_and_saveexec_b64 s[4:5], vcc
	s_cbranch_execz .LBB35_158
; %bb.1:
	s_load_dword s8, s[0:1], 0x38
	s_load_dwordx4 s[12:15], s[0:1], 0x10
	s_load_dwordx4 s[4:7], s[0:1], 0x28
                                        ; implicit-def: $sgpr16_sgpr17
	s_waitcnt lgkmcnt(0)
	s_bitcmp1_b32 s8, 8
	s_cselect_b64 s[18:19], -1, 0
	s_ashr_i32 s3, s2, 31
	s_bfe_u32 s8, s8, 0x10008
	s_cmp_eq_u32 s8, 0
	s_cbranch_scc1 .LBB35_3
; %bb.2:
	s_load_dword s8, s[0:1], 0x20
	s_mul_i32 s9, s4, s3
	s_mul_hi_u32 s10, s4, s2
	s_mul_i32 s5, s5, s2
	s_add_i32 s10, s10, s9
	s_add_i32 s5, s10, s5
	s_mul_i32 s4, s4, s2
	s_waitcnt lgkmcnt(0)
	s_ashr_i32 s9, s8, 31
	s_lshl_b64 s[4:5], s[4:5], 2
	s_add_u32 s10, s14, s4
	s_addc_u32 s11, s15, s5
	s_lshl_b64 s[4:5], s[8:9], 2
	s_add_u32 s16, s10, s4
	s_addc_u32 s17, s11, s5
.LBB35_3:
	s_load_dwordx4 s[8:11], s[0:1], 0x0
	s_load_dword s4, s[0:1], 0x38
	s_mul_i32 s5, s12, s3
	s_mul_hi_u32 s14, s12, s2
	s_add_i32 s5, s14, s5
	s_waitcnt lgkmcnt(0)
	s_ashr_i32 s1, s10, 31
	s_mov_b32 s0, s10
	s_mul_i32 s10, s13, s2
	s_add_i32 s13, s5, s10
	s_mul_i32 s12, s12, s2
	s_lshl_b64 s[12:13], s[12:13], 4
	s_add_u32 s5, s8, s12
	s_addc_u32 s8, s9, s13
	s_lshl_b64 s[0:1], s[0:1], 4
	s_add_u32 s0, s5, s0
	s_addc_u32 s1, s8, s1
	s_add_i32 s5, s11, s11
	v_add_u32_e32 v14, s5, v0
	v_ashrrev_i32_e32 v15, 31, v14
	v_lshl_add_u64 v[10:11], v[14:15], 4, s[0:1]
	v_add_u32_e32 v14, s11, v14
	v_add_u32_e32 v22, s11, v14
	v_ashrrev_i32_e32 v23, 31, v22
	v_lshl_add_u64 v[18:19], v[22:23], 4, s[0:1]
	v_add_u32_e32 v22, s11, v22
	;; [unrolled: 4-line block ×3, first 2 shown]
	v_ashrrev_i32_e32 v31, 31, v30
	v_lshl_add_u64 v[32:33], v[30:31], 4, s[0:1]
	v_add_u32_e32 v30, s11, v30
	v_lshlrev_b32_e32 v46, 4, v0
	v_mov_b32_e32 v47, 0
	v_add_u32_e32 v38, s11, v30
	v_lshl_add_u64 v[6:7], s[0:1], 0, v[46:47]
	v_add_u32_e32 v40, s11, v38
	s_ashr_i32 s9, s11, 31
	s_mov_b32 s8, s11
	v_accvgpr_write_b32 a0, v6
	v_add_u32_e32 v48, s11, v40
	v_accvgpr_write_b32 a1, v7
	v_lshl_add_u64 v[6:7], s[8:9], 4, v[6:7]
	v_add_u32_e32 v50, s11, v48
	global_load_dwordx4 v[2:5], v46, s[0:1]
	v_accvgpr_write_b32 a2, v6
	v_ashrrev_i32_e32 v15, 31, v14
	v_add_u32_e32 v56, s11, v50
	v_accvgpr_write_b32 a3, v7
	global_load_dwordx4 v[6:9], v[6:7], off
	v_accvgpr_write_b32 a4, v10
	v_lshl_add_u64 v[16:17], v[14:15], 4, s[0:1]
	v_ashrrev_i32_e32 v57, 31, v56
	v_accvgpr_write_b32 a5, v11
	global_load_dwordx4 v[10:13], v[10:11], off
	v_accvgpr_write_b32 a6, v16
	v_ashrrev_i32_e32 v23, 31, v22
	v_lshl_add_u64 v[58:59], v[56:57], 4, s[0:1]
	v_add_u32_e32 v56, s11, v56
	v_accvgpr_write_b32 a7, v17
	global_load_dwordx4 v[14:17], v[16:17], off
	v_accvgpr_write_b32 a8, v18
	v_lshl_add_u64 v[24:25], v[22:23], 4, s[0:1]
	v_add_u32_e32 v64, s11, v56
	v_accvgpr_write_b32 a9, v19
	global_load_dwordx4 v[18:21], v[18:19], off
	v_accvgpr_write_b32 a10, v24
	v_add_u32_e32 v66, s11, v64
	v_accvgpr_write_b32 a11, v25
	global_load_dwordx4 v[22:25], v[24:25], off
	v_accvgpr_write_b32 a12, v26
	v_ashrrev_i32_e32 v31, 31, v30
	v_add_u32_e32 v72, s11, v66
	v_accvgpr_write_b32 a13, v27
	global_load_dwordx4 v[26:29], v[26:27], off
	v_lshl_add_u64 v[34:35], v[30:31], 4, s[0:1]
	v_ashrrev_i32_e32 v39, 31, v38
	v_accvgpr_write_b32 a14, v32
	v_add_u32_e32 v80, s11, v72
	v_accvgpr_write_b32 a15, v33
	global_load_dwordx4 v[30:33], v[32:33], off
	v_accvgpr_write_b32 a16, v34
	v_lshl_add_u64 v[38:39], v[38:39], 4, s[0:1]
	v_ashrrev_i32_e32 v41, 31, v40
	v_ashrrev_i32_e32 v81, 31, v80
	v_accvgpr_write_b32 a17, v35
	global_load_dwordx4 v[34:37], v[34:35], off
	v_lshl_add_u64 v[42:43], v[40:41], 4, s[0:1]
	v_ashrrev_i32_e32 v49, 31, v48
	v_accvgpr_write_b32 a18, v38
	v_lshl_add_u64 v[76:77], v[80:81], 4, s[0:1]
	v_add_u32_e32 v80, s11, v80
	v_accvgpr_write_b32 a19, v39
	global_load_dwordx4 v[38:41], v[38:39], off
	v_accvgpr_write_b32 a20, v42
	v_lshl_add_u64 v[48:49], v[48:49], 4, s[0:1]
	v_ashrrev_i32_e32 v51, 31, v50
	v_add_u32_e32 v88, s11, v80
	v_accvgpr_write_b32 a21, v43
	global_load_dwordx4 v[42:45], v[42:43], off
	v_lshl_add_u64 v[52:53], v[50:51], 4, s[0:1]
	v_accvgpr_write_b32 a22, v48
	v_ashrrev_i32_e32 v89, 31, v88
	v_accvgpr_write_b32 a23, v49
	global_load_dwordx4 v[48:51], v[48:49], off
	v_accvgpr_write_b32 a24, v52
	v_ashrrev_i32_e32 v57, 31, v56
	v_lshl_add_u64 v[84:85], v[88:89], 4, s[0:1]
	v_add_u32_e32 v88, s11, v88
	v_accvgpr_write_b32 a25, v53
	global_load_dwordx4 v[52:55], v[52:53], off
	v_lshl_add_u64 v[60:61], v[56:57], 4, s[0:1]
	v_ashrrev_i32_e32 v65, 31, v64
	v_accvgpr_write_b32 a26, v58
	v_add_u32_e32 v96, s11, v88
	v_accvgpr_write_b32 a27, v59
	global_load_dwordx4 v[56:59], v[58:59], off
	v_accvgpr_write_b32 a28, v60
	v_lshl_add_u64 v[64:65], v[64:65], 4, s[0:1]
	v_ashrrev_i32_e32 v67, 31, v66
	v_ashrrev_i32_e32 v97, 31, v96
	v_accvgpr_write_b32 a29, v61
	global_load_dwordx4 v[60:63], v[60:61], off
	v_lshl_add_u64 v[68:69], v[66:67], 4, s[0:1]
	v_ashrrev_i32_e32 v73, 31, v72
	v_accvgpr_write_b32 a30, v64
	v_lshl_add_u64 v[92:93], v[96:97], 4, s[0:1]
	v_add_u32_e32 v96, s11, v96
	v_accvgpr_write_b32 a31, v65
	global_load_dwordx4 v[64:67], v[64:65], off
	v_accvgpr_write_b32 a32, v68
	v_lshl_add_u64 v[74:75], v[72:73], 4, s[0:1]
	v_add_u32_e32 v104, s11, v96
	v_accvgpr_write_b32 a33, v69
	global_load_dwordx4 v[68:71], v[68:69], off
	v_accvgpr_write_b32 a34, v74
	v_ashrrev_i32_e32 v81, 31, v80
	v_ashrrev_i32_e32 v105, 31, v104
	v_accvgpr_write_b32 a35, v75
	global_load_dwordx4 v[72:75], v[74:75], off
	v_accvgpr_write_b32 a36, v76
	v_lshl_add_u64 v[82:83], v[80:81], 4, s[0:1]
	v_lshl_add_u64 v[100:101], v[104:105], 4, s[0:1]
	v_add_u32_e32 v104, s11, v104
	v_accvgpr_write_b32 a37, v77
	global_load_dwordx4 v[76:79], v[76:77], off
	v_accvgpr_write_b32 a38, v82
	v_ashrrev_i32_e32 v89, 31, v88
	v_add_u32_e32 v112, s11, v104
	v_accvgpr_write_b32 a39, v83
	global_load_dwordx4 v[80:83], v[82:83], off
	v_accvgpr_write_b32 a40, v84
	v_lshl_add_u64 v[90:91], v[88:89], 4, s[0:1]
	v_ashrrev_i32_e32 v113, 31, v112
	v_accvgpr_write_b32 a41, v85
	global_load_dwordx4 v[84:87], v[84:85], off
	v_accvgpr_write_b32 a42, v90
	v_ashrrev_i32_e32 v97, 31, v96
	v_lshl_add_u64 v[108:109], v[112:113], 4, s[0:1]
	v_add_u32_e32 v112, s11, v112
	v_accvgpr_write_b32 a43, v91
	global_load_dwordx4 v[88:91], v[90:91], off
	v_accvgpr_write_b32 a44, v92
	v_lshl_add_u64 v[98:99], v[96:97], 4, s[0:1]
	v_add_u32_e32 v120, s11, v112
	v_accvgpr_write_b32 a45, v93
	global_load_dwordx4 v[92:95], v[92:93], off
	v_accvgpr_write_b32 a46, v98
	v_ashrrev_i32_e32 v105, 31, v104
	v_ashrrev_i32_e32 v121, 31, v120
	v_accvgpr_write_b32 a47, v99
	global_load_dwordx4 v[96:99], v[98:99], off
	v_accvgpr_write_b32 a48, v100
	v_lshl_add_u64 v[106:107], v[104:105], 4, s[0:1]
	v_lshl_add_u64 v[116:117], v[120:121], 4, s[0:1]
	v_add_u32_e32 v120, s11, v120
	v_accvgpr_write_b32 a49, v101
	global_load_dwordx4 v[100:103], v[100:101], off
	v_accvgpr_write_b32 a50, v106
	v_ashrrev_i32_e32 v113, 31, v112
	v_add_u32_e32 v128, s11, v120
	v_accvgpr_write_b32 a51, v107
	global_load_dwordx4 v[104:107], v[106:107], off
	v_accvgpr_write_b32 a52, v108
	v_lshl_add_u64 v[114:115], v[112:113], 4, s[0:1]
	v_ashrrev_i32_e32 v129, 31, v128
	v_accvgpr_write_b32 a53, v109
	global_load_dwordx4 v[108:111], v[108:109], off
	v_accvgpr_write_b32 a54, v114
	v_ashrrev_i32_e32 v121, 31, v120
	v_lshl_add_u64 v[124:125], v[128:129], 4, s[0:1]
	v_add_u32_e32 v128, s11, v128
	v_accvgpr_write_b32 a55, v115
	global_load_dwordx4 v[112:115], v[114:115], off
	v_accvgpr_write_b32 a56, v116
	v_lshl_add_u64 v[122:123], v[120:121], 4, s[0:1]
	v_add_u32_e32 v136, s11, v128
	v_accvgpr_write_b32 a57, v117
	global_load_dwordx4 v[116:119], v[116:117], off
	v_accvgpr_write_b32 a58, v122
	v_ashrrev_i32_e32 v129, 31, v128
	v_ashrrev_i32_e32 v137, 31, v136
	v_accvgpr_write_b32 a59, v123
	global_load_dwordx4 v[120:123], v[122:123], off
	v_accvgpr_write_b32 a60, v124
	v_lshl_add_u64 v[130:131], v[128:129], 4, s[0:1]
	v_lshl_add_u64 v[132:133], v[136:137], 4, s[0:1]
	v_add_u32_e32 v136, s11, v136
	v_accvgpr_write_b32 a61, v125
	global_load_dwordx4 v[124:127], v[124:125], off
	v_accvgpr_write_b32 a62, v130
	v_ashrrev_i32_e32 v137, 31, v136
	v_add_u32_e32 v144, s11, v136
	v_accvgpr_write_b32 a63, v131
	global_load_dwordx4 v[128:131], v[130:131], off
	v_accvgpr_write_b32 a64, v132
	v_lshl_add_u64 v[138:139], v[136:137], 4, s[0:1]
	v_ashrrev_i32_e32 v145, 31, v144
	v_accvgpr_write_b32 a65, v133
	global_load_dwordx4 v[132:135], v[132:133], off
	v_lshl_add_u64 v[140:141], v[144:145], 4, s[0:1]
	v_accvgpr_write_b32 a66, v138
	v_add_u32_e32 v144, s11, v144
	v_accvgpr_write_b32 a67, v139
	global_load_dwordx4 v[136:139], v[138:139], off
	v_accvgpr_write_b32 a68, v140
	v_ashrrev_i32_e32 v145, 31, v144
	v_accvgpr_write_b32 a69, v141
	global_load_dwordx4 v[140:143], v[140:141], off
	v_lshl_add_u64 v[246:247], v[144:145], 4, s[0:1]
	global_load_dwordx4 v[144:147], v[246:247], off
	s_movk_i32 s0, 0x50
	s_add_i32 s21, s0, 16
	s_movk_i32 s0, 0x60
	s_add_i32 s23, s0, 16
	;; [unrolled: 2-line block ×31, first 2 shown]
	s_mov_b32 s20, 32
	s_mov_b32 s12, 48
	;; [unrolled: 1-line block ×3, first 2 shown]
	s_movk_i32 s14, 0x50
	s_bitcmp0_b32 s4, 0
	s_mov_b64 s[4:5], -1
	s_waitcnt vmcnt(35)
	scratch_store_dwordx4 off, v[2:5], off offset:16
	s_waitcnt vmcnt(35)
	scratch_store_dwordx4 off, v[6:9], off offset:32
	;; [unrolled: 2-line block ×36, first 2 shown]
	s_cbranch_scc1 .LBB35_156
; %bb.4:
	v_cmp_eq_u32_e64 s[0:1], 0, v0
	s_and_saveexec_b64 s[4:5], s[0:1]
; %bb.5:
	v_mov_b32_e32 v1, 0
	ds_write_b32 v1, v1 offset:1152
; %bb.6:
	s_or_b64 exec, exec, s[4:5]
	s_waitcnt lgkmcnt(0)
	; wave barrier
	scratch_load_dwordx4 v[2:5], v46, off offset:16
	s_waitcnt vmcnt(0)
	v_cmp_eq_f64_e32 vcc, 0, v[2:3]
	v_cmp_eq_f64_e64 s[4:5], 0, v[4:5]
	s_and_b64 s[4:5], vcc, s[4:5]
	s_and_saveexec_b64 s[8:9], s[4:5]
	s_cbranch_execz .LBB35_10
; %bb.7:
	v_mov_b32_e32 v1, 0
	ds_read_b32 v3, v1 offset:1152
	v_add_u32_e32 v2, 1, v0
	s_waitcnt lgkmcnt(0)
	v_readfirstlane_b32 s4, v3
	s_cmp_eq_u32 s4, 0
	s_cselect_b64 s[10:11], -1, 0
	v_cmp_gt_i32_e32 vcc, s4, v2
	s_or_b64 s[10:11], s[10:11], vcc
	s_and_b64 exec, exec, s[10:11]
	s_cbranch_execz .LBB35_10
; %bb.8:
	s_mov_b64 s[10:11], 0
	v_mov_b32_e32 v3, s4
.LBB35_9:                               ; =>This Inner Loop Header: Depth=1
	ds_cmpst_rtn_b32 v3, v1, v3, v2 offset:1152
	s_waitcnt lgkmcnt(0)
	v_cmp_ne_u32_e32 vcc, 0, v3
	v_cmp_le_i32_e64 s[4:5], v3, v2
	s_and_b64 s[4:5], vcc, s[4:5]
	s_and_b64 s[4:5], exec, s[4:5]
	s_or_b64 s[10:11], s[4:5], s[10:11]
	s_andn2_b64 exec, exec, s[10:11]
	s_cbranch_execnz .LBB35_9
.LBB35_10:
	s_or_b64 exec, exec, s[8:9]
	v_mov_b32_e32 v2, 0
	; wave barrier
	ds_read_b32 v1, v2 offset:1152
	s_and_saveexec_b64 s[4:5], s[0:1]
	s_cbranch_execz .LBB35_12
; %bb.11:
	s_lshl_b64 s[8:9], s[2:3], 2
	s_add_u32 s8, s6, s8
	s_addc_u32 s9, s7, s9
	s_waitcnt lgkmcnt(0)
	global_store_dword v2, v1, s[8:9]
.LBB35_12:
	s_or_b64 exec, exec, s[4:5]
	s_waitcnt lgkmcnt(0)
	v_cmp_ne_u32_e32 vcc, 0, v1
	s_mov_b64 s[4:5], 0
	s_cbranch_vccnz .LBB35_156
; %bb.13:
	v_add_u32_e32 v14, 16, v46
	scratch_load_dwordx4 v[2:5], v14, off
                                        ; implicit-def: $vgpr6_vgpr7
                                        ; implicit-def: $vgpr10_vgpr11
	s_waitcnt vmcnt(0)
	v_cmp_ngt_f64_e64 s[4:5], |v[2:3]|, |v[4:5]|
	s_and_saveexec_b64 s[8:9], s[4:5]
	s_xor_b64 s[4:5], exec, s[8:9]
	s_cbranch_execz .LBB35_15
; %bb.14:
	v_div_scale_f64 v[6:7], s[8:9], v[4:5], v[4:5], v[2:3]
	v_rcp_f64_e32 v[8:9], v[6:7]
	v_div_scale_f64 v[10:11], vcc, v[2:3], v[4:5], v[2:3]
	v_fma_f64 v[12:13], -v[6:7], v[8:9], 1.0
	v_fmac_f64_e32 v[8:9], v[8:9], v[12:13]
	v_fma_f64 v[12:13], -v[6:7], v[8:9], 1.0
	v_fmac_f64_e32 v[8:9], v[8:9], v[12:13]
	v_mul_f64 v[12:13], v[10:11], v[8:9]
	v_fma_f64 v[6:7], -v[6:7], v[12:13], v[10:11]
	v_div_fmas_f64 v[6:7], v[6:7], v[8:9], v[12:13]
	v_div_fixup_f64 v[6:7], v[6:7], v[4:5], v[2:3]
	v_fmac_f64_e32 v[4:5], v[2:3], v[6:7]
	v_div_scale_f64 v[2:3], s[8:9], v[4:5], v[4:5], 1.0
	v_rcp_f64_e32 v[8:9], v[2:3]
	s_nop 0
	v_fma_f64 v[10:11], -v[2:3], v[8:9], 1.0
	v_fmac_f64_e32 v[8:9], v[8:9], v[10:11]
	v_fma_f64 v[10:11], -v[2:3], v[8:9], 1.0
	v_fmac_f64_e32 v[8:9], v[8:9], v[10:11]
	v_div_scale_f64 v[10:11], vcc, 1.0, v[4:5], 1.0
	v_mul_f64 v[12:13], v[10:11], v[8:9]
	v_fma_f64 v[2:3], -v[2:3], v[12:13], v[10:11]
	s_nop 1
	v_div_fmas_f64 v[2:3], v[2:3], v[8:9], v[12:13]
	v_div_fixup_f64 v[8:9], v[2:3], v[4:5], 1.0
	v_mul_f64 v[6:7], v[6:7], v[8:9]
	v_xor_b32_e32 v9, 0x80000000, v9
	v_xor_b32_e32 v11, 0x80000000, v7
	v_mov_b32_e32 v10, v6
                                        ; implicit-def: $vgpr2_vgpr3
.LBB35_15:
	s_andn2_saveexec_b64 s[4:5], s[4:5]
	s_cbranch_execz .LBB35_17
; %bb.16:
	v_div_scale_f64 v[6:7], s[8:9], v[2:3], v[2:3], v[4:5]
	v_rcp_f64_e32 v[8:9], v[6:7]
	v_div_scale_f64 v[10:11], vcc, v[4:5], v[2:3], v[4:5]
	v_fma_f64 v[12:13], -v[6:7], v[8:9], 1.0
	v_fmac_f64_e32 v[8:9], v[8:9], v[12:13]
	v_fma_f64 v[12:13], -v[6:7], v[8:9], 1.0
	v_fmac_f64_e32 v[8:9], v[8:9], v[12:13]
	v_mul_f64 v[12:13], v[10:11], v[8:9]
	v_fma_f64 v[6:7], -v[6:7], v[12:13], v[10:11]
	v_div_fmas_f64 v[6:7], v[6:7], v[8:9], v[12:13]
	v_div_fixup_f64 v[8:9], v[6:7], v[2:3], v[4:5]
	v_fmac_f64_e32 v[2:3], v[4:5], v[8:9]
	v_div_scale_f64 v[4:5], s[8:9], v[2:3], v[2:3], 1.0
	v_rcp_f64_e32 v[6:7], v[4:5]
	s_nop 0
	v_fma_f64 v[10:11], -v[4:5], v[6:7], 1.0
	v_fmac_f64_e32 v[6:7], v[6:7], v[10:11]
	v_fma_f64 v[10:11], -v[4:5], v[6:7], 1.0
	v_fmac_f64_e32 v[6:7], v[6:7], v[10:11]
	v_div_scale_f64 v[10:11], vcc, 1.0, v[2:3], 1.0
	v_mul_f64 v[12:13], v[10:11], v[6:7]
	v_fma_f64 v[4:5], -v[4:5], v[12:13], v[10:11]
	s_nop 1
	v_div_fmas_f64 v[4:5], v[4:5], v[6:7], v[12:13]
	v_div_fixup_f64 v[6:7], v[4:5], v[2:3], 1.0
	v_xor_b32_e32 v11, 0x80000000, v7
	v_mov_b32_e32 v10, v6
	v_mul_f64 v[8:9], v[8:9], -v[6:7]
.LBB35_17:
	s_or_b64 exec, exec, s[4:5]
	scratch_store_dwordx4 v14, v[6:9], off
	scratch_load_dwordx4 v[2:5], off, s20
	v_xor_b32_e32 v13, 0x80000000, v9
	v_mov_b32_e32 v12, v8
	v_add_u32_e32 v1, 0x240, v46
	ds_write_b128 v46, v[10:13]
	s_waitcnt vmcnt(0)
	ds_write_b128 v46, v[2:5] offset:576
	s_waitcnt lgkmcnt(0)
	; wave barrier
	s_and_saveexec_b64 s[4:5], s[0:1]
	s_cbranch_execz .LBB35_19
; %bb.18:
	scratch_load_dwordx4 v[2:5], v14, off
	ds_read_b128 v[6:9], v1
	v_mov_b32_e32 v10, 0
	ds_read_b128 v[10:13], v10 offset:16
	s_waitcnt vmcnt(0) lgkmcnt(1)
	v_mul_f64 v[16:17], v[8:9], v[4:5]
	v_mul_f64 v[4:5], v[6:7], v[4:5]
	v_fma_f64 v[6:7], v[6:7], v[2:3], -v[16:17]
	v_fmac_f64_e32 v[4:5], v[8:9], v[2:3]
	v_add_f64 v[2:3], v[6:7], 0
	v_add_f64 v[6:7], v[4:5], 0
	s_waitcnt lgkmcnt(0)
	v_mul_f64 v[8:9], v[6:7], v[12:13]
	v_mul_f64 v[4:5], v[2:3], v[12:13]
	v_fma_f64 v[2:3], v[2:3], v[10:11], -v[8:9]
	v_fmac_f64_e32 v[4:5], v[6:7], v[10:11]
	scratch_store_dwordx4 off, v[2:5], off offset:32
.LBB35_19:
	s_or_b64 exec, exec, s[4:5]
	; wave barrier
	scratch_load_dwordx4 v[2:5], off, s12
	v_cmp_gt_u32_e32 vcc, 2, v0
	s_waitcnt vmcnt(0)
	ds_write_b128 v1, v[2:5]
	s_waitcnt lgkmcnt(0)
	; wave barrier
	s_and_saveexec_b64 s[4:5], vcc
	s_cbranch_execz .LBB35_23
; %bb.20:
	scratch_load_dwordx4 v[2:5], v14, off
	ds_read_b128 v[6:9], v1
	s_waitcnt vmcnt(0) lgkmcnt(0)
	v_mul_f64 v[10:11], v[8:9], v[4:5]
	v_mul_f64 v[12:13], v[6:7], v[4:5]
	v_fma_f64 v[4:5], v[6:7], v[2:3], -v[10:11]
	v_fmac_f64_e32 v[12:13], v[8:9], v[2:3]
	v_add_f64 v[4:5], v[4:5], 0
	v_add_f64 v[2:3], v[12:13], 0
	s_and_saveexec_b64 s[8:9], s[0:1]
	s_cbranch_execz .LBB35_22
; %bb.21:
	scratch_load_dwordx4 v[6:9], off, off offset:32
	v_mov_b32_e32 v10, 0
	ds_read_b128 v[10:13], v10 offset:592
	s_waitcnt vmcnt(0) lgkmcnt(0)
	v_mul_f64 v[14:15], v[10:11], v[8:9]
	v_mul_f64 v[8:9], v[12:13], v[8:9]
	v_fmac_f64_e32 v[14:15], v[12:13], v[6:7]
	v_fma_f64 v[6:7], v[10:11], v[6:7], -v[8:9]
	v_add_f64 v[2:3], v[2:3], v[14:15]
	v_add_f64 v[4:5], v[4:5], v[6:7]
.LBB35_22:
	s_or_b64 exec, exec, s[8:9]
	v_mov_b32_e32 v6, 0
	ds_read_b128 v[6:9], v6 offset:32
	s_waitcnt lgkmcnt(0)
	v_mul_f64 v[12:13], v[2:3], v[8:9]
	v_mul_f64 v[10:11], v[4:5], v[8:9]
	v_fma_f64 v[8:9], v[4:5], v[6:7], -v[12:13]
	v_fmac_f64_e32 v[10:11], v[2:3], v[6:7]
	scratch_store_dwordx4 off, v[8:11], off offset:48
.LBB35_23:
	s_or_b64 exec, exec, s[4:5]
	; wave barrier
	scratch_load_dwordx4 v[2:5], off, s13
	v_cmp_gt_u32_e32 vcc, 3, v0
	v_add_u32_e32 v6, -1, v0
	s_waitcnt vmcnt(0)
	ds_write_b128 v1, v[2:5]
	s_waitcnt lgkmcnt(0)
	; wave barrier
	s_and_saveexec_b64 s[0:1], vcc
	s_cbranch_execz .LBB35_27
; %bb.24:
	v_add_u32_e32 v7, -1, v0
	v_add_u32_e32 v8, 0x240, v46
	v_add_u32_e32 v9, 16, v46
	v_mov_b64_e32 v[2:3], 0
	s_mov_b64 s[4:5], 0
	v_mov_b64_e32 v[4:5], 0
.LBB35_25:                              ; =>This Inner Loop Header: Depth=1
	scratch_load_dwordx4 v[10:13], v9, off
	ds_read_b128 v[14:17], v8
	v_add_u32_e32 v7, 1, v7
	v_cmp_lt_u32_e32 vcc, 1, v7
	v_add_u32_e32 v8, 16, v8
	v_add_u32_e32 v9, 16, v9
	s_or_b64 s[4:5], vcc, s[4:5]
	s_waitcnt vmcnt(0) lgkmcnt(0)
	v_mul_f64 v[18:19], v[16:17], v[12:13]
	v_mul_f64 v[12:13], v[14:15], v[12:13]
	v_fma_f64 v[14:15], v[14:15], v[10:11], -v[18:19]
	v_fmac_f64_e32 v[12:13], v[16:17], v[10:11]
	v_add_f64 v[4:5], v[4:5], v[14:15]
	v_add_f64 v[2:3], v[2:3], v[12:13]
	s_andn2_b64 exec, exec, s[4:5]
	s_cbranch_execnz .LBB35_25
; %bb.26:
	s_or_b64 exec, exec, s[4:5]
	v_mov_b32_e32 v7, 0
	ds_read_b128 v[8:11], v7 offset:48
	s_waitcnt lgkmcnt(0)
	v_mul_f64 v[14:15], v[2:3], v[10:11]
	v_mul_f64 v[12:13], v[4:5], v[10:11]
	v_fma_f64 v[10:11], v[4:5], v[8:9], -v[14:15]
	v_fmac_f64_e32 v[12:13], v[2:3], v[8:9]
	scratch_store_dwordx4 off, v[10:13], off offset:64
.LBB35_27:
	s_or_b64 exec, exec, s[0:1]
	; wave barrier
	scratch_load_dwordx4 v[2:5], off, s14
	v_cmp_gt_u32_e32 vcc, 4, v0
	s_waitcnt vmcnt(0)
	ds_write_b128 v1, v[2:5]
	s_waitcnt lgkmcnt(0)
	; wave barrier
	s_and_saveexec_b64 s[0:1], vcc
	s_cbranch_execz .LBB35_31
; %bb.28:
	v_add_u32_e32 v7, -1, v0
	v_add_u32_e32 v8, 0x240, v46
	v_add_u32_e32 v9, 16, v46
	v_mov_b64_e32 v[2:3], 0
	s_mov_b64 s[4:5], 0
	v_mov_b64_e32 v[4:5], 0
.LBB35_29:                              ; =>This Inner Loop Header: Depth=1
	scratch_load_dwordx4 v[10:13], v9, off
	ds_read_b128 v[14:17], v8
	v_add_u32_e32 v7, 1, v7
	v_cmp_lt_u32_e32 vcc, 2, v7
	v_add_u32_e32 v8, 16, v8
	v_add_u32_e32 v9, 16, v9
	s_or_b64 s[4:5], vcc, s[4:5]
	s_waitcnt vmcnt(0) lgkmcnt(0)
	v_mul_f64 v[18:19], v[16:17], v[12:13]
	v_mul_f64 v[12:13], v[14:15], v[12:13]
	v_fma_f64 v[14:15], v[14:15], v[10:11], -v[18:19]
	v_fmac_f64_e32 v[12:13], v[16:17], v[10:11]
	v_add_f64 v[4:5], v[4:5], v[14:15]
	v_add_f64 v[2:3], v[2:3], v[12:13]
	s_andn2_b64 exec, exec, s[4:5]
	s_cbranch_execnz .LBB35_29
; %bb.30:
	s_or_b64 exec, exec, s[4:5]
	v_mov_b32_e32 v7, 0
	ds_read_b128 v[8:11], v7 offset:64
	s_waitcnt lgkmcnt(0)
	v_mul_f64 v[14:15], v[2:3], v[10:11]
	v_mul_f64 v[12:13], v[4:5], v[10:11]
	v_fma_f64 v[10:11], v[4:5], v[8:9], -v[14:15]
	v_fmac_f64_e32 v[12:13], v[2:3], v[8:9]
	scratch_store_dwordx4 off, v[10:13], off offset:80
.LBB35_31:
	s_or_b64 exec, exec, s[0:1]
	; wave barrier
	scratch_load_dwordx4 v[2:5], off, s21
	v_cmp_gt_u32_e32 vcc, 5, v0
	;; [unrolled: 45-line block ×19, first 2 shown]
	s_waitcnt vmcnt(0)
	ds_write_b128 v1, v[2:5]
	s_waitcnt lgkmcnt(0)
	; wave barrier
	s_and_saveexec_b64 s[0:1], vcc
	s_cbranch_execz .LBB35_103
; %bb.100:
	v_add_u32_e32 v7, -1, v0
	v_add_u32_e32 v8, 0x240, v46
	v_add_u32_e32 v9, 16, v46
	v_mov_b64_e32 v[2:3], 0
	s_mov_b64 s[4:5], 0
	v_mov_b64_e32 v[4:5], 0
.LBB35_101:                             ; =>This Inner Loop Header: Depth=1
	scratch_load_dwordx4 v[10:13], v9, off
	ds_read_b128 v[14:17], v8
	v_add_u32_e32 v7, 1, v7
	v_cmp_lt_u32_e32 vcc, 20, v7
	v_add_u32_e32 v8, 16, v8
	v_add_u32_e32 v9, 16, v9
	s_or_b64 s[4:5], vcc, s[4:5]
	s_waitcnt vmcnt(0) lgkmcnt(0)
	v_mul_f64 v[18:19], v[16:17], v[12:13]
	v_mul_f64 v[12:13], v[14:15], v[12:13]
	v_fma_f64 v[14:15], v[14:15], v[10:11], -v[18:19]
	v_fmac_f64_e32 v[12:13], v[16:17], v[10:11]
	v_add_f64 v[4:5], v[4:5], v[14:15]
	v_add_f64 v[2:3], v[2:3], v[12:13]
	s_andn2_b64 exec, exec, s[4:5]
	s_cbranch_execnz .LBB35_101
; %bb.102:
	s_or_b64 exec, exec, s[4:5]
	v_mov_b32_e32 v7, 0
	ds_read_b128 v[8:11], v7 offset:352
	s_waitcnt lgkmcnt(0)
	v_mul_f64 v[14:15], v[2:3], v[10:11]
	v_mul_f64 v[12:13], v[4:5], v[10:11]
	v_fma_f64 v[10:11], v[4:5], v[8:9], -v[14:15]
	v_fmac_f64_e32 v[12:13], v[2:3], v[8:9]
	scratch_store_dwordx4 off, v[10:13], off offset:368
.LBB35_103:
	s_or_b64 exec, exec, s[0:1]
	; wave barrier
	scratch_load_dwordx4 v[2:5], off, s36
	v_cmp_gt_u32_e32 vcc, 23, v0
	s_waitcnt vmcnt(0)
	ds_write_b128 v1, v[2:5]
	s_waitcnt lgkmcnt(0)
	; wave barrier
	s_and_saveexec_b64 s[0:1], vcc
	s_cbranch_execz .LBB35_107
; %bb.104:
	v_add_u32_e32 v7, -1, v0
	v_add_u32_e32 v8, 0x240, v46
	v_add_u32_e32 v9, 16, v46
	v_mov_b64_e32 v[2:3], 0
	s_mov_b64 s[4:5], 0
	v_mov_b64_e32 v[4:5], 0
.LBB35_105:                             ; =>This Inner Loop Header: Depth=1
	scratch_load_dwordx4 v[10:13], v9, off
	ds_read_b128 v[14:17], v8
	v_add_u32_e32 v7, 1, v7
	v_cmp_lt_u32_e32 vcc, 21, v7
	v_add_u32_e32 v8, 16, v8
	v_add_u32_e32 v9, 16, v9
	s_or_b64 s[4:5], vcc, s[4:5]
	s_waitcnt vmcnt(0) lgkmcnt(0)
	v_mul_f64 v[18:19], v[16:17], v[12:13]
	v_mul_f64 v[12:13], v[14:15], v[12:13]
	v_fma_f64 v[14:15], v[14:15], v[10:11], -v[18:19]
	v_fmac_f64_e32 v[12:13], v[16:17], v[10:11]
	v_add_f64 v[4:5], v[4:5], v[14:15]
	v_add_f64 v[2:3], v[2:3], v[12:13]
	s_andn2_b64 exec, exec, s[4:5]
	s_cbranch_execnz .LBB35_105
; %bb.106:
	s_or_b64 exec, exec, s[4:5]
	v_mov_b32_e32 v7, 0
	ds_read_b128 v[8:11], v7 offset:368
	s_waitcnt lgkmcnt(0)
	v_mul_f64 v[14:15], v[2:3], v[10:11]
	v_mul_f64 v[12:13], v[4:5], v[10:11]
	v_fma_f64 v[10:11], v[4:5], v[8:9], -v[14:15]
	v_fmac_f64_e32 v[12:13], v[2:3], v[8:9]
	scratch_store_dwordx4 off, v[10:13], off offset:384
.LBB35_107:
	s_or_b64 exec, exec, s[0:1]
	; wave barrier
	scratch_load_dwordx4 v[2:5], off, s37
	v_cmp_gt_u32_e32 vcc, 24, v0
	;; [unrolled: 45-line block ×12, first 2 shown]
	s_waitcnt vmcnt(0)
	ds_write_b128 v1, v[2:5]
	s_waitcnt lgkmcnt(0)
	; wave barrier
	s_and_saveexec_b64 s[0:1], vcc
	s_cbranch_execz .LBB35_151
; %bb.148:
	v_add_u32_e32 v7, -1, v0
	v_add_u32_e32 v8, 0x240, v46
	v_add_u32_e32 v9, 16, v46
	v_mov_b64_e32 v[2:3], 0
	s_mov_b64 s[4:5], 0
	v_mov_b64_e32 v[4:5], 0
.LBB35_149:                             ; =>This Inner Loop Header: Depth=1
	scratch_load_dwordx4 v[10:13], v9, off
	ds_read_b128 v[14:17], v8
	v_add_u32_e32 v7, 1, v7
	v_cmp_lt_u32_e32 vcc, 32, v7
	v_add_u32_e32 v8, 16, v8
	v_add_u32_e32 v9, 16, v9
	s_or_b64 s[4:5], vcc, s[4:5]
	s_waitcnt vmcnt(0) lgkmcnt(0)
	v_mul_f64 v[18:19], v[16:17], v[12:13]
	v_mul_f64 v[12:13], v[14:15], v[12:13]
	v_fma_f64 v[14:15], v[14:15], v[10:11], -v[18:19]
	v_fmac_f64_e32 v[12:13], v[16:17], v[10:11]
	v_add_f64 v[4:5], v[4:5], v[14:15]
	v_add_f64 v[2:3], v[2:3], v[12:13]
	s_andn2_b64 exec, exec, s[4:5]
	s_cbranch_execnz .LBB35_149
; %bb.150:
	s_or_b64 exec, exec, s[4:5]
	v_mov_b32_e32 v7, 0
	ds_read_b128 v[8:11], v7 offset:544
	s_waitcnt lgkmcnt(0)
	v_mul_f64 v[14:15], v[2:3], v[10:11]
	v_mul_f64 v[12:13], v[4:5], v[10:11]
	v_fma_f64 v[10:11], v[4:5], v[8:9], -v[14:15]
	v_fmac_f64_e32 v[12:13], v[2:3], v[8:9]
	scratch_store_dwordx4 off, v[10:13], off offset:560
.LBB35_151:
	s_or_b64 exec, exec, s[0:1]
	; wave barrier
	scratch_load_dwordx4 v[2:5], off, s48
	v_cmp_ne_u32_e32 vcc, 35, v0
	s_waitcnt vmcnt(0)
	ds_write_b128 v1, v[2:5]
	s_waitcnt lgkmcnt(0)
	; wave barrier
	s_and_saveexec_b64 s[0:1], vcc
	s_cbranch_execz .LBB35_155
; %bb.152:
	v_add_u32_e32 v1, 0x240, v46
	v_add_u32_e32 v7, 16, v46
	v_mov_b64_e32 v[2:3], 0
	s_mov_b64 s[4:5], 0
	v_mov_b64_e32 v[4:5], 0
.LBB35_153:                             ; =>This Inner Loop Header: Depth=1
	scratch_load_dwordx4 v[8:11], v7, off
	ds_read_b128 v[12:15], v1
	v_add_u32_e32 v6, 1, v6
	v_cmp_lt_u32_e32 vcc, 33, v6
	v_add_u32_e32 v1, 16, v1
	v_add_u32_e32 v7, 16, v7
	s_or_b64 s[4:5], vcc, s[4:5]
	s_waitcnt vmcnt(0) lgkmcnt(0)
	v_mul_f64 v[16:17], v[14:15], v[10:11]
	v_mul_f64 v[10:11], v[12:13], v[10:11]
	v_fma_f64 v[12:13], v[12:13], v[8:9], -v[16:17]
	v_fmac_f64_e32 v[10:11], v[14:15], v[8:9]
	v_add_f64 v[4:5], v[4:5], v[12:13]
	v_add_f64 v[2:3], v[2:3], v[10:11]
	s_andn2_b64 exec, exec, s[4:5]
	s_cbranch_execnz .LBB35_153
; %bb.154:
	s_or_b64 exec, exec, s[4:5]
	v_mov_b32_e32 v1, 0
	ds_read_b128 v[6:9], v1 offset:560
	s_waitcnt lgkmcnt(0)
	v_mul_f64 v[12:13], v[2:3], v[8:9]
	v_mul_f64 v[10:11], v[4:5], v[8:9]
	v_fma_f64 v[8:9], v[4:5], v[6:7], -v[12:13]
	v_fmac_f64_e32 v[10:11], v[2:3], v[6:7]
	scratch_store_dwordx4 off, v[8:11], off offset:576
.LBB35_155:
	s_or_b64 exec, exec, s[0:1]
	s_mov_b64 s[4:5], -1
	; wave barrier
.LBB35_156:
	s_and_b64 vcc, exec, s[4:5]
	s_cbranch_vccz .LBB35_158
; %bb.157:
	s_lshl_b64 s[0:1], s[2:3], 2
	s_add_u32 s0, s6, s0
	s_addc_u32 s1, s7, s1
	v_mov_b32_e32 v1, 0
	global_load_dword v1, v1, s[0:1]
	s_waitcnt vmcnt(0)
	v_cmp_ne_u32_e32 vcc, 0, v1
	s_cbranch_vccz .LBB35_159
.LBB35_158:
	s_endpgm
.LBB35_159:
	v_mov_b32_e32 v1, 0x240
	v_lshl_add_u32 v1, v0, 4, v1
	v_cmp_eq_u32_e32 vcc, 35, v0
	s_and_saveexec_b64 s[0:1], vcc
	s_cbranch_execz .LBB35_161
; %bb.160:
	scratch_load_dwordx4 v[2:5], off, s47
	v_mov_b32_e32 v6, 0
	v_mov_b32_e32 v7, v6
	;; [unrolled: 1-line block ×4, first 2 shown]
	scratch_store_dwordx4 off, v[6:9], off offset:560
	s_waitcnt vmcnt(1)
	ds_write_b128 v1, v[2:5]
.LBB35_161:
	s_or_b64 exec, exec, s[0:1]
	s_waitcnt lgkmcnt(0)
	; wave barrier
	scratch_load_dwordx4 v[4:7], off, off offset:576
	scratch_load_dwordx4 v[8:11], off, off offset:560
	v_mov_b32_e32 v2, 0
	ds_read_b128 v[12:15], v2 offset:1136
	v_cmp_lt_u32_e32 vcc, 33, v0
	s_waitcnt vmcnt(1) lgkmcnt(0)
	v_mul_f64 v[16:17], v[12:13], v[6:7]
	v_mul_f64 v[6:7], v[14:15], v[6:7]
	v_fmac_f64_e32 v[16:17], v[14:15], v[4:5]
	v_fma_f64 v[4:5], v[12:13], v[4:5], -v[6:7]
	v_add_f64 v[6:7], v[16:17], 0
	v_add_f64 v[4:5], v[4:5], 0
	s_waitcnt vmcnt(0)
	v_add_f64 v[4:5], v[8:9], -v[4:5]
	v_add_f64 v[6:7], v[10:11], -v[6:7]
	scratch_store_dwordx4 off, v[4:7], off offset:560
	s_and_saveexec_b64 s[0:1], vcc
	s_cbranch_execz .LBB35_163
; %bb.162:
	scratch_load_dwordx4 v[6:9], off, s46
	v_mov_b32_e32 v3, v2
	v_mov_b32_e32 v4, v2
	;; [unrolled: 1-line block ×3, first 2 shown]
	scratch_store_dwordx4 off, v[2:5], off offset:544
	s_waitcnt vmcnt(1)
	ds_write_b128 v1, v[6:9]
.LBB35_163:
	s_or_b64 exec, exec, s[0:1]
	s_waitcnt lgkmcnt(0)
	; wave barrier
	scratch_load_dwordx4 v[4:7], off, off offset:560
	scratch_load_dwordx4 v[8:11], off, off offset:576
	;; [unrolled: 1-line block ×3, first 2 shown]
	ds_read_b128 v[16:19], v2 offset:1120
	ds_read_b128 v[20:23], v2 offset:1136
	v_cmp_lt_u32_e32 vcc, 32, v0
	s_waitcnt vmcnt(2) lgkmcnt(1)
	v_mul_f64 v[2:3], v[16:17], v[6:7]
	v_mul_f64 v[6:7], v[18:19], v[6:7]
	s_waitcnt vmcnt(1) lgkmcnt(0)
	v_mul_f64 v[24:25], v[20:21], v[10:11]
	v_mul_f64 v[10:11], v[22:23], v[10:11]
	v_fmac_f64_e32 v[2:3], v[18:19], v[4:5]
	v_fma_f64 v[4:5], v[16:17], v[4:5], -v[6:7]
	v_fmac_f64_e32 v[24:25], v[22:23], v[8:9]
	v_fma_f64 v[6:7], v[20:21], v[8:9], -v[10:11]
	v_add_f64 v[2:3], v[2:3], 0
	v_add_f64 v[4:5], v[4:5], 0
	;; [unrolled: 1-line block ×4, first 2 shown]
	s_waitcnt vmcnt(0)
	v_add_f64 v[2:3], v[12:13], -v[2:3]
	v_add_f64 v[4:5], v[14:15], -v[8:9]
	scratch_store_dwordx4 off, v[2:5], off offset:544
	s_and_saveexec_b64 s[0:1], vcc
	s_cbranch_execz .LBB35_165
; %bb.164:
	scratch_load_dwordx4 v[2:5], off, s45
	v_mov_b32_e32 v6, 0
	v_mov_b32_e32 v7, v6
	;; [unrolled: 1-line block ×4, first 2 shown]
	scratch_store_dwordx4 off, v[6:9], off offset:528
	s_waitcnt vmcnt(1)
	ds_write_b128 v1, v[2:5]
.LBB35_165:
	s_or_b64 exec, exec, s[0:1]
	s_waitcnt lgkmcnt(0)
	; wave barrier
	scratch_load_dwordx4 v[4:7], off, off offset:544
	scratch_load_dwordx4 v[8:11], off, off offset:560
	;; [unrolled: 1-line block ×4, first 2 shown]
	v_mov_b32_e32 v2, 0
	ds_read_b128 v[20:23], v2 offset:1104
	ds_read_b128 v[24:27], v2 offset:1120
	;; [unrolled: 1-line block ×3, first 2 shown]
	v_cmp_lt_u32_e32 vcc, 31, v0
	s_waitcnt vmcnt(3) lgkmcnt(2)
	v_mul_f64 v[32:33], v[20:21], v[6:7]
	v_mul_f64 v[6:7], v[22:23], v[6:7]
	s_waitcnt vmcnt(2) lgkmcnt(1)
	v_mul_f64 v[34:35], v[24:25], v[10:11]
	v_mul_f64 v[10:11], v[26:27], v[10:11]
	v_fmac_f64_e32 v[32:33], v[22:23], v[4:5]
	v_fma_f64 v[4:5], v[20:21], v[4:5], -v[6:7]
	s_waitcnt vmcnt(1) lgkmcnt(0)
	v_mul_f64 v[36:37], v[28:29], v[14:15]
	v_mul_f64 v[14:15], v[30:31], v[14:15]
	v_fmac_f64_e32 v[34:35], v[26:27], v[8:9]
	v_fma_f64 v[6:7], v[24:25], v[8:9], -v[10:11]
	v_add_f64 v[10:11], v[32:33], 0
	v_add_f64 v[4:5], v[4:5], 0
	v_fmac_f64_e32 v[36:37], v[30:31], v[12:13]
	v_fma_f64 v[8:9], v[28:29], v[12:13], -v[14:15]
	v_add_f64 v[10:11], v[10:11], v[34:35]
	v_add_f64 v[4:5], v[4:5], v[6:7]
	;; [unrolled: 1-line block ×4, first 2 shown]
	s_waitcnt vmcnt(0)
	v_add_f64 v[4:5], v[16:17], -v[4:5]
	v_add_f64 v[6:7], v[18:19], -v[6:7]
	scratch_store_dwordx4 off, v[4:7], off offset:528
	s_and_saveexec_b64 s[0:1], vcc
	s_cbranch_execz .LBB35_167
; %bb.166:
	scratch_load_dwordx4 v[6:9], off, s44
	v_mov_b32_e32 v3, v2
	v_mov_b32_e32 v4, v2
	;; [unrolled: 1-line block ×3, first 2 shown]
	scratch_store_dwordx4 off, v[2:5], off offset:512
	s_waitcnt vmcnt(1)
	ds_write_b128 v1, v[6:9]
.LBB35_167:
	s_or_b64 exec, exec, s[0:1]
	s_waitcnt lgkmcnt(0)
	; wave barrier
	scratch_load_dwordx4 v[4:7], off, off offset:528
	scratch_load_dwordx4 v[8:11], off, off offset:544
	;; [unrolled: 1-line block ×5, first 2 shown]
	ds_read_b128 v[24:27], v2 offset:1088
	ds_read_b128 v[28:31], v2 offset:1104
	;; [unrolled: 1-line block ×4, first 2 shown]
	v_cmp_lt_u32_e32 vcc, 30, v0
	s_waitcnt vmcnt(4) lgkmcnt(3)
	v_mul_f64 v[2:3], v[24:25], v[6:7]
	v_mul_f64 v[6:7], v[26:27], v[6:7]
	s_waitcnt vmcnt(3) lgkmcnt(2)
	v_mul_f64 v[40:41], v[28:29], v[10:11]
	v_mul_f64 v[10:11], v[30:31], v[10:11]
	v_fmac_f64_e32 v[2:3], v[26:27], v[4:5]
	v_fma_f64 v[4:5], v[24:25], v[4:5], -v[6:7]
	s_waitcnt vmcnt(2) lgkmcnt(1)
	v_mul_f64 v[42:43], v[32:33], v[14:15]
	v_mul_f64 v[14:15], v[34:35], v[14:15]
	v_fmac_f64_e32 v[40:41], v[30:31], v[8:9]
	v_fma_f64 v[6:7], v[28:29], v[8:9], -v[10:11]
	v_add_f64 v[2:3], v[2:3], 0
	v_add_f64 v[4:5], v[4:5], 0
	s_waitcnt vmcnt(1) lgkmcnt(0)
	v_mul_f64 v[44:45], v[36:37], v[18:19]
	v_mul_f64 v[18:19], v[38:39], v[18:19]
	v_fmac_f64_e32 v[42:43], v[34:35], v[12:13]
	v_fma_f64 v[8:9], v[32:33], v[12:13], -v[14:15]
	v_add_f64 v[2:3], v[2:3], v[40:41]
	v_add_f64 v[4:5], v[4:5], v[6:7]
	v_fmac_f64_e32 v[44:45], v[38:39], v[16:17]
	v_fma_f64 v[10:11], v[36:37], v[16:17], -v[18:19]
	v_add_f64 v[2:3], v[2:3], v[42:43]
	v_add_f64 v[4:5], v[4:5], v[8:9]
	;; [unrolled: 1-line block ×4, first 2 shown]
	s_waitcnt vmcnt(0)
	v_add_f64 v[2:3], v[20:21], -v[2:3]
	v_add_f64 v[4:5], v[22:23], -v[6:7]
	scratch_store_dwordx4 off, v[2:5], off offset:512
	s_and_saveexec_b64 s[0:1], vcc
	s_cbranch_execz .LBB35_169
; %bb.168:
	scratch_load_dwordx4 v[2:5], off, s43
	v_mov_b32_e32 v6, 0
	v_mov_b32_e32 v7, v6
	;; [unrolled: 1-line block ×4, first 2 shown]
	scratch_store_dwordx4 off, v[6:9], off offset:496
	s_waitcnt vmcnt(1)
	ds_write_b128 v1, v[2:5]
.LBB35_169:
	s_or_b64 exec, exec, s[0:1]
	v_mov_b32_e32 v2, 0
	s_waitcnt lgkmcnt(0)
	; wave barrier
	ds_read_b128 v[4:7], v2 offset:1072
	ds_read_b128 v[8:11], v2 offset:1088
	;; [unrolled: 1-line block ×4, first 2 shown]
	scratch_load_dwordx4 v[20:23], off, off offset:512
	scratch_load_dwordx4 v[40:43], off, off offset:576
	v_cmp_lt_u32_e32 vcc, 29, v0
	s_waitcnt vmcnt(1) lgkmcnt(3)
	v_mul_f64 v[24:25], v[4:5], v[22:23]
	v_fmac_f64_e32 v[24:25], v[6:7], v[20:21]
	v_add_f64 v[28:29], v[24:25], 0
	scratch_load_dwordx4 v[24:27], off, off offset:528
	v_mul_f64 v[6:7], v[6:7], v[22:23]
	v_fma_f64 v[4:5], v[4:5], v[20:21], -v[6:7]
	v_add_f64 v[4:5], v[4:5], 0
	s_waitcnt vmcnt(0) lgkmcnt(2)
	v_mul_f64 v[30:31], v[8:9], v[26:27]
	v_fmac_f64_e32 v[30:31], v[10:11], v[24:25]
	v_add_f64 v[32:33], v[28:29], v[30:31]
	scratch_load_dwordx4 v[28:31], off, off offset:544
	v_mul_f64 v[6:7], v[10:11], v[26:27]
	v_fma_f64 v[6:7], v[8:9], v[24:25], -v[6:7]
	v_add_f64 v[4:5], v[4:5], v[6:7]
	;; [unrolled: 8-line block ×3, first 2 shown]
	s_waitcnt vmcnt(0) lgkmcnt(0)
	v_mul_f64 v[38:39], v[16:17], v[34:35]
	v_fmac_f64_e32 v[38:39], v[18:19], v[32:33]
	v_add_f64 v[44:45], v[36:37], v[38:39]
	ds_read_b128 v[36:39], v2 offset:1136
	v_mul_f64 v[6:7], v[18:19], v[34:35]
	v_fma_f64 v[6:7], v[16:17], v[32:33], -v[6:7]
	v_add_f64 v[4:5], v[4:5], v[6:7]
	s_waitcnt lgkmcnt(0)
	v_mul_f64 v[6:7], v[38:39], v[42:43]
	v_fma_f64 v[6:7], v[36:37], v[40:41], -v[6:7]
	v_add_f64 v[8:9], v[4:5], v[6:7]
	scratch_load_dwordx4 v[4:7], off, off offset:496
	v_mul_f64 v[46:47], v[36:37], v[42:43]
	v_fmac_f64_e32 v[46:47], v[38:39], v[40:41]
	v_add_f64 v[44:45], v[44:45], v[46:47]
	s_waitcnt vmcnt(0)
	v_add_f64 v[4:5], v[4:5], -v[8:9]
	v_add_f64 v[6:7], v[6:7], -v[44:45]
	scratch_store_dwordx4 off, v[4:7], off offset:496
	s_and_saveexec_b64 s[0:1], vcc
	s_cbranch_execz .LBB35_171
; %bb.170:
	scratch_load_dwordx4 v[6:9], off, s42
	v_mov_b32_e32 v3, v2
	v_mov_b32_e32 v4, v2
	;; [unrolled: 1-line block ×3, first 2 shown]
	scratch_store_dwordx4 off, v[2:5], off offset:480
	s_waitcnt vmcnt(1)
	ds_write_b128 v1, v[6:9]
.LBB35_171:
	s_or_b64 exec, exec, s[0:1]
	s_waitcnt lgkmcnt(0)
	; wave barrier
	ds_read_b128 v[4:7], v2 offset:1056
	ds_read_b128 v[8:11], v2 offset:1072
	;; [unrolled: 1-line block ×4, first 2 shown]
	scratch_load_dwordx4 v[20:23], off, off offset:496
	scratch_load_dwordx4 v[40:43], off, off offset:560
	v_cmp_lt_u32_e32 vcc, 28, v0
	scratch_load_dwordx4 v[48:51], off, off offset:576
	s_waitcnt vmcnt(2) lgkmcnt(3)
	v_mul_f64 v[24:25], v[4:5], v[22:23]
	v_fmac_f64_e32 v[24:25], v[6:7], v[20:21]
	v_add_f64 v[28:29], v[24:25], 0
	scratch_load_dwordx4 v[24:27], off, off offset:512
	s_waitcnt vmcnt(0) lgkmcnt(2)
	v_mul_f64 v[30:31], v[8:9], v[26:27]
	v_fmac_f64_e32 v[30:31], v[10:11], v[24:25]
	v_add_f64 v[32:33], v[28:29], v[30:31]
	;; [unrolled: 5-line block ×4, first 2 shown]
	ds_read_b128 v[36:39], v2 offset:1120
	s_waitcnt lgkmcnt(0)
	v_mul_f64 v[46:47], v[36:37], v[42:43]
	v_fmac_f64_e32 v[46:47], v[38:39], v[40:41]
	v_add_f64 v[52:53], v[44:45], v[46:47]
	ds_read_b128 v[44:47], v2 offset:1136
	s_waitcnt lgkmcnt(0)
	v_mul_f64 v[2:3], v[44:45], v[50:51]
	v_fmac_f64_e32 v[2:3], v[46:47], v[48:49]
	v_add_f64 v[52:53], v[52:53], v[2:3]
	v_mul_f64 v[2:3], v[6:7], v[22:23]
	v_fma_f64 v[2:3], v[4:5], v[20:21], -v[2:3]
	v_mul_f64 v[4:5], v[10:11], v[26:27]
	v_add_f64 v[2:3], v[2:3], 0
	v_fma_f64 v[4:5], v[8:9], v[24:25], -v[4:5]
	v_add_f64 v[2:3], v[2:3], v[4:5]
	v_mul_f64 v[4:5], v[14:15], v[30:31]
	v_fma_f64 v[4:5], v[12:13], v[28:29], -v[4:5]
	v_add_f64 v[2:3], v[2:3], v[4:5]
	v_mul_f64 v[4:5], v[18:19], v[34:35]
	;; [unrolled: 3-line block ×4, first 2 shown]
	v_fma_f64 v[4:5], v[44:45], v[48:49], -v[4:5]
	v_add_f64 v[6:7], v[2:3], v[4:5]
	scratch_load_dwordx4 v[2:5], off, off offset:480
	s_waitcnt vmcnt(0)
	v_add_f64 v[2:3], v[2:3], -v[6:7]
	v_add_f64 v[4:5], v[4:5], -v[52:53]
	scratch_store_dwordx4 off, v[2:5], off offset:480
	s_and_saveexec_b64 s[0:1], vcc
	s_cbranch_execz .LBB35_173
; %bb.172:
	scratch_load_dwordx4 v[2:5], off, s41
	v_mov_b32_e32 v6, 0
	v_mov_b32_e32 v7, v6
	;; [unrolled: 1-line block ×4, first 2 shown]
	scratch_store_dwordx4 off, v[6:9], off offset:464
	s_waitcnt vmcnt(1)
	ds_write_b128 v1, v[2:5]
.LBB35_173:
	s_or_b64 exec, exec, s[0:1]
	s_waitcnt lgkmcnt(0)
	; wave barrier
	scratch_load_dwordx4 v[4:7], off, off offset:480
	scratch_load_dwordx4 v[8:11], off, off offset:496
	;; [unrolled: 1-line block ×8, first 2 shown]
	v_mov_b32_e32 v2, 0
	ds_read_b128 v[36:39], v2 offset:1040
	ds_read_b128 v[40:43], v2 offset:1056
	;; [unrolled: 1-line block ×7, first 2 shown]
	v_cmp_lt_u32_e32 vcc, 27, v0
	s_waitcnt vmcnt(7) lgkmcnt(6)
	v_mul_f64 v[64:65], v[36:37], v[6:7]
	v_mul_f64 v[6:7], v[38:39], v[6:7]
	s_waitcnt vmcnt(6) lgkmcnt(5)
	v_mul_f64 v[66:67], v[40:41], v[10:11]
	s_waitcnt vmcnt(4) lgkmcnt(3)
	v_mul_f64 v[70:71], v[48:49], v[18:19]
	v_mul_f64 v[10:11], v[42:43], v[10:11]
	v_mul_f64 v[18:19], v[50:51], v[18:19]
	v_fmac_f64_e32 v[64:65], v[38:39], v[4:5]
	v_fma_f64 v[4:5], v[36:37], v[4:5], -v[6:7]
	v_mul_f64 v[68:69], v[44:45], v[14:15]
	v_mul_f64 v[14:15], v[46:47], v[14:15]
	v_fmac_f64_e32 v[66:67], v[42:43], v[8:9]
	v_fma_f64 v[6:7], v[40:41], v[8:9], -v[10:11]
	v_fma_f64 v[10:11], v[48:49], v[16:17], -v[18:19]
	v_add_f64 v[18:19], v[64:65], 0
	v_add_f64 v[4:5], v[4:5], 0
	v_fmac_f64_e32 v[68:69], v[46:47], v[12:13]
	v_fma_f64 v[8:9], v[44:45], v[12:13], -v[14:15]
	v_add_f64 v[18:19], v[18:19], v[66:67]
	v_add_f64 v[4:5], v[4:5], v[6:7]
	s_waitcnt vmcnt(3) lgkmcnt(2)
	v_mul_f64 v[72:73], v[52:53], v[22:23]
	v_mul_f64 v[22:23], v[54:55], v[22:23]
	v_fmac_f64_e32 v[70:71], v[50:51], v[16:17]
	v_add_f64 v[6:7], v[18:19], v[68:69]
	v_add_f64 v[4:5], v[4:5], v[8:9]
	s_waitcnt vmcnt(2) lgkmcnt(1)
	v_mul_f64 v[74:75], v[56:57], v[26:27]
	v_mul_f64 v[26:27], v[58:59], v[26:27]
	v_fmac_f64_e32 v[72:73], v[54:55], v[20:21]
	v_fma_f64 v[12:13], v[52:53], v[20:21], -v[22:23]
	v_add_f64 v[6:7], v[6:7], v[70:71]
	v_add_f64 v[4:5], v[4:5], v[10:11]
	s_waitcnt vmcnt(1) lgkmcnt(0)
	v_mul_f64 v[76:77], v[60:61], v[30:31]
	v_mul_f64 v[30:31], v[62:63], v[30:31]
	v_fmac_f64_e32 v[74:75], v[58:59], v[24:25]
	v_fma_f64 v[14:15], v[56:57], v[24:25], -v[26:27]
	v_add_f64 v[6:7], v[6:7], v[72:73]
	v_add_f64 v[4:5], v[4:5], v[12:13]
	v_fmac_f64_e32 v[76:77], v[62:63], v[28:29]
	v_fma_f64 v[16:17], v[60:61], v[28:29], -v[30:31]
	v_add_f64 v[6:7], v[6:7], v[74:75]
	v_add_f64 v[4:5], v[4:5], v[14:15]
	;; [unrolled: 1-line block ×4, first 2 shown]
	s_waitcnt vmcnt(0)
	v_add_f64 v[4:5], v[32:33], -v[4:5]
	v_add_f64 v[6:7], v[34:35], -v[6:7]
	scratch_store_dwordx4 off, v[4:7], off offset:464
	s_and_saveexec_b64 s[0:1], vcc
	s_cbranch_execz .LBB35_175
; %bb.174:
	scratch_load_dwordx4 v[6:9], off, s40
	v_mov_b32_e32 v3, v2
	v_mov_b32_e32 v4, v2
	;; [unrolled: 1-line block ×3, first 2 shown]
	scratch_store_dwordx4 off, v[2:5], off offset:448
	s_waitcnt vmcnt(1)
	ds_write_b128 v1, v[6:9]
.LBB35_175:
	s_or_b64 exec, exec, s[0:1]
	s_waitcnt lgkmcnt(0)
	; wave barrier
	scratch_load_dwordx4 v[4:7], off, off offset:464
	scratch_load_dwordx4 v[8:11], off, off offset:480
	;; [unrolled: 1-line block ×9, first 2 shown]
	ds_read_b128 v[40:43], v2 offset:1024
	ds_read_b128 v[44:47], v2 offset:1040
	;; [unrolled: 1-line block ×8, first 2 shown]
	v_cmp_lt_u32_e32 vcc, 26, v0
	s_waitcnt vmcnt(8) lgkmcnt(7)
	v_mul_f64 v[2:3], v[40:41], v[6:7]
	v_mul_f64 v[6:7], v[42:43], v[6:7]
	s_waitcnt vmcnt(7) lgkmcnt(6)
	v_mul_f64 v[72:73], v[44:45], v[10:11]
	v_mul_f64 v[10:11], v[46:47], v[10:11]
	v_fmac_f64_e32 v[2:3], v[42:43], v[4:5]
	v_fma_f64 v[4:5], v[40:41], v[4:5], -v[6:7]
	s_waitcnt vmcnt(6) lgkmcnt(5)
	v_mul_f64 v[74:75], v[48:49], v[14:15]
	v_mul_f64 v[14:15], v[50:51], v[14:15]
	v_fmac_f64_e32 v[72:73], v[46:47], v[8:9]
	v_fma_f64 v[6:7], v[44:45], v[8:9], -v[10:11]
	v_add_f64 v[2:3], v[2:3], 0
	v_add_f64 v[4:5], v[4:5], 0
	s_waitcnt vmcnt(5) lgkmcnt(4)
	v_mul_f64 v[76:77], v[52:53], v[18:19]
	v_mul_f64 v[18:19], v[54:55], v[18:19]
	v_fmac_f64_e32 v[74:75], v[50:51], v[12:13]
	v_fma_f64 v[8:9], v[48:49], v[12:13], -v[14:15]
	v_add_f64 v[2:3], v[2:3], v[72:73]
	v_add_f64 v[4:5], v[4:5], v[6:7]
	;; [unrolled: 7-line block ×6, first 2 shown]
	v_fmac_f64_e32 v[84:85], v[70:71], v[32:33]
	v_fma_f64 v[18:19], v[68:69], v[32:33], -v[34:35]
	v_add_f64 v[2:3], v[2:3], v[82:83]
	v_add_f64 v[4:5], v[4:5], v[16:17]
	;; [unrolled: 1-line block ×4, first 2 shown]
	s_waitcnt vmcnt(0)
	v_add_f64 v[2:3], v[36:37], -v[2:3]
	v_add_f64 v[4:5], v[38:39], -v[6:7]
	scratch_store_dwordx4 off, v[2:5], off offset:448
	s_and_saveexec_b64 s[0:1], vcc
	s_cbranch_execz .LBB35_177
; %bb.176:
	scratch_load_dwordx4 v[2:5], off, s39
	v_mov_b32_e32 v6, 0
	v_mov_b32_e32 v7, v6
	;; [unrolled: 1-line block ×4, first 2 shown]
	scratch_store_dwordx4 off, v[6:9], off offset:432
	s_waitcnt vmcnt(1)
	ds_write_b128 v1, v[2:5]
.LBB35_177:
	s_or_b64 exec, exec, s[0:1]
	v_mov_b32_e32 v2, 0
	s_waitcnt lgkmcnt(0)
	; wave barrier
	ds_read_b128 v[4:7], v2 offset:1008
	ds_read_b128 v[8:11], v2 offset:1024
	;; [unrolled: 1-line block ×4, first 2 shown]
	scratch_load_dwordx4 v[20:23], off, off offset:448
	scratch_load_dwordx4 v[40:43], off, off offset:512
	;; [unrolled: 1-line block ×3, first 2 shown]
	v_cmp_lt_u32_e32 vcc, 25, v0
	scratch_load_dwordx4 v[48:51], off, off offset:528
	scratch_load_dwordx4 v[56:59], off, off offset:544
	;; [unrolled: 1-line block ×3, first 2 shown]
	s_waitcnt vmcnt(5) lgkmcnt(3)
	v_mul_f64 v[24:25], v[4:5], v[22:23]
	v_fmac_f64_e32 v[24:25], v[6:7], v[20:21]
	v_add_f64 v[28:29], v[24:25], 0
	scratch_load_dwordx4 v[24:27], off, off offset:464
	v_mul_f64 v[6:7], v[6:7], v[22:23]
	v_fma_f64 v[4:5], v[4:5], v[20:21], -v[6:7]
	v_add_f64 v[4:5], v[4:5], 0
	s_waitcnt vmcnt(0) lgkmcnt(2)
	v_mul_f64 v[30:31], v[8:9], v[26:27]
	v_fmac_f64_e32 v[30:31], v[10:11], v[24:25]
	v_add_f64 v[32:33], v[28:29], v[30:31]
	scratch_load_dwordx4 v[28:31], off, off offset:480
	v_mul_f64 v[6:7], v[10:11], v[26:27]
	v_fma_f64 v[6:7], v[8:9], v[24:25], -v[6:7]
	v_add_f64 v[4:5], v[4:5], v[6:7]
	;; [unrolled: 8-line block ×3, first 2 shown]
	s_waitcnt vmcnt(0) lgkmcnt(0)
	v_mul_f64 v[38:39], v[16:17], v[34:35]
	v_fmac_f64_e32 v[38:39], v[18:19], v[32:33]
	v_add_f64 v[44:45], v[36:37], v[38:39]
	ds_read_b128 v[36:39], v2 offset:1072
	v_mul_f64 v[6:7], v[18:19], v[34:35]
	v_fma_f64 v[6:7], v[16:17], v[32:33], -v[6:7]
	v_add_f64 v[4:5], v[4:5], v[6:7]
	s_waitcnt lgkmcnt(0)
	v_mul_f64 v[46:47], v[36:37], v[42:43]
	v_fmac_f64_e32 v[46:47], v[38:39], v[40:41]
	v_add_f64 v[52:53], v[44:45], v[46:47]
	ds_read_b128 v[44:47], v2 offset:1088
	v_mul_f64 v[6:7], v[38:39], v[42:43]
	v_fma_f64 v[6:7], v[36:37], v[40:41], -v[6:7]
	v_add_f64 v[4:5], v[4:5], v[6:7]
	s_waitcnt lgkmcnt(0)
	;; [unrolled: 8-line block ×5, first 2 shown]
	v_mul_f64 v[6:7], v[70:71], v[74:75]
	v_fma_f64 v[6:7], v[68:69], v[72:73], -v[6:7]
	v_add_f64 v[8:9], v[4:5], v[6:7]
	scratch_load_dwordx4 v[4:7], off, off offset:432
	v_mul_f64 v[78:79], v[68:69], v[74:75]
	v_fmac_f64_e32 v[78:79], v[70:71], v[72:73]
	v_add_f64 v[76:77], v[76:77], v[78:79]
	s_waitcnt vmcnt(0)
	v_add_f64 v[4:5], v[4:5], -v[8:9]
	v_add_f64 v[6:7], v[6:7], -v[76:77]
	scratch_store_dwordx4 off, v[4:7], off offset:432
	s_and_saveexec_b64 s[0:1], vcc
	s_cbranch_execz .LBB35_179
; %bb.178:
	scratch_load_dwordx4 v[6:9], off, s38
	v_mov_b32_e32 v3, v2
	v_mov_b32_e32 v4, v2
	;; [unrolled: 1-line block ×3, first 2 shown]
	scratch_store_dwordx4 off, v[2:5], off offset:416
	s_waitcnt vmcnt(1)
	ds_write_b128 v1, v[6:9]
.LBB35_179:
	s_or_b64 exec, exec, s[0:1]
	s_waitcnt lgkmcnt(0)
	; wave barrier
	ds_read_b128 v[4:7], v2 offset:992
	ds_read_b128 v[8:11], v2 offset:1008
	;; [unrolled: 1-line block ×4, first 2 shown]
	scratch_load_dwordx4 v[20:23], off, off offset:432
	scratch_load_dwordx4 v[40:43], off, off offset:496
	;; [unrolled: 1-line block ×4, first 2 shown]
	v_cmp_lt_u32_e32 vcc, 24, v0
	scratch_load_dwordx4 v[48:51], off, off offset:512
	scratch_load_dwordx4 v[56:59], off, off offset:528
	;; [unrolled: 1-line block ×3, first 2 shown]
	s_waitcnt vmcnt(6) lgkmcnt(3)
	v_mul_f64 v[24:25], v[4:5], v[22:23]
	v_fmac_f64_e32 v[24:25], v[6:7], v[20:21]
	v_add_f64 v[28:29], v[24:25], 0
	scratch_load_dwordx4 v[24:27], off, off offset:448
	s_waitcnt vmcnt(0) lgkmcnt(2)
	v_mul_f64 v[30:31], v[8:9], v[26:27]
	v_fmac_f64_e32 v[30:31], v[10:11], v[24:25]
	v_add_f64 v[32:33], v[28:29], v[30:31]
	scratch_load_dwordx4 v[28:31], off, off offset:464
	;; [unrolled: 5-line block ×3, first 2 shown]
	s_waitcnt vmcnt(0) lgkmcnt(0)
	v_mul_f64 v[38:39], v[16:17], v[34:35]
	v_fmac_f64_e32 v[38:39], v[18:19], v[32:33]
	v_add_f64 v[44:45], v[36:37], v[38:39]
	ds_read_b128 v[36:39], v2 offset:1056
	s_waitcnt lgkmcnt(0)
	v_mul_f64 v[46:47], v[36:37], v[42:43]
	v_fmac_f64_e32 v[46:47], v[38:39], v[40:41]
	v_add_f64 v[52:53], v[44:45], v[46:47]
	ds_read_b128 v[44:47], v2 offset:1072
	s_waitcnt lgkmcnt(0)
	;; [unrolled: 5-line block ×6, first 2 shown]
	v_mul_f64 v[2:3], v[76:77], v[82:83]
	v_fmac_f64_e32 v[2:3], v[78:79], v[80:81]
	v_add_f64 v[84:85], v[84:85], v[2:3]
	v_mul_f64 v[2:3], v[6:7], v[22:23]
	v_fma_f64 v[2:3], v[4:5], v[20:21], -v[2:3]
	v_mul_f64 v[4:5], v[10:11], v[26:27]
	v_add_f64 v[2:3], v[2:3], 0
	v_fma_f64 v[4:5], v[8:9], v[24:25], -v[4:5]
	v_add_f64 v[2:3], v[2:3], v[4:5]
	v_mul_f64 v[4:5], v[14:15], v[30:31]
	v_fma_f64 v[4:5], v[12:13], v[28:29], -v[4:5]
	v_add_f64 v[2:3], v[2:3], v[4:5]
	v_mul_f64 v[4:5], v[18:19], v[34:35]
	;; [unrolled: 3-line block ×8, first 2 shown]
	v_fma_f64 v[4:5], v[76:77], v[80:81], -v[4:5]
	v_add_f64 v[6:7], v[2:3], v[4:5]
	scratch_load_dwordx4 v[2:5], off, off offset:416
	s_waitcnt vmcnt(0)
	v_add_f64 v[2:3], v[2:3], -v[6:7]
	v_add_f64 v[4:5], v[4:5], -v[84:85]
	scratch_store_dwordx4 off, v[2:5], off offset:416
	s_and_saveexec_b64 s[0:1], vcc
	s_cbranch_execz .LBB35_181
; %bb.180:
	scratch_load_dwordx4 v[2:5], off, s37
	v_mov_b32_e32 v6, 0
	v_mov_b32_e32 v7, v6
	;; [unrolled: 1-line block ×4, first 2 shown]
	scratch_store_dwordx4 off, v[6:9], off offset:400
	s_waitcnt vmcnt(1)
	ds_write_b128 v1, v[2:5]
.LBB35_181:
	s_or_b64 exec, exec, s[0:1]
	s_waitcnt lgkmcnt(0)
	; wave barrier
	scratch_load_dwordx4 v[4:7], off, off offset:416
	scratch_load_dwordx4 v[8:11], off, off offset:432
	;; [unrolled: 1-line block ×12, first 2 shown]
	v_mov_b32_e32 v2, 0
	ds_read_b128 v[52:55], v2 offset:976
	ds_read_b128 v[56:59], v2 offset:992
	;; [unrolled: 1-line block ×11, first 2 shown]
	v_cmp_lt_u32_e32 vcc, 23, v0
	s_waitcnt vmcnt(11) lgkmcnt(10)
	v_mul_f64 v[96:97], v[52:53], v[6:7]
	v_mul_f64 v[6:7], v[54:55], v[6:7]
	s_waitcnt vmcnt(10) lgkmcnt(9)
	v_mul_f64 v[98:99], v[56:57], v[10:11]
	s_waitcnt vmcnt(9) lgkmcnt(8)
	v_mul_f64 v[100:101], v[60:61], v[14:15]
	v_mul_f64 v[10:11], v[58:59], v[10:11]
	s_waitcnt vmcnt(6) lgkmcnt(5)
	v_mul_f64 v[106:107], v[72:73], v[26:27]
	v_mul_f64 v[14:15], v[62:63], v[14:15]
	;; [unrolled: 1-line block ×3, first 2 shown]
	v_fmac_f64_e32 v[96:97], v[54:55], v[4:5]
	v_fma_f64 v[4:5], v[52:53], v[4:5], -v[6:7]
	v_fmac_f64_e32 v[98:99], v[58:59], v[8:9]
	v_fma_f64 v[6:7], v[56:57], v[8:9], -v[10:11]
	v_fma_f64 v[8:9], v[60:61], v[12:13], -v[14:15]
	;; [unrolled: 1-line block ×3, first 2 shown]
	v_add_f64 v[26:27], v[96:97], 0
	v_add_f64 v[4:5], v[4:5], 0
	v_mul_f64 v[102:103], v[64:65], v[18:19]
	v_mul_f64 v[18:19], v[66:67], v[18:19]
	v_fmac_f64_e32 v[100:101], v[62:63], v[12:13]
	v_add_f64 v[26:27], v[26:27], v[98:99]
	v_add_f64 v[4:5], v[4:5], v[6:7]
	v_mul_f64 v[104:105], v[68:69], v[22:23]
	v_mul_f64 v[22:23], v[70:71], v[22:23]
	v_fmac_f64_e32 v[102:103], v[66:67], v[16:17]
	v_fma_f64 v[10:11], v[64:65], v[16:17], -v[18:19]
	v_add_f64 v[6:7], v[26:27], v[100:101]
	v_add_f64 v[4:5], v[4:5], v[8:9]
	v_fmac_f64_e32 v[104:105], v[70:71], v[20:21]
	v_fma_f64 v[12:13], v[68:69], v[20:21], -v[22:23]
	v_add_f64 v[6:7], v[6:7], v[102:103]
	v_add_f64 v[4:5], v[4:5], v[10:11]
	s_waitcnt vmcnt(5) lgkmcnt(4)
	v_mul_f64 v[108:109], v[76:77], v[30:31]
	v_mul_f64 v[30:31], v[78:79], v[30:31]
	v_fmac_f64_e32 v[106:107], v[74:75], v[24:25]
	v_add_f64 v[6:7], v[6:7], v[104:105]
	v_add_f64 v[4:5], v[4:5], v[12:13]
	s_waitcnt vmcnt(4) lgkmcnt(3)
	v_mul_f64 v[110:111], v[80:81], v[34:35]
	v_mul_f64 v[34:35], v[82:83], v[34:35]
	v_fmac_f64_e32 v[108:109], v[78:79], v[28:29]
	v_fma_f64 v[16:17], v[76:77], v[28:29], -v[30:31]
	v_add_f64 v[6:7], v[6:7], v[106:107]
	v_add_f64 v[4:5], v[4:5], v[14:15]
	s_waitcnt vmcnt(3) lgkmcnt(2)
	v_mul_f64 v[112:113], v[84:85], v[38:39]
	v_mul_f64 v[38:39], v[86:87], v[38:39]
	v_fmac_f64_e32 v[110:111], v[82:83], v[32:33]
	v_fma_f64 v[18:19], v[80:81], v[32:33], -v[34:35]
	;; [unrolled: 7-line block ×4, first 2 shown]
	v_add_f64 v[6:7], v[6:7], v[112:113]
	v_add_f64 v[4:5], v[4:5], v[20:21]
	v_fmac_f64_e32 v[116:117], v[94:95], v[44:45]
	v_fma_f64 v[24:25], v[92:93], v[44:45], -v[46:47]
	v_add_f64 v[6:7], v[6:7], v[114:115]
	v_add_f64 v[4:5], v[4:5], v[22:23]
	;; [unrolled: 1-line block ×4, first 2 shown]
	s_waitcnt vmcnt(0)
	v_add_f64 v[4:5], v[48:49], -v[4:5]
	v_add_f64 v[6:7], v[50:51], -v[6:7]
	scratch_store_dwordx4 off, v[4:7], off offset:400
	s_and_saveexec_b64 s[0:1], vcc
	s_cbranch_execz .LBB35_183
; %bb.182:
	scratch_load_dwordx4 v[6:9], off, s36
	v_mov_b32_e32 v3, v2
	v_mov_b32_e32 v4, v2
	;; [unrolled: 1-line block ×3, first 2 shown]
	scratch_store_dwordx4 off, v[2:5], off offset:384
	s_waitcnt vmcnt(1)
	ds_write_b128 v1, v[6:9]
.LBB35_183:
	s_or_b64 exec, exec, s[0:1]
	s_waitcnt lgkmcnt(0)
	; wave barrier
	scratch_load_dwordx4 v[4:7], off, off offset:400
	scratch_load_dwordx4 v[8:11], off, off offset:416
	;; [unrolled: 1-line block ×12, first 2 shown]
	ds_read_b128 v[52:55], v2 offset:960
	ds_read_b128 v[56:59], v2 offset:976
	;; [unrolled: 1-line block ×4, first 2 shown]
	scratch_load_dwordx4 v[68:71], off, off offset:384
	ds_read_b128 v[72:75], v2 offset:1024
	ds_read_b128 v[76:79], v2 offset:1040
	;; [unrolled: 1-line block ×8, first 2 shown]
	v_cmp_lt_u32_e32 vcc, 22, v0
	s_waitcnt vmcnt(12) lgkmcnt(11)
	v_mul_f64 v[2:3], v[52:53], v[6:7]
	s_waitcnt vmcnt(11) lgkmcnt(10)
	v_mul_f64 v[104:105], v[56:57], v[10:11]
	v_fmac_f64_e32 v[2:3], v[54:55], v[4:5]
	s_waitcnt vmcnt(10) lgkmcnt(9)
	v_mul_f64 v[106:107], v[60:61], v[14:15]
	v_mul_f64 v[6:7], v[54:55], v[6:7]
	v_fmac_f64_e32 v[104:105], v[58:59], v[8:9]
	v_add_f64 v[2:3], v[2:3], 0
	s_waitcnt vmcnt(9) lgkmcnt(8)
	v_mul_f64 v[108:109], v[64:65], v[18:19]
	v_mul_f64 v[10:11], v[58:59], v[10:11]
	v_fmac_f64_e32 v[106:107], v[62:63], v[12:13]
	v_fma_f64 v[4:5], v[52:53], v[4:5], -v[6:7]
	v_add_f64 v[2:3], v[2:3], v[104:105]
	s_waitcnt vmcnt(8) lgkmcnt(7)
	v_mul_f64 v[110:111], v[72:73], v[22:23]
	v_mul_f64 v[14:15], v[62:63], v[14:15]
	v_fmac_f64_e32 v[108:109], v[66:67], v[16:17]
	v_fma_f64 v[6:7], v[56:57], v[8:9], -v[10:11]
	v_add_f64 v[4:5], v[4:5], 0
	v_add_f64 v[2:3], v[2:3], v[106:107]
	s_waitcnt vmcnt(7) lgkmcnt(6)
	v_mul_f64 v[112:113], v[76:77], v[26:27]
	v_mul_f64 v[18:19], v[66:67], v[18:19]
	v_fmac_f64_e32 v[110:111], v[74:75], v[20:21]
	v_fma_f64 v[8:9], v[60:61], v[12:13], -v[14:15]
	v_add_f64 v[4:5], v[4:5], v[6:7]
	;; [unrolled: 7-line block ×8, first 2 shown]
	v_add_f64 v[2:3], v[2:3], v[120:121]
	v_mul_f64 v[46:47], v[98:99], v[46:47]
	v_fmac_f64_e32 v[124:125], v[102:103], v[48:49]
	v_fma_f64 v[22:23], v[92:93], v[40:41], -v[42:43]
	v_add_f64 v[4:5], v[4:5], v[20:21]
	v_add_f64 v[2:3], v[2:3], v[122:123]
	v_add_f64 v[4:5], v[4:5], v[22:23]
	v_add_f64 v[6:7], v[2:3], v[124:125]
	v_fma_f64 v[2:3], v[96:97], v[44:45], -v[46:47]
	v_add_f64 v[2:3], v[4:5], v[2:3]
	v_mul_f64 v[4:5], v[102:103], v[50:51]
	v_fma_f64 v[4:5], v[100:101], v[48:49], -v[4:5]
	v_add_f64 v[2:3], v[2:3], v[4:5]
	s_waitcnt vmcnt(0)
	v_add_f64 v[2:3], v[68:69], -v[2:3]
	v_add_f64 v[4:5], v[70:71], -v[6:7]
	scratch_store_dwordx4 off, v[2:5], off offset:384
	s_and_saveexec_b64 s[0:1], vcc
	s_cbranch_execz .LBB35_185
; %bb.184:
	scratch_load_dwordx4 v[2:5], off, s35
	v_mov_b32_e32 v6, 0
	v_mov_b32_e32 v7, v6
	;; [unrolled: 1-line block ×4, first 2 shown]
	scratch_store_dwordx4 off, v[6:9], off offset:368
	s_waitcnt vmcnt(1)
	ds_write_b128 v1, v[2:5]
.LBB35_185:
	s_or_b64 exec, exec, s[0:1]
	s_waitcnt lgkmcnt(0)
	; wave barrier
	scratch_load_dwordx4 v[4:7], off, off offset:384
	scratch_load_dwordx4 v[8:11], off, off offset:400
	;; [unrolled: 1-line block ×14, first 2 shown]
	v_mov_b32_e32 v2, 0
	ds_read_b128 v[60:63], v2 offset:944
	ds_read_b128 v[64:67], v2 offset:960
	;; [unrolled: 1-line block ×13, first 2 shown]
	v_cmp_lt_u32_e32 vcc, 21, v0
	s_waitcnt vmcnt(13) lgkmcnt(12)
	v_mul_f64 v[112:113], v[60:61], v[6:7]
	v_mul_f64 v[6:7], v[62:63], v[6:7]
	s_waitcnt vmcnt(12) lgkmcnt(11)
	v_mul_f64 v[114:115], v[64:65], v[10:11]
	v_mul_f64 v[10:11], v[66:67], v[10:11]
	v_fmac_f64_e32 v[112:113], v[62:63], v[4:5]
	v_fma_f64 v[4:5], v[60:61], v[4:5], -v[6:7]
	s_waitcnt vmcnt(11) lgkmcnt(10)
	v_mul_f64 v[116:117], v[68:69], v[14:15]
	v_mul_f64 v[14:15], v[70:71], v[14:15]
	v_fma_f64 v[6:7], v[64:65], v[8:9], -v[10:11]
	v_add_f64 v[4:5], v[4:5], 0
	s_waitcnt vmcnt(10) lgkmcnt(9)
	v_mul_f64 v[118:119], v[72:73], v[18:19]
	v_mul_f64 v[18:19], v[74:75], v[18:19]
	v_fmac_f64_e32 v[114:115], v[66:67], v[8:9]
	v_fma_f64 v[8:9], v[68:69], v[12:13], -v[14:15]
	v_add_f64 v[4:5], v[4:5], v[6:7]
	s_waitcnt vmcnt(9) lgkmcnt(8)
	v_mul_f64 v[120:121], v[76:77], v[22:23]
	v_mul_f64 v[22:23], v[78:79], v[22:23]
	v_fma_f64 v[10:11], v[72:73], v[16:17], -v[18:19]
	v_add_f64 v[4:5], v[4:5], v[8:9]
	s_waitcnt vmcnt(8) lgkmcnt(7)
	v_mul_f64 v[122:123], v[80:81], v[26:27]
	v_mul_f64 v[26:27], v[82:83], v[26:27]
	v_fmac_f64_e32 v[116:117], v[70:71], v[12:13]
	v_fma_f64 v[12:13], v[76:77], v[20:21], -v[22:23]
	v_add_f64 v[22:23], v[112:113], 0
	v_add_f64 v[4:5], v[4:5], v[10:11]
	s_waitcnt vmcnt(7) lgkmcnt(6)
	v_mul_f64 v[124:125], v[84:85], v[30:31]
	v_mul_f64 v[30:31], v[86:87], v[30:31]
	v_fma_f64 v[14:15], v[80:81], v[24:25], -v[26:27]
	v_add_f64 v[22:23], v[22:23], v[114:115]
	v_add_f64 v[4:5], v[4:5], v[12:13]
	s_waitcnt vmcnt(6) lgkmcnt(5)
	v_mul_f64 v[126:127], v[88:89], v[34:35]
	v_mul_f64 v[34:35], v[90:91], v[34:35]
	v_fmac_f64_e32 v[118:119], v[74:75], v[16:17]
	v_fma_f64 v[16:17], v[84:85], v[28:29], -v[30:31]
	v_add_f64 v[6:7], v[22:23], v[116:117]
	v_add_f64 v[4:5], v[4:5], v[14:15]
	s_waitcnt vmcnt(5) lgkmcnt(4)
	v_mul_f64 v[128:129], v[92:93], v[38:39]
	v_mul_f64 v[38:39], v[94:95], v[38:39]
	v_fmac_f64_e32 v[120:121], v[78:79], v[20:21]
	v_fma_f64 v[18:19], v[88:89], v[32:33], -v[34:35]
	v_add_f64 v[6:7], v[6:7], v[118:119]
	v_add_f64 v[4:5], v[4:5], v[16:17]
	v_fmac_f64_e32 v[122:123], v[82:83], v[24:25]
	v_fma_f64 v[20:21], v[92:93], v[36:37], -v[38:39]
	v_add_f64 v[6:7], v[6:7], v[120:121]
	v_add_f64 v[4:5], v[4:5], v[18:19]
	s_waitcnt vmcnt(4) lgkmcnt(3)
	v_mul_f64 v[8:9], v[98:99], v[42:43]
	v_fmac_f64_e32 v[124:125], v[86:87], v[28:29]
	v_add_f64 v[6:7], v[6:7], v[122:123]
	v_add_f64 v[4:5], v[4:5], v[20:21]
	v_fma_f64 v[8:9], v[96:97], v[40:41], -v[8:9]
	v_fmac_f64_e32 v[126:127], v[90:91], v[32:33]
	v_add_f64 v[6:7], v[6:7], v[124:125]
	v_add_f64 v[4:5], v[4:5], v[8:9]
	s_waitcnt vmcnt(3) lgkmcnt(2)
	v_mul_f64 v[8:9], v[102:103], v[46:47]
	v_mul_f64 v[130:131], v[96:97], v[42:43]
	v_fmac_f64_e32 v[128:129], v[94:95], v[36:37]
	v_add_f64 v[6:7], v[6:7], v[126:127]
	v_fma_f64 v[8:9], v[100:101], v[44:45], -v[8:9]
	v_mul_f64 v[132:133], v[100:101], v[46:47]
	v_fmac_f64_e32 v[130:131], v[98:99], v[40:41]
	v_add_f64 v[6:7], v[6:7], v[128:129]
	v_add_f64 v[4:5], v[4:5], v[8:9]
	s_waitcnt vmcnt(2) lgkmcnt(1)
	v_mul_f64 v[8:9], v[106:107], v[50:51]
	v_mul_f64 v[134:135], v[104:105], v[50:51]
	v_fmac_f64_e32 v[132:133], v[102:103], v[44:45]
	v_add_f64 v[6:7], v[6:7], v[130:131]
	v_fma_f64 v[8:9], v[104:105], v[48:49], -v[8:9]
	s_waitcnt vmcnt(1) lgkmcnt(0)
	v_mul_f64 v[136:137], v[108:109], v[54:55]
	v_fmac_f64_e32 v[134:135], v[106:107], v[48:49]
	v_add_f64 v[6:7], v[6:7], v[132:133]
	v_add_f64 v[4:5], v[4:5], v[8:9]
	v_mul_f64 v[8:9], v[110:111], v[54:55]
	v_fmac_f64_e32 v[136:137], v[110:111], v[52:53]
	v_add_f64 v[6:7], v[6:7], v[134:135]
	v_fma_f64 v[8:9], v[108:109], v[52:53], -v[8:9]
	v_add_f64 v[6:7], v[6:7], v[136:137]
	v_add_f64 v[4:5], v[4:5], v[8:9]
	s_waitcnt vmcnt(0)
	v_add_f64 v[4:5], v[56:57], -v[4:5]
	v_add_f64 v[6:7], v[58:59], -v[6:7]
	scratch_store_dwordx4 off, v[4:7], off offset:368
	s_and_saveexec_b64 s[0:1], vcc
	s_cbranch_execz .LBB35_187
; %bb.186:
	scratch_load_dwordx4 v[6:9], off, s34
	v_mov_b32_e32 v3, v2
	v_mov_b32_e32 v4, v2
	v_mov_b32_e32 v5, v2
	scratch_store_dwordx4 off, v[2:5], off offset:352
	s_waitcnt vmcnt(1)
	ds_write_b128 v1, v[6:9]
.LBB35_187:
	s_or_b64 exec, exec, s[0:1]
	s_waitcnt lgkmcnt(0)
	; wave barrier
	scratch_load_dwordx4 v[4:7], off, off offset:368
	scratch_load_dwordx4 v[8:11], off, off offset:384
	scratch_load_dwordx4 v[12:15], off, off offset:400
	scratch_load_dwordx4 v[16:19], off, off offset:416
	scratch_load_dwordx4 v[20:23], off, off offset:432
	scratch_load_dwordx4 v[24:27], off, off offset:448
	scratch_load_dwordx4 v[28:31], off, off offset:464
	scratch_load_dwordx4 v[32:35], off, off offset:480
	scratch_load_dwordx4 v[36:39], off, off offset:496
	scratch_load_dwordx4 v[40:43], off, off offset:512
	scratch_load_dwordx4 v[44:47], off, off offset:528
	scratch_load_dwordx4 v[48:51], off, off offset:544
	scratch_load_dwordx4 v[52:55], off, off offset:560
	scratch_load_dwordx4 v[56:59], off, off offset:576
	ds_read_b128 v[60:63], v2 offset:928
	ds_read_b128 v[64:67], v2 offset:944
	;; [unrolled: 1-line block ×14, first 2 shown]
	scratch_load_dwordx4 v[116:119], off, off offset:352
	v_cmp_lt_u32_e32 vcc, 20, v0
	s_waitcnt vmcnt(14) lgkmcnt(13)
	v_mul_f64 v[2:3], v[60:61], v[6:7]
	s_waitcnt vmcnt(13) lgkmcnt(12)
	v_mul_f64 v[120:121], v[64:65], v[10:11]
	v_fmac_f64_e32 v[2:3], v[62:63], v[4:5]
	s_waitcnt vmcnt(12) lgkmcnt(11)
	v_mul_f64 v[122:123], v[68:69], v[14:15]
	v_fmac_f64_e32 v[120:121], v[66:67], v[8:9]
	v_add_f64 v[2:3], v[2:3], 0
	s_waitcnt vmcnt(11) lgkmcnt(10)
	v_mul_f64 v[124:125], v[72:73], v[18:19]
	v_fmac_f64_e32 v[122:123], v[70:71], v[12:13]
	v_add_f64 v[2:3], v[2:3], v[120:121]
	;; [unrolled: 4-line block ×4, first 2 shown]
	s_waitcnt vmcnt(8) lgkmcnt(7)
	v_mul_f64 v[130:131], v[84:85], v[30:31]
	v_mul_f64 v[6:7], v[62:63], v[6:7]
	v_fmac_f64_e32 v[128:129], v[82:83], v[24:25]
	v_add_f64 v[2:3], v[2:3], v[126:127]
	s_waitcnt vmcnt(7) lgkmcnt(6)
	v_mul_f64 v[132:133], v[88:89], v[34:35]
	v_mul_f64 v[10:11], v[66:67], v[10:11]
	v_fmac_f64_e32 v[130:131], v[86:87], v[28:29]
	v_fma_f64 v[4:5], v[60:61], v[4:5], -v[6:7]
	v_add_f64 v[2:3], v[2:3], v[128:129]
	s_waitcnt vmcnt(6) lgkmcnt(5)
	v_mul_f64 v[134:135], v[92:93], v[38:39]
	v_mul_f64 v[14:15], v[70:71], v[14:15]
	v_fmac_f64_e32 v[132:133], v[90:91], v[32:33]
	v_fma_f64 v[6:7], v[64:65], v[8:9], -v[10:11]
	v_add_f64 v[4:5], v[4:5], 0
	v_add_f64 v[2:3], v[2:3], v[130:131]
	s_waitcnt vmcnt(5) lgkmcnt(4)
	v_mul_f64 v[136:137], v[96:97], v[42:43]
	v_mul_f64 v[18:19], v[74:75], v[18:19]
	v_fmac_f64_e32 v[134:135], v[94:95], v[36:37]
	v_fma_f64 v[8:9], v[68:69], v[12:13], -v[14:15]
	v_add_f64 v[4:5], v[4:5], v[6:7]
	;; [unrolled: 7-line block ×6, first 2 shown]
	v_add_f64 v[2:3], v[2:3], v[140:141]
	v_fmac_f64_e32 v[144:145], v[114:115], v[56:57]
	v_fma_f64 v[18:19], v[88:89], v[32:33], -v[34:35]
	v_add_f64 v[4:5], v[4:5], v[16:17]
	v_add_f64 v[2:3], v[2:3], v[142:143]
	;; [unrolled: 1-line block ×4, first 2 shown]
	v_mul_f64 v[4:5], v[94:95], v[38:39]
	v_fma_f64 v[4:5], v[92:93], v[36:37], -v[4:5]
	v_add_f64 v[2:3], v[2:3], v[4:5]
	v_mul_f64 v[4:5], v[98:99], v[42:43]
	v_fma_f64 v[4:5], v[96:97], v[40:41], -v[4:5]
	v_add_f64 v[2:3], v[2:3], v[4:5]
	;; [unrolled: 3-line block ×6, first 2 shown]
	s_waitcnt vmcnt(0)
	v_add_f64 v[2:3], v[116:117], -v[2:3]
	v_add_f64 v[4:5], v[118:119], -v[6:7]
	scratch_store_dwordx4 off, v[2:5], off offset:352
	s_and_saveexec_b64 s[0:1], vcc
	s_cbranch_execz .LBB35_189
; %bb.188:
	scratch_load_dwordx4 v[2:5], off, s33
	v_mov_b32_e32 v6, 0
	v_mov_b32_e32 v7, v6
	;; [unrolled: 1-line block ×4, first 2 shown]
	scratch_store_dwordx4 off, v[6:9], off offset:336
	s_waitcnt vmcnt(1)
	ds_write_b128 v1, v[2:5]
.LBB35_189:
	s_or_b64 exec, exec, s[0:1]
	s_waitcnt lgkmcnt(0)
	; wave barrier
	scratch_load_dwordx4 v[4:7], off, off offset:352
	scratch_load_dwordx4 v[8:11], off, off offset:368
	;; [unrolled: 1-line block ×16, first 2 shown]
	v_mov_b32_e32 v2, 0
	ds_read_b128 v[68:71], v2 offset:912
	ds_read_b128 v[72:75], v2 offset:928
	;; [unrolled: 1-line block ×15, first 2 shown]
	v_cmp_lt_u32_e32 vcc, 19, v0
	s_waitcnt vmcnt(15) lgkmcnt(14)
	v_mul_f64 v[128:129], v[68:69], v[6:7]
	v_mul_f64 v[6:7], v[70:71], v[6:7]
	s_waitcnt vmcnt(14) lgkmcnt(13)
	v_mul_f64 v[130:131], v[72:73], v[10:11]
	v_mul_f64 v[10:11], v[74:75], v[10:11]
	v_fmac_f64_e32 v[128:129], v[70:71], v[4:5]
	v_fma_f64 v[4:5], v[68:69], v[4:5], -v[6:7]
	s_waitcnt vmcnt(13) lgkmcnt(12)
	v_mul_f64 v[132:133], v[76:77], v[14:15]
	v_mul_f64 v[14:15], v[78:79], v[14:15]
	v_fma_f64 v[6:7], v[72:73], v[8:9], -v[10:11]
	v_add_f64 v[4:5], v[4:5], 0
	s_waitcnt vmcnt(12) lgkmcnt(11)
	v_mul_f64 v[134:135], v[80:81], v[18:19]
	v_mul_f64 v[18:19], v[82:83], v[18:19]
	v_fmac_f64_e32 v[130:131], v[74:75], v[8:9]
	v_fma_f64 v[8:9], v[76:77], v[12:13], -v[14:15]
	v_add_f64 v[4:5], v[4:5], v[6:7]
	s_waitcnt vmcnt(11) lgkmcnt(10)
	v_mul_f64 v[136:137], v[84:85], v[22:23]
	v_mul_f64 v[22:23], v[86:87], v[22:23]
	v_fma_f64 v[10:11], v[80:81], v[16:17], -v[18:19]
	v_add_f64 v[4:5], v[4:5], v[8:9]
	s_waitcnt vmcnt(10) lgkmcnt(9)
	v_mul_f64 v[138:139], v[88:89], v[26:27]
	v_mul_f64 v[26:27], v[90:91], v[26:27]
	v_fmac_f64_e32 v[132:133], v[78:79], v[12:13]
	v_fma_f64 v[12:13], v[84:85], v[20:21], -v[22:23]
	v_add_f64 v[4:5], v[4:5], v[10:11]
	v_fma_f64 v[14:15], v[88:89], v[24:25], -v[26:27]
	v_add_f64 v[4:5], v[4:5], v[12:13]
	s_waitcnt vmcnt(9) lgkmcnt(8)
	v_mul_f64 v[8:9], v[94:95], v[30:31]
	v_add_f64 v[4:5], v[4:5], v[14:15]
	v_fma_f64 v[8:9], v[92:93], v[28:29], -v[8:9]
	v_add_f64 v[4:5], v[4:5], v[8:9]
	s_waitcnt vmcnt(8) lgkmcnt(7)
	v_mul_f64 v[8:9], v[98:99], v[34:35]
	v_fma_f64 v[8:9], v[96:97], v[32:33], -v[8:9]
	v_fmac_f64_e32 v[134:135], v[82:83], v[16:17]
	v_add_f64 v[16:17], v[128:129], 0
	v_add_f64 v[4:5], v[4:5], v[8:9]
	s_waitcnt vmcnt(7) lgkmcnt(6)
	v_mul_f64 v[8:9], v[102:103], v[38:39]
	v_add_f64 v[16:17], v[16:17], v[130:131]
	v_fma_f64 v[8:9], v[100:101], v[36:37], -v[8:9]
	v_add_f64 v[6:7], v[16:17], v[132:133]
	v_add_f64 v[4:5], v[4:5], v[8:9]
	s_waitcnt vmcnt(6) lgkmcnt(5)
	v_mul_f64 v[8:9], v[106:107], v[42:43]
	v_fmac_f64_e32 v[136:137], v[86:87], v[20:21]
	v_add_f64 v[6:7], v[6:7], v[134:135]
	v_fma_f64 v[8:9], v[104:105], v[40:41], -v[8:9]
	v_mul_f64 v[140:141], v[92:93], v[30:31]
	v_fmac_f64_e32 v[138:139], v[90:91], v[24:25]
	v_add_f64 v[6:7], v[6:7], v[136:137]
	v_add_f64 v[4:5], v[4:5], v[8:9]
	s_waitcnt vmcnt(5) lgkmcnt(4)
	v_mul_f64 v[8:9], v[110:111], v[46:47]
	v_mul_f64 v[142:143], v[96:97], v[34:35]
	v_fmac_f64_e32 v[140:141], v[94:95], v[28:29]
	v_add_f64 v[6:7], v[6:7], v[138:139]
	v_fma_f64 v[8:9], v[108:109], v[44:45], -v[8:9]
	v_mul_f64 v[144:145], v[100:101], v[38:39]
	v_fmac_f64_e32 v[142:143], v[98:99], v[32:33]
	v_add_f64 v[6:7], v[6:7], v[140:141]
	v_add_f64 v[4:5], v[4:5], v[8:9]
	s_waitcnt vmcnt(4) lgkmcnt(3)
	v_mul_f64 v[8:9], v[114:115], v[50:51]
	;; [unrolled: 10-line block ×4, first 2 shown]
	v_mul_f64 v[154:155], v[120:121], v[58:59]
	v_fmac_f64_e32 v[152:153], v[118:119], v[52:53]
	v_add_f64 v[6:7], v[6:7], v[150:151]
	v_fma_f64 v[8:9], v[120:121], v[56:57], -v[8:9]
	s_waitcnt vmcnt(1) lgkmcnt(0)
	v_mul_f64 v[156:157], v[124:125], v[62:63]
	v_fmac_f64_e32 v[154:155], v[122:123], v[56:57]
	v_add_f64 v[6:7], v[6:7], v[152:153]
	v_add_f64 v[4:5], v[4:5], v[8:9]
	v_mul_f64 v[8:9], v[126:127], v[62:63]
	v_fmac_f64_e32 v[156:157], v[126:127], v[60:61]
	v_add_f64 v[6:7], v[6:7], v[154:155]
	v_fma_f64 v[8:9], v[124:125], v[60:61], -v[8:9]
	v_add_f64 v[6:7], v[6:7], v[156:157]
	v_add_f64 v[4:5], v[4:5], v[8:9]
	s_waitcnt vmcnt(0)
	v_add_f64 v[4:5], v[64:65], -v[4:5]
	v_add_f64 v[6:7], v[66:67], -v[6:7]
	scratch_store_dwordx4 off, v[4:7], off offset:336
	s_and_saveexec_b64 s[0:1], vcc
	s_cbranch_execz .LBB35_191
; %bb.190:
	scratch_load_dwordx4 v[6:9], off, s31
	v_mov_b32_e32 v3, v2
	v_mov_b32_e32 v4, v2
	;; [unrolled: 1-line block ×3, first 2 shown]
	scratch_store_dwordx4 off, v[2:5], off offset:320
	s_waitcnt vmcnt(1)
	ds_write_b128 v1, v[6:9]
.LBB35_191:
	s_or_b64 exec, exec, s[0:1]
	s_waitcnt lgkmcnt(0)
	; wave barrier
	scratch_load_dwordx4 v[4:7], off, off offset:336
	scratch_load_dwordx4 v[8:11], off, off offset:352
	;; [unrolled: 1-line block ×16, first 2 shown]
	ds_read_b128 v[68:71], v2 offset:896
	ds_read_b128 v[72:75], v2 offset:912
	;; [unrolled: 1-line block ×16, first 2 shown]
	scratch_load_dwordx4 v[132:135], off, off offset:320
	v_cmp_lt_u32_e32 vcc, 18, v0
	s_waitcnt vmcnt(16) lgkmcnt(14)
	v_mul_f64 v[2:3], v[68:69], v[6:7]
	s_waitcnt vmcnt(15)
	v_mul_f64 v[136:137], v[72:73], v[10:11]
	v_fmac_f64_e32 v[2:3], v[70:71], v[4:5]
	s_waitcnt vmcnt(14) lgkmcnt(13)
	v_mul_f64 v[138:139], v[76:77], v[14:15]
	v_fmac_f64_e32 v[136:137], v[74:75], v[8:9]
	v_add_f64 v[2:3], v[2:3], 0
	s_waitcnt vmcnt(13) lgkmcnt(12)
	v_mul_f64 v[140:141], v[80:81], v[18:19]
	v_fmac_f64_e32 v[138:139], v[78:79], v[12:13]
	v_add_f64 v[2:3], v[2:3], v[136:137]
	;; [unrolled: 4-line block ×10, first 2 shown]
	s_waitcnt vmcnt(4) lgkmcnt(3)
	v_mul_f64 v[158:159], v[116:117], v[54:55]
	v_mul_f64 v[6:7], v[70:71], v[6:7]
	v_fmac_f64_e32 v[156:157], v[114:115], v[48:49]
	v_add_f64 v[2:3], v[2:3], v[154:155]
	s_waitcnt vmcnt(3) lgkmcnt(2)
	v_mul_f64 v[160:161], v[120:121], v[58:59]
	v_mul_f64 v[10:11], v[74:75], v[10:11]
	v_fmac_f64_e32 v[158:159], v[118:119], v[52:53]
	v_fma_f64 v[4:5], v[68:69], v[4:5], -v[6:7]
	v_add_f64 v[2:3], v[2:3], v[156:157]
	s_waitcnt vmcnt(2) lgkmcnt(1)
	v_mul_f64 v[162:163], v[124:125], v[62:63]
	v_mul_f64 v[14:15], v[78:79], v[14:15]
	v_fmac_f64_e32 v[160:161], v[122:123], v[56:57]
	v_fma_f64 v[6:7], v[72:73], v[8:9], -v[10:11]
	v_add_f64 v[4:5], v[4:5], 0
	v_add_f64 v[2:3], v[2:3], v[158:159]
	s_waitcnt vmcnt(1) lgkmcnt(0)
	v_mul_f64 v[164:165], v[128:129], v[66:67]
	v_mul_f64 v[18:19], v[82:83], v[18:19]
	v_fmac_f64_e32 v[162:163], v[126:127], v[60:61]
	v_fma_f64 v[8:9], v[76:77], v[12:13], -v[14:15]
	v_add_f64 v[4:5], v[4:5], v[6:7]
	v_add_f64 v[2:3], v[2:3], v[160:161]
	v_mul_f64 v[26:27], v[86:87], v[26:27]
	v_fmac_f64_e32 v[164:165], v[130:131], v[64:65]
	v_fma_f64 v[10:11], v[80:81], v[16:17], -v[18:19]
	v_add_f64 v[4:5], v[4:5], v[8:9]
	v_add_f64 v[2:3], v[2:3], v[162:163]
	v_fma_f64 v[12:13], v[84:85], v[24:25], -v[26:27]
	v_add_f64 v[4:5], v[4:5], v[10:11]
	v_add_f64 v[6:7], v[2:3], v[164:165]
	v_mul_f64 v[2:3], v[90:91], v[22:23]
	v_add_f64 v[4:5], v[4:5], v[12:13]
	v_fma_f64 v[2:3], v[88:89], v[20:21], -v[2:3]
	v_add_f64 v[2:3], v[4:5], v[2:3]
	v_mul_f64 v[4:5], v[94:95], v[30:31]
	v_fma_f64 v[4:5], v[92:93], v[28:29], -v[4:5]
	v_add_f64 v[2:3], v[2:3], v[4:5]
	v_mul_f64 v[4:5], v[98:99], v[34:35]
	v_fma_f64 v[4:5], v[96:97], v[32:33], -v[4:5]
	v_add_f64 v[2:3], v[2:3], v[4:5]
	v_mul_f64 v[4:5], v[102:103], v[38:39]
	v_fma_f64 v[4:5], v[100:101], v[36:37], -v[4:5]
	v_add_f64 v[2:3], v[2:3], v[4:5]
	v_mul_f64 v[4:5], v[106:107], v[42:43]
	v_fma_f64 v[4:5], v[104:105], v[40:41], -v[4:5]
	v_add_f64 v[2:3], v[2:3], v[4:5]
	v_mul_f64 v[4:5], v[110:111], v[46:47]
	v_fma_f64 v[4:5], v[108:109], v[44:45], -v[4:5]
	v_add_f64 v[2:3], v[2:3], v[4:5]
	v_mul_f64 v[4:5], v[114:115], v[50:51]
	v_fma_f64 v[4:5], v[112:113], v[48:49], -v[4:5]
	v_add_f64 v[2:3], v[2:3], v[4:5]
	v_mul_f64 v[4:5], v[118:119], v[54:55]
	v_fma_f64 v[4:5], v[116:117], v[52:53], -v[4:5]
	v_add_f64 v[2:3], v[2:3], v[4:5]
	v_mul_f64 v[4:5], v[122:123], v[58:59]
	v_fma_f64 v[4:5], v[120:121], v[56:57], -v[4:5]
	v_add_f64 v[2:3], v[2:3], v[4:5]
	v_mul_f64 v[4:5], v[126:127], v[62:63]
	v_fma_f64 v[4:5], v[124:125], v[60:61], -v[4:5]
	v_add_f64 v[2:3], v[2:3], v[4:5]
	v_mul_f64 v[4:5], v[130:131], v[66:67]
	v_fma_f64 v[4:5], v[128:129], v[64:65], -v[4:5]
	v_add_f64 v[2:3], v[2:3], v[4:5]
	s_waitcnt vmcnt(0)
	v_add_f64 v[2:3], v[132:133], -v[2:3]
	v_add_f64 v[4:5], v[134:135], -v[6:7]
	scratch_store_dwordx4 off, v[2:5], off offset:320
	s_and_saveexec_b64 s[0:1], vcc
	s_cbranch_execz .LBB35_193
; %bb.192:
	scratch_load_dwordx4 v[2:5], off, s30
	v_mov_b32_e32 v6, 0
	v_mov_b32_e32 v7, v6
	;; [unrolled: 1-line block ×4, first 2 shown]
	scratch_store_dwordx4 off, v[6:9], off offset:304
	s_waitcnt vmcnt(1)
	ds_write_b128 v1, v[2:5]
.LBB35_193:
	s_or_b64 exec, exec, s[0:1]
	s_waitcnt lgkmcnt(0)
	; wave barrier
	scratch_load_dwordx4 v[4:7], off, off offset:320
	scratch_load_dwordx4 v[8:11], off, off offset:336
	;; [unrolled: 1-line block ×18, first 2 shown]
	v_mov_b32_e32 v2, 0
	ds_read_b128 v[76:79], v2 offset:880
	ds_read_b128 v[80:83], v2 offset:896
	;; [unrolled: 1-line block ×17, first 2 shown]
	v_cmp_lt_u32_e32 vcc, 17, v0
	s_waitcnt vmcnt(17) lgkmcnt(14)
	v_mul_f64 v[144:145], v[76:77], v[6:7]
	v_mul_f64 v[6:7], v[78:79], v[6:7]
	s_waitcnt vmcnt(16)
	v_mul_f64 v[146:147], v[80:81], v[10:11]
	v_mul_f64 v[10:11], v[82:83], v[10:11]
	v_fmac_f64_e32 v[144:145], v[78:79], v[4:5]
	v_fma_f64 v[4:5], v[76:77], v[4:5], -v[6:7]
	s_waitcnt vmcnt(15)
	v_mul_f64 v[148:149], v[84:85], v[18:19]
	v_mul_f64 v[18:19], v[86:87], v[18:19]
	v_fma_f64 v[6:7], v[80:81], v[8:9], -v[10:11]
	v_add_f64 v[4:5], v[4:5], 0
	s_waitcnt vmcnt(14) lgkmcnt(13)
	v_mul_f64 v[150:151], v[88:89], v[14:15]
	v_mul_f64 v[14:15], v[90:91], v[14:15]
	v_fmac_f64_e32 v[146:147], v[82:83], v[8:9]
	v_fma_f64 v[8:9], v[84:85], v[16:17], -v[18:19]
	v_add_f64 v[4:5], v[4:5], v[6:7]
	v_add_f64 v[4:5], v[4:5], v[8:9]
	v_fma_f64 v[8:9], v[88:89], v[12:13], -v[14:15]
	v_add_f64 v[4:5], v[4:5], v[8:9]
	s_waitcnt vmcnt(13) lgkmcnt(12)
	v_mul_f64 v[8:9], v[94:95], v[22:23]
	v_fma_f64 v[8:9], v[92:93], v[20:21], -v[8:9]
	v_add_f64 v[4:5], v[4:5], v[8:9]
	s_waitcnt vmcnt(12) lgkmcnt(11)
	v_mul_f64 v[8:9], v[98:99], v[26:27]
	;; [unrolled: 4-line block ×5, first 2 shown]
	v_fma_f64 v[8:9], v[108:109], v[36:37], -v[8:9]
	v_add_f64 v[10:11], v[144:145], 0
	v_add_f64 v[4:5], v[4:5], v[8:9]
	s_waitcnt vmcnt(8) lgkmcnt(7)
	v_mul_f64 v[8:9], v[114:115], v[42:43]
	v_fmac_f64_e32 v[148:149], v[86:87], v[16:17]
	v_add_f64 v[10:11], v[10:11], v[146:147]
	v_fma_f64 v[8:9], v[112:113], v[40:41], -v[8:9]
	v_mul_f64 v[152:153], v[92:93], v[22:23]
	v_fmac_f64_e32 v[150:151], v[90:91], v[12:13]
	v_add_f64 v[6:7], v[10:11], v[148:149]
	v_add_f64 v[4:5], v[4:5], v[8:9]
	s_waitcnt vmcnt(7) lgkmcnt(6)
	v_mul_f64 v[8:9], v[118:119], v[46:47]
	v_mul_f64 v[154:155], v[96:97], v[26:27]
	v_fmac_f64_e32 v[152:153], v[94:95], v[20:21]
	v_add_f64 v[6:7], v[6:7], v[150:151]
	v_fma_f64 v[8:9], v[116:117], v[44:45], -v[8:9]
	v_mul_f64 v[156:157], v[100:101], v[30:31]
	v_fmac_f64_e32 v[154:155], v[98:99], v[24:25]
	v_add_f64 v[6:7], v[6:7], v[152:153]
	v_add_f64 v[4:5], v[4:5], v[8:9]
	s_waitcnt vmcnt(6) lgkmcnt(5)
	v_mul_f64 v[8:9], v[122:123], v[50:51]
	;; [unrolled: 10-line block ×6, first 2 shown]
	v_mul_f64 v[174:175], v[136:137], v[66:67]
	v_fmac_f64_e32 v[172:173], v[134:135], v[60:61]
	v_add_f64 v[6:7], v[6:7], v[170:171]
	v_fma_f64 v[8:9], v[136:137], v[64:65], -v[8:9]
	s_waitcnt vmcnt(1) lgkmcnt(0)
	v_mul_f64 v[176:177], v[140:141], v[70:71]
	v_fmac_f64_e32 v[174:175], v[138:139], v[64:65]
	v_add_f64 v[6:7], v[6:7], v[172:173]
	v_add_f64 v[4:5], v[4:5], v[8:9]
	v_mul_f64 v[8:9], v[142:143], v[70:71]
	v_fmac_f64_e32 v[176:177], v[142:143], v[68:69]
	v_add_f64 v[6:7], v[6:7], v[174:175]
	v_fma_f64 v[8:9], v[140:141], v[68:69], -v[8:9]
	v_add_f64 v[6:7], v[6:7], v[176:177]
	v_add_f64 v[4:5], v[4:5], v[8:9]
	s_waitcnt vmcnt(0)
	v_add_f64 v[4:5], v[72:73], -v[4:5]
	v_add_f64 v[6:7], v[74:75], -v[6:7]
	scratch_store_dwordx4 off, v[4:7], off offset:304
	s_and_saveexec_b64 s[0:1], vcc
	s_cbranch_execz .LBB35_195
; %bb.194:
	scratch_load_dwordx4 v[6:9], off, s29
	v_mov_b32_e32 v3, v2
	v_mov_b32_e32 v4, v2
	;; [unrolled: 1-line block ×3, first 2 shown]
	scratch_store_dwordx4 off, v[2:5], off offset:288
	s_waitcnt vmcnt(1)
	ds_write_b128 v1, v[6:9]
.LBB35_195:
	s_or_b64 exec, exec, s[0:1]
	s_waitcnt lgkmcnt(0)
	; wave barrier
	ds_read_b128 v[16:19], v2 offset:864
	ds_read_b128 v[12:15], v2 offset:880
	;; [unrolled: 1-line block ×4, first 2 shown]
	scratch_load_dwordx4 v[20:23], off, off offset:304
	scratch_load_dwordx4 v[40:43], off, off offset:368
	;; [unrolled: 1-line block ×12, first 2 shown]
	v_cmp_lt_u32_e32 vcc, 16, v0
	scratch_load_dwordx4 v[48:51], off, off offset:384
	scratch_load_dwordx4 v[56:59], off, off offset:400
	;; [unrolled: 1-line block ×3, first 2 shown]
	s_waitcnt vmcnt(14) lgkmcnt(3)
	v_mul_f64 v[24:25], v[16:17], v[22:23]
	v_fmac_f64_e32 v[24:25], v[18:19], v[20:21]
	v_add_f64 v[28:29], v[24:25], 0
	scratch_load_dwordx4 v[24:27], off, off offset:320
	s_waitcnt vmcnt(0) lgkmcnt(2)
	v_mul_f64 v[30:31], v[12:13], v[26:27]
	v_fmac_f64_e32 v[30:31], v[14:15], v[24:25]
	v_add_f64 v[32:33], v[28:29], v[30:31]
	scratch_load_dwordx4 v[28:31], off, off offset:336
	v_mul_f64 v[14:15], v[14:15], v[26:27]
	v_fma_f64 v[12:13], v[12:13], v[24:25], -v[14:15]
	s_waitcnt vmcnt(0) lgkmcnt(1)
	v_mul_f64 v[34:35], v[8:9], v[30:31]
	v_fmac_f64_e32 v[34:35], v[10:11], v[28:29]
	v_add_f64 v[36:37], v[32:33], v[34:35]
	scratch_load_dwordx4 v[32:35], off, off offset:352
	v_mul_f64 v[10:11], v[10:11], v[30:31]
	v_fma_f64 v[8:9], v[8:9], v[28:29], -v[10:11]
	s_waitcnt vmcnt(0) lgkmcnt(0)
	v_mul_f64 v[38:39], v[4:5], v[34:35]
	v_fmac_f64_e32 v[38:39], v[6:7], v[32:33]
	v_add_f64 v[44:45], v[36:37], v[38:39]
	ds_read_b128 v[36:39], v2 offset:928
	v_mul_f64 v[6:7], v[6:7], v[34:35]
	v_fma_f64 v[4:5], v[4:5], v[32:33], -v[6:7]
	s_waitcnt lgkmcnt(0)
	v_mul_f64 v[46:47], v[36:37], v[42:43]
	v_fmac_f64_e32 v[46:47], v[38:39], v[40:41]
	v_add_f64 v[52:53], v[44:45], v[46:47]
	ds_read_b128 v[44:47], v2 offset:944
	s_waitcnt lgkmcnt(0)
	v_mul_f64 v[54:55], v[44:45], v[50:51]
	v_fmac_f64_e32 v[54:55], v[46:47], v[48:49]
	v_add_f64 v[60:61], v[52:53], v[54:55]
	ds_read_b128 v[52:55], v2 offset:960
	;; [unrolled: 5-line block ×13, first 2 shown]
	s_waitcnt lgkmcnt(0)
	v_mul_f64 v[2:3], v[142:143], v[148:149]
	v_fmac_f64_e32 v[2:3], v[144:145], v[146:147]
	v_add_f64 v[80:81], v[80:81], v[2:3]
	v_mul_f64 v[2:3], v[18:19], v[22:23]
	v_fma_f64 v[2:3], v[16:17], v[20:21], -v[2:3]
	v_add_f64 v[2:3], v[2:3], 0
	v_add_f64 v[2:3], v[2:3], v[12:13]
	;; [unrolled: 1-line block ×4, first 2 shown]
	v_mul_f64 v[4:5], v[38:39], v[42:43]
	v_fma_f64 v[4:5], v[36:37], v[40:41], -v[4:5]
	v_add_f64 v[2:3], v[2:3], v[4:5]
	v_mul_f64 v[4:5], v[46:47], v[50:51]
	v_fma_f64 v[4:5], v[44:45], v[48:49], -v[4:5]
	v_add_f64 v[2:3], v[2:3], v[4:5]
	;; [unrolled: 3-line block ×14, first 2 shown]
	scratch_load_dwordx4 v[2:5], off, off offset:288
	s_waitcnt vmcnt(0)
	v_add_f64 v[2:3], v[2:3], -v[6:7]
	v_add_f64 v[4:5], v[4:5], -v[80:81]
	scratch_store_dwordx4 off, v[2:5], off offset:288
	s_and_saveexec_b64 s[0:1], vcc
	s_cbranch_execz .LBB35_197
; %bb.196:
	scratch_load_dwordx4 v[2:5], off, s28
	v_mov_b32_e32 v6, 0
	v_mov_b32_e32 v7, v6
	;; [unrolled: 1-line block ×4, first 2 shown]
	scratch_store_dwordx4 off, v[6:9], off offset:272
	s_waitcnt vmcnt(1)
	ds_write_b128 v1, v[2:5]
.LBB35_197:
	s_or_b64 exec, exec, s[0:1]
	v_mov_b32_e32 v2, 0
	s_waitcnt lgkmcnt(0)
	; wave barrier
	ds_read_b128 v[16:19], v2 offset:848
	ds_read_b128 v[12:15], v2 offset:864
	ds_read_b128 v[8:11], v2 offset:880
	ds_read_b128 v[4:7], v2 offset:896
	scratch_load_dwordx4 v[20:23], off, off offset:288
	scratch_load_dwordx4 v[40:43], off, off offset:352
	scratch_load_dwordx4 v[72:75], off, off offset:416
	scratch_load_dwordx4 v[80:83], off, off offset:432
	scratch_load_dwordx4 v[90:93], off, off offset:448
	scratch_load_dwordx4 v[98:101], off, off offset:464
	scratch_load_dwordx4 v[106:109], off, off offset:480
	scratch_load_dwordx4 v[114:117], off, off offset:496
	scratch_load_dwordx4 v[122:125], off, off offset:512
	scratch_load_dwordx4 v[130:133], off, off offset:528
	scratch_load_dwordx4 v[138:141], off, off offset:544
	scratch_load_dwordx4 v[146:149], off, off offset:560
	scratch_load_dwordx4 v[154:157], off, off offset:576
	v_cmp_lt_u32_e32 vcc, 15, v0
	scratch_load_dwordx4 v[48:51], off, off offset:368
	scratch_load_dwordx4 v[56:59], off, off offset:384
	;; [unrolled: 1-line block ×3, first 2 shown]
	s_waitcnt vmcnt(15) lgkmcnt(3)
	v_mul_f64 v[24:25], v[16:17], v[22:23]
	v_fmac_f64_e32 v[24:25], v[18:19], v[20:21]
	v_add_f64 v[28:29], v[24:25], 0
	scratch_load_dwordx4 v[24:27], off, off offset:304
	v_mul_f64 v[18:19], v[18:19], v[22:23]
	v_fma_f64 v[16:17], v[16:17], v[20:21], -v[18:19]
	v_add_f64 v[16:17], v[16:17], 0
	s_waitcnt vmcnt(0) lgkmcnt(2)
	v_mul_f64 v[30:31], v[12:13], v[26:27]
	v_fmac_f64_e32 v[30:31], v[14:15], v[24:25]
	v_add_f64 v[32:33], v[28:29], v[30:31]
	scratch_load_dwordx4 v[28:31], off, off offset:320
	v_mul_f64 v[14:15], v[14:15], v[26:27]
	v_fma_f64 v[12:13], v[12:13], v[24:25], -v[14:15]
	v_add_f64 v[12:13], v[16:17], v[12:13]
	;; [unrolled: 8-line block ×3, first 2 shown]
	s_waitcnt vmcnt(0) lgkmcnt(0)
	v_mul_f64 v[38:39], v[4:5], v[34:35]
	v_fmac_f64_e32 v[38:39], v[6:7], v[32:33]
	v_add_f64 v[44:45], v[36:37], v[38:39]
	ds_read_b128 v[36:39], v2 offset:912
	v_mul_f64 v[6:7], v[6:7], v[34:35]
	v_fma_f64 v[4:5], v[4:5], v[32:33], -v[6:7]
	v_add_f64 v[4:5], v[8:9], v[4:5]
	s_waitcnt lgkmcnt(0)
	v_mul_f64 v[46:47], v[36:37], v[42:43]
	v_fmac_f64_e32 v[46:47], v[38:39], v[40:41]
	v_add_f64 v[52:53], v[44:45], v[46:47]
	ds_read_b128 v[44:47], v2 offset:928
	v_mul_f64 v[6:7], v[38:39], v[42:43]
	v_fma_f64 v[6:7], v[36:37], v[40:41], -v[6:7]
	v_add_f64 v[4:5], v[4:5], v[6:7]
	s_waitcnt lgkmcnt(0)
	;; [unrolled: 8-line block ×15, first 2 shown]
	v_mul_f64 v[6:7], v[152:153], v[156:157]
	v_fma_f64 v[6:7], v[150:151], v[154:155], -v[6:7]
	v_add_f64 v[8:9], v[4:5], v[6:7]
	scratch_load_dwordx4 v[4:7], off, off offset:272
	v_mul_f64 v[158:159], v[150:151], v[156:157]
	v_fmac_f64_e32 v[158:159], v[152:153], v[154:155]
	v_add_f64 v[88:89], v[88:89], v[158:159]
	s_waitcnt vmcnt(0)
	v_add_f64 v[4:5], v[4:5], -v[8:9]
	v_add_f64 v[6:7], v[6:7], -v[88:89]
	scratch_store_dwordx4 off, v[4:7], off offset:272
	s_and_saveexec_b64 s[0:1], vcc
	s_cbranch_execz .LBB35_199
; %bb.198:
	scratch_load_dwordx4 v[6:9], off, s27
	v_mov_b32_e32 v3, v2
	v_mov_b32_e32 v4, v2
	;; [unrolled: 1-line block ×3, first 2 shown]
	scratch_store_dwordx4 off, v[2:5], off offset:256
	s_waitcnt vmcnt(1)
	ds_write_b128 v1, v[6:9]
.LBB35_199:
	s_or_b64 exec, exec, s[0:1]
	s_waitcnt lgkmcnt(0)
	; wave barrier
	ds_read_b128 v[16:19], v2 offset:832
	ds_read_b128 v[12:15], v2 offset:848
	ds_read_b128 v[8:11], v2 offset:864
	ds_read_b128 v[4:7], v2 offset:880
	scratch_load_dwordx4 v[20:23], off, off offset:272
	scratch_load_dwordx4 v[40:43], off, off offset:336
	;; [unrolled: 1-line block ×14, first 2 shown]
	v_cmp_lt_u32_e32 vcc, 14, v0
	scratch_load_dwordx4 v[48:51], off, off offset:352
	scratch_load_dwordx4 v[56:59], off, off offset:368
	;; [unrolled: 1-line block ×3, first 2 shown]
	s_waitcnt vmcnt(16) lgkmcnt(3)
	v_mul_f64 v[24:25], v[16:17], v[22:23]
	v_fmac_f64_e32 v[24:25], v[18:19], v[20:21]
	v_add_f64 v[28:29], v[24:25], 0
	scratch_load_dwordx4 v[24:27], off, off offset:288
	s_waitcnt vmcnt(0) lgkmcnt(2)
	v_mul_f64 v[30:31], v[12:13], v[26:27]
	v_fmac_f64_e32 v[30:31], v[14:15], v[24:25]
	v_add_f64 v[32:33], v[28:29], v[30:31]
	scratch_load_dwordx4 v[28:31], off, off offset:304
	v_mul_f64 v[14:15], v[14:15], v[26:27]
	v_fma_f64 v[12:13], v[12:13], v[24:25], -v[14:15]
	s_waitcnt vmcnt(0) lgkmcnt(1)
	v_mul_f64 v[34:35], v[8:9], v[30:31]
	v_fmac_f64_e32 v[34:35], v[10:11], v[28:29]
	v_add_f64 v[36:37], v[32:33], v[34:35]
	scratch_load_dwordx4 v[32:35], off, off offset:320
	v_mul_f64 v[10:11], v[10:11], v[30:31]
	v_fma_f64 v[8:9], v[8:9], v[28:29], -v[10:11]
	s_waitcnt vmcnt(0) lgkmcnt(0)
	v_mul_f64 v[38:39], v[4:5], v[34:35]
	v_fmac_f64_e32 v[38:39], v[6:7], v[32:33]
	v_add_f64 v[44:45], v[36:37], v[38:39]
	ds_read_b128 v[36:39], v2 offset:896
	v_mul_f64 v[6:7], v[6:7], v[34:35]
	v_fma_f64 v[4:5], v[4:5], v[32:33], -v[6:7]
	s_waitcnt lgkmcnt(0)
	v_mul_f64 v[46:47], v[36:37], v[42:43]
	v_fmac_f64_e32 v[46:47], v[38:39], v[40:41]
	v_add_f64 v[52:53], v[44:45], v[46:47]
	ds_read_b128 v[44:47], v2 offset:912
	s_waitcnt lgkmcnt(0)
	v_mul_f64 v[54:55], v[44:45], v[50:51]
	v_fmac_f64_e32 v[54:55], v[46:47], v[48:49]
	v_add_f64 v[60:61], v[52:53], v[54:55]
	ds_read_b128 v[52:55], v2 offset:928
	;; [unrolled: 5-line block ×15, first 2 shown]
	s_waitcnt lgkmcnt(0)
	v_mul_f64 v[2:3], v[158:159], v[164:165]
	v_fmac_f64_e32 v[2:3], v[160:161], v[162:163]
	v_add_f64 v[96:97], v[96:97], v[2:3]
	v_mul_f64 v[2:3], v[18:19], v[22:23]
	v_fma_f64 v[2:3], v[16:17], v[20:21], -v[2:3]
	v_add_f64 v[2:3], v[2:3], 0
	v_add_f64 v[2:3], v[2:3], v[12:13]
	;; [unrolled: 1-line block ×4, first 2 shown]
	v_mul_f64 v[4:5], v[38:39], v[42:43]
	v_fma_f64 v[4:5], v[36:37], v[40:41], -v[4:5]
	v_add_f64 v[2:3], v[2:3], v[4:5]
	v_mul_f64 v[4:5], v[46:47], v[50:51]
	v_fma_f64 v[4:5], v[44:45], v[48:49], -v[4:5]
	v_add_f64 v[2:3], v[2:3], v[4:5]
	;; [unrolled: 3-line block ×16, first 2 shown]
	scratch_load_dwordx4 v[2:5], off, off offset:256
	s_waitcnt vmcnt(0)
	v_add_f64 v[2:3], v[2:3], -v[6:7]
	v_add_f64 v[4:5], v[4:5], -v[96:97]
	scratch_store_dwordx4 off, v[2:5], off offset:256
	s_and_saveexec_b64 s[0:1], vcc
	s_cbranch_execz .LBB35_201
; %bb.200:
	scratch_load_dwordx4 v[2:5], off, s26
	v_mov_b32_e32 v6, 0
	v_mov_b32_e32 v7, v6
	;; [unrolled: 1-line block ×4, first 2 shown]
	scratch_store_dwordx4 off, v[6:9], off offset:240
	s_waitcnt vmcnt(1)
	ds_write_b128 v1, v[2:5]
.LBB35_201:
	s_or_b64 exec, exec, s[0:1]
	v_mov_b32_e32 v2, 0
	s_waitcnt lgkmcnt(0)
	; wave barrier
	ds_read_b128 v[16:19], v2 offset:816
	ds_read_b128 v[12:15], v2 offset:832
	;; [unrolled: 1-line block ×4, first 2 shown]
	scratch_load_dwordx4 v[20:23], off, off offset:256
	scratch_load_dwordx4 v[40:43], off, off offset:320
	;; [unrolled: 1-line block ×15, first 2 shown]
	v_cmp_lt_u32_e32 vcc, 13, v0
	scratch_load_dwordx4 v[48:51], off, off offset:336
	scratch_load_dwordx4 v[56:59], off, off offset:352
	;; [unrolled: 1-line block ×3, first 2 shown]
	s_waitcnt vmcnt(17) lgkmcnt(3)
	v_mul_f64 v[24:25], v[16:17], v[22:23]
	v_fmac_f64_e32 v[24:25], v[18:19], v[20:21]
	v_add_f64 v[28:29], v[24:25], 0
	scratch_load_dwordx4 v[24:27], off, off offset:272
	v_mul_f64 v[18:19], v[18:19], v[22:23]
	v_fma_f64 v[16:17], v[16:17], v[20:21], -v[18:19]
	v_add_f64 v[16:17], v[16:17], 0
	s_waitcnt vmcnt(0) lgkmcnt(2)
	v_mul_f64 v[30:31], v[12:13], v[26:27]
	v_fmac_f64_e32 v[30:31], v[14:15], v[24:25]
	v_add_f64 v[32:33], v[28:29], v[30:31]
	scratch_load_dwordx4 v[28:31], off, off offset:288
	v_mul_f64 v[14:15], v[14:15], v[26:27]
	v_fma_f64 v[12:13], v[12:13], v[24:25], -v[14:15]
	v_add_f64 v[12:13], v[16:17], v[12:13]
	s_waitcnt vmcnt(0) lgkmcnt(1)
	v_mul_f64 v[34:35], v[8:9], v[30:31]
	v_fmac_f64_e32 v[34:35], v[10:11], v[28:29]
	v_add_f64 v[36:37], v[32:33], v[34:35]
	scratch_load_dwordx4 v[32:35], off, off offset:304
	v_mul_f64 v[10:11], v[10:11], v[30:31]
	v_fma_f64 v[8:9], v[8:9], v[28:29], -v[10:11]
	v_add_f64 v[8:9], v[12:13], v[8:9]
	s_waitcnt vmcnt(0) lgkmcnt(0)
	v_mul_f64 v[38:39], v[4:5], v[34:35]
	v_fmac_f64_e32 v[38:39], v[6:7], v[32:33]
	v_add_f64 v[44:45], v[36:37], v[38:39]
	ds_read_b128 v[36:39], v2 offset:880
	v_mul_f64 v[6:7], v[6:7], v[34:35]
	v_fma_f64 v[4:5], v[4:5], v[32:33], -v[6:7]
	v_add_f64 v[4:5], v[8:9], v[4:5]
	s_waitcnt lgkmcnt(0)
	v_mul_f64 v[46:47], v[36:37], v[42:43]
	v_fmac_f64_e32 v[46:47], v[38:39], v[40:41]
	v_add_f64 v[52:53], v[44:45], v[46:47]
	ds_read_b128 v[44:47], v2 offset:896
	v_mul_f64 v[6:7], v[38:39], v[42:43]
	v_fma_f64 v[6:7], v[36:37], v[40:41], -v[6:7]
	v_add_f64 v[4:5], v[4:5], v[6:7]
	s_waitcnt lgkmcnt(0)
	;; [unrolled: 8-line block ×17, first 2 shown]
	v_mul_f64 v[6:7], v[168:169], v[172:173]
	v_fma_f64 v[6:7], v[166:167], v[170:171], -v[6:7]
	v_add_f64 v[8:9], v[4:5], v[6:7]
	scratch_load_dwordx4 v[4:7], off, off offset:240
	v_mul_f64 v[174:175], v[166:167], v[172:173]
	v_fmac_f64_e32 v[174:175], v[168:169], v[170:171]
	v_add_f64 v[104:105], v[104:105], v[174:175]
	s_waitcnt vmcnt(0)
	v_add_f64 v[4:5], v[4:5], -v[8:9]
	v_add_f64 v[6:7], v[6:7], -v[104:105]
	scratch_store_dwordx4 off, v[4:7], off offset:240
	s_and_saveexec_b64 s[0:1], vcc
	s_cbranch_execz .LBB35_203
; %bb.202:
	scratch_load_dwordx4 v[6:9], off, s51
	v_mov_b32_e32 v3, v2
	v_mov_b32_e32 v4, v2
	;; [unrolled: 1-line block ×3, first 2 shown]
	scratch_store_dwordx4 off, v[2:5], off offset:224
	s_waitcnt vmcnt(1)
	ds_write_b128 v1, v[6:9]
.LBB35_203:
	s_or_b64 exec, exec, s[0:1]
	s_waitcnt lgkmcnt(0)
	; wave barrier
	ds_read_b128 v[16:19], v2 offset:800
	ds_read_b128 v[12:15], v2 offset:816
	;; [unrolled: 1-line block ×4, first 2 shown]
	scratch_load_dwordx4 v[20:23], off, off offset:240
	scratch_load_dwordx4 v[40:43], off, off offset:304
	;; [unrolled: 1-line block ×16, first 2 shown]
	v_cmp_lt_u32_e32 vcc, 12, v0
	scratch_load_dwordx4 v[48:51], off, off offset:320
	scratch_load_dwordx4 v[56:59], off, off offset:336
	scratch_load_dwordx4 v[64:67], off, off offset:352
	s_waitcnt vmcnt(18) lgkmcnt(3)
	v_mul_f64 v[24:25], v[16:17], v[22:23]
	v_fmac_f64_e32 v[24:25], v[18:19], v[20:21]
	v_add_f64 v[28:29], v[24:25], 0
	scratch_load_dwordx4 v[24:27], off, off offset:256
	s_waitcnt vmcnt(0) lgkmcnt(2)
	v_mul_f64 v[30:31], v[12:13], v[26:27]
	v_fmac_f64_e32 v[30:31], v[14:15], v[24:25]
	v_add_f64 v[32:33], v[28:29], v[30:31]
	scratch_load_dwordx4 v[28:31], off, off offset:272
	v_mul_f64 v[14:15], v[14:15], v[26:27]
	v_fma_f64 v[12:13], v[12:13], v[24:25], -v[14:15]
	s_waitcnt vmcnt(0) lgkmcnt(1)
	v_mul_f64 v[34:35], v[8:9], v[30:31]
	v_fmac_f64_e32 v[34:35], v[10:11], v[28:29]
	v_add_f64 v[36:37], v[32:33], v[34:35]
	scratch_load_dwordx4 v[32:35], off, off offset:288
	v_mul_f64 v[10:11], v[10:11], v[30:31]
	v_fma_f64 v[8:9], v[8:9], v[28:29], -v[10:11]
	s_waitcnt vmcnt(0) lgkmcnt(0)
	v_mul_f64 v[38:39], v[4:5], v[34:35]
	v_fmac_f64_e32 v[38:39], v[6:7], v[32:33]
	v_add_f64 v[44:45], v[36:37], v[38:39]
	ds_read_b128 v[36:39], v2 offset:864
	v_mul_f64 v[6:7], v[6:7], v[34:35]
	v_fma_f64 v[4:5], v[4:5], v[32:33], -v[6:7]
	s_waitcnt lgkmcnt(0)
	v_mul_f64 v[46:47], v[36:37], v[42:43]
	v_fmac_f64_e32 v[46:47], v[38:39], v[40:41]
	v_add_f64 v[52:53], v[44:45], v[46:47]
	ds_read_b128 v[44:47], v2 offset:880
	s_waitcnt lgkmcnt(0)
	v_mul_f64 v[54:55], v[44:45], v[50:51]
	v_fmac_f64_e32 v[54:55], v[46:47], v[48:49]
	v_add_f64 v[60:61], v[52:53], v[54:55]
	ds_read_b128 v[52:55], v2 offset:896
	;; [unrolled: 5-line block ×17, first 2 shown]
	s_waitcnt lgkmcnt(0)
	v_mul_f64 v[2:3], v[174:175], v[180:181]
	v_fmac_f64_e32 v[2:3], v[176:177], v[178:179]
	v_add_f64 v[120:121], v[120:121], v[2:3]
	v_mul_f64 v[2:3], v[18:19], v[22:23]
	v_fma_f64 v[2:3], v[16:17], v[20:21], -v[2:3]
	v_add_f64 v[2:3], v[2:3], 0
	v_add_f64 v[2:3], v[2:3], v[12:13]
	v_add_f64 v[2:3], v[2:3], v[8:9]
	v_add_f64 v[2:3], v[2:3], v[4:5]
	v_mul_f64 v[4:5], v[38:39], v[42:43]
	v_fma_f64 v[4:5], v[36:37], v[40:41], -v[4:5]
	v_add_f64 v[2:3], v[2:3], v[4:5]
	v_mul_f64 v[4:5], v[46:47], v[50:51]
	v_fma_f64 v[4:5], v[44:45], v[48:49], -v[4:5]
	v_add_f64 v[2:3], v[2:3], v[4:5]
	;; [unrolled: 3-line block ×18, first 2 shown]
	scratch_load_dwordx4 v[2:5], off, off offset:224
	s_waitcnt vmcnt(0)
	v_add_f64 v[2:3], v[2:3], -v[6:7]
	v_add_f64 v[4:5], v[4:5], -v[120:121]
	scratch_store_dwordx4 off, v[2:5], off offset:224
	s_and_saveexec_b64 s[0:1], vcc
	s_cbranch_execz .LBB35_205
; %bb.204:
	scratch_load_dwordx4 v[2:5], off, s50
	v_mov_b32_e32 v6, 0
	v_mov_b32_e32 v7, v6
	;; [unrolled: 1-line block ×4, first 2 shown]
	scratch_store_dwordx4 off, v[6:9], off offset:208
	s_waitcnt vmcnt(1)
	ds_write_b128 v1, v[2:5]
.LBB35_205:
	s_or_b64 exec, exec, s[0:1]
	v_mov_b32_e32 v2, 0
	s_waitcnt lgkmcnt(0)
	; wave barrier
	ds_read_b128 v[16:19], v2 offset:784
	ds_read_b128 v[12:15], v2 offset:800
	;; [unrolled: 1-line block ×4, first 2 shown]
	scratch_load_dwordx4 v[20:23], off, off offset:224
	scratch_load_dwordx4 v[40:43], off, off offset:288
	;; [unrolled: 1-line block ×17, first 2 shown]
	v_cmp_lt_u32_e32 vcc, 11, v0
	scratch_load_dwordx4 v[48:51], off, off offset:304
	scratch_load_dwordx4 v[56:59], off, off offset:320
	;; [unrolled: 1-line block ×3, first 2 shown]
	s_waitcnt vmcnt(19) lgkmcnt(3)
	v_mul_f64 v[24:25], v[16:17], v[22:23]
	v_fmac_f64_e32 v[24:25], v[18:19], v[20:21]
	v_add_f64 v[28:29], v[24:25], 0
	scratch_load_dwordx4 v[24:27], off, off offset:240
	v_mul_f64 v[18:19], v[18:19], v[22:23]
	v_fma_f64 v[16:17], v[16:17], v[20:21], -v[18:19]
	v_add_f64 v[16:17], v[16:17], 0
	s_waitcnt vmcnt(0) lgkmcnt(2)
	v_mul_f64 v[30:31], v[12:13], v[26:27]
	v_fmac_f64_e32 v[30:31], v[14:15], v[24:25]
	v_add_f64 v[32:33], v[28:29], v[30:31]
	scratch_load_dwordx4 v[28:31], off, off offset:256
	v_mul_f64 v[14:15], v[14:15], v[26:27]
	v_fma_f64 v[12:13], v[12:13], v[24:25], -v[14:15]
	v_add_f64 v[12:13], v[16:17], v[12:13]
	s_waitcnt vmcnt(0) lgkmcnt(1)
	v_mul_f64 v[34:35], v[8:9], v[30:31]
	v_fmac_f64_e32 v[34:35], v[10:11], v[28:29]
	v_add_f64 v[36:37], v[32:33], v[34:35]
	scratch_load_dwordx4 v[32:35], off, off offset:272
	v_mul_f64 v[10:11], v[10:11], v[30:31]
	v_fma_f64 v[8:9], v[8:9], v[28:29], -v[10:11]
	v_add_f64 v[8:9], v[12:13], v[8:9]
	s_waitcnt vmcnt(0) lgkmcnt(0)
	v_mul_f64 v[38:39], v[4:5], v[34:35]
	v_fmac_f64_e32 v[38:39], v[6:7], v[32:33]
	v_add_f64 v[44:45], v[36:37], v[38:39]
	ds_read_b128 v[36:39], v2 offset:848
	v_mul_f64 v[6:7], v[6:7], v[34:35]
	v_fma_f64 v[4:5], v[4:5], v[32:33], -v[6:7]
	v_add_f64 v[4:5], v[8:9], v[4:5]
	s_waitcnt lgkmcnt(0)
	v_mul_f64 v[46:47], v[36:37], v[42:43]
	v_fmac_f64_e32 v[46:47], v[38:39], v[40:41]
	v_add_f64 v[52:53], v[44:45], v[46:47]
	ds_read_b128 v[44:47], v2 offset:864
	v_mul_f64 v[6:7], v[38:39], v[42:43]
	v_fma_f64 v[6:7], v[36:37], v[40:41], -v[6:7]
	v_add_f64 v[4:5], v[4:5], v[6:7]
	s_waitcnt lgkmcnt(0)
	;; [unrolled: 8-line block ×19, first 2 shown]
	v_mul_f64 v[6:7], v[184:185], v[188:189]
	v_fma_f64 v[6:7], v[182:183], v[186:187], -v[6:7]
	v_add_f64 v[8:9], v[4:5], v[6:7]
	scratch_load_dwordx4 v[4:7], off, off offset:208
	v_mul_f64 v[190:191], v[182:183], v[188:189]
	v_fmac_f64_e32 v[190:191], v[184:185], v[186:187]
	v_add_f64 v[128:129], v[128:129], v[190:191]
	s_waitcnt vmcnt(0)
	v_add_f64 v[4:5], v[4:5], -v[8:9]
	v_add_f64 v[6:7], v[6:7], -v[128:129]
	scratch_store_dwordx4 off, v[4:7], off offset:208
	s_and_saveexec_b64 s[0:1], vcc
	s_cbranch_execz .LBB35_207
; %bb.206:
	scratch_load_dwordx4 v[6:9], off, s49
	v_mov_b32_e32 v3, v2
	v_mov_b32_e32 v4, v2
	;; [unrolled: 1-line block ×3, first 2 shown]
	scratch_store_dwordx4 off, v[2:5], off offset:192
	s_waitcnt vmcnt(1)
	ds_write_b128 v1, v[6:9]
.LBB35_207:
	s_or_b64 exec, exec, s[0:1]
	s_waitcnt lgkmcnt(0)
	; wave barrier
	ds_read_b128 v[16:19], v2 offset:768
	ds_read_b128 v[12:15], v2 offset:784
	;; [unrolled: 1-line block ×4, first 2 shown]
	scratch_load_dwordx4 v[20:23], off, off offset:208
	scratch_load_dwordx4 v[40:43], off, off offset:272
	;; [unrolled: 1-line block ×18, first 2 shown]
	v_cmp_lt_u32_e32 vcc, 10, v0
	scratch_load_dwordx4 v[48:51], off, off offset:288
	scratch_load_dwordx4 v[56:59], off, off offset:304
	;; [unrolled: 1-line block ×3, first 2 shown]
	s_waitcnt vmcnt(20) lgkmcnt(3)
	v_mul_f64 v[24:25], v[16:17], v[22:23]
	v_fmac_f64_e32 v[24:25], v[18:19], v[20:21]
	v_add_f64 v[28:29], v[24:25], 0
	scratch_load_dwordx4 v[24:27], off, off offset:224
	s_waitcnt vmcnt(0) lgkmcnt(2)
	v_mul_f64 v[30:31], v[12:13], v[26:27]
	v_fmac_f64_e32 v[30:31], v[14:15], v[24:25]
	v_add_f64 v[32:33], v[28:29], v[30:31]
	scratch_load_dwordx4 v[28:31], off, off offset:240
	v_mul_f64 v[14:15], v[14:15], v[26:27]
	v_fma_f64 v[12:13], v[12:13], v[24:25], -v[14:15]
	s_waitcnt vmcnt(0) lgkmcnt(1)
	v_mul_f64 v[34:35], v[8:9], v[30:31]
	v_fmac_f64_e32 v[34:35], v[10:11], v[28:29]
	v_add_f64 v[36:37], v[32:33], v[34:35]
	scratch_load_dwordx4 v[32:35], off, off offset:256
	v_mul_f64 v[10:11], v[10:11], v[30:31]
	v_fma_f64 v[8:9], v[8:9], v[28:29], -v[10:11]
	s_waitcnt vmcnt(0) lgkmcnt(0)
	v_mul_f64 v[38:39], v[4:5], v[34:35]
	v_fmac_f64_e32 v[38:39], v[6:7], v[32:33]
	v_add_f64 v[44:45], v[36:37], v[38:39]
	ds_read_b128 v[36:39], v2 offset:832
	v_mul_f64 v[6:7], v[6:7], v[34:35]
	v_fma_f64 v[4:5], v[4:5], v[32:33], -v[6:7]
	s_waitcnt lgkmcnt(0)
	v_mul_f64 v[46:47], v[36:37], v[42:43]
	v_fmac_f64_e32 v[46:47], v[38:39], v[40:41]
	v_add_f64 v[52:53], v[44:45], v[46:47]
	ds_read_b128 v[44:47], v2 offset:848
	s_waitcnt lgkmcnt(0)
	v_mul_f64 v[54:55], v[44:45], v[50:51]
	v_fmac_f64_e32 v[54:55], v[46:47], v[48:49]
	v_add_f64 v[60:61], v[52:53], v[54:55]
	ds_read_b128 v[52:55], v2 offset:864
	s_waitcnt lgkmcnt(0)
	v_mul_f64 v[62:63], v[52:53], v[58:59]
	v_fmac_f64_e32 v[62:63], v[54:55], v[56:57]
	v_add_f64 v[68:69], v[60:61], v[62:63]
	ds_read_b128 v[60:63], v2 offset:880
	s_waitcnt lgkmcnt(0)
	v_mul_f64 v[70:71], v[60:61], v[66:67]
	v_fmac_f64_e32 v[70:71], v[62:63], v[64:65]
	v_add_f64 v[76:77], v[68:69], v[70:71]
	ds_read_b128 v[68:71], v2 offset:896
	s_waitcnt lgkmcnt(0)
	v_mul_f64 v[78:79], v[68:69], v[74:75]
	v_fmac_f64_e32 v[78:79], v[70:71], v[72:73]
	v_add_f64 v[84:85], v[76:77], v[78:79]
	ds_read_b128 v[76:79], v2 offset:912
	s_waitcnt lgkmcnt(0)
	v_mul_f64 v[86:87], v[76:77], v[82:83]
	v_fmac_f64_e32 v[86:87], v[78:79], v[80:81]
	v_add_f64 v[92:93], v[84:85], v[86:87]
	ds_read_b128 v[84:87], v2 offset:928
	s_waitcnt lgkmcnt(0)
	v_mul_f64 v[94:95], v[84:85], v[90:91]
	v_fmac_f64_e32 v[94:95], v[86:87], v[88:89]
	v_add_f64 v[100:101], v[92:93], v[94:95]
	ds_read_b128 v[92:95], v2 offset:944
	s_waitcnt lgkmcnt(0)
	v_mul_f64 v[102:103], v[92:93], v[98:99]
	v_fmac_f64_e32 v[102:103], v[94:95], v[96:97]
	v_add_f64 v[108:109], v[100:101], v[102:103]
	ds_read_b128 v[100:103], v2 offset:960
	s_waitcnt lgkmcnt(0)
	v_mul_f64 v[110:111], v[100:101], v[106:107]
	v_fmac_f64_e32 v[110:111], v[102:103], v[104:105]
	v_add_f64 v[116:117], v[108:109], v[110:111]
	ds_read_b128 v[108:111], v2 offset:976
	s_waitcnt lgkmcnt(0)
	v_mul_f64 v[118:119], v[108:109], v[114:115]
	v_fmac_f64_e32 v[118:119], v[110:111], v[112:113]
	v_add_f64 v[124:125], v[116:117], v[118:119]
	ds_read_b128 v[116:119], v2 offset:992
	s_waitcnt lgkmcnt(0)
	v_mul_f64 v[126:127], v[116:117], v[122:123]
	v_fmac_f64_e32 v[126:127], v[118:119], v[120:121]
	v_add_f64 v[132:133], v[124:125], v[126:127]
	ds_read_b128 v[124:127], v2 offset:1008
	s_waitcnt lgkmcnt(0)
	v_mul_f64 v[134:135], v[124:125], v[130:131]
	v_fmac_f64_e32 v[134:135], v[126:127], v[128:129]
	v_add_f64 v[140:141], v[132:133], v[134:135]
	ds_read_b128 v[132:135], v2 offset:1024
	s_waitcnt lgkmcnt(0)
	v_mul_f64 v[142:143], v[132:133], v[138:139]
	v_fmac_f64_e32 v[142:143], v[134:135], v[136:137]
	v_add_f64 v[148:149], v[140:141], v[142:143]
	ds_read_b128 v[140:143], v2 offset:1040
	s_waitcnt lgkmcnt(0)
	v_mul_f64 v[150:151], v[140:141], v[146:147]
	v_fmac_f64_e32 v[150:151], v[142:143], v[144:145]
	v_add_f64 v[148:149], v[148:149], v[150:151]
	ds_read_b128 v[150:153], v2 offset:1056
	s_waitcnt lgkmcnt(0)
	v_mul_f64 v[158:159], v[150:151], v[156:157]
	v_fmac_f64_e32 v[158:159], v[152:153], v[154:155]
	v_add_f64 v[148:149], v[148:149], v[158:159]
	ds_read_b128 v[158:161], v2 offset:1072
	s_waitcnt lgkmcnt(0)
	v_mul_f64 v[166:167], v[158:159], v[164:165]
	v_fmac_f64_e32 v[166:167], v[160:161], v[162:163]
	v_add_f64 v[148:149], v[148:149], v[166:167]
	ds_read_b128 v[166:169], v2 offset:1088
	s_waitcnt lgkmcnt(0)
	v_mul_f64 v[174:175], v[166:167], v[172:173]
	v_fmac_f64_e32 v[174:175], v[168:169], v[170:171]
	v_add_f64 v[148:149], v[148:149], v[174:175]
	ds_read_b128 v[174:177], v2 offset:1104
	s_waitcnt lgkmcnt(0)
	v_mul_f64 v[182:183], v[174:175], v[180:181]
	v_fmac_f64_e32 v[182:183], v[176:177], v[178:179]
	v_add_f64 v[148:149], v[148:149], v[182:183]
	ds_read_b128 v[182:185], v2 offset:1120
	s_waitcnt lgkmcnt(0)
	v_mul_f64 v[190:191], v[182:183], v[188:189]
	v_fmac_f64_e32 v[190:191], v[184:185], v[186:187]
	v_add_f64 v[148:149], v[148:149], v[190:191]
	ds_read_b128 v[190:193], v2 offset:1136
	s_waitcnt lgkmcnt(0)
	v_mul_f64 v[2:3], v[190:191], v[196:197]
	v_fmac_f64_e32 v[2:3], v[192:193], v[194:195]
	v_add_f64 v[148:149], v[148:149], v[2:3]
	v_mul_f64 v[2:3], v[18:19], v[22:23]
	v_fma_f64 v[2:3], v[16:17], v[20:21], -v[2:3]
	v_add_f64 v[2:3], v[2:3], 0
	v_add_f64 v[2:3], v[2:3], v[12:13]
	v_add_f64 v[2:3], v[2:3], v[8:9]
	v_add_f64 v[2:3], v[2:3], v[4:5]
	v_mul_f64 v[4:5], v[38:39], v[42:43]
	v_fma_f64 v[4:5], v[36:37], v[40:41], -v[4:5]
	v_add_f64 v[2:3], v[2:3], v[4:5]
	v_mul_f64 v[4:5], v[46:47], v[50:51]
	v_fma_f64 v[4:5], v[44:45], v[48:49], -v[4:5]
	v_add_f64 v[2:3], v[2:3], v[4:5]
	;; [unrolled: 3-line block ×20, first 2 shown]
	scratch_load_dwordx4 v[2:5], off, off offset:192
	s_waitcnt vmcnt(0)
	v_add_f64 v[2:3], v[2:3], -v[6:7]
	v_add_f64 v[4:5], v[4:5], -v[148:149]
	scratch_store_dwordx4 off, v[2:5], off offset:192
	s_and_saveexec_b64 s[0:1], vcc
	s_cbranch_execz .LBB35_209
; %bb.208:
	scratch_load_dwordx4 v[2:5], off, s24
	v_mov_b32_e32 v6, 0
	v_mov_b32_e32 v7, v6
	;; [unrolled: 1-line block ×4, first 2 shown]
	scratch_store_dwordx4 off, v[6:9], off offset:176
	s_waitcnt vmcnt(1)
	ds_write_b128 v1, v[2:5]
.LBB35_209:
	s_or_b64 exec, exec, s[0:1]
	v_mov_b32_e32 v2, 0
	s_waitcnt lgkmcnt(0)
	; wave barrier
	ds_read_b128 v[16:19], v2 offset:752
	ds_read_b128 v[12:15], v2 offset:768
	;; [unrolled: 1-line block ×4, first 2 shown]
	scratch_load_dwordx4 v[20:23], off, off offset:192
	scratch_load_dwordx4 v[40:43], off, off offset:256
	;; [unrolled: 1-line block ×19, first 2 shown]
	v_cmp_lt_u32_e32 vcc, 9, v0
	scratch_load_dwordx4 v[48:51], off, off offset:272
	scratch_load_dwordx4 v[56:59], off, off offset:288
	;; [unrolled: 1-line block ×3, first 2 shown]
	s_waitcnt vmcnt(21) lgkmcnt(3)
	v_mul_f64 v[24:25], v[16:17], v[22:23]
	v_fmac_f64_e32 v[24:25], v[18:19], v[20:21]
	v_add_f64 v[28:29], v[24:25], 0
	scratch_load_dwordx4 v[24:27], off, off offset:208
	v_mul_f64 v[18:19], v[18:19], v[22:23]
	v_fma_f64 v[16:17], v[16:17], v[20:21], -v[18:19]
	v_add_f64 v[16:17], v[16:17], 0
	s_waitcnt vmcnt(0) lgkmcnt(2)
	v_mul_f64 v[30:31], v[12:13], v[26:27]
	v_fmac_f64_e32 v[30:31], v[14:15], v[24:25]
	v_add_f64 v[32:33], v[28:29], v[30:31]
	scratch_load_dwordx4 v[28:31], off, off offset:224
	v_mul_f64 v[14:15], v[14:15], v[26:27]
	v_fma_f64 v[12:13], v[12:13], v[24:25], -v[14:15]
	v_add_f64 v[12:13], v[16:17], v[12:13]
	;; [unrolled: 8-line block ×3, first 2 shown]
	s_waitcnt vmcnt(0) lgkmcnt(0)
	v_mul_f64 v[38:39], v[4:5], v[34:35]
	v_fmac_f64_e32 v[38:39], v[6:7], v[32:33]
	v_add_f64 v[44:45], v[36:37], v[38:39]
	ds_read_b128 v[36:39], v2 offset:816
	v_mul_f64 v[6:7], v[6:7], v[34:35]
	v_fma_f64 v[4:5], v[4:5], v[32:33], -v[6:7]
	v_add_f64 v[4:5], v[8:9], v[4:5]
	s_waitcnt lgkmcnt(0)
	v_mul_f64 v[46:47], v[36:37], v[42:43]
	v_fmac_f64_e32 v[46:47], v[38:39], v[40:41]
	v_add_f64 v[52:53], v[44:45], v[46:47]
	ds_read_b128 v[44:47], v2 offset:832
	v_mul_f64 v[6:7], v[38:39], v[42:43]
	v_fma_f64 v[6:7], v[36:37], v[40:41], -v[6:7]
	v_add_f64 v[4:5], v[4:5], v[6:7]
	s_waitcnt lgkmcnt(0)
	;; [unrolled: 8-line block ×21, first 2 shown]
	v_mul_f64 v[6:7], v[200:201], v[204:205]
	v_fma_f64 v[6:7], v[198:199], v[202:203], -v[6:7]
	v_add_f64 v[8:9], v[4:5], v[6:7]
	scratch_load_dwordx4 v[4:7], off, off offset:176
	v_mul_f64 v[206:207], v[198:199], v[204:205]
	v_fmac_f64_e32 v[206:207], v[200:201], v[202:203]
	v_add_f64 v[144:145], v[144:145], v[206:207]
	s_waitcnt vmcnt(0)
	v_add_f64 v[4:5], v[4:5], -v[8:9]
	v_add_f64 v[6:7], v[6:7], -v[144:145]
	scratch_store_dwordx4 off, v[4:7], off offset:176
	s_and_saveexec_b64 s[0:1], vcc
	s_cbranch_execz .LBB35_211
; %bb.210:
	scratch_load_dwordx4 v[6:9], off, s22
	v_mov_b32_e32 v3, v2
	v_mov_b32_e32 v4, v2
	;; [unrolled: 1-line block ×3, first 2 shown]
	scratch_store_dwordx4 off, v[2:5], off offset:160
	s_waitcnt vmcnt(1)
	ds_write_b128 v1, v[6:9]
.LBB35_211:
	s_or_b64 exec, exec, s[0:1]
	s_waitcnt lgkmcnt(0)
	; wave barrier
	ds_read_b128 v[16:19], v2 offset:736
	ds_read_b128 v[12:15], v2 offset:752
	;; [unrolled: 1-line block ×4, first 2 shown]
	scratch_load_dwordx4 v[20:23], off, off offset:176
	scratch_load_dwordx4 v[40:43], off, off offset:240
	;; [unrolled: 1-line block ×20, first 2 shown]
	v_cmp_lt_u32_e32 vcc, 8, v0
	scratch_load_dwordx4 v[48:51], off, off offset:256
	scratch_load_dwordx4 v[56:59], off, off offset:272
	;; [unrolled: 1-line block ×3, first 2 shown]
	s_waitcnt vmcnt(22) lgkmcnt(3)
	v_mul_f64 v[24:25], v[16:17], v[22:23]
	v_fmac_f64_e32 v[24:25], v[18:19], v[20:21]
	v_add_f64 v[28:29], v[24:25], 0
	scratch_load_dwordx4 v[24:27], off, off offset:192
	s_waitcnt vmcnt(0) lgkmcnt(2)
	v_mul_f64 v[30:31], v[12:13], v[26:27]
	v_fmac_f64_e32 v[30:31], v[14:15], v[24:25]
	v_add_f64 v[32:33], v[28:29], v[30:31]
	scratch_load_dwordx4 v[28:31], off, off offset:208
	v_mul_f64 v[14:15], v[14:15], v[26:27]
	v_fma_f64 v[12:13], v[12:13], v[24:25], -v[14:15]
	s_waitcnt vmcnt(0) lgkmcnt(1)
	v_mul_f64 v[34:35], v[8:9], v[30:31]
	v_fmac_f64_e32 v[34:35], v[10:11], v[28:29]
	v_add_f64 v[36:37], v[32:33], v[34:35]
	scratch_load_dwordx4 v[32:35], off, off offset:224
	v_mul_f64 v[10:11], v[10:11], v[30:31]
	v_fma_f64 v[8:9], v[8:9], v[28:29], -v[10:11]
	s_waitcnt vmcnt(0) lgkmcnt(0)
	v_mul_f64 v[38:39], v[4:5], v[34:35]
	v_fmac_f64_e32 v[38:39], v[6:7], v[32:33]
	v_add_f64 v[44:45], v[36:37], v[38:39]
	ds_read_b128 v[36:39], v2 offset:800
	v_mul_f64 v[6:7], v[6:7], v[34:35]
	v_fma_f64 v[4:5], v[4:5], v[32:33], -v[6:7]
	s_waitcnt lgkmcnt(0)
	v_mul_f64 v[46:47], v[36:37], v[42:43]
	v_fmac_f64_e32 v[46:47], v[38:39], v[40:41]
	v_add_f64 v[52:53], v[44:45], v[46:47]
	ds_read_b128 v[44:47], v2 offset:816
	s_waitcnt lgkmcnt(0)
	v_mul_f64 v[54:55], v[44:45], v[50:51]
	v_fmac_f64_e32 v[54:55], v[46:47], v[48:49]
	v_add_f64 v[60:61], v[52:53], v[54:55]
	ds_read_b128 v[52:55], v2 offset:832
	;; [unrolled: 5-line block ×21, first 2 shown]
	s_waitcnt lgkmcnt(0)
	v_mul_f64 v[2:3], v[206:207], v[212:213]
	v_fmac_f64_e32 v[2:3], v[208:209], v[210:211]
	v_add_f64 v[168:169], v[168:169], v[2:3]
	v_mul_f64 v[2:3], v[18:19], v[22:23]
	v_fma_f64 v[2:3], v[16:17], v[20:21], -v[2:3]
	v_add_f64 v[2:3], v[2:3], 0
	v_add_f64 v[2:3], v[2:3], v[12:13]
	;; [unrolled: 1-line block ×4, first 2 shown]
	v_mul_f64 v[4:5], v[38:39], v[42:43]
	v_fma_f64 v[4:5], v[36:37], v[40:41], -v[4:5]
	v_add_f64 v[2:3], v[2:3], v[4:5]
	v_mul_f64 v[4:5], v[46:47], v[50:51]
	v_fma_f64 v[4:5], v[44:45], v[48:49], -v[4:5]
	v_add_f64 v[2:3], v[2:3], v[4:5]
	;; [unrolled: 3-line block ×22, first 2 shown]
	scratch_load_dwordx4 v[2:5], off, off offset:160
	s_waitcnt vmcnt(0)
	v_add_f64 v[2:3], v[2:3], -v[6:7]
	v_add_f64 v[4:5], v[4:5], -v[168:169]
	scratch_store_dwordx4 off, v[2:5], off offset:160
	s_and_saveexec_b64 s[0:1], vcc
	s_cbranch_execz .LBB35_213
; %bb.212:
	scratch_load_dwordx4 v[2:5], off, s15
	v_mov_b32_e32 v6, 0
	v_mov_b32_e32 v7, v6
	;; [unrolled: 1-line block ×4, first 2 shown]
	scratch_store_dwordx4 off, v[6:9], off offset:144
	s_waitcnt vmcnt(1)
	ds_write_b128 v1, v[2:5]
.LBB35_213:
	s_or_b64 exec, exec, s[0:1]
	v_mov_b32_e32 v2, 0
	s_waitcnt lgkmcnt(0)
	; wave barrier
	ds_read_b128 v[16:19], v2 offset:720
	ds_read_b128 v[12:15], v2 offset:736
	;; [unrolled: 1-line block ×4, first 2 shown]
	scratch_load_dwordx4 v[20:23], off, off offset:160
	scratch_load_dwordx4 v[40:43], off, off offset:224
	;; [unrolled: 1-line block ×21, first 2 shown]
	v_cmp_lt_u32_e32 vcc, 7, v0
	scratch_load_dwordx4 v[48:51], off, off offset:240
	scratch_load_dwordx4 v[56:59], off, off offset:256
	scratch_load_dwordx4 v[64:67], off, off offset:272
	s_waitcnt vmcnt(23) lgkmcnt(3)
	v_mul_f64 v[24:25], v[16:17], v[22:23]
	v_fmac_f64_e32 v[24:25], v[18:19], v[20:21]
	v_add_f64 v[28:29], v[24:25], 0
	scratch_load_dwordx4 v[24:27], off, off offset:176
	v_mul_f64 v[18:19], v[18:19], v[22:23]
	v_fma_f64 v[16:17], v[16:17], v[20:21], -v[18:19]
	v_add_f64 v[16:17], v[16:17], 0
	s_waitcnt vmcnt(0) lgkmcnt(2)
	v_mul_f64 v[30:31], v[12:13], v[26:27]
	v_fmac_f64_e32 v[30:31], v[14:15], v[24:25]
	v_add_f64 v[32:33], v[28:29], v[30:31]
	scratch_load_dwordx4 v[28:31], off, off offset:192
	v_mul_f64 v[14:15], v[14:15], v[26:27]
	v_fma_f64 v[12:13], v[12:13], v[24:25], -v[14:15]
	v_add_f64 v[12:13], v[16:17], v[12:13]
	;; [unrolled: 8-line block ×3, first 2 shown]
	s_waitcnt vmcnt(0) lgkmcnt(0)
	v_mul_f64 v[38:39], v[4:5], v[34:35]
	v_fmac_f64_e32 v[38:39], v[6:7], v[32:33]
	v_add_f64 v[44:45], v[36:37], v[38:39]
	ds_read_b128 v[36:39], v2 offset:784
	v_mul_f64 v[6:7], v[6:7], v[34:35]
	v_fma_f64 v[4:5], v[4:5], v[32:33], -v[6:7]
	v_add_f64 v[4:5], v[8:9], v[4:5]
	s_waitcnt lgkmcnt(0)
	v_mul_f64 v[46:47], v[36:37], v[42:43]
	v_fmac_f64_e32 v[46:47], v[38:39], v[40:41]
	v_add_f64 v[52:53], v[44:45], v[46:47]
	ds_read_b128 v[44:47], v2 offset:800
	v_mul_f64 v[6:7], v[38:39], v[42:43]
	v_fma_f64 v[6:7], v[36:37], v[40:41], -v[6:7]
	v_add_f64 v[4:5], v[4:5], v[6:7]
	s_waitcnt lgkmcnt(0)
	;; [unrolled: 8-line block ×23, first 2 shown]
	v_mul_f64 v[6:7], v[216:217], v[220:221]
	v_fma_f64 v[6:7], v[214:215], v[218:219], -v[6:7]
	v_add_f64 v[8:9], v[4:5], v[6:7]
	scratch_load_dwordx4 v[4:7], off, off offset:144
	v_mul_f64 v[222:223], v[214:215], v[220:221]
	v_fmac_f64_e32 v[222:223], v[216:217], v[218:219]
	v_add_f64 v[160:161], v[160:161], v[222:223]
	s_waitcnt vmcnt(0)
	v_add_f64 v[4:5], v[4:5], -v[8:9]
	v_add_f64 v[6:7], v[6:7], -v[160:161]
	scratch_store_dwordx4 off, v[4:7], off offset:144
	s_and_saveexec_b64 s[0:1], vcc
	s_cbranch_execz .LBB35_215
; %bb.214:
	scratch_load_dwordx4 v[6:9], off, s25
	v_mov_b32_e32 v3, v2
	v_mov_b32_e32 v4, v2
	;; [unrolled: 1-line block ×3, first 2 shown]
	scratch_store_dwordx4 off, v[2:5], off offset:128
	s_waitcnt vmcnt(1)
	ds_write_b128 v1, v[6:9]
.LBB35_215:
	s_or_b64 exec, exec, s[0:1]
	s_waitcnt lgkmcnt(0)
	; wave barrier
	ds_read_b128 v[16:19], v2 offset:704
	ds_read_b128 v[12:15], v2 offset:720
	;; [unrolled: 1-line block ×4, first 2 shown]
	scratch_load_dwordx4 v[20:23], off, off offset:144
	scratch_load_dwordx4 v[40:43], off, off offset:208
	scratch_load_dwordx4 v[72:75], off, off offset:272
	scratch_load_dwordx4 v[80:83], off, off offset:288
	scratch_load_dwordx4 v[88:91], off, off offset:304
	scratch_load_dwordx4 v[96:99], off, off offset:320
	scratch_load_dwordx4 v[104:107], off, off offset:336
	scratch_load_dwordx4 v[112:115], off, off offset:352
	scratch_load_dwordx4 v[120:123], off, off offset:368
	scratch_load_dwordx4 v[128:131], off, off offset:384
	scratch_load_dwordx4 v[136:139], off, off offset:400
	scratch_load_dwordx4 v[144:147], off, off offset:416
	scratch_load_dwordx4 v[152:155], off, off offset:432
	scratch_load_dwordx4 v[160:163], off, off offset:448
	scratch_load_dwordx4 v[168:171], off, off offset:464
	scratch_load_dwordx4 v[178:181], off, off offset:480
	scratch_load_dwordx4 v[186:189], off, off offset:496
	scratch_load_dwordx4 v[194:197], off, off offset:512
	scratch_load_dwordx4 v[202:205], off, off offset:528
	scratch_load_dwordx4 v[210:213], off, off offset:544
	scratch_load_dwordx4 v[218:221], off, off offset:560
	scratch_load_dwordx4 v[226:229], off, off offset:576
	v_cmp_lt_u32_e32 vcc, 6, v0
	scratch_load_dwordx4 v[48:51], off, off offset:224
	scratch_load_dwordx4 v[56:59], off, off offset:240
	scratch_load_dwordx4 v[64:67], off, off offset:256
	s_waitcnt vmcnt(24) lgkmcnt(3)
	v_mul_f64 v[24:25], v[16:17], v[22:23]
	v_fmac_f64_e32 v[24:25], v[18:19], v[20:21]
	v_add_f64 v[28:29], v[24:25], 0
	scratch_load_dwordx4 v[24:27], off, off offset:160
	s_waitcnt vmcnt(0) lgkmcnt(2)
	v_mul_f64 v[30:31], v[12:13], v[26:27]
	v_fmac_f64_e32 v[30:31], v[14:15], v[24:25]
	v_add_f64 v[32:33], v[28:29], v[30:31]
	scratch_load_dwordx4 v[28:31], off, off offset:176
	v_mul_f64 v[14:15], v[14:15], v[26:27]
	v_fma_f64 v[12:13], v[12:13], v[24:25], -v[14:15]
	s_waitcnt vmcnt(0) lgkmcnt(1)
	v_mul_f64 v[34:35], v[8:9], v[30:31]
	v_fmac_f64_e32 v[34:35], v[10:11], v[28:29]
	v_add_f64 v[36:37], v[32:33], v[34:35]
	scratch_load_dwordx4 v[32:35], off, off offset:192
	v_mul_f64 v[10:11], v[10:11], v[30:31]
	v_fma_f64 v[8:9], v[8:9], v[28:29], -v[10:11]
	s_waitcnt vmcnt(0) lgkmcnt(0)
	v_mul_f64 v[38:39], v[4:5], v[34:35]
	v_fmac_f64_e32 v[38:39], v[6:7], v[32:33]
	v_add_f64 v[44:45], v[36:37], v[38:39]
	ds_read_b128 v[36:39], v2 offset:768
	v_mul_f64 v[6:7], v[6:7], v[34:35]
	v_fma_f64 v[4:5], v[4:5], v[32:33], -v[6:7]
	s_waitcnt lgkmcnt(0)
	v_mul_f64 v[46:47], v[36:37], v[42:43]
	v_fmac_f64_e32 v[46:47], v[38:39], v[40:41]
	v_add_f64 v[52:53], v[44:45], v[46:47]
	ds_read_b128 v[44:47], v2 offset:784
	s_waitcnt lgkmcnt(0)
	v_mul_f64 v[54:55], v[44:45], v[50:51]
	v_fmac_f64_e32 v[54:55], v[46:47], v[48:49]
	v_add_f64 v[60:61], v[52:53], v[54:55]
	ds_read_b128 v[52:55], v2 offset:800
	;; [unrolled: 5-line block ×23, first 2 shown]
	s_waitcnt lgkmcnt(0)
	v_mul_f64 v[2:3], v[222:223], v[228:229]
	v_fmac_f64_e32 v[2:3], v[224:225], v[226:227]
	v_add_f64 v[176:177], v[176:177], v[2:3]
	v_mul_f64 v[2:3], v[18:19], v[22:23]
	v_fma_f64 v[2:3], v[16:17], v[20:21], -v[2:3]
	v_add_f64 v[2:3], v[2:3], 0
	v_add_f64 v[2:3], v[2:3], v[12:13]
	;; [unrolled: 1-line block ×4, first 2 shown]
	v_mul_f64 v[4:5], v[38:39], v[42:43]
	v_fma_f64 v[4:5], v[36:37], v[40:41], -v[4:5]
	v_add_f64 v[2:3], v[2:3], v[4:5]
	v_mul_f64 v[4:5], v[46:47], v[50:51]
	v_fma_f64 v[4:5], v[44:45], v[48:49], -v[4:5]
	v_add_f64 v[2:3], v[2:3], v[4:5]
	;; [unrolled: 3-line block ×24, first 2 shown]
	scratch_load_dwordx4 v[2:5], off, off offset:128
	s_waitcnt vmcnt(0)
	v_add_f64 v[2:3], v[2:3], -v[6:7]
	v_add_f64 v[4:5], v[4:5], -v[176:177]
	scratch_store_dwordx4 off, v[2:5], off offset:128
	s_and_saveexec_b64 s[0:1], vcc
	s_cbranch_execz .LBB35_217
; %bb.216:
	scratch_load_dwordx4 v[2:5], off, s23
	v_mov_b32_e32 v6, 0
	v_mov_b32_e32 v7, v6
	;; [unrolled: 1-line block ×4, first 2 shown]
	scratch_store_dwordx4 off, v[6:9], off offset:112
	s_waitcnt vmcnt(1)
	ds_write_b128 v1, v[2:5]
.LBB35_217:
	s_or_b64 exec, exec, s[0:1]
	v_mov_b32_e32 v2, 0
	s_waitcnt lgkmcnt(0)
	; wave barrier
	ds_read_b128 v[16:19], v2 offset:688
	ds_read_b128 v[12:15], v2 offset:704
	;; [unrolled: 1-line block ×4, first 2 shown]
	scratch_load_dwordx4 v[20:23], off, off offset:128
	scratch_load_dwordx4 v[40:43], off, off offset:192
	scratch_load_dwordx4 v[72:75], off, off offset:256
	scratch_load_dwordx4 v[80:83], off, off offset:272
	scratch_load_dwordx4 v[88:91], off, off offset:288
	scratch_load_dwordx4 v[96:99], off, off offset:304
	scratch_load_dwordx4 v[104:107], off, off offset:320
	scratch_load_dwordx4 v[112:115], off, off offset:336
	scratch_load_dwordx4 v[120:123], off, off offset:352
	scratch_load_dwordx4 v[128:131], off, off offset:368
	scratch_load_dwordx4 v[136:139], off, off offset:384
	scratch_load_dwordx4 v[144:147], off, off offset:400
	scratch_load_dwordx4 v[152:155], off, off offset:416
	scratch_load_dwordx4 v[160:163], off, off offset:432
	scratch_load_dwordx4 v[168:171], off, off offset:448
	scratch_load_dwordx4 v[178:181], off, off offset:464
	scratch_load_dwordx4 v[186:189], off, off offset:480
	scratch_load_dwordx4 v[194:197], off, off offset:496
	scratch_load_dwordx4 v[202:205], off, off offset:512
	scratch_load_dwordx4 v[210:213], off, off offset:528
	scratch_load_dwordx4 v[218:221], off, off offset:544
	scratch_load_dwordx4 v[226:229], off, off offset:560
	scratch_load_dwordx4 v[234:237], off, off offset:576
	v_cmp_lt_u32_e32 vcc, 5, v0
	scratch_load_dwordx4 v[48:51], off, off offset:208
	scratch_load_dwordx4 v[56:59], off, off offset:224
	scratch_load_dwordx4 v[64:67], off, off offset:240
	s_waitcnt vmcnt(25) lgkmcnt(3)
	v_mul_f64 v[24:25], v[16:17], v[22:23]
	v_fmac_f64_e32 v[24:25], v[18:19], v[20:21]
	v_add_f64 v[28:29], v[24:25], 0
	scratch_load_dwordx4 v[24:27], off, off offset:144
	v_mul_f64 v[18:19], v[18:19], v[22:23]
	v_fma_f64 v[16:17], v[16:17], v[20:21], -v[18:19]
	v_add_f64 v[16:17], v[16:17], 0
	s_waitcnt vmcnt(0) lgkmcnt(2)
	v_mul_f64 v[30:31], v[12:13], v[26:27]
	v_fmac_f64_e32 v[30:31], v[14:15], v[24:25]
	v_add_f64 v[32:33], v[28:29], v[30:31]
	scratch_load_dwordx4 v[28:31], off, off offset:160
	v_mul_f64 v[14:15], v[14:15], v[26:27]
	v_fma_f64 v[12:13], v[12:13], v[24:25], -v[14:15]
	v_add_f64 v[12:13], v[16:17], v[12:13]
	s_waitcnt vmcnt(0) lgkmcnt(1)
	v_mul_f64 v[34:35], v[8:9], v[30:31]
	v_fmac_f64_e32 v[34:35], v[10:11], v[28:29]
	v_add_f64 v[36:37], v[32:33], v[34:35]
	scratch_load_dwordx4 v[32:35], off, off offset:176
	v_mul_f64 v[10:11], v[10:11], v[30:31]
	v_fma_f64 v[8:9], v[8:9], v[28:29], -v[10:11]
	v_add_f64 v[8:9], v[12:13], v[8:9]
	s_waitcnt vmcnt(0) lgkmcnt(0)
	v_mul_f64 v[38:39], v[4:5], v[34:35]
	v_fmac_f64_e32 v[38:39], v[6:7], v[32:33]
	v_add_f64 v[44:45], v[36:37], v[38:39]
	ds_read_b128 v[36:39], v2 offset:752
	v_mul_f64 v[6:7], v[6:7], v[34:35]
	v_fma_f64 v[4:5], v[4:5], v[32:33], -v[6:7]
	v_add_f64 v[4:5], v[8:9], v[4:5]
	s_waitcnt lgkmcnt(0)
	v_mul_f64 v[46:47], v[36:37], v[42:43]
	v_fmac_f64_e32 v[46:47], v[38:39], v[40:41]
	v_add_f64 v[52:53], v[44:45], v[46:47]
	ds_read_b128 v[44:47], v2 offset:768
	v_mul_f64 v[6:7], v[38:39], v[42:43]
	v_fma_f64 v[6:7], v[36:37], v[40:41], -v[6:7]
	v_add_f64 v[4:5], v[4:5], v[6:7]
	s_waitcnt lgkmcnt(0)
	;; [unrolled: 8-line block ×25, first 2 shown]
	v_mul_f64 v[6:7], v[232:233], v[236:237]
	v_fma_f64 v[6:7], v[230:231], v[234:235], -v[6:7]
	v_add_f64 v[8:9], v[4:5], v[6:7]
	scratch_load_dwordx4 v[4:7], off, off offset:112
	v_mul_f64 v[238:239], v[230:231], v[236:237]
	v_fmac_f64_e32 v[238:239], v[232:233], v[234:235]
	v_add_f64 v[176:177], v[176:177], v[238:239]
	s_waitcnt vmcnt(0)
	v_add_f64 v[4:5], v[4:5], -v[8:9]
	v_add_f64 v[6:7], v[6:7], -v[176:177]
	scratch_store_dwordx4 off, v[4:7], off offset:112
	s_and_saveexec_b64 s[0:1], vcc
	s_cbranch_execz .LBB35_219
; %bb.218:
	scratch_load_dwordx4 v[6:9], off, s21
	v_mov_b32_e32 v3, v2
	v_mov_b32_e32 v4, v2
	;; [unrolled: 1-line block ×3, first 2 shown]
	scratch_store_dwordx4 off, v[2:5], off offset:96
	s_waitcnt vmcnt(1)
	ds_write_b128 v1, v[6:9]
.LBB35_219:
	s_or_b64 exec, exec, s[0:1]
	s_waitcnt lgkmcnt(0)
	; wave barrier
	ds_read_b128 v[16:19], v2 offset:672
	ds_read_b128 v[12:15], v2 offset:688
	ds_read_b128 v[8:11], v2 offset:704
	ds_read_b128 v[4:7], v2 offset:720
	scratch_load_dwordx4 v[20:23], off, off offset:112
	scratch_load_dwordx4 v[40:43], off, off offset:176
	;; [unrolled: 1-line block ×24, first 2 shown]
	v_cmp_lt_u32_e32 vcc, 4, v0
	scratch_load_dwordx4 v[48:51], off, off offset:192
	scratch_load_dwordx4 v[56:59], off, off offset:208
	;; [unrolled: 1-line block ×3, first 2 shown]
	ds_read_b128 v[248:251], v2 offset:1136
	s_waitcnt vmcnt(26) lgkmcnt(4)
	v_mul_f64 v[24:25], v[16:17], v[22:23]
	v_fmac_f64_e32 v[24:25], v[18:19], v[20:21]
	v_add_f64 v[28:29], v[24:25], 0
	scratch_load_dwordx4 v[24:27], off, off offset:128
	s_waitcnt vmcnt(0) lgkmcnt(3)
	v_mul_f64 v[30:31], v[12:13], v[26:27]
	v_fmac_f64_e32 v[30:31], v[14:15], v[24:25]
	v_add_f64 v[32:33], v[28:29], v[30:31]
	scratch_load_dwordx4 v[28:31], off, off offset:144
	v_mul_f64 v[14:15], v[14:15], v[26:27]
	v_fma_f64 v[12:13], v[12:13], v[24:25], -v[14:15]
	s_waitcnt vmcnt(0) lgkmcnt(2)
	v_mul_f64 v[34:35], v[8:9], v[30:31]
	v_fmac_f64_e32 v[34:35], v[10:11], v[28:29]
	v_add_f64 v[36:37], v[32:33], v[34:35]
	scratch_load_dwordx4 v[32:35], off, off offset:160
	v_mul_f64 v[10:11], v[10:11], v[30:31]
	v_fma_f64 v[8:9], v[8:9], v[28:29], -v[10:11]
	s_waitcnt vmcnt(0) lgkmcnt(1)
	v_mul_f64 v[38:39], v[4:5], v[34:35]
	v_fmac_f64_e32 v[38:39], v[6:7], v[32:33]
	v_add_f64 v[44:45], v[36:37], v[38:39]
	ds_read_b128 v[36:39], v2 offset:736
	v_mul_f64 v[6:7], v[6:7], v[34:35]
	v_fma_f64 v[4:5], v[4:5], v[32:33], -v[6:7]
	s_waitcnt lgkmcnt(0)
	v_mul_f64 v[46:47], v[36:37], v[42:43]
	v_fmac_f64_e32 v[46:47], v[38:39], v[40:41]
	v_add_f64 v[52:53], v[44:45], v[46:47]
	ds_read_b128 v[44:47], v2 offset:752
	s_waitcnt lgkmcnt(0)
	v_mul_f64 v[54:55], v[44:45], v[50:51]
	v_fmac_f64_e32 v[54:55], v[46:47], v[48:49]
	v_add_f64 v[60:61], v[52:53], v[54:55]
	ds_read_b128 v[52:55], v2 offset:768
	;; [unrolled: 5-line block ×24, first 2 shown]
	v_mul_f64 v[2:3], v[248:249], v[254:255]
	v_fmac_f64_e32 v[2:3], v[250:251], v[252:253]
	s_waitcnt lgkmcnt(0)
	v_mul_f64 v[238:239], v[230:231], v[236:237]
	v_fmac_f64_e32 v[238:239], v[232:233], v[234:235]
	v_add_f64 v[184:185], v[184:185], v[238:239]
	v_add_f64 v[184:185], v[184:185], v[2:3]
	v_mul_f64 v[2:3], v[18:19], v[22:23]
	v_fma_f64 v[2:3], v[16:17], v[20:21], -v[2:3]
	v_add_f64 v[2:3], v[2:3], 0
	v_add_f64 v[2:3], v[2:3], v[12:13]
	;; [unrolled: 1-line block ×4, first 2 shown]
	v_mul_f64 v[4:5], v[38:39], v[42:43]
	v_fma_f64 v[4:5], v[36:37], v[40:41], -v[4:5]
	v_add_f64 v[2:3], v[2:3], v[4:5]
	v_mul_f64 v[4:5], v[46:47], v[50:51]
	v_fma_f64 v[4:5], v[44:45], v[48:49], -v[4:5]
	v_add_f64 v[2:3], v[2:3], v[4:5]
	;; [unrolled: 3-line block ×26, first 2 shown]
	scratch_load_dwordx4 v[2:5], off, off offset:96
	s_waitcnt vmcnt(0)
	v_add_f64 v[2:3], v[2:3], -v[6:7]
	v_add_f64 v[4:5], v[4:5], -v[184:185]
	scratch_store_dwordx4 off, v[2:5], off offset:96
	s_and_saveexec_b64 s[0:1], vcc
	s_cbranch_execz .LBB35_221
; %bb.220:
	scratch_load_dwordx4 v[2:5], off, s14
	v_mov_b32_e32 v6, 0
	v_mov_b32_e32 v7, v6
	;; [unrolled: 1-line block ×4, first 2 shown]
	scratch_store_dwordx4 off, v[6:9], off offset:80
	s_waitcnt vmcnt(1)
	ds_write_b128 v1, v[2:5]
.LBB35_221:
	s_or_b64 exec, exec, s[0:1]
	s_waitcnt lgkmcnt(0)
	; wave barrier
	scratch_load_dwordx4 v[16:19], off, off offset:96
	scratch_load_dwordx4 v[12:15], off, off offset:112
	scratch_load_dwordx4 v[8:11], off, off offset:128
	scratch_load_dwordx4 v[4:7], off, off offset:144
	scratch_load_dwordx4 v[20:23], off, off offset:160
	scratch_load_dwordx4 v[24:27], off, off offset:176
	scratch_load_dwordx4 v[28:31], off, off offset:192
	scratch_load_dwordx4 v[32:35], off, off offset:208
	scratch_load_dwordx4 v[36:39], off, off offset:224
	scratch_load_dwordx4 v[40:43], off, off offset:240
	scratch_load_dwordx4 v[44:47], off, off offset:256
	scratch_load_dwordx4 v[48:51], off, off offset:272
	scratch_load_dwordx4 v[52:55], off, off offset:288
	scratch_load_dwordx4 v[56:59], off, off offset:304
	scratch_load_dwordx4 v[60:63], off, off offset:320
	scratch_load_dwordx4 v[64:67], off, off offset:336
	scratch_load_dwordx4 v[68:71], off, off offset:352
	scratch_load_dwordx4 v[72:75], off, off offset:368
	scratch_load_dwordx4 v[76:79], off, off offset:384
	scratch_load_dwordx4 v[80:83], off, off offset:400
	scratch_load_dwordx4 v[84:87], off, off offset:416
	scratch_load_dwordx4 v[88:91], off, off offset:432
	scratch_load_dwordx4 v[92:95], off, off offset:448
	scratch_load_dwordx4 v[96:99], off, off offset:464
	scratch_load_dwordx4 v[100:103], off, off offset:480
	scratch_load_dwordx4 v[104:107], off, off offset:496
	scratch_load_dwordx4 v[108:111], off, off offset:512
	scratch_load_dwordx4 v[112:115], off, off offset:528
	scratch_load_dwordx4 v[116:119], off, off offset:544
	scratch_load_dwordx4 v[120:123], off, off offset:560
	scratch_load_dwordx4 v[124:127], off, off offset:576
	scratch_load_dwordx4 v[128:131], off, off offset:80
	v_mov_b32_e32 v2, 0
	ds_read_b128 v[132:135], v2 offset:656
	ds_read_b128 v[136:139], v2 offset:672
	;; [unrolled: 1-line block ×17, first 2 shown]
	v_cmp_lt_u32_e32 vcc, 3, v0
	s_waitcnt vmcnt(31) lgkmcnt(14)
	v_mul_f64 v[200:201], v[132:133], v[18:19]
	s_waitcnt vmcnt(30)
	v_mul_f64 v[202:203], v[136:137], v[14:15]
	v_fmac_f64_e32 v[200:201], v[134:135], v[16:17]
	s_waitcnt vmcnt(29)
	v_mul_f64 v[204:205], v[140:141], v[10:11]
	v_fmac_f64_e32 v[202:203], v[138:139], v[12:13]
	v_add_f64 v[200:201], v[200:201], 0
	s_waitcnt vmcnt(28) lgkmcnt(13)
	v_mul_f64 v[206:207], v[144:145], v[6:7]
	v_fmac_f64_e32 v[204:205], v[142:143], v[8:9]
	v_add_f64 v[200:201], v[200:201], v[202:203]
	s_waitcnt vmcnt(27) lgkmcnt(12)
	;; [unrolled: 4-line block ×12, first 2 shown]
	v_mul_f64 v[228:229], v[188:189], v[62:63]
	v_fmac_f64_e32 v[226:227], v[186:187], v[56:57]
	v_add_f64 v[200:201], v[200:201], v[224:225]
	v_fmac_f64_e32 v[228:229], v[190:191], v[60:61]
	v_add_f64 v[200:201], v[200:201], v[226:227]
	s_waitcnt vmcnt(16) lgkmcnt(1)
	v_mul_f64 v[202:203], v[192:193], v[66:67]
	v_add_f64 v[200:201], v[200:201], v[228:229]
	v_fmac_f64_e32 v[202:203], v[194:195], v[64:65]
	s_waitcnt vmcnt(15) lgkmcnt(0)
	v_mul_f64 v[206:207], v[196:197], v[70:71]
	v_add_f64 v[204:205], v[200:201], v[202:203]
	ds_read_b128 v[200:203], v2 offset:928
	v_fmac_f64_e32 v[206:207], v[198:199], v[68:69]
	v_add_f64 v[208:209], v[204:205], v[206:207]
	ds_read_b128 v[204:207], v2 offset:944
	v_mul_f64 v[18:19], v[134:135], v[18:19]
	s_waitcnt vmcnt(14) lgkmcnt(1)
	v_mul_f64 v[210:211], v[200:201], v[74:75]
	v_fmac_f64_e32 v[210:211], v[202:203], v[72:73]
	v_add_f64 v[212:213], v[208:209], v[210:211]
	s_waitcnt vmcnt(13) lgkmcnt(0)
	v_mul_f64 v[214:215], v[204:205], v[78:79]
	ds_read_b128 v[208:211], v2 offset:960
	v_fmac_f64_e32 v[214:215], v[206:207], v[76:77]
	v_add_f64 v[216:217], v[212:213], v[214:215]
	ds_read_b128 v[212:215], v2 offset:976
	v_fma_f64 v[250:251], v[132:133], v[16:17], -v[18:19]
	s_waitcnt vmcnt(12) lgkmcnt(1)
	v_mul_f64 v[218:219], v[208:209], v[82:83]
	v_fmac_f64_e32 v[218:219], v[210:211], v[80:81]
	v_add_f64 v[220:221], v[216:217], v[218:219]
	s_waitcnt vmcnt(11) lgkmcnt(0)
	v_mul_f64 v[222:223], v[212:213], v[86:87]
	ds_read_b128 v[216:219], v2 offset:992
	v_fmac_f64_e32 v[222:223], v[214:215], v[84:85]
	v_add_f64 v[224:225], v[220:221], v[222:223]
	ds_read_b128 v[220:223], v2 offset:1008
	ds_read_b128 v[16:19], v2 offset:1088
	s_waitcnt vmcnt(10) lgkmcnt(2)
	v_mul_f64 v[226:227], v[216:217], v[90:91]
	v_fmac_f64_e32 v[226:227], v[218:219], v[88:89]
	v_add_f64 v[228:229], v[224:225], v[226:227]
	s_waitcnt vmcnt(9) lgkmcnt(1)
	v_mul_f64 v[230:231], v[220:221], v[94:95]
	ds_read_b128 v[224:227], v2 offset:1024
	v_fmac_f64_e32 v[230:231], v[222:223], v[92:93]
	v_add_f64 v[232:233], v[228:229], v[230:231]
	ds_read_b128 v[228:231], v2 offset:1040
	v_mul_f64 v[14:15], v[138:139], v[14:15]
	s_waitcnt vmcnt(8) lgkmcnt(1)
	v_mul_f64 v[234:235], v[224:225], v[98:99]
	v_fmac_f64_e32 v[234:235], v[226:227], v[96:97]
	v_add_f64 v[236:237], v[232:233], v[234:235]
	s_waitcnt vmcnt(7) lgkmcnt(0)
	v_mul_f64 v[238:239], v[228:229], v[102:103]
	ds_read_b128 v[232:235], v2 offset:1056
	v_fmac_f64_e32 v[238:239], v[230:231], v[100:101]
	v_add_f64 v[248:249], v[236:237], v[238:239]
	ds_read_b128 v[236:239], v2 offset:1072
	v_fma_f64 v[136:137], v[136:137], v[12:13], -v[14:15]
	s_waitcnt vmcnt(6) lgkmcnt(1)
	v_mul_f64 v[132:133], v[232:233], v[106:107]
	v_fmac_f64_e32 v[132:133], v[234:235], v[104:105]
	v_add_f64 v[132:133], v[248:249], v[132:133]
	s_waitcnt vmcnt(5) lgkmcnt(0)
	v_mul_f64 v[134:135], v[236:237], v[110:111]
	v_fmac_f64_e32 v[134:135], v[238:239], v[108:109]
	v_add_f64 v[132:133], v[132:133], v[134:135]
	ds_read_b128 v[12:15], v2 offset:1104
	s_waitcnt vmcnt(4)
	v_mul_f64 v[134:135], v[16:17], v[114:115]
	v_fmac_f64_e32 v[134:135], v[18:19], v[112:113]
	v_add_f64 v[138:139], v[132:133], v[134:135]
	ds_read_b128 v[132:135], v2 offset:1120
	v_mul_f64 v[10:11], v[142:143], v[10:11]
	v_fma_f64 v[140:141], v[140:141], v[8:9], -v[10:11]
	ds_read_b128 v[8:11], v2 offset:1136
	s_waitcnt vmcnt(3) lgkmcnt(2)
	v_mul_f64 v[142:143], v[12:13], v[118:119]
	v_fmac_f64_e32 v[142:143], v[14:15], v[116:117]
	v_add_f64 v[138:139], v[138:139], v[142:143]
	s_waitcnt vmcnt(2) lgkmcnt(1)
	v_mul_f64 v[142:143], v[132:133], v[122:123]
	v_fmac_f64_e32 v[142:143], v[134:135], v[120:121]
	v_add_f64 v[138:139], v[138:139], v[142:143]
	;; [unrolled: 4-line block ×3, first 2 shown]
	v_add_f64 v[142:143], v[250:251], 0
	v_add_f64 v[136:137], v[142:143], v[136:137]
	v_mul_f64 v[6:7], v[146:147], v[6:7]
	v_add_f64 v[136:137], v[136:137], v[140:141]
	v_fma_f64 v[4:5], v[144:145], v[4:5], -v[6:7]
	v_mul_f64 v[6:7], v[150:151], v[22:23]
	v_add_f64 v[4:5], v[136:137], v[4:5]
	v_fma_f64 v[6:7], v[148:149], v[20:21], -v[6:7]
	v_add_f64 v[4:5], v[4:5], v[6:7]
	v_mul_f64 v[6:7], v[154:155], v[26:27]
	v_fma_f64 v[6:7], v[152:153], v[24:25], -v[6:7]
	v_add_f64 v[4:5], v[4:5], v[6:7]
	v_mul_f64 v[6:7], v[158:159], v[30:31]
	v_fma_f64 v[6:7], v[156:157], v[28:29], -v[6:7]
	v_add_f64 v[4:5], v[4:5], v[6:7]
	v_mul_f64 v[6:7], v[162:163], v[34:35]
	v_fma_f64 v[6:7], v[160:161], v[32:33], -v[6:7]
	v_add_f64 v[4:5], v[4:5], v[6:7]
	v_mul_f64 v[6:7], v[166:167], v[38:39]
	v_fma_f64 v[6:7], v[164:165], v[36:37], -v[6:7]
	v_add_f64 v[4:5], v[4:5], v[6:7]
	v_mul_f64 v[6:7], v[170:171], v[42:43]
	v_fma_f64 v[6:7], v[168:169], v[40:41], -v[6:7]
	v_add_f64 v[4:5], v[4:5], v[6:7]
	v_mul_f64 v[6:7], v[174:175], v[46:47]
	v_fma_f64 v[6:7], v[172:173], v[44:45], -v[6:7]
	v_add_f64 v[4:5], v[4:5], v[6:7]
	v_mul_f64 v[6:7], v[178:179], v[50:51]
	v_fma_f64 v[6:7], v[176:177], v[48:49], -v[6:7]
	v_add_f64 v[4:5], v[4:5], v[6:7]
	v_mul_f64 v[6:7], v[182:183], v[54:55]
	v_fma_f64 v[6:7], v[180:181], v[52:53], -v[6:7]
	v_add_f64 v[4:5], v[4:5], v[6:7]
	v_mul_f64 v[6:7], v[186:187], v[58:59]
	v_fma_f64 v[6:7], v[184:185], v[56:57], -v[6:7]
	v_add_f64 v[4:5], v[4:5], v[6:7]
	v_mul_f64 v[6:7], v[190:191], v[62:63]
	v_fma_f64 v[6:7], v[188:189], v[60:61], -v[6:7]
	v_add_f64 v[4:5], v[4:5], v[6:7]
	v_mul_f64 v[6:7], v[194:195], v[66:67]
	v_fma_f64 v[6:7], v[192:193], v[64:65], -v[6:7]
	v_add_f64 v[4:5], v[4:5], v[6:7]
	v_mul_f64 v[6:7], v[198:199], v[70:71]
	v_fma_f64 v[6:7], v[196:197], v[68:69], -v[6:7]
	v_add_f64 v[4:5], v[4:5], v[6:7]
	v_mul_f64 v[6:7], v[202:203], v[74:75]
	v_fma_f64 v[6:7], v[200:201], v[72:73], -v[6:7]
	v_add_f64 v[4:5], v[4:5], v[6:7]
	v_mul_f64 v[6:7], v[206:207], v[78:79]
	v_fma_f64 v[6:7], v[204:205], v[76:77], -v[6:7]
	v_add_f64 v[4:5], v[4:5], v[6:7]
	v_mul_f64 v[6:7], v[210:211], v[82:83]
	v_fma_f64 v[6:7], v[208:209], v[80:81], -v[6:7]
	v_add_f64 v[4:5], v[4:5], v[6:7]
	v_mul_f64 v[6:7], v[214:215], v[86:87]
	v_fma_f64 v[6:7], v[212:213], v[84:85], -v[6:7]
	v_add_f64 v[4:5], v[4:5], v[6:7]
	v_mul_f64 v[6:7], v[218:219], v[90:91]
	v_fma_f64 v[6:7], v[216:217], v[88:89], -v[6:7]
	v_add_f64 v[4:5], v[4:5], v[6:7]
	v_mul_f64 v[6:7], v[222:223], v[94:95]
	v_fma_f64 v[6:7], v[220:221], v[92:93], -v[6:7]
	v_add_f64 v[4:5], v[4:5], v[6:7]
	v_mul_f64 v[6:7], v[226:227], v[98:99]
	v_fma_f64 v[6:7], v[224:225], v[96:97], -v[6:7]
	v_add_f64 v[4:5], v[4:5], v[6:7]
	v_mul_f64 v[6:7], v[230:231], v[102:103]
	v_fma_f64 v[6:7], v[228:229], v[100:101], -v[6:7]
	v_add_f64 v[4:5], v[4:5], v[6:7]
	v_mul_f64 v[6:7], v[234:235], v[106:107]
	v_fma_f64 v[6:7], v[232:233], v[104:105], -v[6:7]
	v_add_f64 v[4:5], v[4:5], v[6:7]
	v_mul_f64 v[6:7], v[238:239], v[110:111]
	v_fma_f64 v[6:7], v[236:237], v[108:109], -v[6:7]
	v_add_f64 v[4:5], v[4:5], v[6:7]
	v_mul_f64 v[6:7], v[18:19], v[114:115]
	v_fma_f64 v[6:7], v[16:17], v[112:113], -v[6:7]
	v_add_f64 v[4:5], v[4:5], v[6:7]
	v_mul_f64 v[6:7], v[14:15], v[118:119]
	v_fma_f64 v[6:7], v[12:13], v[116:117], -v[6:7]
	v_add_f64 v[4:5], v[4:5], v[6:7]
	v_mul_f64 v[6:7], v[134:135], v[122:123]
	v_fma_f64 v[6:7], v[132:133], v[120:121], -v[6:7]
	v_add_f64 v[4:5], v[4:5], v[6:7]
	v_mul_f64 v[6:7], v[10:11], v[126:127]
	v_fma_f64 v[6:7], v[8:9], v[124:125], -v[6:7]
	v_add_f64 v[4:5], v[4:5], v[6:7]
	s_waitcnt vmcnt(0)
	v_add_f64 v[4:5], v[128:129], -v[4:5]
	v_add_f64 v[6:7], v[130:131], -v[138:139]
	scratch_store_dwordx4 off, v[4:7], off offset:80
	s_and_saveexec_b64 s[0:1], vcc
	s_cbranch_execz .LBB35_223
; %bb.222:
	scratch_load_dwordx4 v[6:9], off, s13
	v_mov_b32_e32 v3, v2
	v_mov_b32_e32 v4, v2
	;; [unrolled: 1-line block ×3, first 2 shown]
	scratch_store_dwordx4 off, v[2:5], off offset:64
	s_waitcnt vmcnt(1)
	ds_write_b128 v1, v[6:9]
.LBB35_223:
	s_or_b64 exec, exec, s[0:1]
	s_waitcnt lgkmcnt(0)
	; wave barrier
	scratch_load_dwordx4 v[140:143], off, off offset:80
	scratch_load_dwordx4 v[148:151], off, off offset:96
	;; [unrolled: 1-line block ×16, first 2 shown]
	ds_read_b128 v[188:191], v2 offset:640
	ds_read_b128 v[184:187], v2 offset:656
	scratch_load_dwordx4 v[56:59], off, off offset:336
	ds_read_b128 v[192:195], v2 offset:672
	ds_read_b128 v[68:71], v2 offset:688
	scratch_load_dwordx4 v[60:63], off, off offset:352
	ds_read_b128 v[88:91], v2 offset:704
	ds_read_b128 v[84:87], v2 offset:720
	;; [unrolled: 1-line block ×4, first 2 shown]
	scratch_load_dwordx4 v[64:67], off, off offset:368
	ds_read_b128 v[100:103], v2 offset:768
	ds_read_b128 v[96:99], v2 offset:784
	scratch_load_dwordx4 v[72:75], off, off offset:384
	ds_read_b128 v[116:119], v2 offset:800
	ds_read_b128 v[112:115], v2 offset:816
	;; [unrolled: 1-line block ×4, first 2 shown]
	scratch_load_dwordx4 v[92:95], off, off offset:400
	ds_read_b128 v[132:135], v2 offset:864
	ds_read_b128 v[128:131], v2 offset:880
	;; [unrolled: 1-line block ×3, first 2 shown]
	scratch_load_dwordx4 v[120:123], off, off offset:416
	scratch_load_dwordx4 v[136:139], off, off offset:432
	;; [unrolled: 1-line block ×11, first 2 shown]
	v_cmp_lt_u32_e32 vcc, 2, v0
	s_waitcnt vmcnt(31) lgkmcnt(14)
	v_mul_f64 v[200:201], v[188:189], v[142:143]
	s_waitcnt vmcnt(30)
	v_mul_f64 v[202:203], v[184:185], v[150:151]
	v_fmac_f64_e32 v[200:201], v[190:191], v[140:141]
	s_waitcnt vmcnt(29)
	v_mul_f64 v[204:205], v[192:193], v[154:155]
	v_fmac_f64_e32 v[202:203], v[186:187], v[148:149]
	v_add_f64 v[200:201], v[200:201], 0
	s_waitcnt vmcnt(28) lgkmcnt(13)
	v_mul_f64 v[206:207], v[68:69], v[6:7]
	v_fmac_f64_e32 v[204:205], v[194:195], v[152:153]
	v_add_f64 v[200:201], v[200:201], v[202:203]
	s_waitcnt vmcnt(27) lgkmcnt(12)
	;; [unrolled: 4-line block ×13, first 2 shown]
	v_mul_f64 v[230:231], v[128:129], v[54:55]
	v_fmac_f64_e32 v[228:229], v[134:135], v[48:49]
	v_add_f64 v[200:201], v[200:201], v[226:227]
	v_add_f64 v[200:201], v[200:201], v[228:229]
	v_fmac_f64_e32 v[230:231], v[130:131], v[52:53]
	v_add_f64 v[204:205], v[200:201], v[230:231]
	ds_read_b128 v[200:203], v2 offset:912
	s_waitcnt vmcnt(15) lgkmcnt(1)
	v_mul_f64 v[206:207], v[124:125], v[58:59]
	v_fmac_f64_e32 v[206:207], v[126:127], v[56:57]
	v_add_f64 v[208:209], v[204:205], v[206:207]
	ds_read_b128 v[204:207], v2 offset:928
	s_waitcnt vmcnt(14) lgkmcnt(1)
	v_mul_f64 v[210:211], v[200:201], v[62:63]
	;; [unrolled: 5-line block ×10, first 2 shown]
	v_fmac_f64_e32 v[250:251], v[234:235], v[160:161]
	v_mul_f64 v[142:143], v[190:191], v[142:143]
	v_add_f64 v[250:251], v[248:249], v[250:251]
	v_fma_f64 v[248:249], v[188:189], v[140:141], -v[142:143]
	ds_read_b128 v[140:143], v2 offset:1072
	s_waitcnt vmcnt(5) lgkmcnt(1)
	v_mul_f64 v[188:189], v[236:237], v[166:167]
	v_fmac_f64_e32 v[188:189], v[238:239], v[164:165]
	v_mul_f64 v[150:151], v[186:187], v[150:151]
	v_add_f64 v[188:189], v[250:251], v[188:189]
	v_fma_f64 v[250:251], v[184:185], v[148:149], -v[150:151]
	ds_read_b128 v[148:151], v2 offset:1088
	s_waitcnt vmcnt(4) lgkmcnt(1)
	v_mul_f64 v[184:185], v[140:141], v[170:171]
	v_fmac_f64_e32 v[184:185], v[142:143], v[168:169]
	v_add_f64 v[188:189], v[188:189], v[184:185]
	ds_read_b128 v[184:187], v2 offset:1104
	v_mul_f64 v[154:155], v[194:195], v[154:155]
	s_waitcnt vmcnt(3) lgkmcnt(1)
	v_mul_f64 v[190:191], v[148:149], v[174:175]
	v_fma_f64 v[254:255], v[192:193], v[152:153], -v[154:155]
	ds_read_b128 v[152:155], v2 offset:1120
	v_fmac_f64_e32 v[190:191], v[150:151], v[172:173]
	v_add_f64 v[252:253], v[188:189], v[190:191]
	ds_read_b128 v[188:191], v2 offset:1136
	s_waitcnt vmcnt(2) lgkmcnt(2)
	v_mul_f64 v[192:193], v[184:185], v[178:179]
	v_fmac_f64_e32 v[192:193], v[186:187], v[176:177]
	v_add_f64 v[2:3], v[252:253], v[192:193]
	s_waitcnt vmcnt(1) lgkmcnt(1)
	v_mul_f64 v[192:193], v[152:153], v[182:183]
	v_fmac_f64_e32 v[192:193], v[154:155], v[180:181]
	v_add_f64 v[2:3], v[2:3], v[192:193]
	;; [unrolled: 4-line block ×3, first 2 shown]
	scratch_load_dwordx4 v[192:195], off, off offset:64
	v_add_f64 v[248:249], v[248:249], 0
	v_add_f64 v[248:249], v[248:249], v[250:251]
	v_mul_f64 v[6:7], v[70:71], v[6:7]
	v_add_f64 v[248:249], v[248:249], v[254:255]
	v_fma_f64 v[4:5], v[68:69], v[4:5], -v[6:7]
	v_mul_f64 v[6:7], v[90:91], v[10:11]
	v_add_f64 v[4:5], v[248:249], v[4:5]
	v_fma_f64 v[6:7], v[88:89], v[8:9], -v[6:7]
	v_add_f64 v[4:5], v[4:5], v[6:7]
	v_mul_f64 v[6:7], v[86:87], v[14:15]
	v_fma_f64 v[6:7], v[84:85], v[12:13], -v[6:7]
	v_add_f64 v[4:5], v[4:5], v[6:7]
	v_mul_f64 v[6:7], v[82:83], v[18:19]
	;; [unrolled: 3-line block ×27, first 2 shown]
	v_fma_f64 v[6:7], v[188:189], v[196:197], -v[6:7]
	v_add_f64 v[4:5], v[4:5], v[6:7]
	s_waitcnt vmcnt(0)
	v_add_f64 v[4:5], v[192:193], -v[4:5]
	v_add_f64 v[6:7], v[194:195], -v[2:3]
	scratch_store_dwordx4 off, v[4:7], off offset:64
	s_and_saveexec_b64 s[0:1], vcc
	s_cbranch_execz .LBB35_225
; %bb.224:
	scratch_load_dwordx4 v[2:5], off, s12
	v_mov_b32_e32 v6, 0
	v_mov_b32_e32 v7, v6
	;; [unrolled: 1-line block ×4, first 2 shown]
	scratch_store_dwordx4 off, v[6:9], off offset:48
	s_waitcnt vmcnt(1)
	ds_write_b128 v1, v[2:5]
.LBB35_225:
	s_or_b64 exec, exec, s[0:1]
	s_waitcnt lgkmcnt(0)
	; wave barrier
	scratch_load_dwordx4 v[108:111], off, off offset:64
	scratch_load_dwordx4 v[116:119], off, off offset:80
	;; [unrolled: 1-line block ×33, first 2 shown]
	v_mov_b32_e32 v2, 0
	ds_read_b128 v[220:223], v2 offset:624
	ds_read_b128 v[224:227], v2 offset:640
	;; [unrolled: 1-line block ×16, first 2 shown]
	v_cmp_lt_u32_e32 vcc, 1, v0
	s_waitcnt vmcnt(32) lgkmcnt(14)
	v_mul_f64 v[180:181], v[220:221], v[110:111]
	s_waitcnt vmcnt(31)
	v_mul_f64 v[182:183], v[224:225], v[118:119]
	v_fmac_f64_e32 v[180:181], v[222:223], v[108:109]
	s_waitcnt vmcnt(30) lgkmcnt(13)
	v_mul_f64 v[184:185], v[234:235], v[122:123]
	v_fmac_f64_e32 v[182:183], v[226:227], v[116:117]
	v_add_f64 v[180:181], v[180:181], 0
	s_waitcnt vmcnt(29) lgkmcnt(12)
	v_mul_f64 v[186:187], v[248:249], v[126:127]
	v_fmac_f64_e32 v[184:185], v[236:237], v[120:121]
	v_add_f64 v[180:181], v[180:181], v[182:183]
	;; [unrolled: 4-line block ×13, first 2 shown]
	v_fmac_f64_e32 v[208:209], v[142:143], v[40:41]
	v_add_f64 v[180:181], v[180:181], v[206:207]
	v_add_f64 v[184:185], v[180:181], v[208:209]
	ds_read_b128 v[180:183], v2 offset:880
	s_waitcnt vmcnt(17) lgkmcnt(1)
	v_mul_f64 v[186:187], v[136:137], v[46:47]
	v_fmac_f64_e32 v[186:187], v[138:139], v[44:45]
	v_add_f64 v[188:189], v[184:185], v[186:187]
	ds_read_b128 v[184:187], v2 offset:896
	s_waitcnt vmcnt(16) lgkmcnt(1)
	v_mul_f64 v[190:191], v[180:181], v[50:51]
	v_fmac_f64_e32 v[190:191], v[182:183], v[48:49]
	;; [unrolled: 5-line block ×10, first 2 shown]
	v_mul_f64 v[110:111], v[222:223], v[110:111]
	v_add_f64 v[228:229], v[228:229], v[230:231]
	v_fma_f64 v[230:231], v[220:221], v[108:109], -v[110:111]
	ds_read_b128 v[108:111], v2 offset:1040
	s_waitcnt vmcnt(7) lgkmcnt(1)
	v_mul_f64 v[220:221], v[216:217], v[86:87]
	v_mul_f64 v[118:119], v[226:227], v[118:119]
	v_fmac_f64_e32 v[220:221], v[218:219], v[84:85]
	v_fma_f64 v[232:233], v[224:225], v[116:117], -v[118:119]
	ds_read_b128 v[116:119], v2 offset:1056
	s_waitcnt vmcnt(6) lgkmcnt(1)
	v_mul_f64 v[222:223], v[108:109], v[90:91]
	v_add_f64 v[220:221], v[228:229], v[220:221]
	v_fmac_f64_e32 v[222:223], v[110:111], v[88:89]
	v_add_f64 v[224:225], v[220:221], v[222:223]
	ds_read_b128 v[220:223], v2 offset:1072
	v_mul_f64 v[122:123], v[236:237], v[122:123]
	v_fma_f64 v[234:235], v[234:235], v[120:121], -v[122:123]
	ds_read_b128 v[120:123], v2 offset:1088
	s_waitcnt vmcnt(5) lgkmcnt(2)
	v_mul_f64 v[226:227], v[116:117], v[94:95]
	v_fmac_f64_e32 v[226:227], v[118:119], v[92:93]
	v_mul_f64 v[126:127], v[250:251], v[126:127]
	v_add_f64 v[224:225], v[224:225], v[226:227]
	s_waitcnt vmcnt(4) lgkmcnt(1)
	v_mul_f64 v[226:227], v[220:221], v[98:99]
	v_fma_f64 v[236:237], v[248:249], v[124:125], -v[126:127]
	ds_read_b128 v[124:127], v2 offset:1104
	v_fmac_f64_e32 v[226:227], v[222:223], v[96:97]
	v_add_f64 v[228:229], v[224:225], v[226:227]
	s_waitcnt vmcnt(3) lgkmcnt(1)
	v_mul_f64 v[238:239], v[120:121], v[102:103]
	ds_read_b128 v[224:227], v2 offset:1120
	v_fmac_f64_e32 v[238:239], v[122:123], v[100:101]
	v_mul_f64 v[130:131], v[254:255], v[130:131]
	v_add_f64 v[228:229], v[228:229], v[238:239]
	v_fma_f64 v[238:239], v[252:253], v[128:129], -v[130:131]
	ds_read_b128 v[128:131], v2 offset:1136
	s_waitcnt vmcnt(2) lgkmcnt(2)
	v_mul_f64 v[248:249], v[124:125], v[106:107]
	v_fmac_f64_e32 v[248:249], v[126:127], v[104:105]
	v_add_f64 v[228:229], v[228:229], v[248:249]
	s_waitcnt vmcnt(1) lgkmcnt(1)
	v_mul_f64 v[248:249], v[224:225], v[114:115]
	v_fmac_f64_e32 v[248:249], v[226:227], v[112:113]
	v_add_f64 v[228:229], v[228:229], v[248:249]
	;; [unrolled: 4-line block ×3, first 2 shown]
	scratch_load_dwordx4 v[248:251], off, off offset:48
	v_add_f64 v[230:231], v[230:231], 0
	v_add_f64 v[230:231], v[230:231], v[232:233]
	v_add_f64 v[230:231], v[230:231], v[234:235]
	v_add_f64 v[230:231], v[230:231], v[236:237]
	v_mul_f64 v[6:7], v[178:179], v[6:7]
	v_add_f64 v[230:231], v[230:231], v[238:239]
	v_fma_f64 v[4:5], v[176:177], v[4:5], -v[6:7]
	v_mul_f64 v[6:7], v[174:175], v[10:11]
	v_add_f64 v[4:5], v[230:231], v[4:5]
	v_fma_f64 v[6:7], v[172:173], v[8:9], -v[6:7]
	v_add_f64 v[4:5], v[4:5], v[6:7]
	v_mul_f64 v[6:7], v[170:171], v[14:15]
	v_fma_f64 v[6:7], v[168:169], v[12:13], -v[6:7]
	v_add_f64 v[4:5], v[4:5], v[6:7]
	v_mul_f64 v[6:7], v[166:167], v[18:19]
	;; [unrolled: 3-line block ×26, first 2 shown]
	v_fma_f64 v[6:7], v[128:129], v[132:133], -v[6:7]
	v_add_f64 v[4:5], v[4:5], v[6:7]
	s_waitcnt vmcnt(0)
	v_add_f64 v[4:5], v[248:249], -v[4:5]
	v_add_f64 v[6:7], v[250:251], -v[228:229]
	scratch_store_dwordx4 off, v[4:7], off offset:48
	s_and_saveexec_b64 s[0:1], vcc
	s_cbranch_execz .LBB35_227
; %bb.226:
	scratch_load_dwordx4 v[6:9], off, s20
	v_mov_b32_e32 v3, v2
	v_mov_b32_e32 v4, v2
	;; [unrolled: 1-line block ×3, first 2 shown]
	scratch_store_dwordx4 off, v[2:5], off offset:32
	s_waitcnt vmcnt(1)
	ds_write_b128 v1, v[6:9]
.LBB35_227:
	s_or_b64 exec, exec, s[0:1]
	s_waitcnt lgkmcnt(0)
	; wave barrier
	scratch_load_dwordx4 v[144:147], off, off offset:48
	scratch_load_dwordx4 v[152:155], off, off offset:64
	;; [unrolled: 1-line block ×16, first 2 shown]
	ds_read_b128 v[196:199], v2 offset:608
	ds_read_b128 v[188:191], v2 offset:624
	ds_read_b128 v[180:183], v2 offset:640
	scratch_load_dwordx4 v[48:51], off, off offset:304
	ds_read_b128 v[192:195], v2 offset:656
	ds_read_b128 v[184:187], v2 offset:672
	ds_read_b128 v[64:67], v2 offset:688
	scratch_load_dwordx4 v[52:55], off, off offset:320
	;; [unrolled: 4-line block ×5, first 2 shown]
	ds_read_b128 v[116:119], v2 offset:848
	ds_read_b128 v[112:115], v2 offset:864
	scratch_load_dwordx4 v[108:111], off, off offset:384
	scratch_load_dwordx4 v[120:123], off, off offset:400
	;; [unrolled: 1-line block ×12, first 2 shown]
	v_cmp_ne_u32_e32 vcc, 0, v0
	s_waitcnt vmcnt(32) lgkmcnt(14)
	v_mul_f64 v[204:205], v[196:197], v[146:147]
	s_waitcnt vmcnt(31)
	v_mul_f64 v[206:207], v[188:189], v[154:155]
	v_fmac_f64_e32 v[204:205], v[198:199], v[144:145]
	s_waitcnt vmcnt(30)
	v_mul_f64 v[208:209], v[180:181], v[158:159]
	v_fmac_f64_e32 v[206:207], v[190:191], v[152:153]
	v_add_f64 v[204:205], v[204:205], 0
	s_waitcnt vmcnt(29) lgkmcnt(13)
	v_mul_f64 v[210:211], v[192:193], v[162:163]
	v_fmac_f64_e32 v[208:209], v[182:183], v[156:157]
	v_add_f64 v[204:205], v[204:205], v[206:207]
	s_waitcnt vmcnt(28) lgkmcnt(12)
	;; [unrolled: 4-line block ×12, first 2 shown]
	v_mul_f64 v[232:233], v[96:97], v[42:43]
	v_fmac_f64_e32 v[230:231], v[102:103], v[36:37]
	v_add_f64 v[204:205], v[204:205], v[228:229]
	v_fmac_f64_e32 v[232:233], v[98:99], v[40:41]
	v_add_f64 v[204:205], v[204:205], v[230:231]
	s_waitcnt vmcnt(17) lgkmcnt(1)
	v_mul_f64 v[206:207], v[116:117], v[46:47]
	v_add_f64 v[204:205], v[204:205], v[232:233]
	v_fmac_f64_e32 v[206:207], v[118:119], v[44:45]
	s_waitcnt vmcnt(16) lgkmcnt(0)
	v_mul_f64 v[210:211], v[112:113], v[50:51]
	v_add_f64 v[208:209], v[204:205], v[206:207]
	ds_read_b128 v[204:207], v2 offset:880
	v_fmac_f64_e32 v[210:211], v[114:115], v[48:49]
	v_add_f64 v[212:213], v[208:209], v[210:211]
	ds_read_b128 v[208:211], v2 offset:896
	v_mul_f64 v[146:147], v[198:199], v[146:147]
	s_waitcnt vmcnt(15) lgkmcnt(1)
	v_mul_f64 v[214:215], v[204:205], v[54:55]
	v_fmac_f64_e32 v[214:215], v[206:207], v[52:53]
	v_add_f64 v[216:217], v[212:213], v[214:215]
	s_waitcnt vmcnt(14) lgkmcnt(0)
	v_mul_f64 v[218:219], v[208:209], v[58:59]
	ds_read_b128 v[212:215], v2 offset:912
	v_fmac_f64_e32 v[218:219], v[210:211], v[56:57]
	v_add_f64 v[220:221], v[216:217], v[218:219]
	ds_read_b128 v[216:219], v2 offset:928
	v_mul_f64 v[154:155], v[190:191], v[154:155]
	s_waitcnt vmcnt(13) lgkmcnt(1)
	v_mul_f64 v[222:223], v[212:213], v[62:63]
	v_fmac_f64_e32 v[222:223], v[214:215], v[60:61]
	v_add_f64 v[224:225], v[220:221], v[222:223]
	s_waitcnt vmcnt(12) lgkmcnt(0)
	v_mul_f64 v[226:227], v[216:217], v[94:95]
	ds_read_b128 v[220:223], v2 offset:944
	v_fmac_f64_e32 v[226:227], v[218:219], v[92:93]
	v_add_f64 v[228:229], v[224:225], v[226:227]
	ds_read_b128 v[224:227], v2 offset:960
	v_fma_f64 v[252:253], v[188:189], v[152:153], -v[154:155]
	s_waitcnt vmcnt(11) lgkmcnt(1)
	v_mul_f64 v[230:231], v[220:221], v[110:111]
	v_fmac_f64_e32 v[230:231], v[222:223], v[108:109]
	v_add_f64 v[232:233], v[228:229], v[230:231]
	s_waitcnt vmcnt(10) lgkmcnt(0)
	v_mul_f64 v[234:235], v[224:225], v[122:123]
	ds_read_b128 v[228:231], v2 offset:976
	v_fmac_f64_e32 v[234:235], v[226:227], v[120:121]
	v_add_f64 v[236:237], v[232:233], v[234:235]
	ds_read_b128 v[232:235], v2 offset:992
	ds_read_b128 v[152:155], v2 offset:1040
	s_waitcnt vmcnt(9) lgkmcnt(2)
	v_mul_f64 v[238:239], v[228:229], v[126:127]
	v_fmac_f64_e32 v[238:239], v[230:231], v[124:125]
	v_add_f64 v[248:249], v[236:237], v[238:239]
	s_waitcnt vmcnt(8) lgkmcnt(1)
	v_mul_f64 v[250:251], v[232:233], v[130:131]
	ds_read_b128 v[236:239], v2 offset:1008
	v_fmac_f64_e32 v[250:251], v[234:235], v[128:129]
	v_add_f64 v[248:249], v[248:249], v[250:251]
	v_fma_f64 v[250:251], v[196:197], v[144:145], -v[146:147]
	ds_read_b128 v[144:147], v2 offset:1024
	s_waitcnt vmcnt(7) lgkmcnt(1)
	v_mul_f64 v[196:197], v[236:237], v[134:135]
	v_fmac_f64_e32 v[196:197], v[238:239], v[132:133]
	v_add_f64 v[188:189], v[248:249], v[196:197]
	v_mul_f64 v[158:159], v[182:183], v[158:159]
	s_waitcnt vmcnt(6) lgkmcnt(0)
	v_mul_f64 v[190:191], v[144:145], v[138:139]
	v_fmac_f64_e32 v[190:191], v[146:147], v[136:137]
	v_add_f64 v[196:197], v[188:189], v[190:191]
	ds_read_b128 v[188:191], v2 offset:1056
	v_fma_f64 v[248:249], v[180:181], v[156:157], -v[158:159]
	ds_read_b128 v[156:159], v2 offset:1072
	s_waitcnt vmcnt(5)
	v_mul_f64 v[198:199], v[152:153], v[142:143]
	v_fmac_f64_e32 v[198:199], v[154:155], v[140:141]
	s_waitcnt vmcnt(4) lgkmcnt(1)
	v_mul_f64 v[180:181], v[188:189], v[150:151]
	v_add_f64 v[196:197], v[196:197], v[198:199]
	v_fmac_f64_e32 v[180:181], v[190:191], v[148:149]
	v_mul_f64 v[162:163], v[194:195], v[162:163]
	v_add_f64 v[198:199], v[196:197], v[180:181]
	v_fma_f64 v[196:197], v[192:193], v[160:161], -v[162:163]
	ds_read_b128 v[160:163], v2 offset:1088
	s_waitcnt vmcnt(3) lgkmcnt(1)
	v_mul_f64 v[192:193], v[156:157], v[166:167]
	ds_read_b128 v[180:183], v2 offset:1104
	v_fmac_f64_e32 v[192:193], v[158:159], v[164:165]
	v_mul_f64 v[170:171], v[186:187], v[170:171]
	v_add_f64 v[192:193], v[198:199], v[192:193]
	v_fma_f64 v[198:199], v[184:185], v[168:169], -v[170:171]
	ds_read_b128 v[168:171], v2 offset:1120
	s_waitcnt vmcnt(2) lgkmcnt(2)
	v_mul_f64 v[184:185], v[160:161], v[174:175]
	v_fmac_f64_e32 v[184:185], v[162:163], v[172:173]
	s_waitcnt vmcnt(1) lgkmcnt(1)
	v_mul_f64 v[186:187], v[180:181], v[178:179]
	v_add_f64 v[184:185], v[192:193], v[184:185]
	v_fmac_f64_e32 v[186:187], v[182:183], v[176:177]
	v_add_f64 v[184:185], v[184:185], v[186:187]
	s_waitcnt vmcnt(0) lgkmcnt(0)
	v_mul_f64 v[186:187], v[168:169], v[202:203]
	v_fmac_f64_e32 v[186:187], v[170:171], v[200:201]
	v_add_f64 v[254:255], v[184:185], v[186:187]
	scratch_load_dwordx4 v[184:187], off, off offset:576
	v_add_f64 v[250:251], v[250:251], 0
	v_add_f64 v[250:251], v[250:251], v[252:253]
	;; [unrolled: 1-line block ×3, first 2 shown]
	scratch_load_dwordx4 v[250:253], off, off offset:32
	v_add_f64 v[196:197], v[248:249], v[196:197]
	v_mul_f64 v[6:7], v[66:67], v[6:7]
	v_add_f64 v[196:197], v[196:197], v[198:199]
	v_fma_f64 v[4:5], v[64:65], v[4:5], -v[6:7]
	v_mul_f64 v[6:7], v[78:79], v[10:11]
	v_add_f64 v[4:5], v[196:197], v[4:5]
	v_fma_f64 v[6:7], v[76:77], v[8:9], -v[6:7]
	v_add_f64 v[4:5], v[4:5], v[6:7]
	v_mul_f64 v[6:7], v[74:75], v[14:15]
	v_fma_f64 v[6:7], v[72:73], v[12:13], -v[6:7]
	v_add_f64 v[4:5], v[4:5], v[6:7]
	v_mul_f64 v[6:7], v[70:71], v[18:19]
	;; [unrolled: 3-line block ×24, first 2 shown]
	ds_read_b128 v[192:195], v2 offset:1136
	v_fma_f64 v[6:7], v[160:161], v[172:173], -v[6:7]
	v_add_f64 v[4:5], v[4:5], v[6:7]
	v_mul_f64 v[6:7], v[182:183], v[178:179]
	v_fma_f64 v[6:7], v[180:181], v[176:177], -v[6:7]
	v_add_f64 v[4:5], v[4:5], v[6:7]
	v_mul_f64 v[6:7], v[170:171], v[202:203]
	v_fma_f64 v[6:7], v[168:169], v[200:201], -v[6:7]
	s_waitcnt vmcnt(1) lgkmcnt(0)
	v_mul_f64 v[2:3], v[192:193], v[186:187]
	v_add_f64 v[4:5], v[4:5], v[6:7]
	v_mul_f64 v[6:7], v[194:195], v[186:187]
	v_fmac_f64_e32 v[2:3], v[194:195], v[184:185]
	v_fma_f64 v[6:7], v[192:193], v[184:185], -v[6:7]
	v_add_f64 v[2:3], v[254:255], v[2:3]
	v_add_f64 v[4:5], v[4:5], v[6:7]
	s_waitcnt vmcnt(0)
	v_add_f64 v[4:5], v[250:251], -v[4:5]
	v_add_f64 v[6:7], v[252:253], -v[2:3]
	scratch_store_dwordx4 off, v[4:7], off offset:32
	s_and_saveexec_b64 s[0:1], vcc
	s_cbranch_execz .LBB35_229
; %bb.228:
	scratch_load_dwordx4 v[2:5], off, off offset:16
	v_mov_b32_e32 v6, 0
	v_mov_b32_e32 v7, v6
	;; [unrolled: 1-line block ×4, first 2 shown]
	scratch_store_dwordx4 off, v[6:9], off offset:16
	s_waitcnt vmcnt(1)
	ds_write_b128 v1, v[2:5]
.LBB35_229:
	s_or_b64 exec, exec, s[0:1]
	s_waitcnt lgkmcnt(0)
	; wave barrier
	scratch_load_dwordx4 v[192:195], off, off offset:32
	scratch_load_dwordx4 v[196:199], off, off offset:48
	;; [unrolled: 1-line block ×32, first 2 shown]
	v_mov_b32_e32 v252, 0
	ds_read_b128 v[200:203], v252 offset:592
	ds_read_b128 v[212:215], v252 offset:608
	;; [unrolled: 1-line block ×17, first 2 shown]
	s_and_b64 vcc, exec, s[18:19]
	s_waitcnt vmcnt(31) lgkmcnt(14)
	v_mul_f64 v[104:105], v[200:201], v[194:195]
	s_waitcnt vmcnt(30)
	v_mul_f64 v[106:107], v[212:213], v[198:199]
	v_fmac_f64_e32 v[104:105], v[202:203], v[192:193]
	s_waitcnt vmcnt(29)
	v_mul_f64 v[112:113], v[224:225], v[206:207]
	v_fmac_f64_e32 v[106:107], v[214:215], v[196:197]
	v_add_f64 v[104:105], v[104:105], 0
	s_waitcnt vmcnt(28) lgkmcnt(13)
	v_mul_f64 v[114:115], v[228:229], v[210:211]
	v_fmac_f64_e32 v[112:113], v[226:227], v[204:205]
	v_add_f64 v[104:105], v[104:105], v[106:107]
	s_waitcnt vmcnt(27) lgkmcnt(12)
	;; [unrolled: 4-line block ×12, first 2 shown]
	v_mul_f64 v[176:177], v[120:121], v[34:35]
	v_fmac_f64_e32 v[174:175], v[126:127], v[28:29]
	v_add_f64 v[104:105], v[104:105], v[172:173]
	v_fmac_f64_e32 v[176:177], v[122:123], v[32:33]
	v_add_f64 v[104:105], v[104:105], v[174:175]
	v_add_f64 v[112:113], v[104:105], v[176:177]
	scratch_load_dwordx4 v[104:107], off, off offset:544
	s_waitcnt vmcnt(17) lgkmcnt(1)
	v_mul_f64 v[114:115], v[116:117], v[38:39]
	v_fmac_f64_e32 v[114:115], v[118:119], v[36:37]
	v_add_f64 v[128:129], v[112:113], v[114:115]
	ds_read_b128 v[160:163], v252 offset:864
	ds_read_b128 v[164:167], v252 offset:880
	scratch_load_dwordx4 v[112:115], off, off offset:560
	s_waitcnt vmcnt(17) lgkmcnt(2)
	v_mul_f64 v[130:131], v[108:109], v[42:43]
	v_fmac_f64_e32 v[130:131], v[110:111], v[40:41]
	v_add_f64 v[128:129], v[128:129], v[130:131]
	s_waitcnt vmcnt(16) lgkmcnt(1)
	v_mul_f64 v[130:131], v[160:161], v[46:47]
	v_fmac_f64_e32 v[130:131], v[162:163], v[44:45]
	v_add_f64 v[172:173], v[128:129], v[130:131]
	scratch_load_dwordx4 v[128:131], off, off offset:576
	s_waitcnt vmcnt(16) lgkmcnt(0)
	v_mul_f64 v[174:175], v[164:165], v[50:51]
	ds_read_b128 v[168:171], v252 offset:896
	v_fmac_f64_e32 v[174:175], v[166:167], v[48:49]
	v_add_f64 v[176:177], v[172:173], v[174:175]
	ds_read_b128 v[172:175], v252 offset:912
	v_mul_f64 v[194:195], v[202:203], v[194:195]
	s_waitcnt vmcnt(15) lgkmcnt(1)
	v_mul_f64 v[178:179], v[168:169], v[54:55]
	v_fmac_f64_e32 v[178:179], v[170:171], v[52:53]
	v_add_f64 v[180:181], v[176:177], v[178:179]
	s_waitcnt vmcnt(14) lgkmcnt(0)
	v_mul_f64 v[182:183], v[172:173], v[58:59]
	ds_read_b128 v[176:179], v252 offset:928
	v_fmac_f64_e32 v[182:183], v[174:175], v[56:57]
	v_add_f64 v[184:185], v[180:181], v[182:183]
	ds_read_b128 v[180:183], v252 offset:944
	v_fma_f64 v[254:255], v[200:201], v[192:193], -v[194:195]
	s_waitcnt vmcnt(13) lgkmcnt(1)
	v_mul_f64 v[186:187], v[176:177], v[62:63]
	v_fmac_f64_e32 v[186:187], v[178:179], v[60:61]
	v_add_f64 v[188:189], v[184:185], v[186:187]
	s_waitcnt vmcnt(12) lgkmcnt(0)
	v_mul_f64 v[190:191], v[180:181], v[66:67]
	ds_read_b128 v[184:187], v252 offset:960
	v_fmac_f64_e32 v[190:191], v[182:183], v[64:65]
	v_add_f64 v[236:237], v[188:189], v[190:191]
	ds_read_b128 v[188:191], v252 offset:976
	ds_read_b128 v[192:195], v252 offset:992
	s_waitcnt vmcnt(11) lgkmcnt(2)
	v_mul_f64 v[200:201], v[184:185], v[70:71]
	v_mul_f64 v[198:199], v[214:215], v[198:199]
	v_fmac_f64_e32 v[200:201], v[186:187], v[68:69]
	s_waitcnt vmcnt(10) lgkmcnt(1)
	v_mul_f64 v[202:203], v[188:189], v[74:75]
	v_fma_f64 v[240:241], v[212:213], v[196:197], -v[198:199]
	ds_read_b128 v[196:199], v252 offset:1008
	v_add_f64 v[200:201], v[236:237], v[200:201]
	v_fmac_f64_e32 v[202:203], v[190:191], v[72:73]
	v_add_f64 v[236:237], v[200:201], v[202:203]
	ds_read_b128 v[200:203], v252 offset:1024
	v_mul_f64 v[206:207], v[226:227], v[206:207]
	s_waitcnt vmcnt(9) lgkmcnt(2)
	v_mul_f64 v[212:213], v[192:193], v[78:79]
	v_fma_f64 v[242:243], v[224:225], v[204:205], -v[206:207]
	ds_read_b128 v[204:207], v252 offset:1040
	v_fmac_f64_e32 v[212:213], v[194:195], v[76:77]
	s_waitcnt vmcnt(8) lgkmcnt(2)
	v_mul_f64 v[214:215], v[196:197], v[82:83]
	v_add_f64 v[212:213], v[236:237], v[212:213]
	v_fmac_f64_e32 v[214:215], v[198:199], v[80:81]
	v_add_f64 v[212:213], v[212:213], v[214:215]
	s_waitcnt vmcnt(7) lgkmcnt(1)
	v_mul_f64 v[214:215], v[200:201], v[86:87]
	v_fmac_f64_e32 v[214:215], v[202:203], v[84:85]
	v_mul_f64 v[210:211], v[230:231], v[210:211]
	v_add_f64 v[212:213], v[212:213], v[214:215]
	v_fma_f64 v[244:245], v[228:229], v[208:209], -v[210:211]
	ds_read_b128 v[208:211], v252 offset:1056
	s_waitcnt vmcnt(6) lgkmcnt(1)
	v_mul_f64 v[214:215], v[204:205], v[90:91]
	v_fmac_f64_e32 v[214:215], v[206:207], v[88:89]
	v_add_f64 v[224:225], v[212:213], v[214:215]
	ds_read_b128 v[212:215], v252 offset:1072
	v_mul_f64 v[218:219], v[234:235], v[218:219]
	s_waitcnt vmcnt(5) lgkmcnt(1)
	v_mul_f64 v[226:227], v[208:209], v[94:95]
	v_fma_f64 v[238:239], v[232:233], v[216:217], -v[218:219]
	ds_read_b128 v[216:219], v252 offset:1088
	v_fmac_f64_e32 v[226:227], v[210:211], v[92:93]
	v_mul_f64 v[222:223], v[250:251], v[222:223]
	v_add_f64 v[224:225], v[224:225], v[226:227]
	s_waitcnt vmcnt(4) lgkmcnt(1)
	v_mul_f64 v[226:227], v[212:213], v[102:103]
	v_fma_f64 v[248:249], v[248:249], v[220:221], -v[222:223]
	ds_read_b128 v[220:223], v252 offset:1104
	v_fmac_f64_e32 v[226:227], v[214:215], v[100:101]
	v_add_f64 v[228:229], v[224:225], v[226:227]
	ds_read_b128 v[224:227], v252 offset:1120
	s_waitcnt vmcnt(3) lgkmcnt(2)
	v_mul_f64 v[230:231], v[216:217], v[98:99]
	v_fmac_f64_e32 v[230:231], v[218:219], v[96:97]
	v_add_f64 v[228:229], v[228:229], v[230:231]
	s_waitcnt vmcnt(2) lgkmcnt(1)
	v_mul_f64 v[230:231], v[220:221], v[106:107]
	v_fmac_f64_e32 v[230:231], v[222:223], v[104:105]
	v_add_f64 v[228:229], v[228:229], v[230:231]
	;; [unrolled: 4-line block ×3, first 2 shown]
	ds_read_b128 v[228:231], v252 offset:1136
	v_mul_f64 v[2:3], v[158:159], v[2:3]
	v_fma_f64 v[0:1], v[156:157], v[0:1], -v[2:3]
	v_mul_f64 v[2:3], v[154:155], v[6:7]
	v_fma_f64 v[2:3], v[152:153], v[4:5], -v[2:3]
	s_waitcnt vmcnt(0) lgkmcnt(0)
	v_mul_f64 v[234:235], v[228:229], v[130:131]
	v_fmac_f64_e32 v[234:235], v[230:231], v[128:129]
	v_add_f64 v[236:237], v[232:233], v[234:235]
	v_add_f64 v[232:233], v[254:255], 0
	;; [unrolled: 1-line block ×5, first 2 shown]
	scratch_load_dwordx4 v[232:235], off, off offset:16
	v_add_f64 v[238:239], v[250:251], v[238:239]
	v_add_f64 v[238:239], v[238:239], v[248:249]
	v_add_f64 v[0:1], v[238:239], v[0:1]
	v_add_f64 v[0:1], v[0:1], v[2:3]
	v_mul_f64 v[2:3], v[150:151], v[10:11]
	v_fma_f64 v[2:3], v[148:149], v[8:9], -v[2:3]
	v_add_f64 v[0:1], v[0:1], v[2:3]
	v_mul_f64 v[2:3], v[146:147], v[14:15]
	v_fma_f64 v[2:3], v[144:145], v[12:13], -v[2:3]
	v_add_f64 v[0:1], v[0:1], v[2:3]
	;; [unrolled: 3-line block ×27, first 2 shown]
	s_waitcnt vmcnt(0)
	v_add_f64 v[0:1], v[232:233], -v[0:1]
	v_add_f64 v[2:3], v[234:235], -v[236:237]
	scratch_store_dwordx4 off, v[0:3], off offset:16
	s_cbranch_vccz .LBB35_300
; %bb.230:
	global_load_dword v0, v252, s[16:17] offset:136
	s_waitcnt vmcnt(0)
	v_readfirstlane_b32 s0, v0
	s_add_i32 s0, s0, -1
	s_cmp_lg_u32 s0, 34
	s_cbranch_scc0 .LBB35_232
; %bb.231:
	s_lshl_b32 s0, s0, 4
	s_add_i32 s0, s0, 16
	scratch_load_dwordx4 v[0:3], off, s0
	scratch_load_dwordx4 v[4:7], off, s47
	s_waitcnt vmcnt(1)
	scratch_store_dwordx4 off, v[0:3], s47
	s_waitcnt vmcnt(1)
	scratch_store_dwordx4 off, v[4:7], s0
.LBB35_232:
	v_mov_b32_e32 v0, 0
	global_load_dword v1, v0, s[16:17] offset:132
	s_waitcnt vmcnt(0)
	v_readfirstlane_b32 s0, v1
	s_add_i32 s0, s0, -1
	s_cmp_eq_u32 s0, 33
	s_cbranch_scc1 .LBB35_234
; %bb.233:
	s_lshl_b32 s0, s0, 4
	s_add_i32 s0, s0, 16
	scratch_load_dwordx4 v[2:5], off, s0
	scratch_load_dwordx4 v[6:9], off, s46
	s_waitcnt vmcnt(1)
	scratch_store_dwordx4 off, v[2:5], s46
	s_waitcnt vmcnt(1)
	scratch_store_dwordx4 off, v[6:9], s0
.LBB35_234:
	global_load_dword v0, v0, s[16:17] offset:128
	s_waitcnt vmcnt(0)
	v_readfirstlane_b32 s0, v0
	s_add_i32 s0, s0, -1
	s_cmp_eq_u32 s0, 32
	s_cbranch_scc1 .LBB35_236
; %bb.235:
	s_lshl_b32 s0, s0, 4
	s_add_i32 s0, s0, 16
	scratch_load_dwordx4 v[0:3], off, s0
	scratch_load_dwordx4 v[4:7], off, s45
	s_waitcnt vmcnt(1)
	scratch_store_dwordx4 off, v[0:3], s45
	s_waitcnt vmcnt(1)
	scratch_store_dwordx4 off, v[4:7], s0
.LBB35_236:
	v_mov_b32_e32 v0, 0
	global_load_dword v1, v0, s[16:17] offset:124
	s_waitcnt vmcnt(0)
	v_readfirstlane_b32 s0, v1
	s_add_i32 s0, s0, -1
	s_cmp_eq_u32 s0, 31
	s_cbranch_scc1 .LBB35_238
; %bb.237:
	s_lshl_b32 s0, s0, 4
	s_add_i32 s0, s0, 16
	scratch_load_dwordx4 v[2:5], off, s0
	scratch_load_dwordx4 v[6:9], off, s44
	s_waitcnt vmcnt(1)
	scratch_store_dwordx4 off, v[2:5], s44
	s_waitcnt vmcnt(1)
	scratch_store_dwordx4 off, v[6:9], s0
.LBB35_238:
	global_load_dword v0, v0, s[16:17] offset:120
	s_waitcnt vmcnt(0)
	v_readfirstlane_b32 s0, v0
	s_add_i32 s0, s0, -1
	s_cmp_eq_u32 s0, 30
	s_cbranch_scc1 .LBB35_240
; %bb.239:
	s_lshl_b32 s0, s0, 4
	s_add_i32 s0, s0, 16
	scratch_load_dwordx4 v[0:3], off, s0
	scratch_load_dwordx4 v[4:7], off, s43
	s_waitcnt vmcnt(1)
	scratch_store_dwordx4 off, v[0:3], s43
	s_waitcnt vmcnt(1)
	scratch_store_dwordx4 off, v[4:7], s0
.LBB35_240:
	;; [unrolled: 33-line block ×16, first 2 shown]
	v_mov_b32_e32 v0, 0
	global_load_dword v1, v0, s[16:17] offset:4
	s_waitcnt vmcnt(0)
	v_readfirstlane_b32 s0, v1
	s_add_i32 s0, s0, -1
	s_cmp_eq_u32 s0, 1
	s_cbranch_scc1 .LBB35_298
; %bb.297:
	s_lshl_b32 s0, s0, 4
	s_add_i32 s0, s0, 16
	scratch_load_dwordx4 v[2:5], off, s0
	scratch_load_dwordx4 v[6:9], off, s20
	s_waitcnt vmcnt(1)
	scratch_store_dwordx4 off, v[2:5], s20
	s_waitcnt vmcnt(1)
	scratch_store_dwordx4 off, v[6:9], s0
.LBB35_298:
	global_load_dword v0, v0, s[16:17]
	s_waitcnt vmcnt(0)
	v_readfirstlane_b32 s0, v0
	s_add_i32 s0, s0, -1
	s_cmp_eq_u32 s0, 0
	s_cbranch_scc1 .LBB35_300
; %bb.299:
	s_lshl_b32 s0, s0, 4
	s_add_i32 s0, s0, 16
	scratch_load_dwordx4 v[0:3], off, s0
	scratch_load_dwordx4 v[4:7], off, off offset:16
	s_waitcnt vmcnt(1)
	scratch_store_dwordx4 off, v[0:3], off offset:16
	s_waitcnt vmcnt(1)
	scratch_store_dwordx4 off, v[4:7], s0
.LBB35_300:
	scratch_load_dwordx4 v[0:3], off, off offset:16
	s_nop 0
	scratch_load_dwordx4 v[4:7], off, s20
	scratch_load_dwordx4 v[8:11], off, s12
	;; [unrolled: 1-line block ×13, first 2 shown]
                                        ; kill: killed $sgpr20
                                        ; kill: killed $sgpr25
                                        ; kill: killed $sgpr51
                                        ; kill: killed $sgpr23
                                        ; kill: killed $sgpr50
                                        ; kill: killed $sgpr21
                                        ; kill: killed $sgpr49
                                        ; kill: killed $sgpr14
                                        ; kill: killed $sgpr24
                                        ; kill: killed $sgpr13
                                        ; kill: killed $sgpr22
                                        ; kill: killed $sgpr12
                                        ; kill: killed $sgpr15
	scratch_load_dwordx4 v[56:59], off, s26
	scratch_load_dwordx4 v[60:63], off, s27
	;; [unrolled: 1-line block ×22, first 2 shown]
	v_accvgpr_read_b32 v145, a1
	v_accvgpr_read_b32 v144, a0
	s_waitcnt vmcnt(35)
	global_store_dwordx4 v[144:145], v[0:3], off
	s_nop 1
	v_accvgpr_read_b32 v0, a2
	v_accvgpr_read_b32 v1, a3
	s_waitcnt vmcnt(35)
	global_store_dwordx4 v[0:1], v[4:7], off
	v_accvgpr_read_b32 v0, a4
	v_accvgpr_read_b32 v1, a5
	s_waitcnt vmcnt(35)
	global_store_dwordx4 v[0:1], v[8:11], off
	;; [unrolled: 4-line block ×34, first 2 shown]
	s_waitcnt vmcnt(35)
	global_store_dwordx4 v[246:247], v[140:143], off
	s_endpgm
	.section	.rodata,"a",@progbits
	.p2align	6, 0x0
	.amdhsa_kernel _ZN9rocsolver6v33100L18getri_kernel_smallILi36E19rocblas_complex_numIdEPS3_EEvT1_iilPiilS6_bb
		.amdhsa_group_segment_fixed_size 1160
		.amdhsa_private_segment_fixed_size 608
		.amdhsa_kernarg_size 60
		.amdhsa_user_sgpr_count 2
		.amdhsa_user_sgpr_dispatch_ptr 0
		.amdhsa_user_sgpr_queue_ptr 0
		.amdhsa_user_sgpr_kernarg_segment_ptr 1
		.amdhsa_user_sgpr_dispatch_id 0
		.amdhsa_user_sgpr_kernarg_preload_length 0
		.amdhsa_user_sgpr_kernarg_preload_offset 0
		.amdhsa_user_sgpr_private_segment_size 0
		.amdhsa_uses_dynamic_stack 0
		.amdhsa_enable_private_segment 1
		.amdhsa_system_sgpr_workgroup_id_x 1
		.amdhsa_system_sgpr_workgroup_id_y 0
		.amdhsa_system_sgpr_workgroup_id_z 0
		.amdhsa_system_sgpr_workgroup_info 0
		.amdhsa_system_vgpr_workitem_id 0
		.amdhsa_next_free_vgpr 326
		.amdhsa_next_free_sgpr 52
		.amdhsa_accum_offset 256
		.amdhsa_reserve_vcc 1
		.amdhsa_float_round_mode_32 0
		.amdhsa_float_round_mode_16_64 0
		.amdhsa_float_denorm_mode_32 3
		.amdhsa_float_denorm_mode_16_64 3
		.amdhsa_dx10_clamp 1
		.amdhsa_ieee_mode 1
		.amdhsa_fp16_overflow 0
		.amdhsa_tg_split 0
		.amdhsa_exception_fp_ieee_invalid_op 0
		.amdhsa_exception_fp_denorm_src 0
		.amdhsa_exception_fp_ieee_div_zero 0
		.amdhsa_exception_fp_ieee_overflow 0
		.amdhsa_exception_fp_ieee_underflow 0
		.amdhsa_exception_fp_ieee_inexact 0
		.amdhsa_exception_int_div_zero 0
	.end_amdhsa_kernel
	.section	.text._ZN9rocsolver6v33100L18getri_kernel_smallILi36E19rocblas_complex_numIdEPS3_EEvT1_iilPiilS6_bb,"axG",@progbits,_ZN9rocsolver6v33100L18getri_kernel_smallILi36E19rocblas_complex_numIdEPS3_EEvT1_iilPiilS6_bb,comdat
.Lfunc_end35:
	.size	_ZN9rocsolver6v33100L18getri_kernel_smallILi36E19rocblas_complex_numIdEPS3_EEvT1_iilPiilS6_bb, .Lfunc_end35-_ZN9rocsolver6v33100L18getri_kernel_smallILi36E19rocblas_complex_numIdEPS3_EEvT1_iilPiilS6_bb
                                        ; -- End function
	.set _ZN9rocsolver6v33100L18getri_kernel_smallILi36E19rocblas_complex_numIdEPS3_EEvT1_iilPiilS6_bb.num_vgpr, 256
	.set _ZN9rocsolver6v33100L18getri_kernel_smallILi36E19rocblas_complex_numIdEPS3_EEvT1_iilPiilS6_bb.num_agpr, 70
	.set _ZN9rocsolver6v33100L18getri_kernel_smallILi36E19rocblas_complex_numIdEPS3_EEvT1_iilPiilS6_bb.numbered_sgpr, 52
	.set _ZN9rocsolver6v33100L18getri_kernel_smallILi36E19rocblas_complex_numIdEPS3_EEvT1_iilPiilS6_bb.num_named_barrier, 0
	.set _ZN9rocsolver6v33100L18getri_kernel_smallILi36E19rocblas_complex_numIdEPS3_EEvT1_iilPiilS6_bb.private_seg_size, 608
	.set _ZN9rocsolver6v33100L18getri_kernel_smallILi36E19rocblas_complex_numIdEPS3_EEvT1_iilPiilS6_bb.uses_vcc, 1
	.set _ZN9rocsolver6v33100L18getri_kernel_smallILi36E19rocblas_complex_numIdEPS3_EEvT1_iilPiilS6_bb.uses_flat_scratch, 0
	.set _ZN9rocsolver6v33100L18getri_kernel_smallILi36E19rocblas_complex_numIdEPS3_EEvT1_iilPiilS6_bb.has_dyn_sized_stack, 0
	.set _ZN9rocsolver6v33100L18getri_kernel_smallILi36E19rocblas_complex_numIdEPS3_EEvT1_iilPiilS6_bb.has_recursion, 0
	.set _ZN9rocsolver6v33100L18getri_kernel_smallILi36E19rocblas_complex_numIdEPS3_EEvT1_iilPiilS6_bb.has_indirect_call, 0
	.section	.AMDGPU.csdata,"",@progbits
; Kernel info:
; codeLenInByte = 58460
; TotalNumSgprs: 58
; NumVgprs: 256
; NumAgprs: 70
; TotalNumVgprs: 326
; ScratchSize: 608
; MemoryBound: 0
; FloatMode: 240
; IeeeMode: 1
; LDSByteSize: 1160 bytes/workgroup (compile time only)
; SGPRBlocks: 7
; VGPRBlocks: 40
; NumSGPRsForWavesPerEU: 58
; NumVGPRsForWavesPerEU: 326
; AccumOffset: 256
; Occupancy: 1
; WaveLimiterHint : 1
; COMPUTE_PGM_RSRC2:SCRATCH_EN: 1
; COMPUTE_PGM_RSRC2:USER_SGPR: 2
; COMPUTE_PGM_RSRC2:TRAP_HANDLER: 0
; COMPUTE_PGM_RSRC2:TGID_X_EN: 1
; COMPUTE_PGM_RSRC2:TGID_Y_EN: 0
; COMPUTE_PGM_RSRC2:TGID_Z_EN: 0
; COMPUTE_PGM_RSRC2:TIDIG_COMP_CNT: 0
; COMPUTE_PGM_RSRC3_GFX90A:ACCUM_OFFSET: 63
; COMPUTE_PGM_RSRC3_GFX90A:TG_SPLIT: 0
	.section	.text._ZN9rocsolver6v33100L18getri_kernel_smallILi37E19rocblas_complex_numIdEPS3_EEvT1_iilPiilS6_bb,"axG",@progbits,_ZN9rocsolver6v33100L18getri_kernel_smallILi37E19rocblas_complex_numIdEPS3_EEvT1_iilPiilS6_bb,comdat
	.globl	_ZN9rocsolver6v33100L18getri_kernel_smallILi37E19rocblas_complex_numIdEPS3_EEvT1_iilPiilS6_bb ; -- Begin function _ZN9rocsolver6v33100L18getri_kernel_smallILi37E19rocblas_complex_numIdEPS3_EEvT1_iilPiilS6_bb
	.p2align	8
	.type	_ZN9rocsolver6v33100L18getri_kernel_smallILi37E19rocblas_complex_numIdEPS3_EEvT1_iilPiilS6_bb,@function
_ZN9rocsolver6v33100L18getri_kernel_smallILi37E19rocblas_complex_numIdEPS3_EEvT1_iilPiilS6_bb: ; @_ZN9rocsolver6v33100L18getri_kernel_smallILi37E19rocblas_complex_numIdEPS3_EEvT1_iilPiilS6_bb
; %bb.0:
	v_cmp_gt_u32_e32 vcc, 37, v0
	s_and_saveexec_b64 s[4:5], vcc
	s_cbranch_execz .LBB36_162
; %bb.1:
	s_load_dword s8, s[0:1], 0x38
	s_load_dwordx4 s[12:15], s[0:1], 0x10
	s_load_dwordx4 s[4:7], s[0:1], 0x28
                                        ; implicit-def: $sgpr16_sgpr17
	s_waitcnt lgkmcnt(0)
	s_bitcmp1_b32 s8, 8
	s_cselect_b64 s[18:19], -1, 0
	s_ashr_i32 s3, s2, 31
	s_bfe_u32 s8, s8, 0x10008
	s_cmp_eq_u32 s8, 0
	s_cbranch_scc1 .LBB36_3
; %bb.2:
	s_load_dword s8, s[0:1], 0x20
	s_mul_i32 s9, s4, s3
	s_mul_hi_u32 s10, s4, s2
	s_mul_i32 s5, s5, s2
	s_add_i32 s10, s10, s9
	s_add_i32 s5, s10, s5
	s_mul_i32 s4, s4, s2
	s_waitcnt lgkmcnt(0)
	s_ashr_i32 s9, s8, 31
	s_lshl_b64 s[4:5], s[4:5], 2
	s_add_u32 s10, s14, s4
	s_addc_u32 s11, s15, s5
	s_lshl_b64 s[4:5], s[8:9], 2
	s_add_u32 s16, s10, s4
	s_addc_u32 s17, s11, s5
.LBB36_3:
	s_load_dwordx4 s[8:11], s[0:1], 0x0
	s_load_dword s4, s[0:1], 0x38
	s_mul_i32 s5, s12, s3
	s_mul_hi_u32 s14, s12, s2
	s_add_i32 s5, s14, s5
	s_waitcnt lgkmcnt(0)
	s_ashr_i32 s1, s10, 31
	s_mov_b32 s0, s10
	s_mul_i32 s10, s13, s2
	s_add_i32 s13, s5, s10
	s_mul_i32 s12, s12, s2
	s_lshl_b64 s[12:13], s[12:13], 4
	s_add_u32 s5, s8, s12
	s_addc_u32 s8, s9, s13
	s_lshl_b64 s[0:1], s[0:1], 4
	s_add_u32 s0, s5, s0
	s_addc_u32 s1, s8, s1
	s_add_i32 s5, s11, s11
	v_add_u32_e32 v14, s5, v0
	v_ashrrev_i32_e32 v15, 31, v14
	v_lshl_add_u64 v[10:11], v[14:15], 4, s[0:1]
	v_add_u32_e32 v14, s11, v14
	v_add_u32_e32 v22, s11, v14
	v_ashrrev_i32_e32 v23, 31, v22
	v_lshl_add_u64 v[18:19], v[22:23], 4, s[0:1]
	v_add_u32_e32 v22, s11, v22
	;; [unrolled: 4-line block ×3, first 2 shown]
	v_ashrrev_i32_e32 v31, 31, v30
	v_lshl_add_u64 v[32:33], v[30:31], 4, s[0:1]
	v_add_u32_e32 v30, s11, v30
	v_add_u32_e32 v38, s11, v30
	;; [unrolled: 1-line block ×6, first 2 shown]
	v_ashrrev_i32_e32 v57, 31, v56
	v_lshl_add_u64 v[58:59], v[56:57], 4, s[0:1]
	v_add_u32_e32 v56, s11, v56
	v_add_u32_e32 v64, s11, v56
	;; [unrolled: 1-line block ×5, first 2 shown]
	v_ashrrev_i32_e32 v81, 31, v80
	v_lshl_add_u64 v[76:77], v[80:81], 4, s[0:1]
	v_add_u32_e32 v80, s11, v80
	v_add_u32_e32 v88, s11, v80
	v_ashrrev_i32_e32 v89, 31, v88
	v_lshl_add_u64 v[84:85], v[88:89], 4, s[0:1]
	v_add_u32_e32 v88, s11, v88
	v_add_u32_e32 v96, s11, v88
	;; [unrolled: 4-line block ×8, first 2 shown]
	v_lshlrev_b32_e32 v54, 4, v0
	v_mov_b32_e32 v55, 0
	v_ashrrev_i32_e32 v145, 31, v144
	v_lshl_add_u64 v[6:7], s[0:1], 0, v[54:55]
	v_lshl_add_u64 v[140:141], v[144:145], 4, s[0:1]
	v_add_u32_e32 v144, s11, v144
	s_ashr_i32 s9, s11, 31
	s_mov_b32 s8, s11
	v_accvgpr_write_b32 a0, v6
	v_ashrrev_i32_e32 v15, 31, v14
	v_ashrrev_i32_e32 v23, 31, v22
	;; [unrolled: 1-line block ×20, first 2 shown]
	v_accvgpr_write_b32 a1, v7
	v_lshl_add_u64 v[6:7], s[8:9], 4, v[6:7]
	v_lshl_add_u64 v[16:17], v[14:15], 4, s[0:1]
	;; [unrolled: 1-line block ×21, first 2 shown]
	v_add_u32_e32 v144, s11, v144
	v_accvgpr_write_b32 a2, v6
	v_accvgpr_write_b32 a4, v10
	;; [unrolled: 1-line block ×34, first 2 shown]
	v_ashrrev_i32_e32 v145, 31, v144
	global_load_dwordx4 v[2:5], v54, s[0:1]
	v_accvgpr_write_b32 a3, v7
	global_load_dwordx4 v[6:9], v[6:7], off
	v_accvgpr_write_b32 a5, v11
	global_load_dwordx4 v[10:13], v[10:11], off
	;; [unrolled: 2-line block ×34, first 2 shown]
	v_lshl_add_u64 v[248:249], v[144:145], 4, s[0:1]
	global_load_dwordx4 v[144:147], v[246:247], off
	global_load_dwordx4 v[148:151], v[248:249], off
	s_movk_i32 s0, 0x50
	s_add_i32 s21, s0, 16
	s_movk_i32 s0, 0x60
	s_add_i32 s23, s0, 16
	;; [unrolled: 2-line block ×32, first 2 shown]
	s_mov_b32 s15, 32
	s_mov_b32 s12, 48
	;; [unrolled: 1-line block ×3, first 2 shown]
	s_movk_i32 s14, 0x50
	s_bitcmp0_b32 s4, 0
	s_mov_b64 s[4:5], -1
	s_waitcnt vmcnt(36)
	scratch_store_dwordx4 off, v[2:5], off offset:16
	s_waitcnt vmcnt(36)
	scratch_store_dwordx4 off, v[6:9], off offset:32
	;; [unrolled: 2-line block ×37, first 2 shown]
	s_cbranch_scc1 .LBB36_160
; %bb.4:
	v_cmp_eq_u32_e64 s[0:1], 0, v0
	s_and_saveexec_b64 s[4:5], s[0:1]
; %bb.5:
	v_mov_b32_e32 v1, 0
	ds_write_b32 v1, v1 offset:1184
; %bb.6:
	s_or_b64 exec, exec, s[4:5]
	s_waitcnt lgkmcnt(0)
	; wave barrier
	scratch_load_dwordx4 v[2:5], v54, off offset:16
	s_waitcnt vmcnt(0)
	v_cmp_eq_f64_e32 vcc, 0, v[2:3]
	v_cmp_eq_f64_e64 s[4:5], 0, v[4:5]
	s_and_b64 s[4:5], vcc, s[4:5]
	s_and_saveexec_b64 s[8:9], s[4:5]
	s_cbranch_execz .LBB36_10
; %bb.7:
	v_mov_b32_e32 v1, 0
	ds_read_b32 v3, v1 offset:1184
	v_add_u32_e32 v2, 1, v0
	s_waitcnt lgkmcnt(0)
	v_readfirstlane_b32 s4, v3
	s_cmp_eq_u32 s4, 0
	s_cselect_b64 s[10:11], -1, 0
	v_cmp_gt_i32_e32 vcc, s4, v2
	s_or_b64 s[10:11], s[10:11], vcc
	s_and_b64 exec, exec, s[10:11]
	s_cbranch_execz .LBB36_10
; %bb.8:
	s_mov_b64 s[10:11], 0
	v_mov_b32_e32 v3, s4
.LBB36_9:                               ; =>This Inner Loop Header: Depth=1
	ds_cmpst_rtn_b32 v3, v1, v3, v2 offset:1184
	s_waitcnt lgkmcnt(0)
	v_cmp_ne_u32_e32 vcc, 0, v3
	v_cmp_le_i32_e64 s[4:5], v3, v2
	s_and_b64 s[4:5], vcc, s[4:5]
	s_and_b64 s[4:5], exec, s[4:5]
	s_or_b64 s[10:11], s[4:5], s[10:11]
	s_andn2_b64 exec, exec, s[10:11]
	s_cbranch_execnz .LBB36_9
.LBB36_10:
	s_or_b64 exec, exec, s[8:9]
	v_mov_b32_e32 v2, 0
	; wave barrier
	ds_read_b32 v1, v2 offset:1184
	s_and_saveexec_b64 s[4:5], s[0:1]
	s_cbranch_execz .LBB36_12
; %bb.11:
	s_lshl_b64 s[8:9], s[2:3], 2
	s_add_u32 s8, s6, s8
	s_addc_u32 s9, s7, s9
	s_waitcnt lgkmcnt(0)
	global_store_dword v2, v1, s[8:9]
.LBB36_12:
	s_or_b64 exec, exec, s[4:5]
	s_waitcnt lgkmcnt(0)
	v_cmp_ne_u32_e32 vcc, 0, v1
	s_mov_b64 s[4:5], 0
	s_cbranch_vccnz .LBB36_160
; %bb.13:
	v_add_u32_e32 v14, 16, v54
	scratch_load_dwordx4 v[2:5], v14, off
                                        ; implicit-def: $vgpr6_vgpr7
                                        ; implicit-def: $vgpr10_vgpr11
	s_waitcnt vmcnt(0)
	v_cmp_ngt_f64_e64 s[4:5], |v[2:3]|, |v[4:5]|
	s_and_saveexec_b64 s[8:9], s[4:5]
	s_xor_b64 s[4:5], exec, s[8:9]
	s_cbranch_execz .LBB36_15
; %bb.14:
	v_div_scale_f64 v[6:7], s[8:9], v[4:5], v[4:5], v[2:3]
	v_rcp_f64_e32 v[8:9], v[6:7]
	v_div_scale_f64 v[10:11], vcc, v[2:3], v[4:5], v[2:3]
	v_fma_f64 v[12:13], -v[6:7], v[8:9], 1.0
	v_fmac_f64_e32 v[8:9], v[8:9], v[12:13]
	v_fma_f64 v[12:13], -v[6:7], v[8:9], 1.0
	v_fmac_f64_e32 v[8:9], v[8:9], v[12:13]
	v_mul_f64 v[12:13], v[10:11], v[8:9]
	v_fma_f64 v[6:7], -v[6:7], v[12:13], v[10:11]
	v_div_fmas_f64 v[6:7], v[6:7], v[8:9], v[12:13]
	v_div_fixup_f64 v[6:7], v[6:7], v[4:5], v[2:3]
	v_fmac_f64_e32 v[4:5], v[2:3], v[6:7]
	v_div_scale_f64 v[2:3], s[8:9], v[4:5], v[4:5], 1.0
	v_rcp_f64_e32 v[8:9], v[2:3]
	s_nop 0
	v_fma_f64 v[10:11], -v[2:3], v[8:9], 1.0
	v_fmac_f64_e32 v[8:9], v[8:9], v[10:11]
	v_fma_f64 v[10:11], -v[2:3], v[8:9], 1.0
	v_fmac_f64_e32 v[8:9], v[8:9], v[10:11]
	v_div_scale_f64 v[10:11], vcc, 1.0, v[4:5], 1.0
	v_mul_f64 v[12:13], v[10:11], v[8:9]
	v_fma_f64 v[2:3], -v[2:3], v[12:13], v[10:11]
	s_nop 1
	v_div_fmas_f64 v[2:3], v[2:3], v[8:9], v[12:13]
	v_div_fixup_f64 v[8:9], v[2:3], v[4:5], 1.0
	v_mul_f64 v[6:7], v[6:7], v[8:9]
	v_xor_b32_e32 v9, 0x80000000, v9
	v_xor_b32_e32 v11, 0x80000000, v7
	v_mov_b32_e32 v10, v6
                                        ; implicit-def: $vgpr2_vgpr3
.LBB36_15:
	s_andn2_saveexec_b64 s[4:5], s[4:5]
	s_cbranch_execz .LBB36_17
; %bb.16:
	v_div_scale_f64 v[6:7], s[8:9], v[2:3], v[2:3], v[4:5]
	v_rcp_f64_e32 v[8:9], v[6:7]
	v_div_scale_f64 v[10:11], vcc, v[4:5], v[2:3], v[4:5]
	v_fma_f64 v[12:13], -v[6:7], v[8:9], 1.0
	v_fmac_f64_e32 v[8:9], v[8:9], v[12:13]
	v_fma_f64 v[12:13], -v[6:7], v[8:9], 1.0
	v_fmac_f64_e32 v[8:9], v[8:9], v[12:13]
	v_mul_f64 v[12:13], v[10:11], v[8:9]
	v_fma_f64 v[6:7], -v[6:7], v[12:13], v[10:11]
	v_div_fmas_f64 v[6:7], v[6:7], v[8:9], v[12:13]
	v_div_fixup_f64 v[8:9], v[6:7], v[2:3], v[4:5]
	v_fmac_f64_e32 v[2:3], v[4:5], v[8:9]
	v_div_scale_f64 v[4:5], s[8:9], v[2:3], v[2:3], 1.0
	v_rcp_f64_e32 v[6:7], v[4:5]
	s_nop 0
	v_fma_f64 v[10:11], -v[4:5], v[6:7], 1.0
	v_fmac_f64_e32 v[6:7], v[6:7], v[10:11]
	v_fma_f64 v[10:11], -v[4:5], v[6:7], 1.0
	v_fmac_f64_e32 v[6:7], v[6:7], v[10:11]
	v_div_scale_f64 v[10:11], vcc, 1.0, v[2:3], 1.0
	v_mul_f64 v[12:13], v[10:11], v[6:7]
	v_fma_f64 v[4:5], -v[4:5], v[12:13], v[10:11]
	s_nop 1
	v_div_fmas_f64 v[4:5], v[4:5], v[6:7], v[12:13]
	v_div_fixup_f64 v[6:7], v[4:5], v[2:3], 1.0
	v_xor_b32_e32 v11, 0x80000000, v7
	v_mov_b32_e32 v10, v6
	v_mul_f64 v[8:9], v[8:9], -v[6:7]
.LBB36_17:
	s_or_b64 exec, exec, s[4:5]
	scratch_store_dwordx4 v14, v[6:9], off
	scratch_load_dwordx4 v[2:5], off, s15
	v_xor_b32_e32 v13, 0x80000000, v9
	v_mov_b32_e32 v12, v8
	v_add_u32_e32 v1, 0x250, v54
	ds_write_b128 v54, v[10:13]
	s_waitcnt vmcnt(0)
	ds_write_b128 v54, v[2:5] offset:592
	s_waitcnt lgkmcnt(0)
	; wave barrier
	s_and_saveexec_b64 s[4:5], s[0:1]
	s_cbranch_execz .LBB36_19
; %bb.18:
	scratch_load_dwordx4 v[2:5], v14, off
	ds_read_b128 v[6:9], v1
	v_mov_b32_e32 v10, 0
	ds_read_b128 v[10:13], v10 offset:16
	s_waitcnt vmcnt(0) lgkmcnt(1)
	v_mul_f64 v[16:17], v[8:9], v[4:5]
	v_mul_f64 v[4:5], v[6:7], v[4:5]
	v_fma_f64 v[6:7], v[6:7], v[2:3], -v[16:17]
	v_fmac_f64_e32 v[4:5], v[8:9], v[2:3]
	v_add_f64 v[2:3], v[6:7], 0
	v_add_f64 v[6:7], v[4:5], 0
	s_waitcnt lgkmcnt(0)
	v_mul_f64 v[8:9], v[6:7], v[12:13]
	v_mul_f64 v[4:5], v[2:3], v[12:13]
	v_fma_f64 v[2:3], v[2:3], v[10:11], -v[8:9]
	v_fmac_f64_e32 v[4:5], v[6:7], v[10:11]
	scratch_store_dwordx4 off, v[2:5], off offset:32
.LBB36_19:
	s_or_b64 exec, exec, s[4:5]
	; wave barrier
	scratch_load_dwordx4 v[2:5], off, s12
	v_cmp_gt_u32_e32 vcc, 2, v0
	s_waitcnt vmcnt(0)
	ds_write_b128 v1, v[2:5]
	s_waitcnt lgkmcnt(0)
	; wave barrier
	s_and_saveexec_b64 s[4:5], vcc
	s_cbranch_execz .LBB36_23
; %bb.20:
	scratch_load_dwordx4 v[2:5], v14, off
	ds_read_b128 v[6:9], v1
	s_waitcnt vmcnt(0) lgkmcnt(0)
	v_mul_f64 v[10:11], v[8:9], v[4:5]
	v_mul_f64 v[12:13], v[6:7], v[4:5]
	v_fma_f64 v[4:5], v[6:7], v[2:3], -v[10:11]
	v_fmac_f64_e32 v[12:13], v[8:9], v[2:3]
	v_add_f64 v[4:5], v[4:5], 0
	v_add_f64 v[2:3], v[12:13], 0
	s_and_saveexec_b64 s[8:9], s[0:1]
	s_cbranch_execz .LBB36_22
; %bb.21:
	scratch_load_dwordx4 v[6:9], off, off offset:32
	v_mov_b32_e32 v10, 0
	ds_read_b128 v[10:13], v10 offset:608
	s_waitcnt vmcnt(0) lgkmcnt(0)
	v_mul_f64 v[14:15], v[10:11], v[8:9]
	v_mul_f64 v[8:9], v[12:13], v[8:9]
	v_fmac_f64_e32 v[14:15], v[12:13], v[6:7]
	v_fma_f64 v[6:7], v[10:11], v[6:7], -v[8:9]
	v_add_f64 v[2:3], v[2:3], v[14:15]
	v_add_f64 v[4:5], v[4:5], v[6:7]
.LBB36_22:
	s_or_b64 exec, exec, s[8:9]
	v_mov_b32_e32 v6, 0
	ds_read_b128 v[6:9], v6 offset:32
	s_waitcnt lgkmcnt(0)
	v_mul_f64 v[12:13], v[2:3], v[8:9]
	v_mul_f64 v[10:11], v[4:5], v[8:9]
	v_fma_f64 v[8:9], v[4:5], v[6:7], -v[12:13]
	v_fmac_f64_e32 v[10:11], v[2:3], v[6:7]
	scratch_store_dwordx4 off, v[8:11], off offset:48
.LBB36_23:
	s_or_b64 exec, exec, s[4:5]
	; wave barrier
	scratch_load_dwordx4 v[2:5], off, s13
	v_cmp_gt_u32_e32 vcc, 3, v0
	v_add_u32_e32 v6, -1, v0
	s_waitcnt vmcnt(0)
	ds_write_b128 v1, v[2:5]
	s_waitcnt lgkmcnt(0)
	; wave barrier
	s_and_saveexec_b64 s[0:1], vcc
	s_cbranch_execz .LBB36_27
; %bb.24:
	v_add_u32_e32 v7, -1, v0
	v_add_u32_e32 v8, 0x250, v54
	v_add_u32_e32 v9, 16, v54
	v_mov_b64_e32 v[2:3], 0
	s_mov_b64 s[4:5], 0
	v_mov_b64_e32 v[4:5], 0
.LBB36_25:                              ; =>This Inner Loop Header: Depth=1
	scratch_load_dwordx4 v[10:13], v9, off
	ds_read_b128 v[14:17], v8
	v_add_u32_e32 v7, 1, v7
	v_cmp_lt_u32_e32 vcc, 1, v7
	v_add_u32_e32 v8, 16, v8
	v_add_u32_e32 v9, 16, v9
	s_or_b64 s[4:5], vcc, s[4:5]
	s_waitcnt vmcnt(0) lgkmcnt(0)
	v_mul_f64 v[18:19], v[16:17], v[12:13]
	v_mul_f64 v[12:13], v[14:15], v[12:13]
	v_fma_f64 v[14:15], v[14:15], v[10:11], -v[18:19]
	v_fmac_f64_e32 v[12:13], v[16:17], v[10:11]
	v_add_f64 v[4:5], v[4:5], v[14:15]
	v_add_f64 v[2:3], v[2:3], v[12:13]
	s_andn2_b64 exec, exec, s[4:5]
	s_cbranch_execnz .LBB36_25
; %bb.26:
	s_or_b64 exec, exec, s[4:5]
	v_mov_b32_e32 v7, 0
	ds_read_b128 v[8:11], v7 offset:48
	s_waitcnt lgkmcnt(0)
	v_mul_f64 v[14:15], v[2:3], v[10:11]
	v_mul_f64 v[12:13], v[4:5], v[10:11]
	v_fma_f64 v[10:11], v[4:5], v[8:9], -v[14:15]
	v_fmac_f64_e32 v[12:13], v[2:3], v[8:9]
	scratch_store_dwordx4 off, v[10:13], off offset:64
.LBB36_27:
	s_or_b64 exec, exec, s[0:1]
	; wave barrier
	scratch_load_dwordx4 v[2:5], off, s14
	v_cmp_gt_u32_e32 vcc, 4, v0
	s_waitcnt vmcnt(0)
	ds_write_b128 v1, v[2:5]
	s_waitcnt lgkmcnt(0)
	; wave barrier
	s_and_saveexec_b64 s[0:1], vcc
	s_cbranch_execz .LBB36_31
; %bb.28:
	v_add_u32_e32 v7, -1, v0
	v_add_u32_e32 v8, 0x250, v54
	v_add_u32_e32 v9, 16, v54
	v_mov_b64_e32 v[2:3], 0
	s_mov_b64 s[4:5], 0
	v_mov_b64_e32 v[4:5], 0
.LBB36_29:                              ; =>This Inner Loop Header: Depth=1
	scratch_load_dwordx4 v[10:13], v9, off
	ds_read_b128 v[14:17], v8
	v_add_u32_e32 v7, 1, v7
	v_cmp_lt_u32_e32 vcc, 2, v7
	v_add_u32_e32 v8, 16, v8
	v_add_u32_e32 v9, 16, v9
	s_or_b64 s[4:5], vcc, s[4:5]
	s_waitcnt vmcnt(0) lgkmcnt(0)
	v_mul_f64 v[18:19], v[16:17], v[12:13]
	v_mul_f64 v[12:13], v[14:15], v[12:13]
	v_fma_f64 v[14:15], v[14:15], v[10:11], -v[18:19]
	v_fmac_f64_e32 v[12:13], v[16:17], v[10:11]
	v_add_f64 v[4:5], v[4:5], v[14:15]
	v_add_f64 v[2:3], v[2:3], v[12:13]
	s_andn2_b64 exec, exec, s[4:5]
	s_cbranch_execnz .LBB36_29
; %bb.30:
	s_or_b64 exec, exec, s[4:5]
	v_mov_b32_e32 v7, 0
	ds_read_b128 v[8:11], v7 offset:64
	s_waitcnt lgkmcnt(0)
	v_mul_f64 v[14:15], v[2:3], v[10:11]
	v_mul_f64 v[12:13], v[4:5], v[10:11]
	v_fma_f64 v[10:11], v[4:5], v[8:9], -v[14:15]
	v_fmac_f64_e32 v[12:13], v[2:3], v[8:9]
	scratch_store_dwordx4 off, v[10:13], off offset:80
.LBB36_31:
	s_or_b64 exec, exec, s[0:1]
	; wave barrier
	scratch_load_dwordx4 v[2:5], off, s21
	v_cmp_gt_u32_e32 vcc, 5, v0
	;; [unrolled: 45-line block ×19, first 2 shown]
	s_waitcnt vmcnt(0)
	ds_write_b128 v1, v[2:5]
	s_waitcnt lgkmcnt(0)
	; wave barrier
	s_and_saveexec_b64 s[0:1], vcc
	s_cbranch_execz .LBB36_103
; %bb.100:
	v_add_u32_e32 v7, -1, v0
	v_add_u32_e32 v8, 0x250, v54
	v_add_u32_e32 v9, 16, v54
	v_mov_b64_e32 v[2:3], 0
	s_mov_b64 s[4:5], 0
	v_mov_b64_e32 v[4:5], 0
.LBB36_101:                             ; =>This Inner Loop Header: Depth=1
	scratch_load_dwordx4 v[10:13], v9, off
	ds_read_b128 v[14:17], v8
	v_add_u32_e32 v7, 1, v7
	v_cmp_lt_u32_e32 vcc, 20, v7
	v_add_u32_e32 v8, 16, v8
	v_add_u32_e32 v9, 16, v9
	s_or_b64 s[4:5], vcc, s[4:5]
	s_waitcnt vmcnt(0) lgkmcnt(0)
	v_mul_f64 v[18:19], v[16:17], v[12:13]
	v_mul_f64 v[12:13], v[14:15], v[12:13]
	v_fma_f64 v[14:15], v[14:15], v[10:11], -v[18:19]
	v_fmac_f64_e32 v[12:13], v[16:17], v[10:11]
	v_add_f64 v[4:5], v[4:5], v[14:15]
	v_add_f64 v[2:3], v[2:3], v[12:13]
	s_andn2_b64 exec, exec, s[4:5]
	s_cbranch_execnz .LBB36_101
; %bb.102:
	s_or_b64 exec, exec, s[4:5]
	v_mov_b32_e32 v7, 0
	ds_read_b128 v[8:11], v7 offset:352
	s_waitcnt lgkmcnt(0)
	v_mul_f64 v[14:15], v[2:3], v[10:11]
	v_mul_f64 v[12:13], v[4:5], v[10:11]
	v_fma_f64 v[10:11], v[4:5], v[8:9], -v[14:15]
	v_fmac_f64_e32 v[12:13], v[2:3], v[8:9]
	scratch_store_dwordx4 off, v[10:13], off offset:368
.LBB36_103:
	s_or_b64 exec, exec, s[0:1]
	; wave barrier
	scratch_load_dwordx4 v[2:5], off, s37
	v_cmp_gt_u32_e32 vcc, 23, v0
	s_waitcnt vmcnt(0)
	ds_write_b128 v1, v[2:5]
	s_waitcnt lgkmcnt(0)
	; wave barrier
	s_and_saveexec_b64 s[0:1], vcc
	s_cbranch_execz .LBB36_107
; %bb.104:
	v_add_u32_e32 v7, -1, v0
	v_add_u32_e32 v8, 0x250, v54
	v_add_u32_e32 v9, 16, v54
	v_mov_b64_e32 v[2:3], 0
	s_mov_b64 s[4:5], 0
	v_mov_b64_e32 v[4:5], 0
.LBB36_105:                             ; =>This Inner Loop Header: Depth=1
	scratch_load_dwordx4 v[10:13], v9, off
	ds_read_b128 v[14:17], v8
	v_add_u32_e32 v7, 1, v7
	v_cmp_lt_u32_e32 vcc, 21, v7
	v_add_u32_e32 v8, 16, v8
	v_add_u32_e32 v9, 16, v9
	s_or_b64 s[4:5], vcc, s[4:5]
	s_waitcnt vmcnt(0) lgkmcnt(0)
	v_mul_f64 v[18:19], v[16:17], v[12:13]
	v_mul_f64 v[12:13], v[14:15], v[12:13]
	v_fma_f64 v[14:15], v[14:15], v[10:11], -v[18:19]
	v_fmac_f64_e32 v[12:13], v[16:17], v[10:11]
	v_add_f64 v[4:5], v[4:5], v[14:15]
	v_add_f64 v[2:3], v[2:3], v[12:13]
	s_andn2_b64 exec, exec, s[4:5]
	s_cbranch_execnz .LBB36_105
; %bb.106:
	s_or_b64 exec, exec, s[4:5]
	v_mov_b32_e32 v7, 0
	ds_read_b128 v[8:11], v7 offset:368
	s_waitcnt lgkmcnt(0)
	v_mul_f64 v[14:15], v[2:3], v[10:11]
	v_mul_f64 v[12:13], v[4:5], v[10:11]
	v_fma_f64 v[10:11], v[4:5], v[8:9], -v[14:15]
	v_fmac_f64_e32 v[12:13], v[2:3], v[8:9]
	scratch_store_dwordx4 off, v[10:13], off offset:384
.LBB36_107:
	s_or_b64 exec, exec, s[0:1]
	; wave barrier
	scratch_load_dwordx4 v[2:5], off, s38
	v_cmp_gt_u32_e32 vcc, 24, v0
	;; [unrolled: 45-line block ×13, first 2 shown]
	s_waitcnt vmcnt(0)
	ds_write_b128 v1, v[2:5]
	s_waitcnt lgkmcnt(0)
	; wave barrier
	s_and_saveexec_b64 s[0:1], vcc
	s_cbranch_execz .LBB36_155
; %bb.152:
	v_add_u32_e32 v7, -1, v0
	v_add_u32_e32 v8, 0x250, v54
	v_add_u32_e32 v9, 16, v54
	v_mov_b64_e32 v[2:3], 0
	s_mov_b64 s[4:5], 0
	v_mov_b64_e32 v[4:5], 0
.LBB36_153:                             ; =>This Inner Loop Header: Depth=1
	scratch_load_dwordx4 v[10:13], v9, off
	ds_read_b128 v[14:17], v8
	v_add_u32_e32 v7, 1, v7
	v_cmp_lt_u32_e32 vcc, 33, v7
	v_add_u32_e32 v8, 16, v8
	v_add_u32_e32 v9, 16, v9
	s_or_b64 s[4:5], vcc, s[4:5]
	s_waitcnt vmcnt(0) lgkmcnt(0)
	v_mul_f64 v[18:19], v[16:17], v[12:13]
	v_mul_f64 v[12:13], v[14:15], v[12:13]
	v_fma_f64 v[14:15], v[14:15], v[10:11], -v[18:19]
	v_fmac_f64_e32 v[12:13], v[16:17], v[10:11]
	v_add_f64 v[4:5], v[4:5], v[14:15]
	v_add_f64 v[2:3], v[2:3], v[12:13]
	s_andn2_b64 exec, exec, s[4:5]
	s_cbranch_execnz .LBB36_153
; %bb.154:
	s_or_b64 exec, exec, s[4:5]
	v_mov_b32_e32 v7, 0
	ds_read_b128 v[8:11], v7 offset:560
	s_waitcnt lgkmcnt(0)
	v_mul_f64 v[14:15], v[2:3], v[10:11]
	v_mul_f64 v[12:13], v[4:5], v[10:11]
	v_fma_f64 v[10:11], v[4:5], v[8:9], -v[14:15]
	v_fmac_f64_e32 v[12:13], v[2:3], v[8:9]
	scratch_store_dwordx4 off, v[10:13], off offset:576
.LBB36_155:
	s_or_b64 exec, exec, s[0:1]
	; wave barrier
	scratch_load_dwordx4 v[2:5], off, s50
	v_cmp_ne_u32_e32 vcc, 36, v0
	s_waitcnt vmcnt(0)
	ds_write_b128 v1, v[2:5]
	s_waitcnt lgkmcnt(0)
	; wave barrier
	s_and_saveexec_b64 s[0:1], vcc
	s_cbranch_execz .LBB36_159
; %bb.156:
	v_add_u32_e32 v1, 0x250, v54
	v_add_u32_e32 v7, 16, v54
	v_mov_b64_e32 v[2:3], 0
	s_mov_b64 s[4:5], 0
	v_mov_b64_e32 v[4:5], 0
.LBB36_157:                             ; =>This Inner Loop Header: Depth=1
	scratch_load_dwordx4 v[8:11], v7, off
	ds_read_b128 v[12:15], v1
	v_add_u32_e32 v6, 1, v6
	v_cmp_lt_u32_e32 vcc, 34, v6
	v_add_u32_e32 v1, 16, v1
	v_add_u32_e32 v7, 16, v7
	s_or_b64 s[4:5], vcc, s[4:5]
	s_waitcnt vmcnt(0) lgkmcnt(0)
	v_mul_f64 v[16:17], v[14:15], v[10:11]
	v_mul_f64 v[10:11], v[12:13], v[10:11]
	v_fma_f64 v[12:13], v[12:13], v[8:9], -v[16:17]
	v_fmac_f64_e32 v[10:11], v[14:15], v[8:9]
	v_add_f64 v[4:5], v[4:5], v[12:13]
	v_add_f64 v[2:3], v[2:3], v[10:11]
	s_andn2_b64 exec, exec, s[4:5]
	s_cbranch_execnz .LBB36_157
; %bb.158:
	s_or_b64 exec, exec, s[4:5]
	v_mov_b32_e32 v1, 0
	ds_read_b128 v[6:9], v1 offset:576
	s_waitcnt lgkmcnt(0)
	v_mul_f64 v[12:13], v[2:3], v[8:9]
	v_mul_f64 v[10:11], v[4:5], v[8:9]
	v_fma_f64 v[8:9], v[4:5], v[6:7], -v[12:13]
	v_fmac_f64_e32 v[10:11], v[2:3], v[6:7]
	scratch_store_dwordx4 off, v[8:11], off offset:592
.LBB36_159:
	s_or_b64 exec, exec, s[0:1]
	s_mov_b64 s[4:5], -1
	; wave barrier
.LBB36_160:
	s_and_b64 vcc, exec, s[4:5]
	s_cbranch_vccz .LBB36_162
; %bb.161:
	s_lshl_b64 s[0:1], s[2:3], 2
	s_add_u32 s0, s6, s0
	s_addc_u32 s1, s7, s1
	v_mov_b32_e32 v1, 0
	global_load_dword v1, v1, s[0:1]
	s_waitcnt vmcnt(0)
	v_cmp_ne_u32_e32 vcc, 0, v1
	s_cbranch_vccz .LBB36_163
.LBB36_162:
	s_endpgm
.LBB36_163:
	v_mov_b32_e32 v1, 0x250
	v_lshl_add_u32 v1, v0, 4, v1
	v_cmp_eq_u32_e32 vcc, 36, v0
	s_and_saveexec_b64 s[0:1], vcc
	s_cbranch_execz .LBB36_165
; %bb.164:
	scratch_load_dwordx4 v[2:5], off, s49
	v_mov_b32_e32 v6, 0
	v_mov_b32_e32 v7, v6
	;; [unrolled: 1-line block ×4, first 2 shown]
	scratch_store_dwordx4 off, v[6:9], off offset:576
	s_waitcnt vmcnt(1)
	ds_write_b128 v1, v[2:5]
.LBB36_165:
	s_or_b64 exec, exec, s[0:1]
	s_waitcnt lgkmcnt(0)
	; wave barrier
	scratch_load_dwordx4 v[4:7], off, off offset:592
	scratch_load_dwordx4 v[8:11], off, off offset:576
	v_mov_b32_e32 v2, 0
	ds_read_b128 v[12:15], v2 offset:1168
	v_cmp_lt_u32_e32 vcc, 34, v0
	s_waitcnt vmcnt(1) lgkmcnt(0)
	v_mul_f64 v[16:17], v[12:13], v[6:7]
	v_mul_f64 v[6:7], v[14:15], v[6:7]
	v_fmac_f64_e32 v[16:17], v[14:15], v[4:5]
	v_fma_f64 v[4:5], v[12:13], v[4:5], -v[6:7]
	v_add_f64 v[6:7], v[16:17], 0
	v_add_f64 v[4:5], v[4:5], 0
	s_waitcnt vmcnt(0)
	v_add_f64 v[4:5], v[8:9], -v[4:5]
	v_add_f64 v[6:7], v[10:11], -v[6:7]
	scratch_store_dwordx4 off, v[4:7], off offset:576
	s_and_saveexec_b64 s[0:1], vcc
	s_cbranch_execz .LBB36_167
; %bb.166:
	scratch_load_dwordx4 v[6:9], off, s48
	v_mov_b32_e32 v3, v2
	v_mov_b32_e32 v4, v2
	;; [unrolled: 1-line block ×3, first 2 shown]
	scratch_store_dwordx4 off, v[2:5], off offset:560
	s_waitcnt vmcnt(1)
	ds_write_b128 v1, v[6:9]
.LBB36_167:
	s_or_b64 exec, exec, s[0:1]
	s_waitcnt lgkmcnt(0)
	; wave barrier
	scratch_load_dwordx4 v[4:7], off, off offset:576
	scratch_load_dwordx4 v[8:11], off, off offset:592
	;; [unrolled: 1-line block ×3, first 2 shown]
	ds_read_b128 v[16:19], v2 offset:1152
	ds_read_b128 v[20:23], v2 offset:1168
	v_cmp_lt_u32_e32 vcc, 33, v0
	s_waitcnt vmcnt(2) lgkmcnt(1)
	v_mul_f64 v[2:3], v[16:17], v[6:7]
	v_mul_f64 v[6:7], v[18:19], v[6:7]
	s_waitcnt vmcnt(1) lgkmcnt(0)
	v_mul_f64 v[24:25], v[20:21], v[10:11]
	v_mul_f64 v[10:11], v[22:23], v[10:11]
	v_fmac_f64_e32 v[2:3], v[18:19], v[4:5]
	v_fma_f64 v[4:5], v[16:17], v[4:5], -v[6:7]
	v_fmac_f64_e32 v[24:25], v[22:23], v[8:9]
	v_fma_f64 v[6:7], v[20:21], v[8:9], -v[10:11]
	v_add_f64 v[2:3], v[2:3], 0
	v_add_f64 v[4:5], v[4:5], 0
	;; [unrolled: 1-line block ×4, first 2 shown]
	s_waitcnt vmcnt(0)
	v_add_f64 v[2:3], v[12:13], -v[2:3]
	v_add_f64 v[4:5], v[14:15], -v[8:9]
	scratch_store_dwordx4 off, v[2:5], off offset:560
	s_and_saveexec_b64 s[0:1], vcc
	s_cbranch_execz .LBB36_169
; %bb.168:
	scratch_load_dwordx4 v[2:5], off, s47
	v_mov_b32_e32 v6, 0
	v_mov_b32_e32 v7, v6
	;; [unrolled: 1-line block ×4, first 2 shown]
	scratch_store_dwordx4 off, v[6:9], off offset:544
	s_waitcnt vmcnt(1)
	ds_write_b128 v1, v[2:5]
.LBB36_169:
	s_or_b64 exec, exec, s[0:1]
	s_waitcnt lgkmcnt(0)
	; wave barrier
	scratch_load_dwordx4 v[4:7], off, off offset:560
	scratch_load_dwordx4 v[8:11], off, off offset:576
	;; [unrolled: 1-line block ×4, first 2 shown]
	v_mov_b32_e32 v2, 0
	ds_read_b128 v[20:23], v2 offset:1136
	ds_read_b128 v[24:27], v2 offset:1152
	;; [unrolled: 1-line block ×3, first 2 shown]
	v_cmp_lt_u32_e32 vcc, 32, v0
	s_waitcnt vmcnt(3) lgkmcnt(2)
	v_mul_f64 v[32:33], v[20:21], v[6:7]
	v_mul_f64 v[6:7], v[22:23], v[6:7]
	s_waitcnt vmcnt(2) lgkmcnt(1)
	v_mul_f64 v[34:35], v[24:25], v[10:11]
	v_mul_f64 v[10:11], v[26:27], v[10:11]
	v_fmac_f64_e32 v[32:33], v[22:23], v[4:5]
	v_fma_f64 v[4:5], v[20:21], v[4:5], -v[6:7]
	s_waitcnt vmcnt(1) lgkmcnt(0)
	v_mul_f64 v[36:37], v[28:29], v[14:15]
	v_mul_f64 v[14:15], v[30:31], v[14:15]
	v_fmac_f64_e32 v[34:35], v[26:27], v[8:9]
	v_fma_f64 v[6:7], v[24:25], v[8:9], -v[10:11]
	v_add_f64 v[10:11], v[32:33], 0
	v_add_f64 v[4:5], v[4:5], 0
	v_fmac_f64_e32 v[36:37], v[30:31], v[12:13]
	v_fma_f64 v[8:9], v[28:29], v[12:13], -v[14:15]
	v_add_f64 v[10:11], v[10:11], v[34:35]
	v_add_f64 v[4:5], v[4:5], v[6:7]
	;; [unrolled: 1-line block ×4, first 2 shown]
	s_waitcnt vmcnt(0)
	v_add_f64 v[4:5], v[16:17], -v[4:5]
	v_add_f64 v[6:7], v[18:19], -v[6:7]
	scratch_store_dwordx4 off, v[4:7], off offset:544
	s_and_saveexec_b64 s[0:1], vcc
	s_cbranch_execz .LBB36_171
; %bb.170:
	scratch_load_dwordx4 v[6:9], off, s46
	v_mov_b32_e32 v3, v2
	v_mov_b32_e32 v4, v2
	v_mov_b32_e32 v5, v2
	scratch_store_dwordx4 off, v[2:5], off offset:528
	s_waitcnt vmcnt(1)
	ds_write_b128 v1, v[6:9]
.LBB36_171:
	s_or_b64 exec, exec, s[0:1]
	s_waitcnt lgkmcnt(0)
	; wave barrier
	scratch_load_dwordx4 v[4:7], off, off offset:544
	scratch_load_dwordx4 v[8:11], off, off offset:560
	;; [unrolled: 1-line block ×5, first 2 shown]
	ds_read_b128 v[24:27], v2 offset:1120
	ds_read_b128 v[28:31], v2 offset:1136
	;; [unrolled: 1-line block ×4, first 2 shown]
	v_cmp_lt_u32_e32 vcc, 31, v0
	s_waitcnt vmcnt(4) lgkmcnt(3)
	v_mul_f64 v[2:3], v[24:25], v[6:7]
	v_mul_f64 v[6:7], v[26:27], v[6:7]
	s_waitcnt vmcnt(3) lgkmcnt(2)
	v_mul_f64 v[40:41], v[28:29], v[10:11]
	v_mul_f64 v[10:11], v[30:31], v[10:11]
	v_fmac_f64_e32 v[2:3], v[26:27], v[4:5]
	v_fma_f64 v[4:5], v[24:25], v[4:5], -v[6:7]
	s_waitcnt vmcnt(2) lgkmcnt(1)
	v_mul_f64 v[42:43], v[32:33], v[14:15]
	v_mul_f64 v[14:15], v[34:35], v[14:15]
	v_fmac_f64_e32 v[40:41], v[30:31], v[8:9]
	v_fma_f64 v[6:7], v[28:29], v[8:9], -v[10:11]
	v_add_f64 v[2:3], v[2:3], 0
	v_add_f64 v[4:5], v[4:5], 0
	s_waitcnt vmcnt(1) lgkmcnt(0)
	v_mul_f64 v[44:45], v[36:37], v[18:19]
	v_mul_f64 v[18:19], v[38:39], v[18:19]
	v_fmac_f64_e32 v[42:43], v[34:35], v[12:13]
	v_fma_f64 v[8:9], v[32:33], v[12:13], -v[14:15]
	v_add_f64 v[2:3], v[2:3], v[40:41]
	v_add_f64 v[4:5], v[4:5], v[6:7]
	v_fmac_f64_e32 v[44:45], v[38:39], v[16:17]
	v_fma_f64 v[10:11], v[36:37], v[16:17], -v[18:19]
	v_add_f64 v[2:3], v[2:3], v[42:43]
	v_add_f64 v[4:5], v[4:5], v[8:9]
	;; [unrolled: 1-line block ×4, first 2 shown]
	s_waitcnt vmcnt(0)
	v_add_f64 v[2:3], v[20:21], -v[2:3]
	v_add_f64 v[4:5], v[22:23], -v[6:7]
	scratch_store_dwordx4 off, v[2:5], off offset:528
	s_and_saveexec_b64 s[0:1], vcc
	s_cbranch_execz .LBB36_173
; %bb.172:
	scratch_load_dwordx4 v[2:5], off, s45
	v_mov_b32_e32 v6, 0
	v_mov_b32_e32 v7, v6
	;; [unrolled: 1-line block ×4, first 2 shown]
	scratch_store_dwordx4 off, v[6:9], off offset:512
	s_waitcnt vmcnt(1)
	ds_write_b128 v1, v[2:5]
.LBB36_173:
	s_or_b64 exec, exec, s[0:1]
	v_mov_b32_e32 v2, 0
	s_waitcnt lgkmcnt(0)
	; wave barrier
	ds_read_b128 v[4:7], v2 offset:1104
	ds_read_b128 v[8:11], v2 offset:1120
	;; [unrolled: 1-line block ×4, first 2 shown]
	scratch_load_dwordx4 v[20:23], off, off offset:528
	scratch_load_dwordx4 v[40:43], off, off offset:592
	v_cmp_lt_u32_e32 vcc, 30, v0
	s_waitcnt vmcnt(1) lgkmcnt(3)
	v_mul_f64 v[24:25], v[4:5], v[22:23]
	v_fmac_f64_e32 v[24:25], v[6:7], v[20:21]
	v_add_f64 v[28:29], v[24:25], 0
	scratch_load_dwordx4 v[24:27], off, off offset:544
	v_mul_f64 v[6:7], v[6:7], v[22:23]
	v_fma_f64 v[4:5], v[4:5], v[20:21], -v[6:7]
	v_add_f64 v[4:5], v[4:5], 0
	s_waitcnt vmcnt(0) lgkmcnt(2)
	v_mul_f64 v[30:31], v[8:9], v[26:27]
	v_fmac_f64_e32 v[30:31], v[10:11], v[24:25]
	v_add_f64 v[32:33], v[28:29], v[30:31]
	scratch_load_dwordx4 v[28:31], off, off offset:560
	v_mul_f64 v[6:7], v[10:11], v[26:27]
	v_fma_f64 v[6:7], v[8:9], v[24:25], -v[6:7]
	v_add_f64 v[4:5], v[4:5], v[6:7]
	;; [unrolled: 8-line block ×3, first 2 shown]
	s_waitcnt vmcnt(0) lgkmcnt(0)
	v_mul_f64 v[38:39], v[16:17], v[34:35]
	v_fmac_f64_e32 v[38:39], v[18:19], v[32:33]
	v_add_f64 v[44:45], v[36:37], v[38:39]
	ds_read_b128 v[36:39], v2 offset:1168
	v_mul_f64 v[6:7], v[18:19], v[34:35]
	v_fma_f64 v[6:7], v[16:17], v[32:33], -v[6:7]
	v_add_f64 v[4:5], v[4:5], v[6:7]
	s_waitcnt lgkmcnt(0)
	v_mul_f64 v[6:7], v[38:39], v[42:43]
	v_fma_f64 v[6:7], v[36:37], v[40:41], -v[6:7]
	v_add_f64 v[8:9], v[4:5], v[6:7]
	scratch_load_dwordx4 v[4:7], off, off offset:512
	v_mul_f64 v[46:47], v[36:37], v[42:43]
	v_fmac_f64_e32 v[46:47], v[38:39], v[40:41]
	v_add_f64 v[44:45], v[44:45], v[46:47]
	s_waitcnt vmcnt(0)
	v_add_f64 v[4:5], v[4:5], -v[8:9]
	v_add_f64 v[6:7], v[6:7], -v[44:45]
	scratch_store_dwordx4 off, v[4:7], off offset:512
	s_and_saveexec_b64 s[0:1], vcc
	s_cbranch_execz .LBB36_175
; %bb.174:
	scratch_load_dwordx4 v[6:9], off, s44
	v_mov_b32_e32 v3, v2
	v_mov_b32_e32 v4, v2
	;; [unrolled: 1-line block ×3, first 2 shown]
	scratch_store_dwordx4 off, v[2:5], off offset:496
	s_waitcnt vmcnt(1)
	ds_write_b128 v1, v[6:9]
.LBB36_175:
	s_or_b64 exec, exec, s[0:1]
	s_waitcnt lgkmcnt(0)
	; wave barrier
	scratch_load_dwordx4 v[4:7], off, off offset:512
	scratch_load_dwordx4 v[8:11], off, off offset:528
	;; [unrolled: 1-line block ×7, first 2 shown]
	ds_read_b128 v[32:35], v2 offset:1088
	ds_read_b128 v[36:39], v2 offset:1104
	;; [unrolled: 1-line block ×6, first 2 shown]
	v_cmp_lt_u32_e32 vcc, 29, v0
	s_waitcnt vmcnt(6) lgkmcnt(5)
	v_mul_f64 v[2:3], v[32:33], v[6:7]
	v_mul_f64 v[6:7], v[34:35], v[6:7]
	s_waitcnt vmcnt(5) lgkmcnt(4)
	v_mul_f64 v[56:57], v[36:37], v[10:11]
	v_mul_f64 v[10:11], v[38:39], v[10:11]
	v_fmac_f64_e32 v[2:3], v[34:35], v[4:5]
	v_fma_f64 v[4:5], v[32:33], v[4:5], -v[6:7]
	s_waitcnt vmcnt(4) lgkmcnt(3)
	v_mul_f64 v[58:59], v[40:41], v[14:15]
	v_mul_f64 v[14:15], v[42:43], v[14:15]
	v_fmac_f64_e32 v[56:57], v[38:39], v[8:9]
	v_fma_f64 v[6:7], v[36:37], v[8:9], -v[10:11]
	v_add_f64 v[2:3], v[2:3], 0
	v_add_f64 v[4:5], v[4:5], 0
	s_waitcnt vmcnt(3) lgkmcnt(2)
	v_mul_f64 v[60:61], v[44:45], v[18:19]
	v_mul_f64 v[18:19], v[46:47], v[18:19]
	v_fmac_f64_e32 v[58:59], v[42:43], v[12:13]
	v_fma_f64 v[8:9], v[40:41], v[12:13], -v[14:15]
	v_add_f64 v[2:3], v[2:3], v[56:57]
	v_add_f64 v[4:5], v[4:5], v[6:7]
	;; [unrolled: 7-line block ×4, first 2 shown]
	v_fmac_f64_e32 v[64:65], v[54:55], v[24:25]
	v_fma_f64 v[14:15], v[52:53], v[24:25], -v[26:27]
	v_add_f64 v[2:3], v[2:3], v[62:63]
	v_add_f64 v[4:5], v[4:5], v[12:13]
	;; [unrolled: 1-line block ×4, first 2 shown]
	s_waitcnt vmcnt(0)
	v_add_f64 v[2:3], v[28:29], -v[2:3]
	v_add_f64 v[4:5], v[30:31], -v[6:7]
	scratch_store_dwordx4 off, v[2:5], off offset:496
	s_and_saveexec_b64 s[0:1], vcc
	s_cbranch_execz .LBB36_177
; %bb.176:
	scratch_load_dwordx4 v[2:5], off, s43
	v_mov_b32_e32 v6, 0
	v_mov_b32_e32 v7, v6
	;; [unrolled: 1-line block ×4, first 2 shown]
	scratch_store_dwordx4 off, v[6:9], off offset:480
	s_waitcnt vmcnt(1)
	ds_write_b128 v1, v[2:5]
.LBB36_177:
	s_or_b64 exec, exec, s[0:1]
	s_waitcnt lgkmcnt(0)
	; wave barrier
	scratch_load_dwordx4 v[4:7], off, off offset:496
	scratch_load_dwordx4 v[8:11], off, off offset:512
	;; [unrolled: 1-line block ×8, first 2 shown]
	v_mov_b32_e32 v2, 0
	ds_read_b128 v[36:39], v2 offset:1072
	ds_read_b128 v[40:43], v2 offset:1088
	;; [unrolled: 1-line block ×7, first 2 shown]
	v_cmp_lt_u32_e32 vcc, 28, v0
	s_waitcnt vmcnt(7) lgkmcnt(6)
	v_mul_f64 v[64:65], v[36:37], v[6:7]
	v_mul_f64 v[6:7], v[38:39], v[6:7]
	s_waitcnt vmcnt(6) lgkmcnt(5)
	v_mul_f64 v[66:67], v[40:41], v[10:11]
	s_waitcnt vmcnt(4) lgkmcnt(3)
	v_mul_f64 v[70:71], v[48:49], v[18:19]
	v_mul_f64 v[10:11], v[42:43], v[10:11]
	;; [unrolled: 1-line block ×3, first 2 shown]
	v_fmac_f64_e32 v[64:65], v[38:39], v[4:5]
	v_fma_f64 v[4:5], v[36:37], v[4:5], -v[6:7]
	v_mul_f64 v[68:69], v[44:45], v[14:15]
	v_mul_f64 v[14:15], v[46:47], v[14:15]
	v_fmac_f64_e32 v[66:67], v[42:43], v[8:9]
	v_fma_f64 v[6:7], v[40:41], v[8:9], -v[10:11]
	v_fma_f64 v[10:11], v[48:49], v[16:17], -v[18:19]
	v_add_f64 v[18:19], v[64:65], 0
	v_add_f64 v[4:5], v[4:5], 0
	v_fmac_f64_e32 v[68:69], v[46:47], v[12:13]
	v_fma_f64 v[8:9], v[44:45], v[12:13], -v[14:15]
	v_add_f64 v[18:19], v[18:19], v[66:67]
	v_add_f64 v[4:5], v[4:5], v[6:7]
	s_waitcnt vmcnt(3) lgkmcnt(2)
	v_mul_f64 v[72:73], v[52:53], v[22:23]
	v_mul_f64 v[22:23], v[54:55], v[22:23]
	v_fmac_f64_e32 v[70:71], v[50:51], v[16:17]
	v_add_f64 v[6:7], v[18:19], v[68:69]
	v_add_f64 v[4:5], v[4:5], v[8:9]
	s_waitcnt vmcnt(2) lgkmcnt(1)
	v_mul_f64 v[74:75], v[56:57], v[26:27]
	v_mul_f64 v[26:27], v[58:59], v[26:27]
	v_fmac_f64_e32 v[72:73], v[54:55], v[20:21]
	v_fma_f64 v[12:13], v[52:53], v[20:21], -v[22:23]
	v_add_f64 v[6:7], v[6:7], v[70:71]
	v_add_f64 v[4:5], v[4:5], v[10:11]
	s_waitcnt vmcnt(1) lgkmcnt(0)
	v_mul_f64 v[76:77], v[60:61], v[30:31]
	v_mul_f64 v[30:31], v[62:63], v[30:31]
	v_fmac_f64_e32 v[74:75], v[58:59], v[24:25]
	v_fma_f64 v[14:15], v[56:57], v[24:25], -v[26:27]
	v_add_f64 v[6:7], v[6:7], v[72:73]
	v_add_f64 v[4:5], v[4:5], v[12:13]
	v_fmac_f64_e32 v[76:77], v[62:63], v[28:29]
	v_fma_f64 v[16:17], v[60:61], v[28:29], -v[30:31]
	v_add_f64 v[6:7], v[6:7], v[74:75]
	v_add_f64 v[4:5], v[4:5], v[14:15]
	;; [unrolled: 1-line block ×4, first 2 shown]
	s_waitcnt vmcnt(0)
	v_add_f64 v[4:5], v[32:33], -v[4:5]
	v_add_f64 v[6:7], v[34:35], -v[6:7]
	scratch_store_dwordx4 off, v[4:7], off offset:480
	s_and_saveexec_b64 s[0:1], vcc
	s_cbranch_execz .LBB36_179
; %bb.178:
	scratch_load_dwordx4 v[6:9], off, s42
	v_mov_b32_e32 v3, v2
	v_mov_b32_e32 v4, v2
	;; [unrolled: 1-line block ×3, first 2 shown]
	scratch_store_dwordx4 off, v[2:5], off offset:464
	s_waitcnt vmcnt(1)
	ds_write_b128 v1, v[6:9]
.LBB36_179:
	s_or_b64 exec, exec, s[0:1]
	s_waitcnt lgkmcnt(0)
	; wave barrier
	scratch_load_dwordx4 v[4:7], off, off offset:480
	scratch_load_dwordx4 v[8:11], off, off offset:496
	;; [unrolled: 1-line block ×9, first 2 shown]
	ds_read_b128 v[40:43], v2 offset:1056
	ds_read_b128 v[44:47], v2 offset:1072
	;; [unrolled: 1-line block ×8, first 2 shown]
	v_cmp_lt_u32_e32 vcc, 27, v0
	s_waitcnt vmcnt(8) lgkmcnt(7)
	v_mul_f64 v[2:3], v[40:41], v[6:7]
	v_mul_f64 v[6:7], v[42:43], v[6:7]
	s_waitcnt vmcnt(7) lgkmcnt(6)
	v_mul_f64 v[72:73], v[44:45], v[10:11]
	v_mul_f64 v[10:11], v[46:47], v[10:11]
	v_fmac_f64_e32 v[2:3], v[42:43], v[4:5]
	v_fma_f64 v[4:5], v[40:41], v[4:5], -v[6:7]
	s_waitcnt vmcnt(6) lgkmcnt(5)
	v_mul_f64 v[74:75], v[48:49], v[14:15]
	v_mul_f64 v[14:15], v[50:51], v[14:15]
	v_fmac_f64_e32 v[72:73], v[46:47], v[8:9]
	v_fma_f64 v[6:7], v[44:45], v[8:9], -v[10:11]
	v_add_f64 v[2:3], v[2:3], 0
	v_add_f64 v[4:5], v[4:5], 0
	s_waitcnt vmcnt(5) lgkmcnt(4)
	v_mul_f64 v[76:77], v[52:53], v[18:19]
	v_mul_f64 v[18:19], v[54:55], v[18:19]
	v_fmac_f64_e32 v[74:75], v[50:51], v[12:13]
	v_fma_f64 v[8:9], v[48:49], v[12:13], -v[14:15]
	v_add_f64 v[2:3], v[2:3], v[72:73]
	v_add_f64 v[4:5], v[4:5], v[6:7]
	;; [unrolled: 7-line block ×6, first 2 shown]
	v_fmac_f64_e32 v[84:85], v[70:71], v[32:33]
	v_fma_f64 v[18:19], v[68:69], v[32:33], -v[34:35]
	v_add_f64 v[2:3], v[2:3], v[82:83]
	v_add_f64 v[4:5], v[4:5], v[16:17]
	;; [unrolled: 1-line block ×4, first 2 shown]
	s_waitcnt vmcnt(0)
	v_add_f64 v[2:3], v[36:37], -v[2:3]
	v_add_f64 v[4:5], v[38:39], -v[6:7]
	scratch_store_dwordx4 off, v[2:5], off offset:464
	s_and_saveexec_b64 s[0:1], vcc
	s_cbranch_execz .LBB36_181
; %bb.180:
	scratch_load_dwordx4 v[2:5], off, s41
	v_mov_b32_e32 v6, 0
	v_mov_b32_e32 v7, v6
	;; [unrolled: 1-line block ×4, first 2 shown]
	scratch_store_dwordx4 off, v[6:9], off offset:448
	s_waitcnt vmcnt(1)
	ds_write_b128 v1, v[2:5]
.LBB36_181:
	s_or_b64 exec, exec, s[0:1]
	v_mov_b32_e32 v2, 0
	s_waitcnt lgkmcnt(0)
	; wave barrier
	ds_read_b128 v[4:7], v2 offset:1040
	ds_read_b128 v[8:11], v2 offset:1056
	;; [unrolled: 1-line block ×4, first 2 shown]
	scratch_load_dwordx4 v[20:23], off, off offset:464
	scratch_load_dwordx4 v[40:43], off, off offset:528
	;; [unrolled: 1-line block ×3, first 2 shown]
	v_cmp_lt_u32_e32 vcc, 26, v0
	scratch_load_dwordx4 v[48:51], off, off offset:544
	scratch_load_dwordx4 v[56:59], off, off offset:560
	scratch_load_dwordx4 v[64:67], off, off offset:576
	s_waitcnt vmcnt(5) lgkmcnt(3)
	v_mul_f64 v[24:25], v[4:5], v[22:23]
	v_fmac_f64_e32 v[24:25], v[6:7], v[20:21]
	v_add_f64 v[28:29], v[24:25], 0
	scratch_load_dwordx4 v[24:27], off, off offset:480
	v_mul_f64 v[6:7], v[6:7], v[22:23]
	v_fma_f64 v[4:5], v[4:5], v[20:21], -v[6:7]
	v_add_f64 v[4:5], v[4:5], 0
	s_waitcnt vmcnt(0) lgkmcnt(2)
	v_mul_f64 v[30:31], v[8:9], v[26:27]
	v_fmac_f64_e32 v[30:31], v[10:11], v[24:25]
	v_add_f64 v[32:33], v[28:29], v[30:31]
	scratch_load_dwordx4 v[28:31], off, off offset:496
	v_mul_f64 v[6:7], v[10:11], v[26:27]
	v_fma_f64 v[6:7], v[8:9], v[24:25], -v[6:7]
	v_add_f64 v[4:5], v[4:5], v[6:7]
	;; [unrolled: 8-line block ×3, first 2 shown]
	s_waitcnt vmcnt(0) lgkmcnt(0)
	v_mul_f64 v[38:39], v[16:17], v[34:35]
	v_fmac_f64_e32 v[38:39], v[18:19], v[32:33]
	v_add_f64 v[44:45], v[36:37], v[38:39]
	ds_read_b128 v[36:39], v2 offset:1104
	v_mul_f64 v[6:7], v[18:19], v[34:35]
	v_fma_f64 v[6:7], v[16:17], v[32:33], -v[6:7]
	v_add_f64 v[4:5], v[4:5], v[6:7]
	s_waitcnt lgkmcnt(0)
	v_mul_f64 v[46:47], v[36:37], v[42:43]
	v_fmac_f64_e32 v[46:47], v[38:39], v[40:41]
	v_add_f64 v[52:53], v[44:45], v[46:47]
	ds_read_b128 v[44:47], v2 offset:1120
	v_mul_f64 v[6:7], v[38:39], v[42:43]
	v_fma_f64 v[6:7], v[36:37], v[40:41], -v[6:7]
	v_add_f64 v[4:5], v[4:5], v[6:7]
	s_waitcnt lgkmcnt(0)
	;; [unrolled: 8-line block ×5, first 2 shown]
	v_mul_f64 v[6:7], v[70:71], v[74:75]
	v_fma_f64 v[6:7], v[68:69], v[72:73], -v[6:7]
	v_add_f64 v[8:9], v[4:5], v[6:7]
	scratch_load_dwordx4 v[4:7], off, off offset:448
	v_mul_f64 v[78:79], v[68:69], v[74:75]
	v_fmac_f64_e32 v[78:79], v[70:71], v[72:73]
	v_add_f64 v[76:77], v[76:77], v[78:79]
	s_waitcnt vmcnt(0)
	v_add_f64 v[4:5], v[4:5], -v[8:9]
	v_add_f64 v[6:7], v[6:7], -v[76:77]
	scratch_store_dwordx4 off, v[4:7], off offset:448
	s_and_saveexec_b64 s[0:1], vcc
	s_cbranch_execz .LBB36_183
; %bb.182:
	scratch_load_dwordx4 v[6:9], off, s40
	v_mov_b32_e32 v3, v2
	v_mov_b32_e32 v4, v2
	v_mov_b32_e32 v5, v2
	scratch_store_dwordx4 off, v[2:5], off offset:432
	s_waitcnt vmcnt(1)
	ds_write_b128 v1, v[6:9]
.LBB36_183:
	s_or_b64 exec, exec, s[0:1]
	s_waitcnt lgkmcnt(0)
	; wave barrier
	ds_read_b128 v[4:7], v2 offset:1024
	ds_read_b128 v[8:11], v2 offset:1040
	;; [unrolled: 1-line block ×4, first 2 shown]
	scratch_load_dwordx4 v[20:23], off, off offset:448
	scratch_load_dwordx4 v[40:43], off, off offset:512
	;; [unrolled: 1-line block ×4, first 2 shown]
	v_cmp_lt_u32_e32 vcc, 25, v0
	scratch_load_dwordx4 v[48:51], off, off offset:528
	scratch_load_dwordx4 v[56:59], off, off offset:544
	;; [unrolled: 1-line block ×3, first 2 shown]
	s_waitcnt vmcnt(6) lgkmcnt(3)
	v_mul_f64 v[24:25], v[4:5], v[22:23]
	v_fmac_f64_e32 v[24:25], v[6:7], v[20:21]
	v_add_f64 v[28:29], v[24:25], 0
	scratch_load_dwordx4 v[24:27], off, off offset:464
	s_waitcnt vmcnt(0) lgkmcnt(2)
	v_mul_f64 v[30:31], v[8:9], v[26:27]
	v_fmac_f64_e32 v[30:31], v[10:11], v[24:25]
	v_add_f64 v[32:33], v[28:29], v[30:31]
	scratch_load_dwordx4 v[28:31], off, off offset:480
	;; [unrolled: 5-line block ×3, first 2 shown]
	s_waitcnt vmcnt(0) lgkmcnt(0)
	v_mul_f64 v[38:39], v[16:17], v[34:35]
	v_fmac_f64_e32 v[38:39], v[18:19], v[32:33]
	v_add_f64 v[44:45], v[36:37], v[38:39]
	ds_read_b128 v[36:39], v2 offset:1088
	s_waitcnt lgkmcnt(0)
	v_mul_f64 v[46:47], v[36:37], v[42:43]
	v_fmac_f64_e32 v[46:47], v[38:39], v[40:41]
	v_add_f64 v[52:53], v[44:45], v[46:47]
	ds_read_b128 v[44:47], v2 offset:1104
	s_waitcnt lgkmcnt(0)
	;; [unrolled: 5-line block ×6, first 2 shown]
	v_mul_f64 v[2:3], v[76:77], v[82:83]
	v_fmac_f64_e32 v[2:3], v[78:79], v[80:81]
	v_add_f64 v[84:85], v[84:85], v[2:3]
	v_mul_f64 v[2:3], v[6:7], v[22:23]
	v_fma_f64 v[2:3], v[4:5], v[20:21], -v[2:3]
	v_mul_f64 v[4:5], v[10:11], v[26:27]
	v_add_f64 v[2:3], v[2:3], 0
	v_fma_f64 v[4:5], v[8:9], v[24:25], -v[4:5]
	v_add_f64 v[2:3], v[2:3], v[4:5]
	v_mul_f64 v[4:5], v[14:15], v[30:31]
	v_fma_f64 v[4:5], v[12:13], v[28:29], -v[4:5]
	v_add_f64 v[2:3], v[2:3], v[4:5]
	v_mul_f64 v[4:5], v[18:19], v[34:35]
	;; [unrolled: 3-line block ×8, first 2 shown]
	v_fma_f64 v[4:5], v[76:77], v[80:81], -v[4:5]
	v_add_f64 v[6:7], v[2:3], v[4:5]
	scratch_load_dwordx4 v[2:5], off, off offset:432
	s_waitcnt vmcnt(0)
	v_add_f64 v[2:3], v[2:3], -v[6:7]
	v_add_f64 v[4:5], v[4:5], -v[84:85]
	scratch_store_dwordx4 off, v[2:5], off offset:432
	s_and_saveexec_b64 s[0:1], vcc
	s_cbranch_execz .LBB36_185
; %bb.184:
	scratch_load_dwordx4 v[2:5], off, s39
	v_mov_b32_e32 v6, 0
	v_mov_b32_e32 v7, v6
	;; [unrolled: 1-line block ×4, first 2 shown]
	scratch_store_dwordx4 off, v[6:9], off offset:416
	s_waitcnt vmcnt(1)
	ds_write_b128 v1, v[2:5]
.LBB36_185:
	s_or_b64 exec, exec, s[0:1]
	s_waitcnt lgkmcnt(0)
	; wave barrier
	scratch_load_dwordx4 v[4:7], off, off offset:432
	scratch_load_dwordx4 v[8:11], off, off offset:448
	;; [unrolled: 1-line block ×12, first 2 shown]
	v_mov_b32_e32 v2, 0
	ds_read_b128 v[52:55], v2 offset:1008
	ds_read_b128 v[56:59], v2 offset:1024
	;; [unrolled: 1-line block ×11, first 2 shown]
	v_cmp_lt_u32_e32 vcc, 24, v0
	s_waitcnt vmcnt(11) lgkmcnt(10)
	v_mul_f64 v[96:97], v[52:53], v[6:7]
	v_mul_f64 v[6:7], v[54:55], v[6:7]
	s_waitcnt vmcnt(10) lgkmcnt(9)
	v_mul_f64 v[98:99], v[56:57], v[10:11]
	s_waitcnt vmcnt(9) lgkmcnt(8)
	v_mul_f64 v[100:101], v[60:61], v[14:15]
	v_mul_f64 v[10:11], v[58:59], v[10:11]
	s_waitcnt vmcnt(6) lgkmcnt(5)
	v_mul_f64 v[106:107], v[72:73], v[26:27]
	v_mul_f64 v[14:15], v[62:63], v[14:15]
	;; [unrolled: 1-line block ×3, first 2 shown]
	v_fmac_f64_e32 v[96:97], v[54:55], v[4:5]
	v_fma_f64 v[4:5], v[52:53], v[4:5], -v[6:7]
	v_fmac_f64_e32 v[98:99], v[58:59], v[8:9]
	v_fma_f64 v[6:7], v[56:57], v[8:9], -v[10:11]
	v_fma_f64 v[8:9], v[60:61], v[12:13], -v[14:15]
	v_fma_f64 v[14:15], v[72:73], v[24:25], -v[26:27]
	v_add_f64 v[26:27], v[96:97], 0
	v_add_f64 v[4:5], v[4:5], 0
	v_mul_f64 v[102:103], v[64:65], v[18:19]
	v_mul_f64 v[18:19], v[66:67], v[18:19]
	v_fmac_f64_e32 v[100:101], v[62:63], v[12:13]
	v_add_f64 v[26:27], v[26:27], v[98:99]
	v_add_f64 v[4:5], v[4:5], v[6:7]
	v_mul_f64 v[104:105], v[68:69], v[22:23]
	v_mul_f64 v[22:23], v[70:71], v[22:23]
	v_fmac_f64_e32 v[102:103], v[66:67], v[16:17]
	v_fma_f64 v[10:11], v[64:65], v[16:17], -v[18:19]
	v_add_f64 v[6:7], v[26:27], v[100:101]
	v_add_f64 v[4:5], v[4:5], v[8:9]
	v_fmac_f64_e32 v[104:105], v[70:71], v[20:21]
	v_fma_f64 v[12:13], v[68:69], v[20:21], -v[22:23]
	v_add_f64 v[6:7], v[6:7], v[102:103]
	v_add_f64 v[4:5], v[4:5], v[10:11]
	s_waitcnt vmcnt(5) lgkmcnt(4)
	v_mul_f64 v[108:109], v[76:77], v[30:31]
	v_mul_f64 v[30:31], v[78:79], v[30:31]
	v_fmac_f64_e32 v[106:107], v[74:75], v[24:25]
	v_add_f64 v[6:7], v[6:7], v[104:105]
	v_add_f64 v[4:5], v[4:5], v[12:13]
	s_waitcnt vmcnt(4) lgkmcnt(3)
	v_mul_f64 v[110:111], v[80:81], v[34:35]
	v_mul_f64 v[34:35], v[82:83], v[34:35]
	v_fmac_f64_e32 v[108:109], v[78:79], v[28:29]
	v_fma_f64 v[16:17], v[76:77], v[28:29], -v[30:31]
	v_add_f64 v[6:7], v[6:7], v[106:107]
	v_add_f64 v[4:5], v[4:5], v[14:15]
	s_waitcnt vmcnt(3) lgkmcnt(2)
	v_mul_f64 v[112:113], v[84:85], v[38:39]
	v_mul_f64 v[38:39], v[86:87], v[38:39]
	v_fmac_f64_e32 v[110:111], v[82:83], v[32:33]
	v_fma_f64 v[18:19], v[80:81], v[32:33], -v[34:35]
	;; [unrolled: 7-line block ×4, first 2 shown]
	v_add_f64 v[6:7], v[6:7], v[112:113]
	v_add_f64 v[4:5], v[4:5], v[20:21]
	v_fmac_f64_e32 v[116:117], v[94:95], v[44:45]
	v_fma_f64 v[24:25], v[92:93], v[44:45], -v[46:47]
	v_add_f64 v[6:7], v[6:7], v[114:115]
	v_add_f64 v[4:5], v[4:5], v[22:23]
	;; [unrolled: 1-line block ×4, first 2 shown]
	s_waitcnt vmcnt(0)
	v_add_f64 v[4:5], v[48:49], -v[4:5]
	v_add_f64 v[6:7], v[50:51], -v[6:7]
	scratch_store_dwordx4 off, v[4:7], off offset:416
	s_and_saveexec_b64 s[0:1], vcc
	s_cbranch_execz .LBB36_187
; %bb.186:
	scratch_load_dwordx4 v[6:9], off, s38
	v_mov_b32_e32 v3, v2
	v_mov_b32_e32 v4, v2
	;; [unrolled: 1-line block ×3, first 2 shown]
	scratch_store_dwordx4 off, v[2:5], off offset:400
	s_waitcnt vmcnt(1)
	ds_write_b128 v1, v[6:9]
.LBB36_187:
	s_or_b64 exec, exec, s[0:1]
	s_waitcnt lgkmcnt(0)
	; wave barrier
	scratch_load_dwordx4 v[4:7], off, off offset:416
	scratch_load_dwordx4 v[8:11], off, off offset:432
	;; [unrolled: 1-line block ×12, first 2 shown]
	ds_read_b128 v[52:55], v2 offset:992
	ds_read_b128 v[56:59], v2 offset:1008
	;; [unrolled: 1-line block ×4, first 2 shown]
	scratch_load_dwordx4 v[68:71], off, off offset:400
	ds_read_b128 v[72:75], v2 offset:1056
	ds_read_b128 v[76:79], v2 offset:1072
	;; [unrolled: 1-line block ×8, first 2 shown]
	v_cmp_lt_u32_e32 vcc, 23, v0
	s_waitcnt vmcnt(12) lgkmcnt(11)
	v_mul_f64 v[2:3], v[52:53], v[6:7]
	s_waitcnt vmcnt(11) lgkmcnt(10)
	v_mul_f64 v[104:105], v[56:57], v[10:11]
	v_fmac_f64_e32 v[2:3], v[54:55], v[4:5]
	s_waitcnt vmcnt(10) lgkmcnt(9)
	v_mul_f64 v[106:107], v[60:61], v[14:15]
	v_mul_f64 v[6:7], v[54:55], v[6:7]
	v_fmac_f64_e32 v[104:105], v[58:59], v[8:9]
	v_add_f64 v[2:3], v[2:3], 0
	s_waitcnt vmcnt(9) lgkmcnt(8)
	v_mul_f64 v[108:109], v[64:65], v[18:19]
	v_mul_f64 v[10:11], v[58:59], v[10:11]
	v_fmac_f64_e32 v[106:107], v[62:63], v[12:13]
	v_fma_f64 v[4:5], v[52:53], v[4:5], -v[6:7]
	v_add_f64 v[2:3], v[2:3], v[104:105]
	s_waitcnt vmcnt(8) lgkmcnt(7)
	v_mul_f64 v[110:111], v[72:73], v[22:23]
	v_mul_f64 v[14:15], v[62:63], v[14:15]
	v_fmac_f64_e32 v[108:109], v[66:67], v[16:17]
	v_fma_f64 v[6:7], v[56:57], v[8:9], -v[10:11]
	v_add_f64 v[4:5], v[4:5], 0
	v_add_f64 v[2:3], v[2:3], v[106:107]
	s_waitcnt vmcnt(7) lgkmcnt(6)
	v_mul_f64 v[112:113], v[76:77], v[26:27]
	v_mul_f64 v[18:19], v[66:67], v[18:19]
	v_fmac_f64_e32 v[110:111], v[74:75], v[20:21]
	v_fma_f64 v[8:9], v[60:61], v[12:13], -v[14:15]
	v_add_f64 v[4:5], v[4:5], v[6:7]
	;; [unrolled: 7-line block ×8, first 2 shown]
	v_add_f64 v[2:3], v[2:3], v[120:121]
	v_mul_f64 v[46:47], v[98:99], v[46:47]
	v_fmac_f64_e32 v[124:125], v[102:103], v[48:49]
	v_fma_f64 v[22:23], v[92:93], v[40:41], -v[42:43]
	v_add_f64 v[4:5], v[4:5], v[20:21]
	v_add_f64 v[2:3], v[2:3], v[122:123]
	;; [unrolled: 1-line block ×4, first 2 shown]
	v_fma_f64 v[2:3], v[96:97], v[44:45], -v[46:47]
	v_add_f64 v[2:3], v[4:5], v[2:3]
	v_mul_f64 v[4:5], v[102:103], v[50:51]
	v_fma_f64 v[4:5], v[100:101], v[48:49], -v[4:5]
	v_add_f64 v[2:3], v[2:3], v[4:5]
	s_waitcnt vmcnt(0)
	v_add_f64 v[2:3], v[68:69], -v[2:3]
	v_add_f64 v[4:5], v[70:71], -v[6:7]
	scratch_store_dwordx4 off, v[2:5], off offset:400
	s_and_saveexec_b64 s[0:1], vcc
	s_cbranch_execz .LBB36_189
; %bb.188:
	scratch_load_dwordx4 v[2:5], off, s37
	v_mov_b32_e32 v6, 0
	v_mov_b32_e32 v7, v6
	;; [unrolled: 1-line block ×4, first 2 shown]
	scratch_store_dwordx4 off, v[6:9], off offset:384
	s_waitcnt vmcnt(1)
	ds_write_b128 v1, v[2:5]
.LBB36_189:
	s_or_b64 exec, exec, s[0:1]
	s_waitcnt lgkmcnt(0)
	; wave barrier
	scratch_load_dwordx4 v[4:7], off, off offset:400
	scratch_load_dwordx4 v[8:11], off, off offset:416
	scratch_load_dwordx4 v[12:15], off, off offset:432
	scratch_load_dwordx4 v[16:19], off, off offset:448
	scratch_load_dwordx4 v[20:23], off, off offset:464
	scratch_load_dwordx4 v[24:27], off, off offset:480
	scratch_load_dwordx4 v[28:31], off, off offset:496
	scratch_load_dwordx4 v[32:35], off, off offset:512
	scratch_load_dwordx4 v[36:39], off, off offset:528
	scratch_load_dwordx4 v[40:43], off, off offset:544
	scratch_load_dwordx4 v[44:47], off, off offset:560
	scratch_load_dwordx4 v[48:51], off, off offset:576
	scratch_load_dwordx4 v[52:55], off, off offset:592
	scratch_load_dwordx4 v[56:59], off, off offset:384
	v_mov_b32_e32 v2, 0
	ds_read_b128 v[60:63], v2 offset:976
	ds_read_b128 v[64:67], v2 offset:992
	ds_read_b128 v[68:71], v2 offset:1008
	ds_read_b128 v[72:75], v2 offset:1024
	ds_read_b128 v[76:79], v2 offset:1040
	ds_read_b128 v[80:83], v2 offset:1056
	ds_read_b128 v[84:87], v2 offset:1072
	ds_read_b128 v[88:91], v2 offset:1088
	ds_read_b128 v[92:95], v2 offset:1104
	ds_read_b128 v[96:99], v2 offset:1120
	ds_read_b128 v[100:103], v2 offset:1136
	ds_read_b128 v[104:107], v2 offset:1152
	ds_read_b128 v[108:111], v2 offset:1168
	v_cmp_lt_u32_e32 vcc, 22, v0
	s_waitcnt vmcnt(13) lgkmcnt(12)
	v_mul_f64 v[112:113], v[60:61], v[6:7]
	v_mul_f64 v[6:7], v[62:63], v[6:7]
	s_waitcnt vmcnt(12) lgkmcnt(11)
	v_mul_f64 v[114:115], v[64:65], v[10:11]
	v_mul_f64 v[10:11], v[66:67], v[10:11]
	v_fmac_f64_e32 v[112:113], v[62:63], v[4:5]
	v_fma_f64 v[4:5], v[60:61], v[4:5], -v[6:7]
	s_waitcnt vmcnt(11) lgkmcnt(10)
	v_mul_f64 v[116:117], v[68:69], v[14:15]
	v_mul_f64 v[14:15], v[70:71], v[14:15]
	v_fma_f64 v[6:7], v[64:65], v[8:9], -v[10:11]
	v_add_f64 v[4:5], v[4:5], 0
	s_waitcnt vmcnt(10) lgkmcnt(9)
	v_mul_f64 v[118:119], v[72:73], v[18:19]
	v_mul_f64 v[18:19], v[74:75], v[18:19]
	v_fmac_f64_e32 v[114:115], v[66:67], v[8:9]
	v_fma_f64 v[8:9], v[68:69], v[12:13], -v[14:15]
	v_add_f64 v[4:5], v[4:5], v[6:7]
	s_waitcnt vmcnt(9) lgkmcnt(8)
	v_mul_f64 v[120:121], v[76:77], v[22:23]
	v_mul_f64 v[22:23], v[78:79], v[22:23]
	v_fma_f64 v[10:11], v[72:73], v[16:17], -v[18:19]
	v_add_f64 v[4:5], v[4:5], v[8:9]
	s_waitcnt vmcnt(8) lgkmcnt(7)
	v_mul_f64 v[122:123], v[80:81], v[26:27]
	v_mul_f64 v[26:27], v[82:83], v[26:27]
	v_fmac_f64_e32 v[116:117], v[70:71], v[12:13]
	v_fma_f64 v[12:13], v[76:77], v[20:21], -v[22:23]
	v_add_f64 v[22:23], v[112:113], 0
	v_add_f64 v[4:5], v[4:5], v[10:11]
	s_waitcnt vmcnt(7) lgkmcnt(6)
	v_mul_f64 v[124:125], v[84:85], v[30:31]
	v_mul_f64 v[30:31], v[86:87], v[30:31]
	v_fma_f64 v[14:15], v[80:81], v[24:25], -v[26:27]
	v_add_f64 v[22:23], v[22:23], v[114:115]
	v_add_f64 v[4:5], v[4:5], v[12:13]
	s_waitcnt vmcnt(6) lgkmcnt(5)
	v_mul_f64 v[126:127], v[88:89], v[34:35]
	v_mul_f64 v[34:35], v[90:91], v[34:35]
	v_fmac_f64_e32 v[118:119], v[74:75], v[16:17]
	v_fma_f64 v[16:17], v[84:85], v[28:29], -v[30:31]
	v_add_f64 v[6:7], v[22:23], v[116:117]
	v_add_f64 v[4:5], v[4:5], v[14:15]
	s_waitcnt vmcnt(5) lgkmcnt(4)
	v_mul_f64 v[128:129], v[92:93], v[38:39]
	v_mul_f64 v[38:39], v[94:95], v[38:39]
	v_fmac_f64_e32 v[120:121], v[78:79], v[20:21]
	v_fma_f64 v[18:19], v[88:89], v[32:33], -v[34:35]
	v_add_f64 v[6:7], v[6:7], v[118:119]
	v_add_f64 v[4:5], v[4:5], v[16:17]
	v_fmac_f64_e32 v[122:123], v[82:83], v[24:25]
	v_fma_f64 v[20:21], v[92:93], v[36:37], -v[38:39]
	v_add_f64 v[6:7], v[6:7], v[120:121]
	v_add_f64 v[4:5], v[4:5], v[18:19]
	s_waitcnt vmcnt(4) lgkmcnt(3)
	v_mul_f64 v[8:9], v[98:99], v[42:43]
	v_fmac_f64_e32 v[124:125], v[86:87], v[28:29]
	v_add_f64 v[6:7], v[6:7], v[122:123]
	v_add_f64 v[4:5], v[4:5], v[20:21]
	v_fma_f64 v[8:9], v[96:97], v[40:41], -v[8:9]
	v_fmac_f64_e32 v[126:127], v[90:91], v[32:33]
	v_add_f64 v[6:7], v[6:7], v[124:125]
	v_add_f64 v[4:5], v[4:5], v[8:9]
	s_waitcnt vmcnt(3) lgkmcnt(2)
	v_mul_f64 v[8:9], v[102:103], v[46:47]
	v_mul_f64 v[130:131], v[96:97], v[42:43]
	v_fmac_f64_e32 v[128:129], v[94:95], v[36:37]
	v_add_f64 v[6:7], v[6:7], v[126:127]
	v_fma_f64 v[8:9], v[100:101], v[44:45], -v[8:9]
	v_mul_f64 v[132:133], v[100:101], v[46:47]
	v_fmac_f64_e32 v[130:131], v[98:99], v[40:41]
	v_add_f64 v[6:7], v[6:7], v[128:129]
	v_add_f64 v[4:5], v[4:5], v[8:9]
	s_waitcnt vmcnt(2) lgkmcnt(1)
	v_mul_f64 v[8:9], v[106:107], v[50:51]
	v_mul_f64 v[134:135], v[104:105], v[50:51]
	v_fmac_f64_e32 v[132:133], v[102:103], v[44:45]
	v_add_f64 v[6:7], v[6:7], v[130:131]
	v_fma_f64 v[8:9], v[104:105], v[48:49], -v[8:9]
	s_waitcnt vmcnt(1) lgkmcnt(0)
	v_mul_f64 v[136:137], v[108:109], v[54:55]
	v_fmac_f64_e32 v[134:135], v[106:107], v[48:49]
	v_add_f64 v[6:7], v[6:7], v[132:133]
	v_add_f64 v[4:5], v[4:5], v[8:9]
	v_mul_f64 v[8:9], v[110:111], v[54:55]
	v_fmac_f64_e32 v[136:137], v[110:111], v[52:53]
	v_add_f64 v[6:7], v[6:7], v[134:135]
	v_fma_f64 v[8:9], v[108:109], v[52:53], -v[8:9]
	v_add_f64 v[6:7], v[6:7], v[136:137]
	v_add_f64 v[4:5], v[4:5], v[8:9]
	s_waitcnt vmcnt(0)
	v_add_f64 v[4:5], v[56:57], -v[4:5]
	v_add_f64 v[6:7], v[58:59], -v[6:7]
	scratch_store_dwordx4 off, v[4:7], off offset:384
	s_and_saveexec_b64 s[0:1], vcc
	s_cbranch_execz .LBB36_191
; %bb.190:
	scratch_load_dwordx4 v[6:9], off, s36
	v_mov_b32_e32 v3, v2
	v_mov_b32_e32 v4, v2
	;; [unrolled: 1-line block ×3, first 2 shown]
	scratch_store_dwordx4 off, v[2:5], off offset:368
	s_waitcnt vmcnt(1)
	ds_write_b128 v1, v[6:9]
.LBB36_191:
	s_or_b64 exec, exec, s[0:1]
	s_waitcnt lgkmcnt(0)
	; wave barrier
	scratch_load_dwordx4 v[4:7], off, off offset:384
	scratch_load_dwordx4 v[8:11], off, off offset:400
	scratch_load_dwordx4 v[12:15], off, off offset:416
	scratch_load_dwordx4 v[16:19], off, off offset:432
	scratch_load_dwordx4 v[20:23], off, off offset:448
	scratch_load_dwordx4 v[24:27], off, off offset:464
	scratch_load_dwordx4 v[28:31], off, off offset:480
	scratch_load_dwordx4 v[32:35], off, off offset:496
	scratch_load_dwordx4 v[36:39], off, off offset:512
	scratch_load_dwordx4 v[40:43], off, off offset:528
	scratch_load_dwordx4 v[44:47], off, off offset:544
	scratch_load_dwordx4 v[48:51], off, off offset:560
	scratch_load_dwordx4 v[52:55], off, off offset:576
	scratch_load_dwordx4 v[56:59], off, off offset:592
	ds_read_b128 v[60:63], v2 offset:960
	ds_read_b128 v[64:67], v2 offset:976
	;; [unrolled: 1-line block ×14, first 2 shown]
	scratch_load_dwordx4 v[116:119], off, off offset:368
	v_cmp_lt_u32_e32 vcc, 21, v0
	s_waitcnt vmcnt(14) lgkmcnt(13)
	v_mul_f64 v[2:3], v[60:61], v[6:7]
	s_waitcnt vmcnt(13) lgkmcnt(12)
	v_mul_f64 v[120:121], v[64:65], v[10:11]
	v_fmac_f64_e32 v[2:3], v[62:63], v[4:5]
	s_waitcnt vmcnt(12) lgkmcnt(11)
	v_mul_f64 v[122:123], v[68:69], v[14:15]
	v_fmac_f64_e32 v[120:121], v[66:67], v[8:9]
	v_add_f64 v[2:3], v[2:3], 0
	s_waitcnt vmcnt(11) lgkmcnt(10)
	v_mul_f64 v[124:125], v[72:73], v[18:19]
	v_fmac_f64_e32 v[122:123], v[70:71], v[12:13]
	v_add_f64 v[2:3], v[2:3], v[120:121]
	;; [unrolled: 4-line block ×4, first 2 shown]
	s_waitcnt vmcnt(8) lgkmcnt(7)
	v_mul_f64 v[130:131], v[84:85], v[30:31]
	v_mul_f64 v[6:7], v[62:63], v[6:7]
	v_fmac_f64_e32 v[128:129], v[82:83], v[24:25]
	v_add_f64 v[2:3], v[2:3], v[126:127]
	s_waitcnt vmcnt(7) lgkmcnt(6)
	v_mul_f64 v[132:133], v[88:89], v[34:35]
	v_mul_f64 v[10:11], v[66:67], v[10:11]
	v_fmac_f64_e32 v[130:131], v[86:87], v[28:29]
	v_fma_f64 v[4:5], v[60:61], v[4:5], -v[6:7]
	v_add_f64 v[2:3], v[2:3], v[128:129]
	s_waitcnt vmcnt(6) lgkmcnt(5)
	v_mul_f64 v[134:135], v[92:93], v[38:39]
	v_mul_f64 v[14:15], v[70:71], v[14:15]
	v_fmac_f64_e32 v[132:133], v[90:91], v[32:33]
	v_fma_f64 v[6:7], v[64:65], v[8:9], -v[10:11]
	v_add_f64 v[4:5], v[4:5], 0
	v_add_f64 v[2:3], v[2:3], v[130:131]
	s_waitcnt vmcnt(5) lgkmcnt(4)
	v_mul_f64 v[136:137], v[96:97], v[42:43]
	v_mul_f64 v[18:19], v[74:75], v[18:19]
	v_fmac_f64_e32 v[134:135], v[94:95], v[36:37]
	v_fma_f64 v[8:9], v[68:69], v[12:13], -v[14:15]
	v_add_f64 v[4:5], v[4:5], v[6:7]
	;; [unrolled: 7-line block ×6, first 2 shown]
	v_add_f64 v[2:3], v[2:3], v[140:141]
	v_fmac_f64_e32 v[144:145], v[114:115], v[56:57]
	v_fma_f64 v[18:19], v[88:89], v[32:33], -v[34:35]
	v_add_f64 v[4:5], v[4:5], v[16:17]
	v_add_f64 v[2:3], v[2:3], v[142:143]
	;; [unrolled: 1-line block ×4, first 2 shown]
	v_mul_f64 v[4:5], v[94:95], v[38:39]
	v_fma_f64 v[4:5], v[92:93], v[36:37], -v[4:5]
	v_add_f64 v[2:3], v[2:3], v[4:5]
	v_mul_f64 v[4:5], v[98:99], v[42:43]
	v_fma_f64 v[4:5], v[96:97], v[40:41], -v[4:5]
	v_add_f64 v[2:3], v[2:3], v[4:5]
	;; [unrolled: 3-line block ×6, first 2 shown]
	s_waitcnt vmcnt(0)
	v_add_f64 v[2:3], v[116:117], -v[2:3]
	v_add_f64 v[4:5], v[118:119], -v[6:7]
	scratch_store_dwordx4 off, v[2:5], off offset:368
	s_and_saveexec_b64 s[0:1], vcc
	s_cbranch_execz .LBB36_193
; %bb.192:
	scratch_load_dwordx4 v[2:5], off, s35
	v_mov_b32_e32 v6, 0
	v_mov_b32_e32 v7, v6
	;; [unrolled: 1-line block ×4, first 2 shown]
	scratch_store_dwordx4 off, v[6:9], off offset:352
	s_waitcnt vmcnt(1)
	ds_write_b128 v1, v[2:5]
.LBB36_193:
	s_or_b64 exec, exec, s[0:1]
	s_waitcnt lgkmcnt(0)
	; wave barrier
	scratch_load_dwordx4 v[4:7], off, off offset:368
	scratch_load_dwordx4 v[8:11], off, off offset:384
	scratch_load_dwordx4 v[12:15], off, off offset:400
	scratch_load_dwordx4 v[16:19], off, off offset:416
	scratch_load_dwordx4 v[20:23], off, off offset:432
	scratch_load_dwordx4 v[24:27], off, off offset:448
	scratch_load_dwordx4 v[28:31], off, off offset:464
	scratch_load_dwordx4 v[32:35], off, off offset:480
	scratch_load_dwordx4 v[36:39], off, off offset:496
	scratch_load_dwordx4 v[40:43], off, off offset:512
	scratch_load_dwordx4 v[44:47], off, off offset:528
	scratch_load_dwordx4 v[48:51], off, off offset:544
	scratch_load_dwordx4 v[52:55], off, off offset:560
	scratch_load_dwordx4 v[56:59], off, off offset:576
	scratch_load_dwordx4 v[60:63], off, off offset:592
	scratch_load_dwordx4 v[64:67], off, off offset:352
	v_mov_b32_e32 v2, 0
	ds_read_b128 v[68:71], v2 offset:944
	ds_read_b128 v[72:75], v2 offset:960
	;; [unrolled: 1-line block ×15, first 2 shown]
	v_cmp_lt_u32_e32 vcc, 20, v0
	s_waitcnt vmcnt(15) lgkmcnt(14)
	v_mul_f64 v[128:129], v[68:69], v[6:7]
	v_mul_f64 v[6:7], v[70:71], v[6:7]
	s_waitcnt vmcnt(14) lgkmcnt(13)
	v_mul_f64 v[130:131], v[72:73], v[10:11]
	v_mul_f64 v[10:11], v[74:75], v[10:11]
	v_fmac_f64_e32 v[128:129], v[70:71], v[4:5]
	v_fma_f64 v[4:5], v[68:69], v[4:5], -v[6:7]
	s_waitcnt vmcnt(13) lgkmcnt(12)
	v_mul_f64 v[132:133], v[76:77], v[14:15]
	v_mul_f64 v[14:15], v[78:79], v[14:15]
	v_fma_f64 v[6:7], v[72:73], v[8:9], -v[10:11]
	v_add_f64 v[4:5], v[4:5], 0
	s_waitcnt vmcnt(12) lgkmcnt(11)
	v_mul_f64 v[134:135], v[80:81], v[18:19]
	v_mul_f64 v[18:19], v[82:83], v[18:19]
	v_fmac_f64_e32 v[130:131], v[74:75], v[8:9]
	v_fma_f64 v[8:9], v[76:77], v[12:13], -v[14:15]
	v_add_f64 v[4:5], v[4:5], v[6:7]
	s_waitcnt vmcnt(11) lgkmcnt(10)
	v_mul_f64 v[136:137], v[84:85], v[22:23]
	v_mul_f64 v[22:23], v[86:87], v[22:23]
	v_fma_f64 v[10:11], v[80:81], v[16:17], -v[18:19]
	v_add_f64 v[4:5], v[4:5], v[8:9]
	s_waitcnt vmcnt(10) lgkmcnt(9)
	v_mul_f64 v[138:139], v[88:89], v[26:27]
	v_mul_f64 v[26:27], v[90:91], v[26:27]
	v_fmac_f64_e32 v[132:133], v[78:79], v[12:13]
	v_fma_f64 v[12:13], v[84:85], v[20:21], -v[22:23]
	v_add_f64 v[4:5], v[4:5], v[10:11]
	v_fma_f64 v[14:15], v[88:89], v[24:25], -v[26:27]
	v_add_f64 v[4:5], v[4:5], v[12:13]
	s_waitcnt vmcnt(9) lgkmcnt(8)
	v_mul_f64 v[8:9], v[94:95], v[30:31]
	v_add_f64 v[4:5], v[4:5], v[14:15]
	v_fma_f64 v[8:9], v[92:93], v[28:29], -v[8:9]
	v_add_f64 v[4:5], v[4:5], v[8:9]
	s_waitcnt vmcnt(8) lgkmcnt(7)
	v_mul_f64 v[8:9], v[98:99], v[34:35]
	v_fma_f64 v[8:9], v[96:97], v[32:33], -v[8:9]
	v_fmac_f64_e32 v[134:135], v[82:83], v[16:17]
	v_add_f64 v[16:17], v[128:129], 0
	v_add_f64 v[4:5], v[4:5], v[8:9]
	s_waitcnt vmcnt(7) lgkmcnt(6)
	v_mul_f64 v[8:9], v[102:103], v[38:39]
	v_add_f64 v[16:17], v[16:17], v[130:131]
	v_fma_f64 v[8:9], v[100:101], v[36:37], -v[8:9]
	v_add_f64 v[6:7], v[16:17], v[132:133]
	v_add_f64 v[4:5], v[4:5], v[8:9]
	s_waitcnt vmcnt(6) lgkmcnt(5)
	v_mul_f64 v[8:9], v[106:107], v[42:43]
	v_fmac_f64_e32 v[136:137], v[86:87], v[20:21]
	v_add_f64 v[6:7], v[6:7], v[134:135]
	v_fma_f64 v[8:9], v[104:105], v[40:41], -v[8:9]
	v_mul_f64 v[140:141], v[92:93], v[30:31]
	v_fmac_f64_e32 v[138:139], v[90:91], v[24:25]
	v_add_f64 v[6:7], v[6:7], v[136:137]
	v_add_f64 v[4:5], v[4:5], v[8:9]
	s_waitcnt vmcnt(5) lgkmcnt(4)
	v_mul_f64 v[8:9], v[110:111], v[46:47]
	v_mul_f64 v[142:143], v[96:97], v[34:35]
	v_fmac_f64_e32 v[140:141], v[94:95], v[28:29]
	v_add_f64 v[6:7], v[6:7], v[138:139]
	v_fma_f64 v[8:9], v[108:109], v[44:45], -v[8:9]
	v_mul_f64 v[144:145], v[100:101], v[38:39]
	v_fmac_f64_e32 v[142:143], v[98:99], v[32:33]
	v_add_f64 v[6:7], v[6:7], v[140:141]
	v_add_f64 v[4:5], v[4:5], v[8:9]
	s_waitcnt vmcnt(4) lgkmcnt(3)
	v_mul_f64 v[8:9], v[114:115], v[50:51]
	v_mul_f64 v[146:147], v[104:105], v[42:43]
	v_fmac_f64_e32 v[144:145], v[102:103], v[36:37]
	v_add_f64 v[6:7], v[6:7], v[142:143]
	v_fma_f64 v[8:9], v[112:113], v[48:49], -v[8:9]
	v_mul_f64 v[148:149], v[108:109], v[46:47]
	v_fmac_f64_e32 v[146:147], v[106:107], v[40:41]
	v_add_f64 v[6:7], v[6:7], v[144:145]
	v_add_f64 v[4:5], v[4:5], v[8:9]
	s_waitcnt vmcnt(3) lgkmcnt(2)
	v_mul_f64 v[8:9], v[118:119], v[54:55]
	v_mul_f64 v[150:151], v[112:113], v[50:51]
	v_fmac_f64_e32 v[148:149], v[110:111], v[44:45]
	v_add_f64 v[6:7], v[6:7], v[146:147]
	v_fma_f64 v[8:9], v[116:117], v[52:53], -v[8:9]
	v_mul_f64 v[152:153], v[116:117], v[54:55]
	v_fmac_f64_e32 v[150:151], v[114:115], v[48:49]
	v_add_f64 v[6:7], v[6:7], v[148:149]
	v_add_f64 v[4:5], v[4:5], v[8:9]
	s_waitcnt vmcnt(2) lgkmcnt(1)
	v_mul_f64 v[8:9], v[122:123], v[58:59]
	v_mul_f64 v[154:155], v[120:121], v[58:59]
	v_fmac_f64_e32 v[152:153], v[118:119], v[52:53]
	v_add_f64 v[6:7], v[6:7], v[150:151]
	v_fma_f64 v[8:9], v[120:121], v[56:57], -v[8:9]
	s_waitcnt vmcnt(1) lgkmcnt(0)
	v_mul_f64 v[156:157], v[124:125], v[62:63]
	v_fmac_f64_e32 v[154:155], v[122:123], v[56:57]
	v_add_f64 v[6:7], v[6:7], v[152:153]
	v_add_f64 v[4:5], v[4:5], v[8:9]
	v_mul_f64 v[8:9], v[126:127], v[62:63]
	v_fmac_f64_e32 v[156:157], v[126:127], v[60:61]
	v_add_f64 v[6:7], v[6:7], v[154:155]
	v_fma_f64 v[8:9], v[124:125], v[60:61], -v[8:9]
	v_add_f64 v[6:7], v[6:7], v[156:157]
	v_add_f64 v[4:5], v[4:5], v[8:9]
	s_waitcnt vmcnt(0)
	v_add_f64 v[4:5], v[64:65], -v[4:5]
	v_add_f64 v[6:7], v[66:67], -v[6:7]
	scratch_store_dwordx4 off, v[4:7], off offset:352
	s_and_saveexec_b64 s[0:1], vcc
	s_cbranch_execz .LBB36_195
; %bb.194:
	scratch_load_dwordx4 v[6:9], off, s34
	v_mov_b32_e32 v3, v2
	v_mov_b32_e32 v4, v2
	;; [unrolled: 1-line block ×3, first 2 shown]
	scratch_store_dwordx4 off, v[2:5], off offset:336
	s_waitcnt vmcnt(1)
	ds_write_b128 v1, v[6:9]
.LBB36_195:
	s_or_b64 exec, exec, s[0:1]
	s_waitcnt lgkmcnt(0)
	; wave barrier
	scratch_load_dwordx4 v[4:7], off, off offset:352
	scratch_load_dwordx4 v[8:11], off, off offset:368
	scratch_load_dwordx4 v[12:15], off, off offset:384
	scratch_load_dwordx4 v[16:19], off, off offset:400
	scratch_load_dwordx4 v[24:27], off, off offset:416
	scratch_load_dwordx4 v[20:23], off, off offset:432
	scratch_load_dwordx4 v[28:31], off, off offset:448
	scratch_load_dwordx4 v[32:35], off, off offset:464
	scratch_load_dwordx4 v[36:39], off, off offset:480
	scratch_load_dwordx4 v[40:43], off, off offset:496
	scratch_load_dwordx4 v[44:47], off, off offset:512
	scratch_load_dwordx4 v[48:51], off, off offset:528
	scratch_load_dwordx4 v[52:55], off, off offset:544
	scratch_load_dwordx4 v[56:59], off, off offset:560
	scratch_load_dwordx4 v[60:63], off, off offset:576
	scratch_load_dwordx4 v[64:67], off, off offset:592
	ds_read_b128 v[68:71], v2 offset:928
	ds_read_b128 v[72:75], v2 offset:944
	;; [unrolled: 1-line block ×16, first 2 shown]
	scratch_load_dwordx4 v[132:135], off, off offset:336
	v_cmp_lt_u32_e32 vcc, 19, v0
	s_waitcnt vmcnt(16) lgkmcnt(14)
	v_mul_f64 v[2:3], v[68:69], v[6:7]
	s_waitcnt vmcnt(15)
	v_mul_f64 v[136:137], v[72:73], v[10:11]
	v_fmac_f64_e32 v[2:3], v[70:71], v[4:5]
	s_waitcnt vmcnt(14) lgkmcnt(13)
	v_mul_f64 v[138:139], v[76:77], v[14:15]
	v_fmac_f64_e32 v[136:137], v[74:75], v[8:9]
	v_add_f64 v[2:3], v[2:3], 0
	s_waitcnt vmcnt(13) lgkmcnt(12)
	v_mul_f64 v[140:141], v[80:81], v[18:19]
	v_fmac_f64_e32 v[138:139], v[78:79], v[12:13]
	v_add_f64 v[2:3], v[2:3], v[136:137]
	;; [unrolled: 4-line block ×10, first 2 shown]
	s_waitcnt vmcnt(4) lgkmcnt(3)
	v_mul_f64 v[158:159], v[116:117], v[54:55]
	v_mul_f64 v[6:7], v[70:71], v[6:7]
	v_fmac_f64_e32 v[156:157], v[114:115], v[48:49]
	v_add_f64 v[2:3], v[2:3], v[154:155]
	s_waitcnt vmcnt(3) lgkmcnt(2)
	v_mul_f64 v[160:161], v[120:121], v[58:59]
	v_mul_f64 v[10:11], v[74:75], v[10:11]
	v_fmac_f64_e32 v[158:159], v[118:119], v[52:53]
	v_fma_f64 v[4:5], v[68:69], v[4:5], -v[6:7]
	v_add_f64 v[2:3], v[2:3], v[156:157]
	s_waitcnt vmcnt(2) lgkmcnt(1)
	v_mul_f64 v[162:163], v[124:125], v[62:63]
	v_mul_f64 v[14:15], v[78:79], v[14:15]
	v_fmac_f64_e32 v[160:161], v[122:123], v[56:57]
	v_fma_f64 v[6:7], v[72:73], v[8:9], -v[10:11]
	v_add_f64 v[4:5], v[4:5], 0
	v_add_f64 v[2:3], v[2:3], v[158:159]
	s_waitcnt vmcnt(1) lgkmcnt(0)
	v_mul_f64 v[164:165], v[128:129], v[66:67]
	v_mul_f64 v[18:19], v[82:83], v[18:19]
	v_fmac_f64_e32 v[162:163], v[126:127], v[60:61]
	v_fma_f64 v[8:9], v[76:77], v[12:13], -v[14:15]
	v_add_f64 v[4:5], v[4:5], v[6:7]
	v_add_f64 v[2:3], v[2:3], v[160:161]
	v_mul_f64 v[26:27], v[86:87], v[26:27]
	v_fmac_f64_e32 v[164:165], v[130:131], v[64:65]
	v_fma_f64 v[10:11], v[80:81], v[16:17], -v[18:19]
	v_add_f64 v[4:5], v[4:5], v[8:9]
	v_add_f64 v[2:3], v[2:3], v[162:163]
	v_fma_f64 v[12:13], v[84:85], v[24:25], -v[26:27]
	v_add_f64 v[4:5], v[4:5], v[10:11]
	v_add_f64 v[6:7], v[2:3], v[164:165]
	v_mul_f64 v[2:3], v[90:91], v[22:23]
	v_add_f64 v[4:5], v[4:5], v[12:13]
	v_fma_f64 v[2:3], v[88:89], v[20:21], -v[2:3]
	v_add_f64 v[2:3], v[4:5], v[2:3]
	v_mul_f64 v[4:5], v[94:95], v[30:31]
	v_fma_f64 v[4:5], v[92:93], v[28:29], -v[4:5]
	v_add_f64 v[2:3], v[2:3], v[4:5]
	v_mul_f64 v[4:5], v[98:99], v[34:35]
	;; [unrolled: 3-line block ×10, first 2 shown]
	v_fma_f64 v[4:5], v[128:129], v[64:65], -v[4:5]
	v_add_f64 v[2:3], v[2:3], v[4:5]
	s_waitcnt vmcnt(0)
	v_add_f64 v[2:3], v[132:133], -v[2:3]
	v_add_f64 v[4:5], v[134:135], -v[6:7]
	scratch_store_dwordx4 off, v[2:5], off offset:336
	s_and_saveexec_b64 s[0:1], vcc
	s_cbranch_execz .LBB36_197
; %bb.196:
	scratch_load_dwordx4 v[2:5], off, s33
	v_mov_b32_e32 v6, 0
	v_mov_b32_e32 v7, v6
	;; [unrolled: 1-line block ×4, first 2 shown]
	scratch_store_dwordx4 off, v[6:9], off offset:320
	s_waitcnt vmcnt(1)
	ds_write_b128 v1, v[2:5]
.LBB36_197:
	s_or_b64 exec, exec, s[0:1]
	s_waitcnt lgkmcnt(0)
	; wave barrier
	scratch_load_dwordx4 v[4:7], off, off offset:336
	scratch_load_dwordx4 v[8:11], off, off offset:352
	;; [unrolled: 1-line block ×18, first 2 shown]
	v_mov_b32_e32 v2, 0
	ds_read_b128 v[76:79], v2 offset:912
	ds_read_b128 v[80:83], v2 offset:928
	;; [unrolled: 1-line block ×17, first 2 shown]
	v_cmp_lt_u32_e32 vcc, 18, v0
	s_waitcnt vmcnt(17) lgkmcnt(14)
	v_mul_f64 v[144:145], v[76:77], v[6:7]
	v_mul_f64 v[6:7], v[78:79], v[6:7]
	s_waitcnt vmcnt(16)
	v_mul_f64 v[146:147], v[80:81], v[10:11]
	v_mul_f64 v[10:11], v[82:83], v[10:11]
	v_fmac_f64_e32 v[144:145], v[78:79], v[4:5]
	v_fma_f64 v[4:5], v[76:77], v[4:5], -v[6:7]
	s_waitcnt vmcnt(15)
	v_mul_f64 v[148:149], v[84:85], v[18:19]
	v_mul_f64 v[18:19], v[86:87], v[18:19]
	v_fma_f64 v[6:7], v[80:81], v[8:9], -v[10:11]
	v_add_f64 v[4:5], v[4:5], 0
	s_waitcnt vmcnt(14) lgkmcnt(13)
	v_mul_f64 v[150:151], v[88:89], v[14:15]
	v_mul_f64 v[14:15], v[90:91], v[14:15]
	v_fmac_f64_e32 v[146:147], v[82:83], v[8:9]
	v_fma_f64 v[8:9], v[84:85], v[16:17], -v[18:19]
	v_add_f64 v[4:5], v[4:5], v[6:7]
	v_add_f64 v[4:5], v[4:5], v[8:9]
	v_fma_f64 v[8:9], v[88:89], v[12:13], -v[14:15]
	v_add_f64 v[4:5], v[4:5], v[8:9]
	s_waitcnt vmcnt(13) lgkmcnt(12)
	v_mul_f64 v[8:9], v[94:95], v[22:23]
	v_fma_f64 v[8:9], v[92:93], v[20:21], -v[8:9]
	v_add_f64 v[4:5], v[4:5], v[8:9]
	s_waitcnt vmcnt(12) lgkmcnt(11)
	v_mul_f64 v[8:9], v[98:99], v[26:27]
	;; [unrolled: 4-line block ×5, first 2 shown]
	v_fma_f64 v[8:9], v[108:109], v[36:37], -v[8:9]
	v_add_f64 v[10:11], v[144:145], 0
	v_add_f64 v[4:5], v[4:5], v[8:9]
	s_waitcnt vmcnt(8) lgkmcnt(7)
	v_mul_f64 v[8:9], v[114:115], v[42:43]
	v_fmac_f64_e32 v[148:149], v[86:87], v[16:17]
	v_add_f64 v[10:11], v[10:11], v[146:147]
	v_fma_f64 v[8:9], v[112:113], v[40:41], -v[8:9]
	v_mul_f64 v[152:153], v[92:93], v[22:23]
	v_fmac_f64_e32 v[150:151], v[90:91], v[12:13]
	v_add_f64 v[6:7], v[10:11], v[148:149]
	v_add_f64 v[4:5], v[4:5], v[8:9]
	s_waitcnt vmcnt(7) lgkmcnt(6)
	v_mul_f64 v[8:9], v[118:119], v[46:47]
	v_mul_f64 v[154:155], v[96:97], v[26:27]
	v_fmac_f64_e32 v[152:153], v[94:95], v[20:21]
	v_add_f64 v[6:7], v[6:7], v[150:151]
	v_fma_f64 v[8:9], v[116:117], v[44:45], -v[8:9]
	v_mul_f64 v[156:157], v[100:101], v[30:31]
	v_fmac_f64_e32 v[154:155], v[98:99], v[24:25]
	v_add_f64 v[6:7], v[6:7], v[152:153]
	v_add_f64 v[4:5], v[4:5], v[8:9]
	s_waitcnt vmcnt(6) lgkmcnt(5)
	v_mul_f64 v[8:9], v[122:123], v[50:51]
	;; [unrolled: 10-line block ×6, first 2 shown]
	v_mul_f64 v[174:175], v[136:137], v[66:67]
	v_fmac_f64_e32 v[172:173], v[134:135], v[60:61]
	v_add_f64 v[6:7], v[6:7], v[170:171]
	v_fma_f64 v[8:9], v[136:137], v[64:65], -v[8:9]
	s_waitcnt vmcnt(1) lgkmcnt(0)
	v_mul_f64 v[176:177], v[140:141], v[70:71]
	v_fmac_f64_e32 v[174:175], v[138:139], v[64:65]
	v_add_f64 v[6:7], v[6:7], v[172:173]
	v_add_f64 v[4:5], v[4:5], v[8:9]
	v_mul_f64 v[8:9], v[142:143], v[70:71]
	v_fmac_f64_e32 v[176:177], v[142:143], v[68:69]
	v_add_f64 v[6:7], v[6:7], v[174:175]
	v_fma_f64 v[8:9], v[140:141], v[68:69], -v[8:9]
	v_add_f64 v[6:7], v[6:7], v[176:177]
	v_add_f64 v[4:5], v[4:5], v[8:9]
	s_waitcnt vmcnt(0)
	v_add_f64 v[4:5], v[72:73], -v[4:5]
	v_add_f64 v[6:7], v[74:75], -v[6:7]
	scratch_store_dwordx4 off, v[4:7], off offset:320
	s_and_saveexec_b64 s[0:1], vcc
	s_cbranch_execz .LBB36_199
; %bb.198:
	scratch_load_dwordx4 v[6:9], off, s31
	v_mov_b32_e32 v3, v2
	v_mov_b32_e32 v4, v2
	;; [unrolled: 1-line block ×3, first 2 shown]
	scratch_store_dwordx4 off, v[2:5], off offset:304
	s_waitcnt vmcnt(1)
	ds_write_b128 v1, v[6:9]
.LBB36_199:
	s_or_b64 exec, exec, s[0:1]
	s_waitcnt lgkmcnt(0)
	; wave barrier
	ds_read_b128 v[16:19], v2 offset:896
	ds_read_b128 v[12:15], v2 offset:912
	;; [unrolled: 1-line block ×4, first 2 shown]
	scratch_load_dwordx4 v[20:23], off, off offset:320
	scratch_load_dwordx4 v[40:43], off, off offset:384
	;; [unrolled: 1-line block ×12, first 2 shown]
	v_cmp_lt_u32_e32 vcc, 17, v0
	scratch_load_dwordx4 v[48:51], off, off offset:400
	scratch_load_dwordx4 v[56:59], off, off offset:416
	;; [unrolled: 1-line block ×3, first 2 shown]
	s_waitcnt vmcnt(14) lgkmcnt(3)
	v_mul_f64 v[24:25], v[16:17], v[22:23]
	v_fmac_f64_e32 v[24:25], v[18:19], v[20:21]
	v_add_f64 v[28:29], v[24:25], 0
	scratch_load_dwordx4 v[24:27], off, off offset:336
	s_waitcnt vmcnt(0) lgkmcnt(2)
	v_mul_f64 v[30:31], v[12:13], v[26:27]
	v_fmac_f64_e32 v[30:31], v[14:15], v[24:25]
	v_add_f64 v[32:33], v[28:29], v[30:31]
	scratch_load_dwordx4 v[28:31], off, off offset:352
	v_mul_f64 v[14:15], v[14:15], v[26:27]
	v_fma_f64 v[12:13], v[12:13], v[24:25], -v[14:15]
	s_waitcnt vmcnt(0) lgkmcnt(1)
	v_mul_f64 v[34:35], v[8:9], v[30:31]
	v_fmac_f64_e32 v[34:35], v[10:11], v[28:29]
	v_add_f64 v[36:37], v[32:33], v[34:35]
	scratch_load_dwordx4 v[32:35], off, off offset:368
	v_mul_f64 v[10:11], v[10:11], v[30:31]
	v_fma_f64 v[8:9], v[8:9], v[28:29], -v[10:11]
	s_waitcnt vmcnt(0) lgkmcnt(0)
	v_mul_f64 v[38:39], v[4:5], v[34:35]
	v_fmac_f64_e32 v[38:39], v[6:7], v[32:33]
	v_add_f64 v[44:45], v[36:37], v[38:39]
	ds_read_b128 v[36:39], v2 offset:960
	v_mul_f64 v[6:7], v[6:7], v[34:35]
	v_fma_f64 v[4:5], v[4:5], v[32:33], -v[6:7]
	s_waitcnt lgkmcnt(0)
	v_mul_f64 v[46:47], v[36:37], v[42:43]
	v_fmac_f64_e32 v[46:47], v[38:39], v[40:41]
	v_add_f64 v[52:53], v[44:45], v[46:47]
	ds_read_b128 v[44:47], v2 offset:976
	s_waitcnt lgkmcnt(0)
	v_mul_f64 v[54:55], v[44:45], v[50:51]
	v_fmac_f64_e32 v[54:55], v[46:47], v[48:49]
	v_add_f64 v[60:61], v[52:53], v[54:55]
	ds_read_b128 v[52:55], v2 offset:992
	;; [unrolled: 5-line block ×13, first 2 shown]
	s_waitcnt lgkmcnt(0)
	v_mul_f64 v[2:3], v[142:143], v[148:149]
	v_fmac_f64_e32 v[2:3], v[144:145], v[146:147]
	v_add_f64 v[80:81], v[80:81], v[2:3]
	v_mul_f64 v[2:3], v[18:19], v[22:23]
	v_fma_f64 v[2:3], v[16:17], v[20:21], -v[2:3]
	v_add_f64 v[2:3], v[2:3], 0
	v_add_f64 v[2:3], v[2:3], v[12:13]
	;; [unrolled: 1-line block ×4, first 2 shown]
	v_mul_f64 v[4:5], v[38:39], v[42:43]
	v_fma_f64 v[4:5], v[36:37], v[40:41], -v[4:5]
	v_add_f64 v[2:3], v[2:3], v[4:5]
	v_mul_f64 v[4:5], v[46:47], v[50:51]
	v_fma_f64 v[4:5], v[44:45], v[48:49], -v[4:5]
	v_add_f64 v[2:3], v[2:3], v[4:5]
	;; [unrolled: 3-line block ×14, first 2 shown]
	scratch_load_dwordx4 v[2:5], off, off offset:304
	s_waitcnt vmcnt(0)
	v_add_f64 v[2:3], v[2:3], -v[6:7]
	v_add_f64 v[4:5], v[4:5], -v[80:81]
	scratch_store_dwordx4 off, v[2:5], off offset:304
	s_and_saveexec_b64 s[0:1], vcc
	s_cbranch_execz .LBB36_201
; %bb.200:
	scratch_load_dwordx4 v[2:5], off, s30
	v_mov_b32_e32 v6, 0
	v_mov_b32_e32 v7, v6
	;; [unrolled: 1-line block ×4, first 2 shown]
	scratch_store_dwordx4 off, v[6:9], off offset:288
	s_waitcnt vmcnt(1)
	ds_write_b128 v1, v[2:5]
.LBB36_201:
	s_or_b64 exec, exec, s[0:1]
	v_mov_b32_e32 v2, 0
	s_waitcnt lgkmcnt(0)
	; wave barrier
	ds_read_b128 v[16:19], v2 offset:880
	ds_read_b128 v[12:15], v2 offset:896
	;; [unrolled: 1-line block ×4, first 2 shown]
	scratch_load_dwordx4 v[20:23], off, off offset:304
	scratch_load_dwordx4 v[40:43], off, off offset:368
	;; [unrolled: 1-line block ×13, first 2 shown]
	v_cmp_lt_u32_e32 vcc, 16, v0
	scratch_load_dwordx4 v[48:51], off, off offset:384
	scratch_load_dwordx4 v[56:59], off, off offset:400
	;; [unrolled: 1-line block ×3, first 2 shown]
	s_waitcnt vmcnt(15) lgkmcnt(3)
	v_mul_f64 v[24:25], v[16:17], v[22:23]
	v_fmac_f64_e32 v[24:25], v[18:19], v[20:21]
	v_add_f64 v[28:29], v[24:25], 0
	scratch_load_dwordx4 v[24:27], off, off offset:320
	v_mul_f64 v[18:19], v[18:19], v[22:23]
	v_fma_f64 v[16:17], v[16:17], v[20:21], -v[18:19]
	v_add_f64 v[16:17], v[16:17], 0
	s_waitcnt vmcnt(0) lgkmcnt(2)
	v_mul_f64 v[30:31], v[12:13], v[26:27]
	v_fmac_f64_e32 v[30:31], v[14:15], v[24:25]
	v_add_f64 v[32:33], v[28:29], v[30:31]
	scratch_load_dwordx4 v[28:31], off, off offset:336
	v_mul_f64 v[14:15], v[14:15], v[26:27]
	v_fma_f64 v[12:13], v[12:13], v[24:25], -v[14:15]
	v_add_f64 v[12:13], v[16:17], v[12:13]
	;; [unrolled: 8-line block ×3, first 2 shown]
	s_waitcnt vmcnt(0) lgkmcnt(0)
	v_mul_f64 v[38:39], v[4:5], v[34:35]
	v_fmac_f64_e32 v[38:39], v[6:7], v[32:33]
	v_add_f64 v[44:45], v[36:37], v[38:39]
	ds_read_b128 v[36:39], v2 offset:944
	v_mul_f64 v[6:7], v[6:7], v[34:35]
	v_fma_f64 v[4:5], v[4:5], v[32:33], -v[6:7]
	v_add_f64 v[4:5], v[8:9], v[4:5]
	s_waitcnt lgkmcnt(0)
	v_mul_f64 v[46:47], v[36:37], v[42:43]
	v_fmac_f64_e32 v[46:47], v[38:39], v[40:41]
	v_add_f64 v[52:53], v[44:45], v[46:47]
	ds_read_b128 v[44:47], v2 offset:960
	v_mul_f64 v[6:7], v[38:39], v[42:43]
	v_fma_f64 v[6:7], v[36:37], v[40:41], -v[6:7]
	v_add_f64 v[4:5], v[4:5], v[6:7]
	s_waitcnt lgkmcnt(0)
	v_mul_f64 v[54:55], v[44:45], v[50:51]
	v_fmac_f64_e32 v[54:55], v[46:47], v[48:49]
	v_add_f64 v[60:61], v[52:53], v[54:55]
	ds_read_b128 v[52:55], v2 offset:976
	v_mul_f64 v[6:7], v[46:47], v[50:51]
	v_fma_f64 v[6:7], v[44:45], v[48:49], -v[6:7]
	v_add_f64 v[4:5], v[4:5], v[6:7]
	s_waitcnt lgkmcnt(0)
	v_mul_f64 v[62:63], v[52:53], v[58:59]
	v_fmac_f64_e32 v[62:63], v[54:55], v[56:57]
	v_add_f64 v[68:69], v[60:61], v[62:63]
	ds_read_b128 v[60:63], v2 offset:992
	v_mul_f64 v[6:7], v[54:55], v[58:59]
	v_fma_f64 v[6:7], v[52:53], v[56:57], -v[6:7]
	v_add_f64 v[4:5], v[4:5], v[6:7]
	s_waitcnt lgkmcnt(0)
	v_mul_f64 v[70:71], v[60:61], v[66:67]
	v_fmac_f64_e32 v[70:71], v[62:63], v[64:65]
	v_add_f64 v[76:77], v[68:69], v[70:71]
	ds_read_b128 v[68:71], v2 offset:1008
	v_mul_f64 v[6:7], v[62:63], v[66:67]
	v_fma_f64 v[6:7], v[60:61], v[64:65], -v[6:7]
	v_add_f64 v[4:5], v[4:5], v[6:7]
	s_waitcnt lgkmcnt(0)
	v_mul_f64 v[78:79], v[68:69], v[74:75]
	v_fmac_f64_e32 v[78:79], v[70:71], v[72:73]
	v_add_f64 v[84:85], v[76:77], v[78:79]
	ds_read_b128 v[76:79], v2 offset:1024
	v_mul_f64 v[6:7], v[70:71], v[74:75]
	v_fma_f64 v[6:7], v[68:69], v[72:73], -v[6:7]
	v_add_f64 v[4:5], v[4:5], v[6:7]
	s_waitcnt lgkmcnt(0)
	v_mul_f64 v[86:87], v[76:77], v[82:83]
	v_fmac_f64_e32 v[86:87], v[78:79], v[80:81]
	v_add_f64 v[88:89], v[84:85], v[86:87]
	ds_read_b128 v[84:87], v2 offset:1040
	v_mul_f64 v[6:7], v[78:79], v[82:83]
	v_fma_f64 v[6:7], v[76:77], v[80:81], -v[6:7]
	v_add_f64 v[4:5], v[4:5], v[6:7]
	s_waitcnt lgkmcnt(0)
	v_mul_f64 v[94:95], v[84:85], v[92:93]
	v_fmac_f64_e32 v[94:95], v[86:87], v[90:91]
	v_add_f64 v[88:89], v[88:89], v[94:95]
	ds_read_b128 v[94:97], v2 offset:1056
	v_mul_f64 v[6:7], v[86:87], v[92:93]
	v_fma_f64 v[6:7], v[84:85], v[90:91], -v[6:7]
	v_add_f64 v[4:5], v[4:5], v[6:7]
	s_waitcnt lgkmcnt(0)
	v_mul_f64 v[102:103], v[94:95], v[100:101]
	v_fmac_f64_e32 v[102:103], v[96:97], v[98:99]
	v_add_f64 v[88:89], v[88:89], v[102:103]
	ds_read_b128 v[102:105], v2 offset:1072
	v_mul_f64 v[6:7], v[96:97], v[100:101]
	v_fma_f64 v[6:7], v[94:95], v[98:99], -v[6:7]
	v_add_f64 v[4:5], v[4:5], v[6:7]
	s_waitcnt lgkmcnt(0)
	v_mul_f64 v[110:111], v[102:103], v[108:109]
	v_fmac_f64_e32 v[110:111], v[104:105], v[106:107]
	v_add_f64 v[88:89], v[88:89], v[110:111]
	ds_read_b128 v[110:113], v2 offset:1088
	v_mul_f64 v[6:7], v[104:105], v[108:109]
	v_fma_f64 v[6:7], v[102:103], v[106:107], -v[6:7]
	v_add_f64 v[4:5], v[4:5], v[6:7]
	s_waitcnt lgkmcnt(0)
	v_mul_f64 v[118:119], v[110:111], v[116:117]
	v_fmac_f64_e32 v[118:119], v[112:113], v[114:115]
	v_add_f64 v[88:89], v[88:89], v[118:119]
	ds_read_b128 v[118:121], v2 offset:1104
	v_mul_f64 v[6:7], v[112:113], v[116:117]
	v_fma_f64 v[6:7], v[110:111], v[114:115], -v[6:7]
	v_add_f64 v[4:5], v[4:5], v[6:7]
	s_waitcnt lgkmcnt(0)
	v_mul_f64 v[126:127], v[118:119], v[124:125]
	v_fmac_f64_e32 v[126:127], v[120:121], v[122:123]
	v_add_f64 v[88:89], v[88:89], v[126:127]
	ds_read_b128 v[126:129], v2 offset:1120
	v_mul_f64 v[6:7], v[120:121], v[124:125]
	v_fma_f64 v[6:7], v[118:119], v[122:123], -v[6:7]
	v_add_f64 v[4:5], v[4:5], v[6:7]
	s_waitcnt lgkmcnt(0)
	v_mul_f64 v[134:135], v[126:127], v[132:133]
	v_fmac_f64_e32 v[134:135], v[128:129], v[130:131]
	v_add_f64 v[88:89], v[88:89], v[134:135]
	ds_read_b128 v[134:137], v2 offset:1136
	v_mul_f64 v[6:7], v[128:129], v[132:133]
	v_fma_f64 v[6:7], v[126:127], v[130:131], -v[6:7]
	v_add_f64 v[4:5], v[4:5], v[6:7]
	s_waitcnt lgkmcnt(0)
	v_mul_f64 v[142:143], v[134:135], v[140:141]
	v_fmac_f64_e32 v[142:143], v[136:137], v[138:139]
	v_add_f64 v[88:89], v[88:89], v[142:143]
	ds_read_b128 v[142:145], v2 offset:1152
	v_mul_f64 v[6:7], v[136:137], v[140:141]
	v_fma_f64 v[6:7], v[134:135], v[138:139], -v[6:7]
	v_add_f64 v[4:5], v[4:5], v[6:7]
	s_waitcnt lgkmcnt(0)
	v_mul_f64 v[150:151], v[142:143], v[148:149]
	v_fmac_f64_e32 v[150:151], v[144:145], v[146:147]
	v_add_f64 v[88:89], v[88:89], v[150:151]
	ds_read_b128 v[150:153], v2 offset:1168
	v_mul_f64 v[6:7], v[144:145], v[148:149]
	v_fma_f64 v[6:7], v[142:143], v[146:147], -v[6:7]
	v_add_f64 v[4:5], v[4:5], v[6:7]
	s_waitcnt lgkmcnt(0)
	v_mul_f64 v[6:7], v[152:153], v[156:157]
	v_fma_f64 v[6:7], v[150:151], v[154:155], -v[6:7]
	v_add_f64 v[8:9], v[4:5], v[6:7]
	scratch_load_dwordx4 v[4:7], off, off offset:288
	v_mul_f64 v[158:159], v[150:151], v[156:157]
	v_fmac_f64_e32 v[158:159], v[152:153], v[154:155]
	v_add_f64 v[88:89], v[88:89], v[158:159]
	s_waitcnt vmcnt(0)
	v_add_f64 v[4:5], v[4:5], -v[8:9]
	v_add_f64 v[6:7], v[6:7], -v[88:89]
	scratch_store_dwordx4 off, v[4:7], off offset:288
	s_and_saveexec_b64 s[0:1], vcc
	s_cbranch_execz .LBB36_203
; %bb.202:
	scratch_load_dwordx4 v[6:9], off, s29
	v_mov_b32_e32 v3, v2
	v_mov_b32_e32 v4, v2
	v_mov_b32_e32 v5, v2
	scratch_store_dwordx4 off, v[2:5], off offset:272
	s_waitcnt vmcnt(1)
	ds_write_b128 v1, v[6:9]
.LBB36_203:
	s_or_b64 exec, exec, s[0:1]
	s_waitcnt lgkmcnt(0)
	; wave barrier
	ds_read_b128 v[16:19], v2 offset:864
	ds_read_b128 v[12:15], v2 offset:880
	;; [unrolled: 1-line block ×4, first 2 shown]
	scratch_load_dwordx4 v[20:23], off, off offset:288
	scratch_load_dwordx4 v[40:43], off, off offset:352
	;; [unrolled: 1-line block ×14, first 2 shown]
	v_cmp_lt_u32_e32 vcc, 15, v0
	scratch_load_dwordx4 v[48:51], off, off offset:368
	scratch_load_dwordx4 v[56:59], off, off offset:384
	;; [unrolled: 1-line block ×3, first 2 shown]
	s_waitcnt vmcnt(16) lgkmcnt(3)
	v_mul_f64 v[24:25], v[16:17], v[22:23]
	v_fmac_f64_e32 v[24:25], v[18:19], v[20:21]
	v_add_f64 v[28:29], v[24:25], 0
	scratch_load_dwordx4 v[24:27], off, off offset:304
	s_waitcnt vmcnt(0) lgkmcnt(2)
	v_mul_f64 v[30:31], v[12:13], v[26:27]
	v_fmac_f64_e32 v[30:31], v[14:15], v[24:25]
	v_add_f64 v[32:33], v[28:29], v[30:31]
	scratch_load_dwordx4 v[28:31], off, off offset:320
	v_mul_f64 v[14:15], v[14:15], v[26:27]
	v_fma_f64 v[12:13], v[12:13], v[24:25], -v[14:15]
	s_waitcnt vmcnt(0) lgkmcnt(1)
	v_mul_f64 v[34:35], v[8:9], v[30:31]
	v_fmac_f64_e32 v[34:35], v[10:11], v[28:29]
	v_add_f64 v[36:37], v[32:33], v[34:35]
	scratch_load_dwordx4 v[32:35], off, off offset:336
	v_mul_f64 v[10:11], v[10:11], v[30:31]
	v_fma_f64 v[8:9], v[8:9], v[28:29], -v[10:11]
	s_waitcnt vmcnt(0) lgkmcnt(0)
	v_mul_f64 v[38:39], v[4:5], v[34:35]
	v_fmac_f64_e32 v[38:39], v[6:7], v[32:33]
	v_add_f64 v[44:45], v[36:37], v[38:39]
	ds_read_b128 v[36:39], v2 offset:928
	v_mul_f64 v[6:7], v[6:7], v[34:35]
	v_fma_f64 v[4:5], v[4:5], v[32:33], -v[6:7]
	s_waitcnt lgkmcnt(0)
	v_mul_f64 v[46:47], v[36:37], v[42:43]
	v_fmac_f64_e32 v[46:47], v[38:39], v[40:41]
	v_add_f64 v[52:53], v[44:45], v[46:47]
	ds_read_b128 v[44:47], v2 offset:944
	s_waitcnt lgkmcnt(0)
	v_mul_f64 v[54:55], v[44:45], v[50:51]
	v_fmac_f64_e32 v[54:55], v[46:47], v[48:49]
	v_add_f64 v[60:61], v[52:53], v[54:55]
	ds_read_b128 v[52:55], v2 offset:960
	;; [unrolled: 5-line block ×15, first 2 shown]
	s_waitcnt lgkmcnt(0)
	v_mul_f64 v[2:3], v[158:159], v[164:165]
	v_fmac_f64_e32 v[2:3], v[160:161], v[162:163]
	v_add_f64 v[96:97], v[96:97], v[2:3]
	v_mul_f64 v[2:3], v[18:19], v[22:23]
	v_fma_f64 v[2:3], v[16:17], v[20:21], -v[2:3]
	v_add_f64 v[2:3], v[2:3], 0
	v_add_f64 v[2:3], v[2:3], v[12:13]
	;; [unrolled: 1-line block ×4, first 2 shown]
	v_mul_f64 v[4:5], v[38:39], v[42:43]
	v_fma_f64 v[4:5], v[36:37], v[40:41], -v[4:5]
	v_add_f64 v[2:3], v[2:3], v[4:5]
	v_mul_f64 v[4:5], v[46:47], v[50:51]
	v_fma_f64 v[4:5], v[44:45], v[48:49], -v[4:5]
	v_add_f64 v[2:3], v[2:3], v[4:5]
	;; [unrolled: 3-line block ×16, first 2 shown]
	scratch_load_dwordx4 v[2:5], off, off offset:272
	s_waitcnt vmcnt(0)
	v_add_f64 v[2:3], v[2:3], -v[6:7]
	v_add_f64 v[4:5], v[4:5], -v[96:97]
	scratch_store_dwordx4 off, v[2:5], off offset:272
	s_and_saveexec_b64 s[0:1], vcc
	s_cbranch_execz .LBB36_205
; %bb.204:
	scratch_load_dwordx4 v[2:5], off, s28
	v_mov_b32_e32 v6, 0
	v_mov_b32_e32 v7, v6
	;; [unrolled: 1-line block ×4, first 2 shown]
	scratch_store_dwordx4 off, v[6:9], off offset:256
	s_waitcnt vmcnt(1)
	ds_write_b128 v1, v[2:5]
.LBB36_205:
	s_or_b64 exec, exec, s[0:1]
	v_mov_b32_e32 v2, 0
	s_waitcnt lgkmcnt(0)
	; wave barrier
	ds_read_b128 v[16:19], v2 offset:848
	ds_read_b128 v[12:15], v2 offset:864
	;; [unrolled: 1-line block ×4, first 2 shown]
	scratch_load_dwordx4 v[20:23], off, off offset:272
	scratch_load_dwordx4 v[40:43], off, off offset:336
	;; [unrolled: 1-line block ×15, first 2 shown]
	v_cmp_lt_u32_e32 vcc, 14, v0
	scratch_load_dwordx4 v[48:51], off, off offset:352
	scratch_load_dwordx4 v[56:59], off, off offset:368
	;; [unrolled: 1-line block ×3, first 2 shown]
	s_waitcnt vmcnt(17) lgkmcnt(3)
	v_mul_f64 v[24:25], v[16:17], v[22:23]
	v_fmac_f64_e32 v[24:25], v[18:19], v[20:21]
	v_add_f64 v[28:29], v[24:25], 0
	scratch_load_dwordx4 v[24:27], off, off offset:288
	v_mul_f64 v[18:19], v[18:19], v[22:23]
	v_fma_f64 v[16:17], v[16:17], v[20:21], -v[18:19]
	v_add_f64 v[16:17], v[16:17], 0
	s_waitcnt vmcnt(0) lgkmcnt(2)
	v_mul_f64 v[30:31], v[12:13], v[26:27]
	v_fmac_f64_e32 v[30:31], v[14:15], v[24:25]
	v_add_f64 v[32:33], v[28:29], v[30:31]
	scratch_load_dwordx4 v[28:31], off, off offset:304
	v_mul_f64 v[14:15], v[14:15], v[26:27]
	v_fma_f64 v[12:13], v[12:13], v[24:25], -v[14:15]
	v_add_f64 v[12:13], v[16:17], v[12:13]
	;; [unrolled: 8-line block ×3, first 2 shown]
	s_waitcnt vmcnt(0) lgkmcnt(0)
	v_mul_f64 v[38:39], v[4:5], v[34:35]
	v_fmac_f64_e32 v[38:39], v[6:7], v[32:33]
	v_add_f64 v[44:45], v[36:37], v[38:39]
	ds_read_b128 v[36:39], v2 offset:912
	v_mul_f64 v[6:7], v[6:7], v[34:35]
	v_fma_f64 v[4:5], v[4:5], v[32:33], -v[6:7]
	v_add_f64 v[4:5], v[8:9], v[4:5]
	s_waitcnt lgkmcnt(0)
	v_mul_f64 v[46:47], v[36:37], v[42:43]
	v_fmac_f64_e32 v[46:47], v[38:39], v[40:41]
	v_add_f64 v[52:53], v[44:45], v[46:47]
	ds_read_b128 v[44:47], v2 offset:928
	v_mul_f64 v[6:7], v[38:39], v[42:43]
	v_fma_f64 v[6:7], v[36:37], v[40:41], -v[6:7]
	v_add_f64 v[4:5], v[4:5], v[6:7]
	s_waitcnt lgkmcnt(0)
	;; [unrolled: 8-line block ×17, first 2 shown]
	v_mul_f64 v[6:7], v[168:169], v[172:173]
	v_fma_f64 v[6:7], v[166:167], v[170:171], -v[6:7]
	v_add_f64 v[8:9], v[4:5], v[6:7]
	scratch_load_dwordx4 v[4:7], off, off offset:256
	v_mul_f64 v[174:175], v[166:167], v[172:173]
	v_fmac_f64_e32 v[174:175], v[168:169], v[170:171]
	v_add_f64 v[104:105], v[104:105], v[174:175]
	s_waitcnt vmcnt(0)
	v_add_f64 v[4:5], v[4:5], -v[8:9]
	v_add_f64 v[6:7], v[6:7], -v[104:105]
	scratch_store_dwordx4 off, v[4:7], off offset:256
	s_and_saveexec_b64 s[0:1], vcc
	s_cbranch_execz .LBB36_207
; %bb.206:
	scratch_load_dwordx4 v[6:9], off, s27
	v_mov_b32_e32 v3, v2
	v_mov_b32_e32 v4, v2
	;; [unrolled: 1-line block ×3, first 2 shown]
	scratch_store_dwordx4 off, v[2:5], off offset:240
	s_waitcnt vmcnt(1)
	ds_write_b128 v1, v[6:9]
.LBB36_207:
	s_or_b64 exec, exec, s[0:1]
	s_waitcnt lgkmcnt(0)
	; wave barrier
	ds_read_b128 v[16:19], v2 offset:832
	ds_read_b128 v[12:15], v2 offset:848
	;; [unrolled: 1-line block ×4, first 2 shown]
	scratch_load_dwordx4 v[20:23], off, off offset:256
	scratch_load_dwordx4 v[40:43], off, off offset:320
	;; [unrolled: 1-line block ×16, first 2 shown]
	v_cmp_lt_u32_e32 vcc, 13, v0
	scratch_load_dwordx4 v[48:51], off, off offset:336
	scratch_load_dwordx4 v[56:59], off, off offset:352
	;; [unrolled: 1-line block ×3, first 2 shown]
	s_waitcnt vmcnt(18) lgkmcnt(3)
	v_mul_f64 v[24:25], v[16:17], v[22:23]
	v_fmac_f64_e32 v[24:25], v[18:19], v[20:21]
	v_add_f64 v[28:29], v[24:25], 0
	scratch_load_dwordx4 v[24:27], off, off offset:272
	s_waitcnt vmcnt(0) lgkmcnt(2)
	v_mul_f64 v[30:31], v[12:13], v[26:27]
	v_fmac_f64_e32 v[30:31], v[14:15], v[24:25]
	v_add_f64 v[32:33], v[28:29], v[30:31]
	scratch_load_dwordx4 v[28:31], off, off offset:288
	v_mul_f64 v[14:15], v[14:15], v[26:27]
	v_fma_f64 v[12:13], v[12:13], v[24:25], -v[14:15]
	s_waitcnt vmcnt(0) lgkmcnt(1)
	v_mul_f64 v[34:35], v[8:9], v[30:31]
	v_fmac_f64_e32 v[34:35], v[10:11], v[28:29]
	v_add_f64 v[36:37], v[32:33], v[34:35]
	scratch_load_dwordx4 v[32:35], off, off offset:304
	v_mul_f64 v[10:11], v[10:11], v[30:31]
	v_fma_f64 v[8:9], v[8:9], v[28:29], -v[10:11]
	s_waitcnt vmcnt(0) lgkmcnt(0)
	v_mul_f64 v[38:39], v[4:5], v[34:35]
	v_fmac_f64_e32 v[38:39], v[6:7], v[32:33]
	v_add_f64 v[44:45], v[36:37], v[38:39]
	ds_read_b128 v[36:39], v2 offset:896
	v_mul_f64 v[6:7], v[6:7], v[34:35]
	v_fma_f64 v[4:5], v[4:5], v[32:33], -v[6:7]
	s_waitcnt lgkmcnt(0)
	v_mul_f64 v[46:47], v[36:37], v[42:43]
	v_fmac_f64_e32 v[46:47], v[38:39], v[40:41]
	v_add_f64 v[52:53], v[44:45], v[46:47]
	ds_read_b128 v[44:47], v2 offset:912
	s_waitcnt lgkmcnt(0)
	v_mul_f64 v[54:55], v[44:45], v[50:51]
	v_fmac_f64_e32 v[54:55], v[46:47], v[48:49]
	v_add_f64 v[60:61], v[52:53], v[54:55]
	ds_read_b128 v[52:55], v2 offset:928
	s_waitcnt lgkmcnt(0)
	v_mul_f64 v[62:63], v[52:53], v[58:59]
	v_fmac_f64_e32 v[62:63], v[54:55], v[56:57]
	v_add_f64 v[68:69], v[60:61], v[62:63]
	ds_read_b128 v[60:63], v2 offset:944
	s_waitcnt lgkmcnt(0)
	v_mul_f64 v[70:71], v[60:61], v[66:67]
	v_fmac_f64_e32 v[70:71], v[62:63], v[64:65]
	v_add_f64 v[76:77], v[68:69], v[70:71]
	ds_read_b128 v[68:71], v2 offset:960
	s_waitcnt lgkmcnt(0)
	v_mul_f64 v[78:79], v[68:69], v[74:75]
	v_fmac_f64_e32 v[78:79], v[70:71], v[72:73]
	v_add_f64 v[84:85], v[76:77], v[78:79]
	ds_read_b128 v[76:79], v2 offset:976
	s_waitcnt lgkmcnt(0)
	v_mul_f64 v[86:87], v[76:77], v[82:83]
	v_fmac_f64_e32 v[86:87], v[78:79], v[80:81]
	v_add_f64 v[92:93], v[84:85], v[86:87]
	ds_read_b128 v[84:87], v2 offset:992
	s_waitcnt lgkmcnt(0)
	v_mul_f64 v[94:95], v[84:85], v[90:91]
	v_fmac_f64_e32 v[94:95], v[86:87], v[88:89]
	v_add_f64 v[100:101], v[92:93], v[94:95]
	ds_read_b128 v[92:95], v2 offset:1008
	s_waitcnt lgkmcnt(0)
	v_mul_f64 v[102:103], v[92:93], v[98:99]
	v_fmac_f64_e32 v[102:103], v[94:95], v[96:97]
	v_add_f64 v[108:109], v[100:101], v[102:103]
	ds_read_b128 v[100:103], v2 offset:1024
	s_waitcnt lgkmcnt(0)
	v_mul_f64 v[110:111], v[100:101], v[106:107]
	v_fmac_f64_e32 v[110:111], v[102:103], v[104:105]
	v_add_f64 v[116:117], v[108:109], v[110:111]
	ds_read_b128 v[108:111], v2 offset:1040
	s_waitcnt lgkmcnt(0)
	v_mul_f64 v[118:119], v[108:109], v[114:115]
	v_fmac_f64_e32 v[118:119], v[110:111], v[112:113]
	v_add_f64 v[120:121], v[116:117], v[118:119]
	ds_read_b128 v[116:119], v2 offset:1056
	s_waitcnt lgkmcnt(0)
	v_mul_f64 v[126:127], v[116:117], v[124:125]
	v_fmac_f64_e32 v[126:127], v[118:119], v[122:123]
	v_add_f64 v[120:121], v[120:121], v[126:127]
	ds_read_b128 v[126:129], v2 offset:1072
	s_waitcnt lgkmcnt(0)
	v_mul_f64 v[134:135], v[126:127], v[132:133]
	v_fmac_f64_e32 v[134:135], v[128:129], v[130:131]
	v_add_f64 v[120:121], v[120:121], v[134:135]
	ds_read_b128 v[134:137], v2 offset:1088
	s_waitcnt lgkmcnt(0)
	v_mul_f64 v[142:143], v[134:135], v[140:141]
	v_fmac_f64_e32 v[142:143], v[136:137], v[138:139]
	v_add_f64 v[120:121], v[120:121], v[142:143]
	ds_read_b128 v[142:145], v2 offset:1104
	s_waitcnt lgkmcnt(0)
	v_mul_f64 v[150:151], v[142:143], v[148:149]
	v_fmac_f64_e32 v[150:151], v[144:145], v[146:147]
	v_add_f64 v[120:121], v[120:121], v[150:151]
	ds_read_b128 v[150:153], v2 offset:1120
	s_waitcnt lgkmcnt(0)
	v_mul_f64 v[158:159], v[150:151], v[156:157]
	v_fmac_f64_e32 v[158:159], v[152:153], v[154:155]
	v_add_f64 v[120:121], v[120:121], v[158:159]
	ds_read_b128 v[158:161], v2 offset:1136
	s_waitcnt lgkmcnt(0)
	v_mul_f64 v[166:167], v[158:159], v[164:165]
	v_fmac_f64_e32 v[166:167], v[160:161], v[162:163]
	v_add_f64 v[120:121], v[120:121], v[166:167]
	ds_read_b128 v[166:169], v2 offset:1152
	s_waitcnt lgkmcnt(0)
	v_mul_f64 v[174:175], v[166:167], v[172:173]
	v_fmac_f64_e32 v[174:175], v[168:169], v[170:171]
	v_add_f64 v[120:121], v[120:121], v[174:175]
	ds_read_b128 v[174:177], v2 offset:1168
	s_waitcnt lgkmcnt(0)
	v_mul_f64 v[2:3], v[174:175], v[180:181]
	v_fmac_f64_e32 v[2:3], v[176:177], v[178:179]
	v_add_f64 v[120:121], v[120:121], v[2:3]
	v_mul_f64 v[2:3], v[18:19], v[22:23]
	v_fma_f64 v[2:3], v[16:17], v[20:21], -v[2:3]
	v_add_f64 v[2:3], v[2:3], 0
	v_add_f64 v[2:3], v[2:3], v[12:13]
	;; [unrolled: 1-line block ×4, first 2 shown]
	v_mul_f64 v[4:5], v[38:39], v[42:43]
	v_fma_f64 v[4:5], v[36:37], v[40:41], -v[4:5]
	v_add_f64 v[2:3], v[2:3], v[4:5]
	v_mul_f64 v[4:5], v[46:47], v[50:51]
	v_fma_f64 v[4:5], v[44:45], v[48:49], -v[4:5]
	v_add_f64 v[2:3], v[2:3], v[4:5]
	;; [unrolled: 3-line block ×18, first 2 shown]
	scratch_load_dwordx4 v[2:5], off, off offset:240
	s_waitcnt vmcnt(0)
	v_add_f64 v[2:3], v[2:3], -v[6:7]
	v_add_f64 v[4:5], v[4:5], -v[120:121]
	scratch_store_dwordx4 off, v[2:5], off offset:240
	s_and_saveexec_b64 s[0:1], vcc
	s_cbranch_execz .LBB36_209
; %bb.208:
	scratch_load_dwordx4 v[2:5], off, s26
	v_mov_b32_e32 v6, 0
	v_mov_b32_e32 v7, v6
	;; [unrolled: 1-line block ×4, first 2 shown]
	scratch_store_dwordx4 off, v[6:9], off offset:224
	s_waitcnt vmcnt(1)
	ds_write_b128 v1, v[2:5]
.LBB36_209:
	s_or_b64 exec, exec, s[0:1]
	v_mov_b32_e32 v2, 0
	s_waitcnt lgkmcnt(0)
	; wave barrier
	ds_read_b128 v[16:19], v2 offset:816
	ds_read_b128 v[12:15], v2 offset:832
	;; [unrolled: 1-line block ×4, first 2 shown]
	scratch_load_dwordx4 v[20:23], off, off offset:240
	scratch_load_dwordx4 v[40:43], off, off offset:304
	;; [unrolled: 1-line block ×17, first 2 shown]
	v_cmp_lt_u32_e32 vcc, 12, v0
	scratch_load_dwordx4 v[48:51], off, off offset:320
	scratch_load_dwordx4 v[56:59], off, off offset:336
	;; [unrolled: 1-line block ×3, first 2 shown]
	s_waitcnt vmcnt(19) lgkmcnt(3)
	v_mul_f64 v[24:25], v[16:17], v[22:23]
	v_fmac_f64_e32 v[24:25], v[18:19], v[20:21]
	v_add_f64 v[28:29], v[24:25], 0
	scratch_load_dwordx4 v[24:27], off, off offset:256
	v_mul_f64 v[18:19], v[18:19], v[22:23]
	v_fma_f64 v[16:17], v[16:17], v[20:21], -v[18:19]
	v_add_f64 v[16:17], v[16:17], 0
	s_waitcnt vmcnt(0) lgkmcnt(2)
	v_mul_f64 v[30:31], v[12:13], v[26:27]
	v_fmac_f64_e32 v[30:31], v[14:15], v[24:25]
	v_add_f64 v[32:33], v[28:29], v[30:31]
	scratch_load_dwordx4 v[28:31], off, off offset:272
	v_mul_f64 v[14:15], v[14:15], v[26:27]
	v_fma_f64 v[12:13], v[12:13], v[24:25], -v[14:15]
	v_add_f64 v[12:13], v[16:17], v[12:13]
	;; [unrolled: 8-line block ×3, first 2 shown]
	s_waitcnt vmcnt(0) lgkmcnt(0)
	v_mul_f64 v[38:39], v[4:5], v[34:35]
	v_fmac_f64_e32 v[38:39], v[6:7], v[32:33]
	v_add_f64 v[44:45], v[36:37], v[38:39]
	ds_read_b128 v[36:39], v2 offset:880
	v_mul_f64 v[6:7], v[6:7], v[34:35]
	v_fma_f64 v[4:5], v[4:5], v[32:33], -v[6:7]
	v_add_f64 v[4:5], v[8:9], v[4:5]
	s_waitcnt lgkmcnt(0)
	v_mul_f64 v[46:47], v[36:37], v[42:43]
	v_fmac_f64_e32 v[46:47], v[38:39], v[40:41]
	v_add_f64 v[52:53], v[44:45], v[46:47]
	ds_read_b128 v[44:47], v2 offset:896
	v_mul_f64 v[6:7], v[38:39], v[42:43]
	v_fma_f64 v[6:7], v[36:37], v[40:41], -v[6:7]
	v_add_f64 v[4:5], v[4:5], v[6:7]
	s_waitcnt lgkmcnt(0)
	;; [unrolled: 8-line block ×19, first 2 shown]
	v_mul_f64 v[6:7], v[184:185], v[188:189]
	v_fma_f64 v[6:7], v[182:183], v[186:187], -v[6:7]
	v_add_f64 v[8:9], v[4:5], v[6:7]
	scratch_load_dwordx4 v[4:7], off, off offset:224
	v_mul_f64 v[190:191], v[182:183], v[188:189]
	v_fmac_f64_e32 v[190:191], v[184:185], v[186:187]
	v_add_f64 v[128:129], v[128:129], v[190:191]
	s_waitcnt vmcnt(0)
	v_add_f64 v[4:5], v[4:5], -v[8:9]
	v_add_f64 v[6:7], v[6:7], -v[128:129]
	scratch_store_dwordx4 off, v[4:7], off offset:224
	s_and_saveexec_b64 s[0:1], vcc
	s_cbranch_execz .LBB36_211
; %bb.210:
	scratch_load_dwordx4 v[6:9], off, s52
	v_mov_b32_e32 v3, v2
	v_mov_b32_e32 v4, v2
	;; [unrolled: 1-line block ×3, first 2 shown]
	scratch_store_dwordx4 off, v[2:5], off offset:208
	s_waitcnt vmcnt(1)
	ds_write_b128 v1, v[6:9]
.LBB36_211:
	s_or_b64 exec, exec, s[0:1]
	s_waitcnt lgkmcnt(0)
	; wave barrier
	ds_read_b128 v[16:19], v2 offset:800
	ds_read_b128 v[12:15], v2 offset:816
	;; [unrolled: 1-line block ×4, first 2 shown]
	scratch_load_dwordx4 v[20:23], off, off offset:224
	scratch_load_dwordx4 v[40:43], off, off offset:288
	scratch_load_dwordx4 v[72:75], off, off offset:352
	scratch_load_dwordx4 v[80:83], off, off offset:368
	scratch_load_dwordx4 v[88:91], off, off offset:384
	scratch_load_dwordx4 v[96:99], off, off offset:400
	scratch_load_dwordx4 v[104:107], off, off offset:416
	scratch_load_dwordx4 v[112:115], off, off offset:432
	scratch_load_dwordx4 v[120:123], off, off offset:448
	scratch_load_dwordx4 v[128:131], off, off offset:464
	scratch_load_dwordx4 v[136:139], off, off offset:480
	scratch_load_dwordx4 v[144:147], off, off offset:496
	scratch_load_dwordx4 v[154:157], off, off offset:512
	scratch_load_dwordx4 v[162:165], off, off offset:528
	scratch_load_dwordx4 v[170:173], off, off offset:544
	scratch_load_dwordx4 v[178:181], off, off offset:560
	scratch_load_dwordx4 v[186:189], off, off offset:576
	scratch_load_dwordx4 v[194:197], off, off offset:592
	v_cmp_lt_u32_e32 vcc, 11, v0
	scratch_load_dwordx4 v[48:51], off, off offset:304
	scratch_load_dwordx4 v[56:59], off, off offset:320
	;; [unrolled: 1-line block ×3, first 2 shown]
	s_waitcnt vmcnt(20) lgkmcnt(3)
	v_mul_f64 v[24:25], v[16:17], v[22:23]
	v_fmac_f64_e32 v[24:25], v[18:19], v[20:21]
	v_add_f64 v[28:29], v[24:25], 0
	scratch_load_dwordx4 v[24:27], off, off offset:240
	s_waitcnt vmcnt(0) lgkmcnt(2)
	v_mul_f64 v[30:31], v[12:13], v[26:27]
	v_fmac_f64_e32 v[30:31], v[14:15], v[24:25]
	v_add_f64 v[32:33], v[28:29], v[30:31]
	scratch_load_dwordx4 v[28:31], off, off offset:256
	v_mul_f64 v[14:15], v[14:15], v[26:27]
	v_fma_f64 v[12:13], v[12:13], v[24:25], -v[14:15]
	s_waitcnt vmcnt(0) lgkmcnt(1)
	v_mul_f64 v[34:35], v[8:9], v[30:31]
	v_fmac_f64_e32 v[34:35], v[10:11], v[28:29]
	v_add_f64 v[36:37], v[32:33], v[34:35]
	scratch_load_dwordx4 v[32:35], off, off offset:272
	v_mul_f64 v[10:11], v[10:11], v[30:31]
	v_fma_f64 v[8:9], v[8:9], v[28:29], -v[10:11]
	s_waitcnt vmcnt(0) lgkmcnt(0)
	v_mul_f64 v[38:39], v[4:5], v[34:35]
	v_fmac_f64_e32 v[38:39], v[6:7], v[32:33]
	v_add_f64 v[44:45], v[36:37], v[38:39]
	ds_read_b128 v[36:39], v2 offset:864
	v_mul_f64 v[6:7], v[6:7], v[34:35]
	v_fma_f64 v[4:5], v[4:5], v[32:33], -v[6:7]
	s_waitcnt lgkmcnt(0)
	v_mul_f64 v[46:47], v[36:37], v[42:43]
	v_fmac_f64_e32 v[46:47], v[38:39], v[40:41]
	v_add_f64 v[52:53], v[44:45], v[46:47]
	ds_read_b128 v[44:47], v2 offset:880
	s_waitcnt lgkmcnt(0)
	v_mul_f64 v[54:55], v[44:45], v[50:51]
	v_fmac_f64_e32 v[54:55], v[46:47], v[48:49]
	v_add_f64 v[60:61], v[52:53], v[54:55]
	ds_read_b128 v[52:55], v2 offset:896
	;; [unrolled: 5-line block ×19, first 2 shown]
	s_waitcnt lgkmcnt(0)
	v_mul_f64 v[2:3], v[190:191], v[196:197]
	v_fmac_f64_e32 v[2:3], v[192:193], v[194:195]
	v_add_f64 v[148:149], v[148:149], v[2:3]
	v_mul_f64 v[2:3], v[18:19], v[22:23]
	v_fma_f64 v[2:3], v[16:17], v[20:21], -v[2:3]
	v_add_f64 v[2:3], v[2:3], 0
	v_add_f64 v[2:3], v[2:3], v[12:13]
	;; [unrolled: 1-line block ×4, first 2 shown]
	v_mul_f64 v[4:5], v[38:39], v[42:43]
	v_fma_f64 v[4:5], v[36:37], v[40:41], -v[4:5]
	v_add_f64 v[2:3], v[2:3], v[4:5]
	v_mul_f64 v[4:5], v[46:47], v[50:51]
	v_fma_f64 v[4:5], v[44:45], v[48:49], -v[4:5]
	v_add_f64 v[2:3], v[2:3], v[4:5]
	;; [unrolled: 3-line block ×20, first 2 shown]
	scratch_load_dwordx4 v[2:5], off, off offset:208
	s_waitcnt vmcnt(0)
	v_add_f64 v[2:3], v[2:3], -v[6:7]
	v_add_f64 v[4:5], v[4:5], -v[148:149]
	scratch_store_dwordx4 off, v[2:5], off offset:208
	s_and_saveexec_b64 s[0:1], vcc
	s_cbranch_execz .LBB36_213
; %bb.212:
	scratch_load_dwordx4 v[2:5], off, s51
	v_mov_b32_e32 v6, 0
	v_mov_b32_e32 v7, v6
	v_mov_b32_e32 v8, v6
	v_mov_b32_e32 v9, v6
	scratch_store_dwordx4 off, v[6:9], off offset:192
	s_waitcnt vmcnt(1)
	ds_write_b128 v1, v[2:5]
.LBB36_213:
	s_or_b64 exec, exec, s[0:1]
	v_mov_b32_e32 v2, 0
	s_waitcnt lgkmcnt(0)
	; wave barrier
	ds_read_b128 v[16:19], v2 offset:784
	ds_read_b128 v[12:15], v2 offset:800
	;; [unrolled: 1-line block ×4, first 2 shown]
	scratch_load_dwordx4 v[20:23], off, off offset:208
	scratch_load_dwordx4 v[40:43], off, off offset:272
	scratch_load_dwordx4 v[72:75], off, off offset:336
	scratch_load_dwordx4 v[80:83], off, off offset:352
	scratch_load_dwordx4 v[88:91], off, off offset:368
	scratch_load_dwordx4 v[96:99], off, off offset:384
	scratch_load_dwordx4 v[104:107], off, off offset:400
	scratch_load_dwordx4 v[112:115], off, off offset:416
	scratch_load_dwordx4 v[120:123], off, off offset:432
	scratch_load_dwordx4 v[128:131], off, off offset:448
	scratch_load_dwordx4 v[136:139], off, off offset:464
	scratch_load_dwordx4 v[146:149], off, off offset:480
	scratch_load_dwordx4 v[154:157], off, off offset:496
	scratch_load_dwordx4 v[162:165], off, off offset:512
	scratch_load_dwordx4 v[170:173], off, off offset:528
	scratch_load_dwordx4 v[178:181], off, off offset:544
	scratch_load_dwordx4 v[186:189], off, off offset:560
	scratch_load_dwordx4 v[194:197], off, off offset:576
	scratch_load_dwordx4 v[202:205], off, off offset:592
	v_cmp_lt_u32_e32 vcc, 10, v0
	scratch_load_dwordx4 v[48:51], off, off offset:288
	scratch_load_dwordx4 v[56:59], off, off offset:304
	;; [unrolled: 1-line block ×3, first 2 shown]
	s_waitcnt vmcnt(21) lgkmcnt(3)
	v_mul_f64 v[24:25], v[16:17], v[22:23]
	v_fmac_f64_e32 v[24:25], v[18:19], v[20:21]
	v_add_f64 v[28:29], v[24:25], 0
	scratch_load_dwordx4 v[24:27], off, off offset:224
	v_mul_f64 v[18:19], v[18:19], v[22:23]
	v_fma_f64 v[16:17], v[16:17], v[20:21], -v[18:19]
	v_add_f64 v[16:17], v[16:17], 0
	s_waitcnt vmcnt(0) lgkmcnt(2)
	v_mul_f64 v[30:31], v[12:13], v[26:27]
	v_fmac_f64_e32 v[30:31], v[14:15], v[24:25]
	v_add_f64 v[32:33], v[28:29], v[30:31]
	scratch_load_dwordx4 v[28:31], off, off offset:240
	v_mul_f64 v[14:15], v[14:15], v[26:27]
	v_fma_f64 v[12:13], v[12:13], v[24:25], -v[14:15]
	v_add_f64 v[12:13], v[16:17], v[12:13]
	;; [unrolled: 8-line block ×3, first 2 shown]
	s_waitcnt vmcnt(0) lgkmcnt(0)
	v_mul_f64 v[38:39], v[4:5], v[34:35]
	v_fmac_f64_e32 v[38:39], v[6:7], v[32:33]
	v_add_f64 v[44:45], v[36:37], v[38:39]
	ds_read_b128 v[36:39], v2 offset:848
	v_mul_f64 v[6:7], v[6:7], v[34:35]
	v_fma_f64 v[4:5], v[4:5], v[32:33], -v[6:7]
	v_add_f64 v[4:5], v[8:9], v[4:5]
	s_waitcnt lgkmcnt(0)
	v_mul_f64 v[46:47], v[36:37], v[42:43]
	v_fmac_f64_e32 v[46:47], v[38:39], v[40:41]
	v_add_f64 v[52:53], v[44:45], v[46:47]
	ds_read_b128 v[44:47], v2 offset:864
	v_mul_f64 v[6:7], v[38:39], v[42:43]
	v_fma_f64 v[6:7], v[36:37], v[40:41], -v[6:7]
	v_add_f64 v[4:5], v[4:5], v[6:7]
	s_waitcnt lgkmcnt(0)
	;; [unrolled: 8-line block ×21, first 2 shown]
	v_mul_f64 v[6:7], v[200:201], v[204:205]
	v_fma_f64 v[6:7], v[198:199], v[202:203], -v[6:7]
	v_add_f64 v[8:9], v[4:5], v[6:7]
	scratch_load_dwordx4 v[4:7], off, off offset:192
	v_mul_f64 v[206:207], v[198:199], v[204:205]
	v_fmac_f64_e32 v[206:207], v[200:201], v[202:203]
	v_add_f64 v[144:145], v[144:145], v[206:207]
	s_waitcnt vmcnt(0)
	v_add_f64 v[4:5], v[4:5], -v[8:9]
	v_add_f64 v[6:7], v[6:7], -v[144:145]
	scratch_store_dwordx4 off, v[4:7], off offset:192
	s_and_saveexec_b64 s[0:1], vcc
	s_cbranch_execz .LBB36_215
; %bb.214:
	scratch_load_dwordx4 v[6:9], off, s25
	v_mov_b32_e32 v3, v2
	v_mov_b32_e32 v4, v2
	;; [unrolled: 1-line block ×3, first 2 shown]
	scratch_store_dwordx4 off, v[2:5], off offset:176
	s_waitcnt vmcnt(1)
	ds_write_b128 v1, v[6:9]
.LBB36_215:
	s_or_b64 exec, exec, s[0:1]
	s_waitcnt lgkmcnt(0)
	; wave barrier
	ds_read_b128 v[16:19], v2 offset:768
	ds_read_b128 v[12:15], v2 offset:784
	;; [unrolled: 1-line block ×4, first 2 shown]
	scratch_load_dwordx4 v[20:23], off, off offset:192
	scratch_load_dwordx4 v[40:43], off, off offset:256
	;; [unrolled: 1-line block ×20, first 2 shown]
	v_cmp_lt_u32_e32 vcc, 9, v0
	scratch_load_dwordx4 v[48:51], off, off offset:272
	scratch_load_dwordx4 v[56:59], off, off offset:288
	;; [unrolled: 1-line block ×3, first 2 shown]
	s_waitcnt vmcnt(22) lgkmcnt(3)
	v_mul_f64 v[24:25], v[16:17], v[22:23]
	v_fmac_f64_e32 v[24:25], v[18:19], v[20:21]
	v_add_f64 v[28:29], v[24:25], 0
	scratch_load_dwordx4 v[24:27], off, off offset:208
	s_waitcnt vmcnt(0) lgkmcnt(2)
	v_mul_f64 v[30:31], v[12:13], v[26:27]
	v_fmac_f64_e32 v[30:31], v[14:15], v[24:25]
	v_add_f64 v[32:33], v[28:29], v[30:31]
	scratch_load_dwordx4 v[28:31], off, off offset:224
	v_mul_f64 v[14:15], v[14:15], v[26:27]
	v_fma_f64 v[12:13], v[12:13], v[24:25], -v[14:15]
	s_waitcnt vmcnt(0) lgkmcnt(1)
	v_mul_f64 v[34:35], v[8:9], v[30:31]
	v_fmac_f64_e32 v[34:35], v[10:11], v[28:29]
	v_add_f64 v[36:37], v[32:33], v[34:35]
	scratch_load_dwordx4 v[32:35], off, off offset:240
	v_mul_f64 v[10:11], v[10:11], v[30:31]
	v_fma_f64 v[8:9], v[8:9], v[28:29], -v[10:11]
	s_waitcnt vmcnt(0) lgkmcnt(0)
	v_mul_f64 v[38:39], v[4:5], v[34:35]
	v_fmac_f64_e32 v[38:39], v[6:7], v[32:33]
	v_add_f64 v[44:45], v[36:37], v[38:39]
	ds_read_b128 v[36:39], v2 offset:832
	v_mul_f64 v[6:7], v[6:7], v[34:35]
	v_fma_f64 v[4:5], v[4:5], v[32:33], -v[6:7]
	s_waitcnt lgkmcnt(0)
	v_mul_f64 v[46:47], v[36:37], v[42:43]
	v_fmac_f64_e32 v[46:47], v[38:39], v[40:41]
	v_add_f64 v[52:53], v[44:45], v[46:47]
	ds_read_b128 v[44:47], v2 offset:848
	s_waitcnt lgkmcnt(0)
	v_mul_f64 v[54:55], v[44:45], v[50:51]
	v_fmac_f64_e32 v[54:55], v[46:47], v[48:49]
	v_add_f64 v[60:61], v[52:53], v[54:55]
	ds_read_b128 v[52:55], v2 offset:864
	;; [unrolled: 5-line block ×21, first 2 shown]
	s_waitcnt lgkmcnt(0)
	v_mul_f64 v[2:3], v[206:207], v[212:213]
	v_fmac_f64_e32 v[2:3], v[208:209], v[210:211]
	v_add_f64 v[168:169], v[168:169], v[2:3]
	v_mul_f64 v[2:3], v[18:19], v[22:23]
	v_fma_f64 v[2:3], v[16:17], v[20:21], -v[2:3]
	v_add_f64 v[2:3], v[2:3], 0
	v_add_f64 v[2:3], v[2:3], v[12:13]
	;; [unrolled: 1-line block ×4, first 2 shown]
	v_mul_f64 v[4:5], v[38:39], v[42:43]
	v_fma_f64 v[4:5], v[36:37], v[40:41], -v[4:5]
	v_add_f64 v[2:3], v[2:3], v[4:5]
	v_mul_f64 v[4:5], v[46:47], v[50:51]
	v_fma_f64 v[4:5], v[44:45], v[48:49], -v[4:5]
	v_add_f64 v[2:3], v[2:3], v[4:5]
	;; [unrolled: 3-line block ×22, first 2 shown]
	scratch_load_dwordx4 v[2:5], off, off offset:176
	s_waitcnt vmcnt(0)
	v_add_f64 v[2:3], v[2:3], -v[6:7]
	v_add_f64 v[4:5], v[4:5], -v[168:169]
	scratch_store_dwordx4 off, v[2:5], off offset:176
	s_and_saveexec_b64 s[0:1], vcc
	s_cbranch_execz .LBB36_217
; %bb.216:
	scratch_load_dwordx4 v[2:5], off, s22
	v_mov_b32_e32 v6, 0
	v_mov_b32_e32 v7, v6
	;; [unrolled: 1-line block ×4, first 2 shown]
	scratch_store_dwordx4 off, v[6:9], off offset:160
	s_waitcnt vmcnt(1)
	ds_write_b128 v1, v[2:5]
.LBB36_217:
	s_or_b64 exec, exec, s[0:1]
	v_mov_b32_e32 v2, 0
	s_waitcnt lgkmcnt(0)
	; wave barrier
	ds_read_b128 v[16:19], v2 offset:752
	ds_read_b128 v[12:15], v2 offset:768
	;; [unrolled: 1-line block ×4, first 2 shown]
	scratch_load_dwordx4 v[20:23], off, off offset:176
	scratch_load_dwordx4 v[40:43], off, off offset:240
	;; [unrolled: 1-line block ×21, first 2 shown]
	v_cmp_lt_u32_e32 vcc, 8, v0
	scratch_load_dwordx4 v[48:51], off, off offset:256
	scratch_load_dwordx4 v[56:59], off, off offset:272
	;; [unrolled: 1-line block ×3, first 2 shown]
	s_waitcnt vmcnt(23) lgkmcnt(3)
	v_mul_f64 v[24:25], v[16:17], v[22:23]
	v_fmac_f64_e32 v[24:25], v[18:19], v[20:21]
	v_add_f64 v[28:29], v[24:25], 0
	scratch_load_dwordx4 v[24:27], off, off offset:192
	v_mul_f64 v[18:19], v[18:19], v[22:23]
	v_fma_f64 v[16:17], v[16:17], v[20:21], -v[18:19]
	v_add_f64 v[16:17], v[16:17], 0
	s_waitcnt vmcnt(0) lgkmcnt(2)
	v_mul_f64 v[30:31], v[12:13], v[26:27]
	v_fmac_f64_e32 v[30:31], v[14:15], v[24:25]
	v_add_f64 v[32:33], v[28:29], v[30:31]
	scratch_load_dwordx4 v[28:31], off, off offset:208
	v_mul_f64 v[14:15], v[14:15], v[26:27]
	v_fma_f64 v[12:13], v[12:13], v[24:25], -v[14:15]
	v_add_f64 v[12:13], v[16:17], v[12:13]
	s_waitcnt vmcnt(0) lgkmcnt(1)
	v_mul_f64 v[34:35], v[8:9], v[30:31]
	v_fmac_f64_e32 v[34:35], v[10:11], v[28:29]
	v_add_f64 v[36:37], v[32:33], v[34:35]
	scratch_load_dwordx4 v[32:35], off, off offset:224
	v_mul_f64 v[10:11], v[10:11], v[30:31]
	v_fma_f64 v[8:9], v[8:9], v[28:29], -v[10:11]
	v_add_f64 v[8:9], v[12:13], v[8:9]
	s_waitcnt vmcnt(0) lgkmcnt(0)
	v_mul_f64 v[38:39], v[4:5], v[34:35]
	v_fmac_f64_e32 v[38:39], v[6:7], v[32:33]
	v_add_f64 v[44:45], v[36:37], v[38:39]
	ds_read_b128 v[36:39], v2 offset:816
	v_mul_f64 v[6:7], v[6:7], v[34:35]
	v_fma_f64 v[4:5], v[4:5], v[32:33], -v[6:7]
	v_add_f64 v[4:5], v[8:9], v[4:5]
	s_waitcnt lgkmcnt(0)
	v_mul_f64 v[46:47], v[36:37], v[42:43]
	v_fmac_f64_e32 v[46:47], v[38:39], v[40:41]
	v_add_f64 v[52:53], v[44:45], v[46:47]
	ds_read_b128 v[44:47], v2 offset:832
	v_mul_f64 v[6:7], v[38:39], v[42:43]
	v_fma_f64 v[6:7], v[36:37], v[40:41], -v[6:7]
	v_add_f64 v[4:5], v[4:5], v[6:7]
	s_waitcnt lgkmcnt(0)
	;; [unrolled: 8-line block ×23, first 2 shown]
	v_mul_f64 v[6:7], v[216:217], v[220:221]
	v_fma_f64 v[6:7], v[214:215], v[218:219], -v[6:7]
	v_add_f64 v[8:9], v[4:5], v[6:7]
	scratch_load_dwordx4 v[4:7], off, off offset:160
	v_mul_f64 v[222:223], v[214:215], v[220:221]
	v_fmac_f64_e32 v[222:223], v[216:217], v[218:219]
	v_add_f64 v[160:161], v[160:161], v[222:223]
	s_waitcnt vmcnt(0)
	v_add_f64 v[4:5], v[4:5], -v[8:9]
	v_add_f64 v[6:7], v[6:7], -v[160:161]
	scratch_store_dwordx4 off, v[4:7], off offset:160
	s_and_saveexec_b64 s[0:1], vcc
	s_cbranch_execz .LBB36_219
; %bb.218:
	scratch_load_dwordx4 v[6:9], off, s20
	v_mov_b32_e32 v3, v2
	v_mov_b32_e32 v4, v2
	;; [unrolled: 1-line block ×3, first 2 shown]
	scratch_store_dwordx4 off, v[2:5], off offset:144
	s_waitcnt vmcnt(1)
	ds_write_b128 v1, v[6:9]
.LBB36_219:
	s_or_b64 exec, exec, s[0:1]
	s_waitcnt lgkmcnt(0)
	; wave barrier
	ds_read_b128 v[16:19], v2 offset:736
	ds_read_b128 v[12:15], v2 offset:752
	;; [unrolled: 1-line block ×4, first 2 shown]
	scratch_load_dwordx4 v[20:23], off, off offset:160
	scratch_load_dwordx4 v[40:43], off, off offset:224
	;; [unrolled: 1-line block ×22, first 2 shown]
	v_cmp_lt_u32_e32 vcc, 7, v0
	scratch_load_dwordx4 v[48:51], off, off offset:240
	scratch_load_dwordx4 v[56:59], off, off offset:256
	;; [unrolled: 1-line block ×3, first 2 shown]
	s_waitcnt vmcnt(24) lgkmcnt(3)
	v_mul_f64 v[24:25], v[16:17], v[22:23]
	v_fmac_f64_e32 v[24:25], v[18:19], v[20:21]
	v_add_f64 v[28:29], v[24:25], 0
	scratch_load_dwordx4 v[24:27], off, off offset:176
	s_waitcnt vmcnt(0) lgkmcnt(2)
	v_mul_f64 v[30:31], v[12:13], v[26:27]
	v_fmac_f64_e32 v[30:31], v[14:15], v[24:25]
	v_add_f64 v[32:33], v[28:29], v[30:31]
	scratch_load_dwordx4 v[28:31], off, off offset:192
	v_mul_f64 v[14:15], v[14:15], v[26:27]
	v_fma_f64 v[12:13], v[12:13], v[24:25], -v[14:15]
	s_waitcnt vmcnt(0) lgkmcnt(1)
	v_mul_f64 v[34:35], v[8:9], v[30:31]
	v_fmac_f64_e32 v[34:35], v[10:11], v[28:29]
	v_add_f64 v[36:37], v[32:33], v[34:35]
	scratch_load_dwordx4 v[32:35], off, off offset:208
	v_mul_f64 v[10:11], v[10:11], v[30:31]
	v_fma_f64 v[8:9], v[8:9], v[28:29], -v[10:11]
	s_waitcnt vmcnt(0) lgkmcnt(0)
	v_mul_f64 v[38:39], v[4:5], v[34:35]
	v_fmac_f64_e32 v[38:39], v[6:7], v[32:33]
	v_add_f64 v[44:45], v[36:37], v[38:39]
	ds_read_b128 v[36:39], v2 offset:800
	v_mul_f64 v[6:7], v[6:7], v[34:35]
	v_fma_f64 v[4:5], v[4:5], v[32:33], -v[6:7]
	s_waitcnt lgkmcnt(0)
	v_mul_f64 v[46:47], v[36:37], v[42:43]
	v_fmac_f64_e32 v[46:47], v[38:39], v[40:41]
	v_add_f64 v[52:53], v[44:45], v[46:47]
	ds_read_b128 v[44:47], v2 offset:816
	s_waitcnt lgkmcnt(0)
	v_mul_f64 v[54:55], v[44:45], v[50:51]
	v_fmac_f64_e32 v[54:55], v[46:47], v[48:49]
	v_add_f64 v[60:61], v[52:53], v[54:55]
	ds_read_b128 v[52:55], v2 offset:832
	;; [unrolled: 5-line block ×23, first 2 shown]
	s_waitcnt lgkmcnt(0)
	v_mul_f64 v[2:3], v[222:223], v[228:229]
	v_fmac_f64_e32 v[2:3], v[224:225], v[226:227]
	v_add_f64 v[176:177], v[176:177], v[2:3]
	v_mul_f64 v[2:3], v[18:19], v[22:23]
	v_fma_f64 v[2:3], v[16:17], v[20:21], -v[2:3]
	v_add_f64 v[2:3], v[2:3], 0
	v_add_f64 v[2:3], v[2:3], v[12:13]
	;; [unrolled: 1-line block ×4, first 2 shown]
	v_mul_f64 v[4:5], v[38:39], v[42:43]
	v_fma_f64 v[4:5], v[36:37], v[40:41], -v[4:5]
	v_add_f64 v[2:3], v[2:3], v[4:5]
	v_mul_f64 v[4:5], v[46:47], v[50:51]
	v_fma_f64 v[4:5], v[44:45], v[48:49], -v[4:5]
	v_add_f64 v[2:3], v[2:3], v[4:5]
	;; [unrolled: 3-line block ×24, first 2 shown]
	scratch_load_dwordx4 v[2:5], off, off offset:144
	s_waitcnt vmcnt(0)
	v_add_f64 v[2:3], v[2:3], -v[6:7]
	v_add_f64 v[4:5], v[4:5], -v[176:177]
	scratch_store_dwordx4 off, v[2:5], off offset:144
	s_and_saveexec_b64 s[0:1], vcc
	s_cbranch_execz .LBB36_221
; %bb.220:
	scratch_load_dwordx4 v[2:5], off, s24
	v_mov_b32_e32 v6, 0
	v_mov_b32_e32 v7, v6
	;; [unrolled: 1-line block ×4, first 2 shown]
	scratch_store_dwordx4 off, v[6:9], off offset:128
	s_waitcnt vmcnt(1)
	ds_write_b128 v1, v[2:5]
.LBB36_221:
	s_or_b64 exec, exec, s[0:1]
	v_mov_b32_e32 v2, 0
	s_waitcnt lgkmcnt(0)
	; wave barrier
	ds_read_b128 v[16:19], v2 offset:720
	ds_read_b128 v[12:15], v2 offset:736
	;; [unrolled: 1-line block ×4, first 2 shown]
	scratch_load_dwordx4 v[20:23], off, off offset:144
	scratch_load_dwordx4 v[40:43], off, off offset:208
	;; [unrolled: 1-line block ×23, first 2 shown]
	v_cmp_lt_u32_e32 vcc, 6, v0
	scratch_load_dwordx4 v[48:51], off, off offset:224
	scratch_load_dwordx4 v[56:59], off, off offset:240
	;; [unrolled: 1-line block ×3, first 2 shown]
	s_waitcnt vmcnt(25) lgkmcnt(3)
	v_mul_f64 v[24:25], v[16:17], v[22:23]
	v_fmac_f64_e32 v[24:25], v[18:19], v[20:21]
	v_add_f64 v[28:29], v[24:25], 0
	scratch_load_dwordx4 v[24:27], off, off offset:160
	v_mul_f64 v[18:19], v[18:19], v[22:23]
	v_fma_f64 v[16:17], v[16:17], v[20:21], -v[18:19]
	v_add_f64 v[16:17], v[16:17], 0
	s_waitcnt vmcnt(0) lgkmcnt(2)
	v_mul_f64 v[30:31], v[12:13], v[26:27]
	v_fmac_f64_e32 v[30:31], v[14:15], v[24:25]
	v_add_f64 v[32:33], v[28:29], v[30:31]
	scratch_load_dwordx4 v[28:31], off, off offset:176
	v_mul_f64 v[14:15], v[14:15], v[26:27]
	v_fma_f64 v[12:13], v[12:13], v[24:25], -v[14:15]
	v_add_f64 v[12:13], v[16:17], v[12:13]
	;; [unrolled: 8-line block ×3, first 2 shown]
	s_waitcnt vmcnt(0) lgkmcnt(0)
	v_mul_f64 v[38:39], v[4:5], v[34:35]
	v_fmac_f64_e32 v[38:39], v[6:7], v[32:33]
	v_add_f64 v[44:45], v[36:37], v[38:39]
	ds_read_b128 v[36:39], v2 offset:784
	v_mul_f64 v[6:7], v[6:7], v[34:35]
	v_fma_f64 v[4:5], v[4:5], v[32:33], -v[6:7]
	v_add_f64 v[4:5], v[8:9], v[4:5]
	s_waitcnt lgkmcnt(0)
	v_mul_f64 v[46:47], v[36:37], v[42:43]
	v_fmac_f64_e32 v[46:47], v[38:39], v[40:41]
	v_add_f64 v[52:53], v[44:45], v[46:47]
	ds_read_b128 v[44:47], v2 offset:800
	v_mul_f64 v[6:7], v[38:39], v[42:43]
	v_fma_f64 v[6:7], v[36:37], v[40:41], -v[6:7]
	v_add_f64 v[4:5], v[4:5], v[6:7]
	s_waitcnt lgkmcnt(0)
	;; [unrolled: 8-line block ×25, first 2 shown]
	v_mul_f64 v[6:7], v[232:233], v[236:237]
	v_fma_f64 v[6:7], v[230:231], v[234:235], -v[6:7]
	v_add_f64 v[8:9], v[4:5], v[6:7]
	scratch_load_dwordx4 v[4:7], off, off offset:128
	v_mul_f64 v[238:239], v[230:231], v[236:237]
	v_fmac_f64_e32 v[238:239], v[232:233], v[234:235]
	v_add_f64 v[176:177], v[176:177], v[238:239]
	s_waitcnt vmcnt(0)
	v_add_f64 v[4:5], v[4:5], -v[8:9]
	v_add_f64 v[6:7], v[6:7], -v[176:177]
	scratch_store_dwordx4 off, v[4:7], off offset:128
	s_and_saveexec_b64 s[0:1], vcc
	s_cbranch_execz .LBB36_223
; %bb.222:
	scratch_load_dwordx4 v[6:9], off, s23
	v_mov_b32_e32 v3, v2
	v_mov_b32_e32 v4, v2
	;; [unrolled: 1-line block ×3, first 2 shown]
	scratch_store_dwordx4 off, v[2:5], off offset:112
	s_waitcnt vmcnt(1)
	ds_write_b128 v1, v[6:9]
.LBB36_223:
	s_or_b64 exec, exec, s[0:1]
	s_waitcnt lgkmcnt(0)
	; wave barrier
	ds_read_b128 v[16:19], v2 offset:704
	ds_read_b128 v[12:15], v2 offset:720
	;; [unrolled: 1-line block ×4, first 2 shown]
	scratch_load_dwordx4 v[20:23], off, off offset:128
	scratch_load_dwordx4 v[40:43], off, off offset:192
	;; [unrolled: 1-line block ×23, first 2 shown]
	v_cmp_lt_u32_e32 vcc, 5, v0
	scratch_load_dwordx4 v[48:51], off, off offset:208
	scratch_load_dwordx4 v[56:59], off, off offset:224
	;; [unrolled: 1-line block ×3, first 2 shown]
	ds_read_b128 v[250:253], v2 offset:1168
	s_waitcnt vmcnt(25) lgkmcnt(4)
	v_mul_f64 v[24:25], v[16:17], v[22:23]
	v_fmac_f64_e32 v[24:25], v[18:19], v[20:21]
	v_add_f64 v[28:29], v[24:25], 0
	scratch_load_dwordx4 v[24:27], off, off offset:144
	s_waitcnt vmcnt(0) lgkmcnt(3)
	v_mul_f64 v[30:31], v[12:13], v[26:27]
	v_fmac_f64_e32 v[30:31], v[14:15], v[24:25]
	v_add_f64 v[32:33], v[28:29], v[30:31]
	scratch_load_dwordx4 v[28:31], off, off offset:160
	v_mul_f64 v[14:15], v[14:15], v[26:27]
	v_fma_f64 v[12:13], v[12:13], v[24:25], -v[14:15]
	s_waitcnt vmcnt(0) lgkmcnt(2)
	v_mul_f64 v[34:35], v[8:9], v[30:31]
	v_fmac_f64_e32 v[34:35], v[10:11], v[28:29]
	v_add_f64 v[36:37], v[32:33], v[34:35]
	scratch_load_dwordx4 v[32:35], off, off offset:176
	v_mul_f64 v[10:11], v[10:11], v[30:31]
	v_fma_f64 v[8:9], v[8:9], v[28:29], -v[10:11]
	s_waitcnt vmcnt(0) lgkmcnt(1)
	v_mul_f64 v[38:39], v[4:5], v[34:35]
	v_fmac_f64_e32 v[38:39], v[6:7], v[32:33]
	v_add_f64 v[44:45], v[36:37], v[38:39]
	ds_read_b128 v[36:39], v2 offset:768
	v_mul_f64 v[6:7], v[6:7], v[34:35]
	v_fma_f64 v[4:5], v[4:5], v[32:33], -v[6:7]
	s_waitcnt lgkmcnt(0)
	v_mul_f64 v[46:47], v[36:37], v[42:43]
	v_fmac_f64_e32 v[46:47], v[38:39], v[40:41]
	v_add_f64 v[52:53], v[44:45], v[46:47]
	ds_read_b128 v[44:47], v2 offset:784
	s_waitcnt lgkmcnt(0)
	v_mul_f64 v[54:55], v[44:45], v[50:51]
	v_fmac_f64_e32 v[54:55], v[46:47], v[48:49]
	v_add_f64 v[60:61], v[52:53], v[54:55]
	ds_read_b128 v[52:55], v2 offset:800
	;; [unrolled: 5-line block ×24, first 2 shown]
	s_waitcnt lgkmcnt(0)
	v_mul_f64 v[238:239], v[230:231], v[236:237]
	v_fmac_f64_e32 v[238:239], v[232:233], v[234:235]
	v_add_f64 v[184:185], v[184:185], v[238:239]
	scratch_load_dwordx4 v[238:241], off, off offset:592
	s_waitcnt vmcnt(0)
	v_mul_f64 v[2:3], v[250:251], v[240:241]
	v_fmac_f64_e32 v[2:3], v[252:253], v[238:239]
	v_add_f64 v[184:185], v[184:185], v[2:3]
	v_mul_f64 v[2:3], v[18:19], v[22:23]
	v_fma_f64 v[2:3], v[16:17], v[20:21], -v[2:3]
	v_add_f64 v[2:3], v[2:3], 0
	v_add_f64 v[2:3], v[2:3], v[12:13]
	v_add_f64 v[2:3], v[2:3], v[8:9]
	v_add_f64 v[2:3], v[2:3], v[4:5]
	v_mul_f64 v[4:5], v[38:39], v[42:43]
	v_fma_f64 v[4:5], v[36:37], v[40:41], -v[4:5]
	v_add_f64 v[2:3], v[2:3], v[4:5]
	v_mul_f64 v[4:5], v[46:47], v[50:51]
	v_fma_f64 v[4:5], v[44:45], v[48:49], -v[4:5]
	v_add_f64 v[2:3], v[2:3], v[4:5]
	;; [unrolled: 3-line block ×26, first 2 shown]
	scratch_load_dwordx4 v[2:5], off, off offset:112
	s_waitcnt vmcnt(0)
	v_add_f64 v[2:3], v[2:3], -v[6:7]
	v_add_f64 v[4:5], v[4:5], -v[184:185]
	scratch_store_dwordx4 off, v[2:5], off offset:112
	s_and_saveexec_b64 s[0:1], vcc
	s_cbranch_execz .LBB36_225
; %bb.224:
	scratch_load_dwordx4 v[2:5], off, s21
	v_mov_b32_e32 v6, 0
	v_mov_b32_e32 v7, v6
	;; [unrolled: 1-line block ×4, first 2 shown]
	scratch_store_dwordx4 off, v[6:9], off offset:96
	s_waitcnt vmcnt(1)
	ds_write_b128 v1, v[2:5]
.LBB36_225:
	s_or_b64 exec, exec, s[0:1]
	s_waitcnt lgkmcnt(0)
	; wave barrier
	scratch_load_dwordx4 v[16:19], off, off offset:112
	scratch_load_dwordx4 v[12:15], off, off offset:128
	;; [unrolled: 1-line block ×32, first 2 shown]
	v_mov_b32_e32 v2, 0
	ds_read_b128 v[132:135], v2 offset:688
	ds_read_b128 v[136:139], v2 offset:704
	ds_read_b128 v[140:143], v2 offset:720
	ds_read_b128 v[144:147], v2 offset:736
	ds_read_b128 v[148:151], v2 offset:752
	ds_read_b128 v[152:155], v2 offset:768
	ds_read_b128 v[156:159], v2 offset:784
	ds_read_b128 v[160:163], v2 offset:800
	ds_read_b128 v[164:167], v2 offset:816
	ds_read_b128 v[168:171], v2 offset:832
	ds_read_b128 v[172:175], v2 offset:848
	ds_read_b128 v[176:179], v2 offset:864
	ds_read_b128 v[180:183], v2 offset:880
	ds_read_b128 v[184:187], v2 offset:896
	ds_read_b128 v[188:191], v2 offset:912
	ds_read_b128 v[192:195], v2 offset:928
	ds_read_b128 v[196:199], v2 offset:944
	v_cmp_lt_u32_e32 vcc, 4, v0
	s_waitcnt vmcnt(31) lgkmcnt(14)
	v_mul_f64 v[200:201], v[132:133], v[18:19]
	s_waitcnt vmcnt(30)
	v_mul_f64 v[202:203], v[136:137], v[14:15]
	v_fmac_f64_e32 v[200:201], v[134:135], v[16:17]
	s_waitcnt vmcnt(29)
	v_mul_f64 v[204:205], v[140:141], v[10:11]
	v_fmac_f64_e32 v[202:203], v[138:139], v[12:13]
	v_add_f64 v[200:201], v[200:201], 0
	s_waitcnt vmcnt(28) lgkmcnt(13)
	v_mul_f64 v[206:207], v[144:145], v[6:7]
	v_fmac_f64_e32 v[204:205], v[142:143], v[8:9]
	v_add_f64 v[200:201], v[200:201], v[202:203]
	s_waitcnt vmcnt(27) lgkmcnt(12)
	;; [unrolled: 4-line block ×12, first 2 shown]
	v_mul_f64 v[228:229], v[188:189], v[62:63]
	v_fmac_f64_e32 v[226:227], v[186:187], v[56:57]
	v_add_f64 v[200:201], v[200:201], v[224:225]
	v_fmac_f64_e32 v[228:229], v[190:191], v[60:61]
	v_add_f64 v[200:201], v[200:201], v[226:227]
	s_waitcnt vmcnt(16) lgkmcnt(1)
	v_mul_f64 v[202:203], v[192:193], v[66:67]
	v_add_f64 v[200:201], v[200:201], v[228:229]
	v_fmac_f64_e32 v[202:203], v[194:195], v[64:65]
	s_waitcnt vmcnt(15) lgkmcnt(0)
	v_mul_f64 v[206:207], v[196:197], v[70:71]
	v_add_f64 v[204:205], v[200:201], v[202:203]
	ds_read_b128 v[200:203], v2 offset:960
	v_fmac_f64_e32 v[206:207], v[198:199], v[68:69]
	v_add_f64 v[208:209], v[204:205], v[206:207]
	ds_read_b128 v[204:207], v2 offset:976
	v_mul_f64 v[18:19], v[134:135], v[18:19]
	s_waitcnt vmcnt(14) lgkmcnt(1)
	v_mul_f64 v[210:211], v[200:201], v[74:75]
	v_fmac_f64_e32 v[210:211], v[202:203], v[72:73]
	v_add_f64 v[212:213], v[208:209], v[210:211]
	s_waitcnt vmcnt(13) lgkmcnt(0)
	v_mul_f64 v[214:215], v[204:205], v[78:79]
	ds_read_b128 v[208:211], v2 offset:992
	v_fmac_f64_e32 v[214:215], v[206:207], v[76:77]
	v_add_f64 v[216:217], v[212:213], v[214:215]
	ds_read_b128 v[212:215], v2 offset:1008
	v_fma_f64 v[250:251], v[132:133], v[16:17], -v[18:19]
	s_waitcnt vmcnt(12) lgkmcnt(1)
	v_mul_f64 v[218:219], v[208:209], v[82:83]
	v_fmac_f64_e32 v[218:219], v[210:211], v[80:81]
	v_add_f64 v[220:221], v[216:217], v[218:219]
	s_waitcnt vmcnt(11) lgkmcnt(0)
	v_mul_f64 v[222:223], v[212:213], v[86:87]
	ds_read_b128 v[216:219], v2 offset:1024
	v_fmac_f64_e32 v[222:223], v[214:215], v[84:85]
	v_add_f64 v[224:225], v[220:221], v[222:223]
	ds_read_b128 v[220:223], v2 offset:1040
	ds_read_b128 v[16:19], v2 offset:1120
	s_waitcnt vmcnt(10) lgkmcnt(2)
	v_mul_f64 v[226:227], v[216:217], v[90:91]
	v_fmac_f64_e32 v[226:227], v[218:219], v[88:89]
	v_add_f64 v[228:229], v[224:225], v[226:227]
	s_waitcnt vmcnt(9) lgkmcnt(1)
	v_mul_f64 v[230:231], v[220:221], v[94:95]
	ds_read_b128 v[224:227], v2 offset:1056
	v_fmac_f64_e32 v[230:231], v[222:223], v[92:93]
	v_add_f64 v[232:233], v[228:229], v[230:231]
	ds_read_b128 v[228:231], v2 offset:1072
	v_mul_f64 v[14:15], v[138:139], v[14:15]
	s_waitcnt vmcnt(8) lgkmcnt(1)
	v_mul_f64 v[234:235], v[224:225], v[98:99]
	v_fmac_f64_e32 v[234:235], v[226:227], v[96:97]
	v_add_f64 v[236:237], v[232:233], v[234:235]
	s_waitcnt vmcnt(7) lgkmcnt(0)
	v_mul_f64 v[238:239], v[228:229], v[102:103]
	ds_read_b128 v[232:235], v2 offset:1088
	v_fmac_f64_e32 v[238:239], v[230:231], v[100:101]
	v_add_f64 v[240:241], v[236:237], v[238:239]
	ds_read_b128 v[236:239], v2 offset:1104
	v_fma_f64 v[136:137], v[136:137], v[12:13], -v[14:15]
	s_waitcnt vmcnt(6) lgkmcnt(1)
	v_mul_f64 v[132:133], v[232:233], v[106:107]
	v_fmac_f64_e32 v[132:133], v[234:235], v[104:105]
	v_add_f64 v[132:133], v[240:241], v[132:133]
	s_waitcnt vmcnt(5) lgkmcnt(0)
	v_mul_f64 v[134:135], v[236:237], v[110:111]
	v_fmac_f64_e32 v[134:135], v[238:239], v[108:109]
	v_add_f64 v[132:133], v[132:133], v[134:135]
	ds_read_b128 v[12:15], v2 offset:1136
	s_waitcnt vmcnt(4)
	v_mul_f64 v[134:135], v[16:17], v[114:115]
	v_fmac_f64_e32 v[134:135], v[18:19], v[112:113]
	v_add_f64 v[138:139], v[132:133], v[134:135]
	ds_read_b128 v[132:135], v2 offset:1152
	v_mul_f64 v[10:11], v[142:143], v[10:11]
	v_fma_f64 v[140:141], v[140:141], v[8:9], -v[10:11]
	ds_read_b128 v[8:11], v2 offset:1168
	s_waitcnt vmcnt(3) lgkmcnt(2)
	v_mul_f64 v[142:143], v[12:13], v[118:119]
	v_fmac_f64_e32 v[142:143], v[14:15], v[116:117]
	v_add_f64 v[138:139], v[138:139], v[142:143]
	s_waitcnt vmcnt(2) lgkmcnt(1)
	v_mul_f64 v[142:143], v[132:133], v[122:123]
	v_fmac_f64_e32 v[142:143], v[134:135], v[120:121]
	v_add_f64 v[138:139], v[138:139], v[142:143]
	s_waitcnt vmcnt(1) lgkmcnt(0)
	v_mul_f64 v[142:143], v[8:9], v[126:127]
	v_fmac_f64_e32 v[142:143], v[10:11], v[124:125]
	v_add_f64 v[138:139], v[138:139], v[142:143]
	v_add_f64 v[142:143], v[250:251], 0
	v_add_f64 v[136:137], v[142:143], v[136:137]
	v_mul_f64 v[6:7], v[146:147], v[6:7]
	v_add_f64 v[136:137], v[136:137], v[140:141]
	v_fma_f64 v[4:5], v[144:145], v[4:5], -v[6:7]
	v_mul_f64 v[6:7], v[150:151], v[22:23]
	v_add_f64 v[4:5], v[136:137], v[4:5]
	v_fma_f64 v[6:7], v[148:149], v[20:21], -v[6:7]
	v_add_f64 v[4:5], v[4:5], v[6:7]
	v_mul_f64 v[6:7], v[154:155], v[26:27]
	v_fma_f64 v[6:7], v[152:153], v[24:25], -v[6:7]
	v_add_f64 v[4:5], v[4:5], v[6:7]
	v_mul_f64 v[6:7], v[158:159], v[30:31]
	;; [unrolled: 3-line block ×26, first 2 shown]
	v_fma_f64 v[6:7], v[8:9], v[124:125], -v[6:7]
	v_add_f64 v[4:5], v[4:5], v[6:7]
	s_waitcnt vmcnt(0)
	v_add_f64 v[4:5], v[128:129], -v[4:5]
	v_add_f64 v[6:7], v[130:131], -v[138:139]
	scratch_store_dwordx4 off, v[4:7], off offset:96
	s_and_saveexec_b64 s[0:1], vcc
	s_cbranch_execz .LBB36_227
; %bb.226:
	scratch_load_dwordx4 v[6:9], off, s14
	v_mov_b32_e32 v3, v2
	v_mov_b32_e32 v4, v2
	;; [unrolled: 1-line block ×3, first 2 shown]
	scratch_store_dwordx4 off, v[2:5], off offset:80
	s_waitcnt vmcnt(1)
	ds_write_b128 v1, v[6:9]
.LBB36_227:
	s_or_b64 exec, exec, s[0:1]
	s_waitcnt lgkmcnt(0)
	; wave barrier
	scratch_load_dwordx4 v[140:143], off, off offset:96
	scratch_load_dwordx4 v[148:151], off, off offset:112
	;; [unrolled: 1-line block ×16, first 2 shown]
	ds_read_b128 v[188:191], v2 offset:672
	ds_read_b128 v[184:187], v2 offset:688
	scratch_load_dwordx4 v[56:59], off, off offset:352
	ds_read_b128 v[192:195], v2 offset:704
	ds_read_b128 v[68:71], v2 offset:720
	scratch_load_dwordx4 v[60:63], off, off offset:368
	ds_read_b128 v[88:91], v2 offset:736
	ds_read_b128 v[84:87], v2 offset:752
	;; [unrolled: 1-line block ×4, first 2 shown]
	scratch_load_dwordx4 v[64:67], off, off offset:384
	ds_read_b128 v[100:103], v2 offset:800
	ds_read_b128 v[96:99], v2 offset:816
	scratch_load_dwordx4 v[72:75], off, off offset:400
	ds_read_b128 v[116:119], v2 offset:832
	ds_read_b128 v[112:115], v2 offset:848
	;; [unrolled: 1-line block ×4, first 2 shown]
	scratch_load_dwordx4 v[92:95], off, off offset:416
	ds_read_b128 v[132:135], v2 offset:896
	ds_read_b128 v[128:131], v2 offset:912
	;; [unrolled: 1-line block ×3, first 2 shown]
	scratch_load_dwordx4 v[120:123], off, off offset:432
	scratch_load_dwordx4 v[136:139], off, off offset:448
	;; [unrolled: 1-line block ×11, first 2 shown]
	v_cmp_lt_u32_e32 vcc, 3, v0
	s_waitcnt vmcnt(31) lgkmcnt(14)
	v_mul_f64 v[200:201], v[188:189], v[142:143]
	s_waitcnt vmcnt(30)
	v_mul_f64 v[202:203], v[184:185], v[150:151]
	v_fmac_f64_e32 v[200:201], v[190:191], v[140:141]
	s_waitcnt vmcnt(29)
	v_mul_f64 v[204:205], v[192:193], v[154:155]
	v_fmac_f64_e32 v[202:203], v[186:187], v[148:149]
	v_add_f64 v[200:201], v[200:201], 0
	s_waitcnt vmcnt(28) lgkmcnt(13)
	v_mul_f64 v[206:207], v[68:69], v[6:7]
	v_fmac_f64_e32 v[204:205], v[194:195], v[152:153]
	v_add_f64 v[200:201], v[200:201], v[202:203]
	s_waitcnt vmcnt(27) lgkmcnt(12)
	;; [unrolled: 4-line block ×13, first 2 shown]
	v_mul_f64 v[230:231], v[128:129], v[54:55]
	v_fmac_f64_e32 v[228:229], v[134:135], v[48:49]
	v_add_f64 v[200:201], v[200:201], v[226:227]
	v_add_f64 v[200:201], v[200:201], v[228:229]
	v_fmac_f64_e32 v[230:231], v[130:131], v[52:53]
	v_add_f64 v[204:205], v[200:201], v[230:231]
	ds_read_b128 v[200:203], v2 offset:944
	s_waitcnt vmcnt(15) lgkmcnt(1)
	v_mul_f64 v[206:207], v[124:125], v[58:59]
	v_fmac_f64_e32 v[206:207], v[126:127], v[56:57]
	v_add_f64 v[208:209], v[204:205], v[206:207]
	ds_read_b128 v[204:207], v2 offset:960
	s_waitcnt vmcnt(14) lgkmcnt(1)
	v_mul_f64 v[210:211], v[200:201], v[62:63]
	;; [unrolled: 5-line block ×10, first 2 shown]
	v_fmac_f64_e32 v[250:251], v[234:235], v[160:161]
	v_mul_f64 v[142:143], v[190:191], v[142:143]
	v_add_f64 v[240:241], v[240:241], v[250:251]
	v_fma_f64 v[250:251], v[188:189], v[140:141], -v[142:143]
	ds_read_b128 v[140:143], v2 offset:1104
	v_mul_f64 v[150:151], v[186:187], v[150:151]
	s_waitcnt vmcnt(5) lgkmcnt(1)
	v_mul_f64 v[188:189], v[236:237], v[166:167]
	v_fma_f64 v[252:253], v[184:185], v[148:149], -v[150:151]
	ds_read_b128 v[148:151], v2 offset:1120
	v_fmac_f64_e32 v[188:189], v[238:239], v[164:165]
	s_waitcnt vmcnt(4) lgkmcnt(1)
	v_mul_f64 v[184:185], v[140:141], v[170:171]
	v_add_f64 v[188:189], v[240:241], v[188:189]
	v_fmac_f64_e32 v[184:185], v[142:143], v[168:169]
	v_add_f64 v[188:189], v[188:189], v[184:185]
	ds_read_b128 v[184:187], v2 offset:1136
	v_mul_f64 v[154:155], v[194:195], v[154:155]
	s_waitcnt vmcnt(3) lgkmcnt(1)
	v_mul_f64 v[190:191], v[148:149], v[174:175]
	v_fma_f64 v[254:255], v[192:193], v[152:153], -v[154:155]
	ds_read_b128 v[152:155], v2 offset:1152
	v_fmac_f64_e32 v[190:191], v[150:151], v[172:173]
	v_add_f64 v[240:241], v[188:189], v[190:191]
	ds_read_b128 v[188:191], v2 offset:1168
	s_waitcnt vmcnt(2) lgkmcnt(2)
	v_mul_f64 v[192:193], v[184:185], v[178:179]
	v_fmac_f64_e32 v[192:193], v[186:187], v[176:177]
	v_add_f64 v[2:3], v[240:241], v[192:193]
	s_waitcnt vmcnt(1) lgkmcnt(1)
	v_mul_f64 v[192:193], v[152:153], v[182:183]
	v_fmac_f64_e32 v[192:193], v[154:155], v[180:181]
	v_add_f64 v[2:3], v[2:3], v[192:193]
	;; [unrolled: 4-line block ×3, first 2 shown]
	scratch_load_dwordx4 v[192:195], off, off offset:80
	v_add_f64 v[240:241], v[250:251], 0
	v_add_f64 v[240:241], v[240:241], v[252:253]
	v_mul_f64 v[6:7], v[70:71], v[6:7]
	v_add_f64 v[240:241], v[240:241], v[254:255]
	v_fma_f64 v[4:5], v[68:69], v[4:5], -v[6:7]
	v_mul_f64 v[6:7], v[90:91], v[10:11]
	v_add_f64 v[4:5], v[240:241], v[4:5]
	v_fma_f64 v[6:7], v[88:89], v[8:9], -v[6:7]
	v_add_f64 v[4:5], v[4:5], v[6:7]
	v_mul_f64 v[6:7], v[86:87], v[14:15]
	v_fma_f64 v[6:7], v[84:85], v[12:13], -v[6:7]
	v_add_f64 v[4:5], v[4:5], v[6:7]
	v_mul_f64 v[6:7], v[82:83], v[18:19]
	;; [unrolled: 3-line block ×27, first 2 shown]
	v_fma_f64 v[6:7], v[188:189], v[196:197], -v[6:7]
	v_add_f64 v[4:5], v[4:5], v[6:7]
	s_waitcnt vmcnt(0)
	v_add_f64 v[4:5], v[192:193], -v[4:5]
	v_add_f64 v[6:7], v[194:195], -v[2:3]
	scratch_store_dwordx4 off, v[4:7], off offset:80
	s_and_saveexec_b64 s[0:1], vcc
	s_cbranch_execz .LBB36_229
; %bb.228:
	scratch_load_dwordx4 v[2:5], off, s13
	v_mov_b32_e32 v6, 0
	v_mov_b32_e32 v7, v6
	;; [unrolled: 1-line block ×4, first 2 shown]
	scratch_store_dwordx4 off, v[6:9], off offset:64
	s_waitcnt vmcnt(1)
	ds_write_b128 v1, v[2:5]
.LBB36_229:
	s_or_b64 exec, exec, s[0:1]
	s_waitcnt lgkmcnt(0)
	; wave barrier
	scratch_load_dwordx4 v[108:111], off, off offset:80
	scratch_load_dwordx4 v[116:119], off, off offset:96
	;; [unrolled: 1-line block ×33, first 2 shown]
	v_mov_b32_e32 v2, 0
	ds_read_b128 v[220:223], v2 offset:656
	ds_read_b128 v[224:227], v2 offset:672
	;; [unrolled: 1-line block ×16, first 2 shown]
	v_cmp_lt_u32_e32 vcc, 2, v0
	s_waitcnt vmcnt(32) lgkmcnt(14)
	v_mul_f64 v[180:181], v[220:221], v[110:111]
	s_waitcnt vmcnt(31)
	v_mul_f64 v[182:183], v[224:225], v[118:119]
	v_fmac_f64_e32 v[180:181], v[222:223], v[108:109]
	s_waitcnt vmcnt(30) lgkmcnt(13)
	v_mul_f64 v[184:185], v[234:235], v[122:123]
	v_fmac_f64_e32 v[182:183], v[226:227], v[116:117]
	v_add_f64 v[180:181], v[180:181], 0
	s_waitcnt vmcnt(29) lgkmcnt(12)
	v_mul_f64 v[186:187], v[238:239], v[126:127]
	v_fmac_f64_e32 v[184:185], v[236:237], v[120:121]
	v_add_f64 v[180:181], v[180:181], v[182:183]
	;; [unrolled: 4-line block ×13, first 2 shown]
	v_fmac_f64_e32 v[208:209], v[142:143], v[40:41]
	v_add_f64 v[180:181], v[180:181], v[206:207]
	v_add_f64 v[184:185], v[180:181], v[208:209]
	ds_read_b128 v[180:183], v2 offset:912
	s_waitcnt vmcnt(17) lgkmcnt(1)
	v_mul_f64 v[186:187], v[136:137], v[46:47]
	v_fmac_f64_e32 v[186:187], v[138:139], v[44:45]
	v_add_f64 v[188:189], v[184:185], v[186:187]
	ds_read_b128 v[184:187], v2 offset:928
	s_waitcnt vmcnt(16) lgkmcnt(1)
	v_mul_f64 v[190:191], v[180:181], v[50:51]
	v_fmac_f64_e32 v[190:191], v[182:183], v[48:49]
	;; [unrolled: 5-line block ×10, first 2 shown]
	v_mul_f64 v[110:111], v[222:223], v[110:111]
	v_add_f64 v[228:229], v[228:229], v[230:231]
	v_fma_f64 v[230:231], v[220:221], v[108:109], -v[110:111]
	ds_read_b128 v[108:111], v2 offset:1072
	s_waitcnt vmcnt(7) lgkmcnt(1)
	v_mul_f64 v[220:221], v[216:217], v[86:87]
	v_mul_f64 v[118:119], v[226:227], v[118:119]
	v_fmac_f64_e32 v[220:221], v[218:219], v[84:85]
	v_fma_f64 v[232:233], v[224:225], v[116:117], -v[118:119]
	ds_read_b128 v[116:119], v2 offset:1088
	s_waitcnt vmcnt(6) lgkmcnt(1)
	v_mul_f64 v[222:223], v[108:109], v[90:91]
	v_add_f64 v[220:221], v[228:229], v[220:221]
	v_fmac_f64_e32 v[222:223], v[110:111], v[88:89]
	v_add_f64 v[224:225], v[220:221], v[222:223]
	ds_read_b128 v[220:223], v2 offset:1104
	v_mul_f64 v[122:123], v[236:237], v[122:123]
	v_fma_f64 v[234:235], v[234:235], v[120:121], -v[122:123]
	ds_read_b128 v[120:123], v2 offset:1120
	s_waitcnt vmcnt(5) lgkmcnt(2)
	v_mul_f64 v[226:227], v[116:117], v[94:95]
	v_fmac_f64_e32 v[226:227], v[118:119], v[92:93]
	v_add_f64 v[224:225], v[224:225], v[226:227]
	s_waitcnt vmcnt(4) lgkmcnt(1)
	v_mul_f64 v[226:227], v[220:221], v[98:99]
	v_mul_f64 v[126:127], v[240:241], v[126:127]
	v_fmac_f64_e32 v[226:227], v[222:223], v[96:97]
	v_fma_f64 v[236:237], v[238:239], v[124:125], -v[126:127]
	s_waitcnt vmcnt(3) lgkmcnt(0)
	v_mul_f64 v[238:239], v[120:121], v[102:103]
	v_add_f64 v[228:229], v[224:225], v[226:227]
	v_fmac_f64_e32 v[238:239], v[122:123], v[100:101]
	v_mul_f64 v[130:131], v[252:253], v[130:131]
	v_add_f64 v[228:229], v[228:229], v[238:239]
	v_fma_f64 v[238:239], v[250:251], v[128:129], -v[130:131]
	scratch_load_dwordx4 v[250:253], off, off offset:64
	v_add_f64 v[230:231], v[230:231], 0
	v_add_f64 v[230:231], v[230:231], v[232:233]
	;; [unrolled: 1-line block ×4, first 2 shown]
	v_mul_f64 v[6:7], v[178:179], v[6:7]
	v_add_f64 v[230:231], v[230:231], v[238:239]
	v_fma_f64 v[4:5], v[176:177], v[4:5], -v[6:7]
	v_mul_f64 v[6:7], v[174:175], v[10:11]
	v_add_f64 v[4:5], v[230:231], v[4:5]
	v_fma_f64 v[6:7], v[172:173], v[8:9], -v[6:7]
	v_add_f64 v[4:5], v[4:5], v[6:7]
	v_mul_f64 v[6:7], v[170:171], v[14:15]
	v_fma_f64 v[6:7], v[168:169], v[12:13], -v[6:7]
	v_add_f64 v[4:5], v[4:5], v[6:7]
	v_mul_f64 v[6:7], v[166:167], v[18:19]
	;; [unrolled: 3-line block ×21, first 2 shown]
	ds_read_b128 v[124:127], v2 offset:1136
	ds_read_b128 v[224:227], v2 offset:1152
	v_fma_f64 v[6:7], v[116:117], v[92:93], -v[6:7]
	v_add_f64 v[4:5], v[4:5], v[6:7]
	v_mul_f64 v[6:7], v[222:223], v[98:99]
	v_fma_f64 v[6:7], v[220:221], v[96:97], -v[6:7]
	v_add_f64 v[4:5], v[4:5], v[6:7]
	v_mul_f64 v[6:7], v[122:123], v[102:103]
	ds_read_b128 v[128:131], v2 offset:1168
	v_fma_f64 v[6:7], v[120:121], v[100:101], -v[6:7]
	s_waitcnt vmcnt(3) lgkmcnt(2)
	v_mul_f64 v[240:241], v[124:125], v[106:107]
	v_add_f64 v[4:5], v[4:5], v[6:7]
	v_mul_f64 v[6:7], v[126:127], v[106:107]
	v_fmac_f64_e32 v[240:241], v[126:127], v[104:105]
	v_fma_f64 v[6:7], v[124:125], v[104:105], -v[6:7]
	v_add_f64 v[228:229], v[228:229], v[240:241]
	s_waitcnt vmcnt(2) lgkmcnt(1)
	v_mul_f64 v[240:241], v[224:225], v[114:115]
	v_add_f64 v[4:5], v[4:5], v[6:7]
	v_mul_f64 v[6:7], v[226:227], v[114:115]
	v_fmac_f64_e32 v[240:241], v[226:227], v[112:113]
	v_fma_f64 v[6:7], v[224:225], v[112:113], -v[6:7]
	v_add_f64 v[228:229], v[228:229], v[240:241]
	;; [unrolled: 7-line block ×3, first 2 shown]
	v_add_f64 v[4:5], v[4:5], v[6:7]
	s_waitcnt vmcnt(0)
	v_add_f64 v[4:5], v[250:251], -v[4:5]
	v_add_f64 v[6:7], v[252:253], -v[228:229]
	scratch_store_dwordx4 off, v[4:7], off offset:64
	s_and_saveexec_b64 s[0:1], vcc
	s_cbranch_execz .LBB36_231
; %bb.230:
	scratch_load_dwordx4 v[6:9], off, s12
	v_mov_b32_e32 v3, v2
	v_mov_b32_e32 v4, v2
	;; [unrolled: 1-line block ×3, first 2 shown]
	scratch_store_dwordx4 off, v[2:5], off offset:48
	s_waitcnt vmcnt(1)
	ds_write_b128 v1, v[6:9]
.LBB36_231:
	s_or_b64 exec, exec, s[0:1]
	s_waitcnt lgkmcnt(0)
	; wave barrier
	scratch_load_dwordx4 v[144:147], off, off offset:64
	scratch_load_dwordx4 v[152:155], off, off offset:80
	;; [unrolled: 1-line block ×16, first 2 shown]
	ds_read_b128 v[196:199], v2 offset:640
	ds_read_b128 v[188:191], v2 offset:656
	ds_read_b128 v[180:183], v2 offset:672
	scratch_load_dwordx4 v[48:51], off, off offset:320
	ds_read_b128 v[192:195], v2 offset:688
	ds_read_b128 v[184:187], v2 offset:704
	ds_read_b128 v[64:67], v2 offset:720
	scratch_load_dwordx4 v[52:55], off, off offset:336
	;; [unrolled: 4-line block ×5, first 2 shown]
	ds_read_b128 v[116:119], v2 offset:880
	ds_read_b128 v[112:115], v2 offset:896
	scratch_load_dwordx4 v[108:111], off, off offset:400
	scratch_load_dwordx4 v[120:123], off, off offset:416
	;; [unrolled: 1-line block ×12, first 2 shown]
	v_cmp_lt_u32_e32 vcc, 1, v0
	s_waitcnt vmcnt(32) lgkmcnt(14)
	v_mul_f64 v[204:205], v[196:197], v[146:147]
	s_waitcnt vmcnt(31)
	v_mul_f64 v[206:207], v[188:189], v[154:155]
	v_fmac_f64_e32 v[204:205], v[198:199], v[144:145]
	s_waitcnt vmcnt(30)
	v_mul_f64 v[208:209], v[180:181], v[158:159]
	v_fmac_f64_e32 v[206:207], v[190:191], v[152:153]
	v_add_f64 v[204:205], v[204:205], 0
	s_waitcnt vmcnt(29) lgkmcnt(13)
	v_mul_f64 v[210:211], v[192:193], v[162:163]
	v_fmac_f64_e32 v[208:209], v[182:183], v[156:157]
	v_add_f64 v[204:205], v[204:205], v[206:207]
	s_waitcnt vmcnt(28) lgkmcnt(12)
	;; [unrolled: 4-line block ×12, first 2 shown]
	v_mul_f64 v[232:233], v[96:97], v[42:43]
	v_fmac_f64_e32 v[230:231], v[102:103], v[36:37]
	v_add_f64 v[204:205], v[204:205], v[228:229]
	v_fmac_f64_e32 v[232:233], v[98:99], v[40:41]
	v_add_f64 v[204:205], v[204:205], v[230:231]
	s_waitcnt vmcnt(17) lgkmcnt(1)
	v_mul_f64 v[206:207], v[116:117], v[46:47]
	v_add_f64 v[204:205], v[204:205], v[232:233]
	v_fmac_f64_e32 v[206:207], v[118:119], v[44:45]
	s_waitcnt vmcnt(16) lgkmcnt(0)
	v_mul_f64 v[210:211], v[112:113], v[50:51]
	v_add_f64 v[208:209], v[204:205], v[206:207]
	ds_read_b128 v[204:207], v2 offset:912
	v_fmac_f64_e32 v[210:211], v[114:115], v[48:49]
	v_add_f64 v[212:213], v[208:209], v[210:211]
	ds_read_b128 v[208:211], v2 offset:928
	v_mul_f64 v[146:147], v[198:199], v[146:147]
	s_waitcnt vmcnt(15) lgkmcnt(1)
	v_mul_f64 v[214:215], v[204:205], v[54:55]
	v_fmac_f64_e32 v[214:215], v[206:207], v[52:53]
	v_add_f64 v[216:217], v[212:213], v[214:215]
	s_waitcnt vmcnt(14) lgkmcnt(0)
	v_mul_f64 v[218:219], v[208:209], v[58:59]
	ds_read_b128 v[212:215], v2 offset:944
	v_fmac_f64_e32 v[218:219], v[210:211], v[56:57]
	v_add_f64 v[220:221], v[216:217], v[218:219]
	ds_read_b128 v[216:219], v2 offset:960
	v_mul_f64 v[154:155], v[190:191], v[154:155]
	s_waitcnt vmcnt(13) lgkmcnt(1)
	v_mul_f64 v[222:223], v[212:213], v[62:63]
	v_fmac_f64_e32 v[222:223], v[214:215], v[60:61]
	v_add_f64 v[224:225], v[220:221], v[222:223]
	s_waitcnt vmcnt(12) lgkmcnt(0)
	v_mul_f64 v[226:227], v[216:217], v[94:95]
	ds_read_b128 v[220:223], v2 offset:976
	v_fmac_f64_e32 v[226:227], v[218:219], v[92:93]
	v_add_f64 v[228:229], v[224:225], v[226:227]
	ds_read_b128 v[224:227], v2 offset:992
	v_fma_f64 v[252:253], v[188:189], v[152:153], -v[154:155]
	s_waitcnt vmcnt(11) lgkmcnt(1)
	v_mul_f64 v[230:231], v[220:221], v[110:111]
	v_fmac_f64_e32 v[230:231], v[222:223], v[108:109]
	v_add_f64 v[232:233], v[228:229], v[230:231]
	s_waitcnt vmcnt(10) lgkmcnt(0)
	v_mul_f64 v[234:235], v[224:225], v[122:123]
	ds_read_b128 v[228:231], v2 offset:1008
	v_fmac_f64_e32 v[234:235], v[226:227], v[120:121]
	v_add_f64 v[236:237], v[232:233], v[234:235]
	ds_read_b128 v[232:235], v2 offset:1024
	ds_read_b128 v[152:155], v2 offset:1072
	s_waitcnt vmcnt(9) lgkmcnt(2)
	v_mul_f64 v[238:239], v[228:229], v[126:127]
	v_fmac_f64_e32 v[238:239], v[230:231], v[124:125]
	v_add_f64 v[240:241], v[236:237], v[238:239]
	s_waitcnt vmcnt(8) lgkmcnt(1)
	v_mul_f64 v[250:251], v[232:233], v[130:131]
	ds_read_b128 v[236:239], v2 offset:1040
	v_fmac_f64_e32 v[250:251], v[234:235], v[128:129]
	v_add_f64 v[240:241], v[240:241], v[250:251]
	v_fma_f64 v[250:251], v[196:197], v[144:145], -v[146:147]
	ds_read_b128 v[144:147], v2 offset:1056
	s_waitcnt vmcnt(7) lgkmcnt(1)
	v_mul_f64 v[196:197], v[236:237], v[134:135]
	v_fmac_f64_e32 v[196:197], v[238:239], v[132:133]
	v_add_f64 v[188:189], v[240:241], v[196:197]
	v_mul_f64 v[158:159], v[182:183], v[158:159]
	s_waitcnt vmcnt(6) lgkmcnt(0)
	v_mul_f64 v[190:191], v[144:145], v[138:139]
	v_fmac_f64_e32 v[190:191], v[146:147], v[136:137]
	v_add_f64 v[196:197], v[188:189], v[190:191]
	ds_read_b128 v[188:191], v2 offset:1088
	v_fma_f64 v[240:241], v[180:181], v[156:157], -v[158:159]
	ds_read_b128 v[156:159], v2 offset:1104
	s_waitcnt vmcnt(5)
	v_mul_f64 v[198:199], v[152:153], v[142:143]
	v_fmac_f64_e32 v[198:199], v[154:155], v[140:141]
	s_waitcnt vmcnt(4) lgkmcnt(1)
	v_mul_f64 v[180:181], v[188:189], v[150:151]
	v_add_f64 v[196:197], v[196:197], v[198:199]
	v_fmac_f64_e32 v[180:181], v[190:191], v[148:149]
	v_mul_f64 v[162:163], v[194:195], v[162:163]
	v_add_f64 v[198:199], v[196:197], v[180:181]
	v_fma_f64 v[196:197], v[192:193], v[160:161], -v[162:163]
	ds_read_b128 v[160:163], v2 offset:1120
	s_waitcnt vmcnt(3) lgkmcnt(1)
	v_mul_f64 v[192:193], v[156:157], v[166:167]
	ds_read_b128 v[180:183], v2 offset:1136
	v_fmac_f64_e32 v[192:193], v[158:159], v[164:165]
	v_mul_f64 v[170:171], v[186:187], v[170:171]
	v_add_f64 v[192:193], v[198:199], v[192:193]
	v_fma_f64 v[198:199], v[184:185], v[168:169], -v[170:171]
	ds_read_b128 v[168:171], v2 offset:1152
	s_waitcnt vmcnt(2) lgkmcnt(2)
	v_mul_f64 v[184:185], v[160:161], v[174:175]
	v_fmac_f64_e32 v[184:185], v[162:163], v[172:173]
	s_waitcnt vmcnt(1) lgkmcnt(1)
	v_mul_f64 v[186:187], v[180:181], v[178:179]
	v_add_f64 v[184:185], v[192:193], v[184:185]
	v_fmac_f64_e32 v[186:187], v[182:183], v[176:177]
	v_add_f64 v[184:185], v[184:185], v[186:187]
	s_waitcnt vmcnt(0) lgkmcnt(0)
	v_mul_f64 v[186:187], v[168:169], v[202:203]
	v_fmac_f64_e32 v[186:187], v[170:171], v[200:201]
	v_add_f64 v[254:255], v[184:185], v[186:187]
	scratch_load_dwordx4 v[184:187], off, off offset:592
	ds_read_b128 v[192:195], v2 offset:1168
	v_add_f64 v[250:251], v[250:251], 0
	v_add_f64 v[250:251], v[250:251], v[252:253]
	;; [unrolled: 1-line block ×4, first 2 shown]
	v_mul_f64 v[6:7], v[66:67], v[6:7]
	v_add_f64 v[196:197], v[196:197], v[198:199]
	v_fma_f64 v[4:5], v[64:65], v[4:5], -v[6:7]
	v_mul_f64 v[6:7], v[78:79], v[10:11]
	v_add_f64 v[4:5], v[196:197], v[4:5]
	v_fma_f64 v[6:7], v[76:77], v[8:9], -v[6:7]
	v_add_f64 v[4:5], v[4:5], v[6:7]
	v_mul_f64 v[6:7], v[74:75], v[14:15]
	v_fma_f64 v[6:7], v[72:73], v[12:13], -v[6:7]
	v_add_f64 v[4:5], v[4:5], v[6:7]
	v_mul_f64 v[6:7], v[70:71], v[18:19]
	v_fma_f64 v[6:7], v[68:69], v[16:17], -v[6:7]
	v_add_f64 v[4:5], v[4:5], v[6:7]
	v_mul_f64 v[6:7], v[90:91], v[22:23]
	v_fma_f64 v[6:7], v[88:89], v[20:21], -v[6:7]
	v_add_f64 v[4:5], v[4:5], v[6:7]
	v_mul_f64 v[6:7], v[86:87], v[26:27]
	v_fma_f64 v[6:7], v[84:85], v[24:25], -v[6:7]
	v_add_f64 v[4:5], v[4:5], v[6:7]
	v_mul_f64 v[6:7], v[82:83], v[30:31]
	v_fma_f64 v[6:7], v[80:81], v[28:29], -v[6:7]
	v_add_f64 v[4:5], v[4:5], v[6:7]
	v_mul_f64 v[6:7], v[106:107], v[34:35]
	v_fma_f64 v[6:7], v[104:105], v[32:33], -v[6:7]
	v_add_f64 v[4:5], v[4:5], v[6:7]
	v_mul_f64 v[6:7], v[102:103], v[38:39]
	v_fma_f64 v[6:7], v[100:101], v[36:37], -v[6:7]
	v_add_f64 v[4:5], v[4:5], v[6:7]
	v_mul_f64 v[6:7], v[98:99], v[42:43]
	v_fma_f64 v[6:7], v[96:97], v[40:41], -v[6:7]
	v_add_f64 v[4:5], v[4:5], v[6:7]
	v_mul_f64 v[6:7], v[118:119], v[46:47]
	v_fma_f64 v[6:7], v[116:117], v[44:45], -v[6:7]
	v_add_f64 v[4:5], v[4:5], v[6:7]
	v_mul_f64 v[6:7], v[114:115], v[50:51]
	v_fma_f64 v[6:7], v[112:113], v[48:49], -v[6:7]
	v_add_f64 v[4:5], v[4:5], v[6:7]
	v_mul_f64 v[6:7], v[206:207], v[54:55]
	v_fma_f64 v[6:7], v[204:205], v[52:53], -v[6:7]
	v_add_f64 v[4:5], v[4:5], v[6:7]
	v_mul_f64 v[6:7], v[210:211], v[58:59]
	v_fma_f64 v[6:7], v[208:209], v[56:57], -v[6:7]
	v_add_f64 v[4:5], v[4:5], v[6:7]
	v_mul_f64 v[6:7], v[214:215], v[62:63]
	v_fma_f64 v[6:7], v[212:213], v[60:61], -v[6:7]
	v_add_f64 v[4:5], v[4:5], v[6:7]
	v_mul_f64 v[6:7], v[218:219], v[94:95]
	v_fma_f64 v[6:7], v[216:217], v[92:93], -v[6:7]
	v_add_f64 v[4:5], v[4:5], v[6:7]
	v_mul_f64 v[6:7], v[222:223], v[110:111]
	v_fma_f64 v[6:7], v[220:221], v[108:109], -v[6:7]
	v_add_f64 v[4:5], v[4:5], v[6:7]
	v_mul_f64 v[6:7], v[226:227], v[122:123]
	v_fma_f64 v[6:7], v[224:225], v[120:121], -v[6:7]
	v_add_f64 v[4:5], v[4:5], v[6:7]
	v_mul_f64 v[6:7], v[230:231], v[126:127]
	v_fma_f64 v[6:7], v[228:229], v[124:125], -v[6:7]
	v_add_f64 v[4:5], v[4:5], v[6:7]
	v_mul_f64 v[6:7], v[234:235], v[130:131]
	v_fma_f64 v[6:7], v[232:233], v[128:129], -v[6:7]
	v_add_f64 v[4:5], v[4:5], v[6:7]
	v_mul_f64 v[6:7], v[238:239], v[134:135]
	v_fma_f64 v[6:7], v[236:237], v[132:133], -v[6:7]
	v_add_f64 v[4:5], v[4:5], v[6:7]
	v_mul_f64 v[6:7], v[146:147], v[138:139]
	v_fma_f64 v[6:7], v[144:145], v[136:137], -v[6:7]
	v_add_f64 v[4:5], v[4:5], v[6:7]
	v_mul_f64 v[6:7], v[154:155], v[142:143]
	v_fma_f64 v[6:7], v[152:153], v[140:141], -v[6:7]
	v_add_f64 v[4:5], v[4:5], v[6:7]
	v_mul_f64 v[6:7], v[190:191], v[150:151]
	v_fma_f64 v[6:7], v[188:189], v[148:149], -v[6:7]
	v_add_f64 v[4:5], v[4:5], v[6:7]
	v_mul_f64 v[6:7], v[158:159], v[166:167]
	s_waitcnt vmcnt(0) lgkmcnt(0)
	v_mul_f64 v[2:3], v[192:193], v[186:187]
	v_fmac_f64_e32 v[2:3], v[194:195], v[184:185]
	v_add_f64 v[2:3], v[254:255], v[2:3]
	scratch_load_dwordx4 v[252:255], off, off offset:48
	v_fma_f64 v[6:7], v[156:157], v[164:165], -v[6:7]
	v_add_f64 v[4:5], v[4:5], v[6:7]
	v_mul_f64 v[6:7], v[162:163], v[174:175]
	v_fma_f64 v[6:7], v[160:161], v[172:173], -v[6:7]
	v_add_f64 v[4:5], v[4:5], v[6:7]
	v_mul_f64 v[6:7], v[182:183], v[178:179]
	;; [unrolled: 3-line block ×4, first 2 shown]
	v_fma_f64 v[6:7], v[192:193], v[184:185], -v[6:7]
	v_add_f64 v[4:5], v[4:5], v[6:7]
	s_waitcnt vmcnt(0)
	v_add_f64 v[4:5], v[252:253], -v[4:5]
	v_add_f64 v[6:7], v[254:255], -v[2:3]
	scratch_store_dwordx4 off, v[4:7], off offset:48
	s_and_saveexec_b64 s[0:1], vcc
	s_cbranch_execz .LBB36_233
; %bb.232:
	scratch_load_dwordx4 v[2:5], off, s15
	v_mov_b32_e32 v6, 0
	v_mov_b32_e32 v7, v6
	;; [unrolled: 1-line block ×4, first 2 shown]
	scratch_store_dwordx4 off, v[6:9], off offset:32
	s_waitcnt vmcnt(1)
	ds_write_b128 v1, v[2:5]
.LBB36_233:
	s_or_b64 exec, exec, s[0:1]
	s_waitcnt lgkmcnt(0)
	; wave barrier
	scratch_load_dwordx4 v[184:187], off, off offset:48
	scratch_load_dwordx4 v[188:191], off, off offset:64
	;; [unrolled: 1-line block ×32, first 2 shown]
	v_mov_b32_e32 v2, 0
	ds_read_b128 v[192:195], v2 offset:624
	ds_read_b128 v[204:207], v2 offset:640
	;; [unrolled: 1-line block ×16, first 2 shown]
	v_cmp_ne_u32_e32 vcc, 0, v0
	s_waitcnt vmcnt(31) lgkmcnt(14)
	v_mul_f64 v[104:105], v[192:193], v[186:187]
	s_waitcnt vmcnt(30)
	v_mul_f64 v[106:107], v[204:205], v[190:191]
	v_fmac_f64_e32 v[104:105], v[194:195], v[184:185]
	s_waitcnt vmcnt(29) lgkmcnt(13)
	v_mul_f64 v[112:113], v[216:217], v[198:199]
	v_fmac_f64_e32 v[106:107], v[206:207], v[188:189]
	v_add_f64 v[104:105], v[104:105], 0
	s_waitcnt vmcnt(28) lgkmcnt(12)
	v_mul_f64 v[114:115], v[224:225], v[202:203]
	v_fmac_f64_e32 v[112:113], v[218:219], v[196:197]
	v_add_f64 v[104:105], v[104:105], v[106:107]
	;; [unrolled: 4-line block ×10, first 2 shown]
	ds_read_b128 v[152:155], v2 offset:880
	ds_read_b128 v[156:159], v2 offset:896
	s_waitcnt vmcnt(19) lgkmcnt(5)
	v_mul_f64 v[164:165], v[124:125], v[26:27]
	v_fmac_f64_e32 v[162:163], v[134:135], v[20:21]
	v_add_f64 v[104:105], v[104:105], v[160:161]
	s_waitcnt vmcnt(18) lgkmcnt(4)
	v_mul_f64 v[166:167], v[120:121], v[30:31]
	v_fmac_f64_e32 v[164:165], v[126:127], v[24:25]
	v_add_f64 v[104:105], v[104:105], v[162:163]
	;; [unrolled: 4-line block ×4, first 2 shown]
	v_add_f64 v[112:113], v[104:105], v[168:169]
	v_fmac_f64_e32 v[170:171], v[110:111], v[36:37]
	scratch_load_dwordx4 v[104:107], off, off offset:560
	s_waitcnt vmcnt(16) lgkmcnt(1)
	v_mul_f64 v[114:115], v[152:153], v[42:43]
	v_add_f64 v[112:113], v[112:113], v[170:171]
	v_fmac_f64_e32 v[114:115], v[154:155], v[40:41]
	v_add_f64 v[128:129], v[112:113], v[114:115]
	scratch_load_dwordx4 v[112:115], off, off offset:576
	s_waitcnt vmcnt(16) lgkmcnt(0)
	v_mul_f64 v[130:131], v[156:157], v[46:47]
	v_fmac_f64_e32 v[130:131], v[158:159], v[44:45]
	v_add_f64 v[168:169], v[128:129], v[130:131]
	scratch_load_dwordx4 v[128:131], off, off offset:592
	ds_read_b128 v[160:163], v2 offset:912
	ds_read_b128 v[164:167], v2 offset:928
	v_mul_f64 v[186:187], v[194:195], v[186:187]
	v_fma_f64 v[254:255], v[192:193], v[184:185], -v[186:187]
	ds_read_b128 v[184:187], v2 offset:1008
	s_waitcnt vmcnt(16) lgkmcnt(2)
	v_mul_f64 v[170:171], v[160:161], v[50:51]
	v_fmac_f64_e32 v[170:171], v[162:163], v[48:49]
	s_waitcnt vmcnt(15) lgkmcnt(1)
	v_mul_f64 v[174:175], v[164:165], v[54:55]
	v_add_f64 v[172:173], v[168:169], v[170:171]
	ds_read_b128 v[168:171], v2 offset:944
	v_fmac_f64_e32 v[174:175], v[166:167], v[52:53]
	v_add_f64 v[176:177], v[172:173], v[174:175]
	ds_read_b128 v[172:175], v2 offset:960
	v_mul_f64 v[190:191], v[206:207], v[190:191]
	s_waitcnt vmcnt(14) lgkmcnt(1)
	v_mul_f64 v[178:179], v[168:169], v[58:59]
	v_fmac_f64_e32 v[178:179], v[170:171], v[56:57]
	v_add_f64 v[180:181], v[176:177], v[178:179]
	s_waitcnt vmcnt(13) lgkmcnt(0)
	v_mul_f64 v[182:183], v[172:173], v[62:63]
	ds_read_b128 v[176:179], v2 offset:976
	v_fmac_f64_e32 v[182:183], v[174:175], v[60:61]
	v_add_f64 v[232:233], v[180:181], v[182:183]
	ds_read_b128 v[180:183], v2 offset:992
	v_fma_f64 v[242:243], v[204:205], v[188:189], -v[190:191]
	s_waitcnt vmcnt(12) lgkmcnt(1)
	v_mul_f64 v[234:235], v[176:177], v[66:67]
	v_fmac_f64_e32 v[234:235], v[178:179], v[64:65]
	v_add_f64 v[232:233], v[232:233], v[234:235]
	s_waitcnt vmcnt(11) lgkmcnt(0)
	v_mul_f64 v[192:193], v[180:181], v[70:71]
	v_fmac_f64_e32 v[192:193], v[182:183], v[68:69]
	ds_read_b128 v[188:191], v2 offset:1024
	s_waitcnt vmcnt(10)
	v_mul_f64 v[194:195], v[184:185], v[74:75]
	v_add_f64 v[192:193], v[232:233], v[192:193]
	v_fmac_f64_e32 v[194:195], v[186:187], v[72:73]
	v_add_f64 v[204:205], v[192:193], v[194:195]
	ds_read_b128 v[192:195], v2 offset:1040
	v_mul_f64 v[198:199], v[218:219], v[198:199]
	v_fma_f64 v[244:245], v[216:217], v[196:197], -v[198:199]
	ds_read_b128 v[196:199], v2 offset:1056
	s_waitcnt vmcnt(9) lgkmcnt(2)
	v_mul_f64 v[206:207], v[188:189], v[78:79]
	v_fmac_f64_e32 v[206:207], v[190:191], v[76:77]
	v_add_f64 v[204:205], v[204:205], v[206:207]
	s_waitcnt vmcnt(8) lgkmcnt(1)
	v_mul_f64 v[206:207], v[192:193], v[82:83]
	v_fmac_f64_e32 v[206:207], v[194:195], v[80:81]
	v_mul_f64 v[202:203], v[226:227], v[202:203]
	v_add_f64 v[204:205], v[204:205], v[206:207]
	v_fma_f64 v[234:235], v[224:225], v[200:201], -v[202:203]
	ds_read_b128 v[200:203], v2 offset:1072
	s_waitcnt vmcnt(7) lgkmcnt(1)
	v_mul_f64 v[206:207], v[196:197], v[86:87]
	v_fmac_f64_e32 v[206:207], v[198:199], v[84:85]
	v_add_f64 v[216:217], v[204:205], v[206:207]
	ds_read_b128 v[204:207], v2 offset:1088
	v_mul_f64 v[210:211], v[230:231], v[210:211]
	v_fma_f64 v[236:237], v[228:229], v[208:209], -v[210:211]
	ds_read_b128 v[208:211], v2 offset:1104
	s_waitcnt vmcnt(6) lgkmcnt(2)
	v_mul_f64 v[218:219], v[200:201], v[90:91]
	v_fmac_f64_e32 v[218:219], v[202:203], v[88:89]
	v_add_f64 v[216:217], v[216:217], v[218:219]
	s_waitcnt vmcnt(5) lgkmcnt(1)
	v_mul_f64 v[218:219], v[204:205], v[94:95]
	v_fmac_f64_e32 v[218:219], v[206:207], v[92:93]
	v_mul_f64 v[214:215], v[240:241], v[214:215]
	v_fma_f64 v[238:239], v[238:239], v[212:213], -v[214:215]
	ds_read_b128 v[212:215], v2 offset:1120
	v_add_f64 v[216:217], v[216:217], v[218:219]
	s_waitcnt vmcnt(4) lgkmcnt(1)
	v_mul_f64 v[218:219], v[208:209], v[102:103]
	v_fmac_f64_e32 v[218:219], v[210:211], v[100:101]
	v_add_f64 v[224:225], v[216:217], v[218:219]
	ds_read_b128 v[216:219], v2 offset:1136
	v_mul_f64 v[222:223], v[252:253], v[222:223]
	v_fma_f64 v[250:251], v[250:251], v[220:221], -v[222:223]
	ds_read_b128 v[220:223], v2 offset:1152
	s_waitcnt vmcnt(3) lgkmcnt(2)
	v_mul_f64 v[226:227], v[212:213], v[98:99]
	v_fmac_f64_e32 v[226:227], v[214:215], v[96:97]
	v_add_f64 v[224:225], v[224:225], v[226:227]
	s_waitcnt vmcnt(2) lgkmcnt(1)
	v_mul_f64 v[226:227], v[216:217], v[106:107]
	v_fmac_f64_e32 v[226:227], v[218:219], v[104:105]
	v_add_f64 v[224:225], v[224:225], v[226:227]
	;; [unrolled: 4-line block ×3, first 2 shown]
	ds_read_b128 v[224:227], v2 offset:1168
	v_mul_f64 v[6:7], v[150:151], v[6:7]
	v_fma_f64 v[4:5], v[148:149], v[4:5], -v[6:7]
	v_mul_f64 v[6:7], v[146:147], v[10:11]
	v_fma_f64 v[6:7], v[144:145], v[8:9], -v[6:7]
	s_waitcnt vmcnt(0) lgkmcnt(0)
	v_mul_f64 v[230:231], v[224:225], v[130:131]
	v_fmac_f64_e32 v[230:231], v[226:227], v[128:129]
	v_add_f64 v[232:233], v[228:229], v[230:231]
	v_add_f64 v[228:229], v[254:255], 0
	;; [unrolled: 1-line block ×4, first 2 shown]
	scratch_load_dwordx4 v[228:231], off, off offset:32
	v_add_f64 v[234:235], v[252:253], v[234:235]
	v_add_f64 v[234:235], v[234:235], v[236:237]
	;; [unrolled: 1-line block ×6, first 2 shown]
	v_mul_f64 v[6:7], v[142:143], v[14:15]
	v_fma_f64 v[6:7], v[140:141], v[12:13], -v[6:7]
	v_add_f64 v[4:5], v[4:5], v[6:7]
	v_mul_f64 v[6:7], v[138:139], v[18:19]
	v_fma_f64 v[6:7], v[136:137], v[16:17], -v[6:7]
	v_add_f64 v[4:5], v[4:5], v[6:7]
	;; [unrolled: 3-line block ×26, first 2 shown]
	s_waitcnt vmcnt(0)
	v_add_f64 v[4:5], v[228:229], -v[4:5]
	v_add_f64 v[6:7], v[230:231], -v[232:233]
	scratch_store_dwordx4 off, v[4:7], off offset:32
	s_and_saveexec_b64 s[0:1], vcc
	s_cbranch_execz .LBB36_235
; %bb.234:
	scratch_load_dwordx4 v[6:9], off, off offset:16
	v_mov_b32_e32 v3, v2
	v_mov_b32_e32 v4, v2
	;; [unrolled: 1-line block ×3, first 2 shown]
	scratch_store_dwordx4 off, v[2:5], off offset:16
	s_waitcnt vmcnt(1)
	ds_write_b128 v1, v[6:9]
.LBB36_235:
	s_or_b64 exec, exec, s[0:1]
	s_waitcnt lgkmcnt(0)
	; wave barrier
	scratch_load_dwordx4 v[140:143], off, off offset:32
	scratch_load_dwordx4 v[144:147], off, off offset:48
	;; [unrolled: 1-line block ×16, first 2 shown]
	ds_read_b128 v[192:195], v2 offset:608
	ds_read_b128 v[184:187], v2 offset:624
	;; [unrolled: 1-line block ×3, first 2 shown]
	scratch_load_dwordx4 v[40:43], off, off offset:288
	ds_read_b128 v[188:191], v2 offset:656
	ds_read_b128 v[176:179], v2 offset:672
	;; [unrolled: 1-line block ×3, first 2 shown]
	scratch_load_dwordx4 v[44:47], off, off offset:304
	ds_read_b128 v[180:183], v2 offset:704
	ds_read_b128 v[64:67], v2 offset:720
	ds_read_b128 v[60:63], v2 offset:736
	ds_read_b128 v[56:59], v2 offset:752
	ds_read_b128 v[52:55], v2 offset:768
	scratch_load_dwordx4 v[48:51], off, off offset:320
	ds_read_b128 v[80:83], v2 offset:784
	ds_read_b128 v[76:79], v2 offset:800
	;; [unrolled: 1-line block ×3, first 2 shown]
	scratch_load_dwordx4 v[68:71], off, off offset:336
	ds_read_b128 v[92:95], v2 offset:832
	ds_read_b128 v[88:91], v2 offset:848
	scratch_load_dwordx4 v[84:87], off, off offset:352
	scratch_load_dwordx4 v[96:99], off, off offset:368
	;; [unrolled: 1-line block ×12, first 2 shown]
	ds_read_b128 v[196:199], v2 offset:864
	s_and_b64 vcc, exec, s[18:19]
	ds_read_b128 v[236:239], v2 offset:976
	s_waitcnt vmcnt(31) lgkmcnt(14)
	v_mul_f64 v[0:1], v[192:193], v[142:143]
	s_waitcnt vmcnt(30)
	v_mul_f64 v[200:201], v[184:185], v[146:147]
	v_fmac_f64_e32 v[0:1], v[194:195], v[140:141]
	s_waitcnt vmcnt(29)
	v_mul_f64 v[202:203], v[172:173], v[150:151]
	v_fmac_f64_e32 v[200:201], v[186:187], v[144:145]
	v_add_f64 v[0:1], v[0:1], 0
	s_waitcnt vmcnt(28)
	v_mul_f64 v[204:205], v[188:189], v[154:155]
	v_fmac_f64_e32 v[202:203], v[174:175], v[148:149]
	v_add_f64 v[0:1], v[0:1], v[200:201]
	s_waitcnt vmcnt(27) lgkmcnt(13)
	v_mul_f64 v[206:207], v[176:177], v[158:159]
	v_fmac_f64_e32 v[204:205], v[190:191], v[152:153]
	v_add_f64 v[0:1], v[0:1], v[202:203]
	s_waitcnt vmcnt(26) lgkmcnt(12)
	;; [unrolled: 4-line block ×8, first 2 shown]
	v_mul_f64 v[220:221], v[80:81], v[22:23]
	v_fmac_f64_e32 v[218:219], v[54:55], v[16:17]
	v_add_f64 v[0:1], v[0:1], v[216:217]
	scratch_load_dwordx4 v[200:203], off, off offset:544
	scratch_load_dwordx4 v[204:207], off, off offset:560
	s_waitcnt vmcnt(21) lgkmcnt(5)
	v_mul_f64 v[222:223], v[76:77], v[26:27]
	v_fmac_f64_e32 v[220:221], v[82:83], v[20:21]
	v_add_f64 v[0:1], v[0:1], v[218:219]
	s_waitcnt vmcnt(20) lgkmcnt(4)
	v_mul_f64 v[224:225], v[72:73], v[30:31]
	v_fmac_f64_e32 v[222:223], v[78:79], v[24:25]
	v_add_f64 v[0:1], v[0:1], v[220:221]
	ds_read_b128 v[212:215], v2 offset:880
	s_waitcnt vmcnt(19) lgkmcnt(4)
	v_mul_f64 v[226:227], v[92:93], v[34:35]
	v_fmac_f64_e32 v[224:225], v[74:75], v[28:29]
	v_add_f64 v[0:1], v[0:1], v[222:223]
	s_waitcnt vmcnt(18) lgkmcnt(3)
	v_mul_f64 v[228:229], v[88:89], v[38:39]
	v_fmac_f64_e32 v[226:227], v[94:95], v[32:33]
	v_add_f64 v[0:1], v[0:1], v[224:225]
	v_add_f64 v[0:1], v[0:1], v[226:227]
	v_fmac_f64_e32 v[228:229], v[90:91], v[36:37]
	s_waitcnt vmcnt(17) lgkmcnt(2)
	v_mul_f64 v[208:209], v[196:197], v[42:43]
	v_add_f64 v[0:1], v[0:1], v[228:229]
	v_fmac_f64_e32 v[208:209], v[198:199], v[40:41]
	v_add_f64 v[0:1], v[0:1], v[208:209]
	s_waitcnt vmcnt(16) lgkmcnt(0)
	v_mul_f64 v[208:209], v[212:213], v[46:47]
	v_fmac_f64_e32 v[208:209], v[214:215], v[44:45]
	v_add_f64 v[0:1], v[0:1], v[208:209]
	scratch_load_dwordx4 v[208:211], off, off offset:576
	ds_read_b128 v[216:219], v2 offset:896
	ds_read_b128 v[220:223], v2 offset:912
	v_mul_f64 v[142:143], v[194:195], v[142:143]
	v_fma_f64 v[194:195], v[192:193], v[140:141], -v[142:143]
	ds_read_b128 v[140:143], v2 offset:992
	s_waitcnt vmcnt(16) lgkmcnt(2)
	v_mul_f64 v[224:225], v[216:217], v[50:51]
	v_fmac_f64_e32 v[224:225], v[218:219], v[48:49]
	v_add_f64 v[0:1], v[0:1], v[224:225]
	ds_read_b128 v[224:227], v2 offset:928
	s_waitcnt vmcnt(15) lgkmcnt(2)
	v_mul_f64 v[228:229], v[220:221], v[70:71]
	v_fmac_f64_e32 v[228:229], v[222:223], v[68:69]
	v_add_f64 v[0:1], v[0:1], v[228:229]
	;; [unrolled: 5-line block ×4, first 2 shown]
	s_waitcnt vmcnt(11)
	v_mul_f64 v[192:193], v[236:237], v[106:107]
	s_waitcnt lgkmcnt(0)
	v_mul_f64 v[240:241], v[232:233], v[102:103]
	v_fmac_f64_e32 v[240:241], v[234:235], v[100:101]
	v_mul_f64 v[146:147], v[186:187], v[146:147]
	v_add_f64 v[0:1], v[0:1], v[240:241]
	v_fmac_f64_e32 v[192:193], v[238:239], v[104:105]
	v_fma_f64 v[240:241], v[184:185], v[144:145], -v[146:147]
	ds_read_b128 v[144:147], v2 offset:1008
	s_waitcnt vmcnt(10)
	v_mul_f64 v[184:185], v[140:141], v[110:111]
	v_add_f64 v[0:1], v[0:1], v[192:193]
	v_fmac_f64_e32 v[184:185], v[142:143], v[108:109]
	v_add_f64 v[0:1], v[0:1], v[184:185]
	ds_read_b128 v[184:187], v2 offset:1024
	v_mul_f64 v[150:151], v[174:175], v[150:151]
	s_waitcnt vmcnt(9) lgkmcnt(1)
	v_mul_f64 v[192:193], v[144:145], v[114:115]
	v_fma_f64 v[242:243], v[172:173], v[148:149], -v[150:151]
	ds_read_b128 v[148:151], v2 offset:1040
	v_fmac_f64_e32 v[192:193], v[146:147], v[112:113]
	s_waitcnt vmcnt(8) lgkmcnt(1)
	v_mul_f64 v[172:173], v[184:185], v[118:119]
	v_mul_f64 v[154:155], v[190:191], v[154:155]
	v_add_f64 v[0:1], v[0:1], v[192:193]
	v_fmac_f64_e32 v[172:173], v[186:187], v[116:117]
	v_fma_f64 v[244:245], v[188:189], v[152:153], -v[154:155]
	ds_read_b128 v[152:155], v2 offset:1056
	v_add_f64 v[0:1], v[0:1], v[172:173]
	ds_read_b128 v[172:175], v2 offset:1072
	v_mul_f64 v[158:159], v[178:179], v[158:159]
	v_fma_f64 v[250:251], v[176:177], v[156:157], -v[158:159]
	ds_read_b128 v[156:159], v2 offset:1088
	s_waitcnt vmcnt(7) lgkmcnt(3)
	v_mul_f64 v[188:189], v[148:149], v[122:123]
	v_fmac_f64_e32 v[188:189], v[150:151], v[120:121]
	v_add_f64 v[0:1], v[0:1], v[188:189]
	s_waitcnt vmcnt(6) lgkmcnt(2)
	v_mul_f64 v[188:189], v[152:153], v[126:127]
	v_fmac_f64_e32 v[188:189], v[154:155], v[124:125]
	s_waitcnt vmcnt(5) lgkmcnt(1)
	v_mul_f64 v[176:177], v[172:173], v[130:131]
	v_mul_f64 v[162:163], v[170:171], v[162:163]
	v_add_f64 v[0:1], v[0:1], v[188:189]
	v_fmac_f64_e32 v[176:177], v[174:175], v[128:129]
	v_fma_f64 v[190:191], v[168:169], v[160:161], -v[162:163]
	ds_read_b128 v[160:163], v2 offset:1104
	s_waitcnt vmcnt(4) lgkmcnt(1)
	v_mul_f64 v[168:169], v[156:157], v[134:135]
	v_add_f64 v[0:1], v[0:1], v[176:177]
	v_fmac_f64_e32 v[168:169], v[158:159], v[132:133]
	v_add_f64 v[0:1], v[0:1], v[168:169]
	ds_read_b128 v[168:171], v2 offset:1120
	v_mul_f64 v[166:167], v[182:183], v[166:167]
	v_fma_f64 v[192:193], v[180:181], v[164:165], -v[166:167]
	ds_read_b128 v[164:167], v2 offset:1136
	s_waitcnt vmcnt(3) lgkmcnt(2)
	v_mul_f64 v[176:177], v[160:161], v[138:139]
	v_fmac_f64_e32 v[176:177], v[162:163], v[136:137]
	v_add_f64 v[0:1], v[0:1], v[176:177]
	s_waitcnt vmcnt(2) lgkmcnt(1)
	v_mul_f64 v[176:177], v[168:169], v[202:203]
	v_fmac_f64_e32 v[176:177], v[170:171], v[200:201]
	v_add_f64 v[0:1], v[0:1], v[176:177]
	s_waitcnt vmcnt(1) lgkmcnt(0)
	v_mul_f64 v[176:177], v[164:165], v[206:207]
	v_fmac_f64_e32 v[176:177], v[166:167], v[204:205]
	v_add_f64 v[0:1], v[0:1], v[176:177]
	ds_read_b128 v[176:179], v2 offset:1152
	v_add_f64 v[194:195], v[194:195], 0
	v_add_f64 v[194:195], v[194:195], v[240:241]
	;; [unrolled: 1-line block ×4, first 2 shown]
	s_waitcnt vmcnt(0) lgkmcnt(0)
	v_mul_f64 v[180:181], v[176:177], v[210:211]
	v_fmac_f64_e32 v[180:181], v[178:179], v[208:209]
	v_add_f64 v[188:189], v[0:1], v[180:181]
	scratch_load_dwordx4 v[180:183], off, off offset:592
	ds_read_b128 v[0:3], v2 offset:1168
	v_add_f64 v[194:195], v[194:195], v[250:251]
	v_add_f64 v[190:191], v[194:195], v[190:191]
	v_mul_f64 v[6:7], v[66:67], v[6:7]
	v_add_f64 v[190:191], v[190:191], v[192:193]
	v_fma_f64 v[4:5], v[64:65], v[4:5], -v[6:7]
	v_mul_f64 v[6:7], v[62:63], v[10:11]
	v_add_f64 v[4:5], v[190:191], v[4:5]
	v_fma_f64 v[6:7], v[60:61], v[8:9], -v[6:7]
	v_add_f64 v[4:5], v[4:5], v[6:7]
	v_mul_f64 v[6:7], v[58:59], v[14:15]
	v_fma_f64 v[6:7], v[56:57], v[12:13], -v[6:7]
	v_add_f64 v[4:5], v[4:5], v[6:7]
	v_mul_f64 v[6:7], v[54:55], v[18:19]
	;; [unrolled: 3-line block ×23, first 2 shown]
	v_fma_f64 v[6:7], v[160:161], v[136:137], -v[6:7]
	v_add_f64 v[4:5], v[4:5], v[6:7]
	s_waitcnt vmcnt(0) lgkmcnt(0)
	v_mul_f64 v[252:253], v[0:1], v[182:183]
	v_fmac_f64_e32 v[252:253], v[2:3], v[180:181]
	v_add_f64 v[188:189], v[188:189], v[252:253]
	scratch_load_dwordx4 v[250:253], off, off offset:16
	v_mul_f64 v[6:7], v[170:171], v[202:203]
	v_fma_f64 v[6:7], v[168:169], v[200:201], -v[6:7]
	v_add_f64 v[4:5], v[4:5], v[6:7]
	v_mul_f64 v[6:7], v[166:167], v[206:207]
	v_fma_f64 v[6:7], v[164:165], v[204:205], -v[6:7]
	v_add_f64 v[4:5], v[4:5], v[6:7]
	v_mul_f64 v[6:7], v[178:179], v[210:211]
	v_fma_f64 v[6:7], v[176:177], v[208:209], -v[6:7]
	v_mul_f64 v[2:3], v[2:3], v[182:183]
	v_add_f64 v[4:5], v[4:5], v[6:7]
	v_fma_f64 v[0:1], v[0:1], v[180:181], -v[2:3]
	v_add_f64 v[0:1], v[4:5], v[0:1]
	s_waitcnt vmcnt(0)
	v_add_f64 v[0:1], v[250:251], -v[0:1]
	v_add_f64 v[2:3], v[252:253], -v[188:189]
	scratch_store_dwordx4 off, v[0:3], off offset:16
	s_cbranch_vccz .LBB36_308
; %bb.236:
	s_nop 0
	v_mov_b32_e32 v0, 0
	global_load_dword v1, v0, s[16:17] offset:140
	s_waitcnt vmcnt(0)
	v_readfirstlane_b32 s0, v1
	s_add_i32 s0, s0, -1
	s_cmp_lg_u32 s0, 35
	s_cbranch_scc0 .LBB36_238
; %bb.237:
	s_lshl_b32 s0, s0, 4
	s_add_i32 s0, s0, 16
	scratch_load_dwordx4 v[2:5], off, s0
	scratch_load_dwordx4 v[6:9], off, s49
	s_waitcnt vmcnt(1)
	scratch_store_dwordx4 off, v[2:5], s49
	s_waitcnt vmcnt(1)
	scratch_store_dwordx4 off, v[6:9], s0
.LBB36_238:
	global_load_dword v0, v0, s[16:17] offset:136
	s_waitcnt vmcnt(0)
	v_readfirstlane_b32 s0, v0
	s_add_i32 s0, s0, -1
	s_cmp_eq_u32 s0, 34
	s_cbranch_scc1 .LBB36_240
; %bb.239:
	s_lshl_b32 s0, s0, 4
	s_add_i32 s0, s0, 16
	scratch_load_dwordx4 v[0:3], off, s0
	scratch_load_dwordx4 v[4:7], off, s48
	s_waitcnt vmcnt(1)
	scratch_store_dwordx4 off, v[0:3], s48
	s_waitcnt vmcnt(1)
	scratch_store_dwordx4 off, v[4:7], s0
.LBB36_240:
	v_mov_b32_e32 v0, 0
	global_load_dword v1, v0, s[16:17] offset:132
	s_waitcnt vmcnt(0)
	v_readfirstlane_b32 s0, v1
	s_add_i32 s0, s0, -1
	s_cmp_eq_u32 s0, 33
	s_cbranch_scc1 .LBB36_242
; %bb.241:
	s_lshl_b32 s0, s0, 4
	s_add_i32 s0, s0, 16
	scratch_load_dwordx4 v[2:5], off, s0
	scratch_load_dwordx4 v[6:9], off, s47
	s_waitcnt vmcnt(1)
	scratch_store_dwordx4 off, v[2:5], s47
	s_waitcnt vmcnt(1)
	scratch_store_dwordx4 off, v[6:9], s0
.LBB36_242:
	global_load_dword v0, v0, s[16:17] offset:128
	s_waitcnt vmcnt(0)
	v_readfirstlane_b32 s0, v0
	s_add_i32 s0, s0, -1
	s_cmp_eq_u32 s0, 32
	s_cbranch_scc1 .LBB36_244
; %bb.243:
	s_lshl_b32 s0, s0, 4
	s_add_i32 s0, s0, 16
	scratch_load_dwordx4 v[0:3], off, s0
	scratch_load_dwordx4 v[4:7], off, s46
	s_waitcnt vmcnt(1)
	scratch_store_dwordx4 off, v[0:3], s46
	s_waitcnt vmcnt(1)
	scratch_store_dwordx4 off, v[4:7], s0
.LBB36_244:
	v_mov_b32_e32 v0, 0
	global_load_dword v1, v0, s[16:17] offset:124
	s_waitcnt vmcnt(0)
	v_readfirstlane_b32 s0, v1
	s_add_i32 s0, s0, -1
	s_cmp_eq_u32 s0, 31
	s_cbranch_scc1 .LBB36_246
; %bb.245:
	s_lshl_b32 s0, s0, 4
	s_add_i32 s0, s0, 16
	scratch_load_dwordx4 v[2:5], off, s0
	scratch_load_dwordx4 v[6:9], off, s45
	s_waitcnt vmcnt(1)
	scratch_store_dwordx4 off, v[2:5], s45
	s_waitcnt vmcnt(1)
	scratch_store_dwordx4 off, v[6:9], s0
.LBB36_246:
	;; [unrolled: 33-line block ×17, first 2 shown]
	global_load_dword v0, v0, s[16:17]
	s_waitcnt vmcnt(0)
	v_readfirstlane_b32 s0, v0
	s_add_i32 s0, s0, -1
	s_cmp_eq_u32 s0, 0
	s_cbranch_scc1 .LBB36_308
; %bb.307:
	s_lshl_b32 s0, s0, 4
	s_add_i32 s0, s0, 16
	scratch_load_dwordx4 v[0:3], off, s0
	scratch_load_dwordx4 v[4:7], off, off offset:16
	s_waitcnt vmcnt(1)
	scratch_store_dwordx4 off, v[0:3], off offset:16
	s_waitcnt vmcnt(1)
	scratch_store_dwordx4 off, v[4:7], s0
.LBB36_308:
	scratch_load_dwordx4 v[0:3], off, off offset:16
	s_nop 0
	scratch_load_dwordx4 v[4:7], off, s15
	scratch_load_dwordx4 v[8:11], off, s12
	;; [unrolled: 1-line block ×12, first 2 shown]
                                        ; kill: killed $sgpr15
                                        ; kill: killed $sgpr24
                                        ; kill: killed $sgpr23
                                        ; kill: killed $sgpr52
                                        ; kill: killed $sgpr21
                                        ; kill: killed $sgpr51
                                        ; kill: killed $sgpr14
                                        ; kill: killed $sgpr25
                                        ; kill: killed $sgpr13
                                        ; kill: killed $sgpr22
                                        ; kill: killed $sgpr12
                                        ; kill: killed $sgpr20
	scratch_load_dwordx4 v[52:55], off, s26
	scratch_load_dwordx4 v[56:59], off, s27
	;; [unrolled: 1-line block ×24, first 2 shown]
	v_accvgpr_read_b32 v149, a1
	v_accvgpr_read_b32 v148, a0
	s_waitcnt vmcnt(36)
	global_store_dwordx4 v[148:149], v[0:3], off
	s_nop 1
	v_accvgpr_read_b32 v0, a2
	v_accvgpr_read_b32 v1, a3
	s_waitcnt vmcnt(36)
	global_store_dwordx4 v[0:1], v[4:7], off
	v_accvgpr_read_b32 v0, a4
	v_accvgpr_read_b32 v1, a5
	s_waitcnt vmcnt(36)
	global_store_dwordx4 v[0:1], v[8:11], off
	;; [unrolled: 4-line block ×34, first 2 shown]
	s_waitcnt vmcnt(36)
	global_store_dwordx4 v[246:247], v[140:143], off
	s_waitcnt vmcnt(36)
	global_store_dwordx4 v[248:249], v[144:147], off
	s_endpgm
	.section	.rodata,"a",@progbits
	.p2align	6, 0x0
	.amdhsa_kernel _ZN9rocsolver6v33100L18getri_kernel_smallILi37E19rocblas_complex_numIdEPS3_EEvT1_iilPiilS6_bb
		.amdhsa_group_segment_fixed_size 1192
		.amdhsa_private_segment_fixed_size 624
		.amdhsa_kernarg_size 60
		.amdhsa_user_sgpr_count 2
		.amdhsa_user_sgpr_dispatch_ptr 0
		.amdhsa_user_sgpr_queue_ptr 0
		.amdhsa_user_sgpr_kernarg_segment_ptr 1
		.amdhsa_user_sgpr_dispatch_id 0
		.amdhsa_user_sgpr_kernarg_preload_length 0
		.amdhsa_user_sgpr_kernarg_preload_offset 0
		.amdhsa_user_sgpr_private_segment_size 0
		.amdhsa_uses_dynamic_stack 0
		.amdhsa_enable_private_segment 1
		.amdhsa_system_sgpr_workgroup_id_x 1
		.amdhsa_system_sgpr_workgroup_id_y 0
		.amdhsa_system_sgpr_workgroup_id_z 0
		.amdhsa_system_sgpr_workgroup_info 0
		.amdhsa_system_vgpr_workitem_id 0
		.amdhsa_next_free_vgpr 326
		.amdhsa_next_free_sgpr 53
		.amdhsa_accum_offset 256
		.amdhsa_reserve_vcc 1
		.amdhsa_float_round_mode_32 0
		.amdhsa_float_round_mode_16_64 0
		.amdhsa_float_denorm_mode_32 3
		.amdhsa_float_denorm_mode_16_64 3
		.amdhsa_dx10_clamp 1
		.amdhsa_ieee_mode 1
		.amdhsa_fp16_overflow 0
		.amdhsa_tg_split 0
		.amdhsa_exception_fp_ieee_invalid_op 0
		.amdhsa_exception_fp_denorm_src 0
		.amdhsa_exception_fp_ieee_div_zero 0
		.amdhsa_exception_fp_ieee_overflow 0
		.amdhsa_exception_fp_ieee_underflow 0
		.amdhsa_exception_fp_ieee_inexact 0
		.amdhsa_exception_int_div_zero 0
	.end_amdhsa_kernel
	.section	.text._ZN9rocsolver6v33100L18getri_kernel_smallILi37E19rocblas_complex_numIdEPS3_EEvT1_iilPiilS6_bb,"axG",@progbits,_ZN9rocsolver6v33100L18getri_kernel_smallILi37E19rocblas_complex_numIdEPS3_EEvT1_iilPiilS6_bb,comdat
.Lfunc_end36:
	.size	_ZN9rocsolver6v33100L18getri_kernel_smallILi37E19rocblas_complex_numIdEPS3_EEvT1_iilPiilS6_bb, .Lfunc_end36-_ZN9rocsolver6v33100L18getri_kernel_smallILi37E19rocblas_complex_numIdEPS3_EEvT1_iilPiilS6_bb
                                        ; -- End function
	.set _ZN9rocsolver6v33100L18getri_kernel_smallILi37E19rocblas_complex_numIdEPS3_EEvT1_iilPiilS6_bb.num_vgpr, 256
	.set _ZN9rocsolver6v33100L18getri_kernel_smallILi37E19rocblas_complex_numIdEPS3_EEvT1_iilPiilS6_bb.num_agpr, 70
	.set _ZN9rocsolver6v33100L18getri_kernel_smallILi37E19rocblas_complex_numIdEPS3_EEvT1_iilPiilS6_bb.numbered_sgpr, 53
	.set _ZN9rocsolver6v33100L18getri_kernel_smallILi37E19rocblas_complex_numIdEPS3_EEvT1_iilPiilS6_bb.num_named_barrier, 0
	.set _ZN9rocsolver6v33100L18getri_kernel_smallILi37E19rocblas_complex_numIdEPS3_EEvT1_iilPiilS6_bb.private_seg_size, 624
	.set _ZN9rocsolver6v33100L18getri_kernel_smallILi37E19rocblas_complex_numIdEPS3_EEvT1_iilPiilS6_bb.uses_vcc, 1
	.set _ZN9rocsolver6v33100L18getri_kernel_smallILi37E19rocblas_complex_numIdEPS3_EEvT1_iilPiilS6_bb.uses_flat_scratch, 0
	.set _ZN9rocsolver6v33100L18getri_kernel_smallILi37E19rocblas_complex_numIdEPS3_EEvT1_iilPiilS6_bb.has_dyn_sized_stack, 0
	.set _ZN9rocsolver6v33100L18getri_kernel_smallILi37E19rocblas_complex_numIdEPS3_EEvT1_iilPiilS6_bb.has_recursion, 0
	.set _ZN9rocsolver6v33100L18getri_kernel_smallILi37E19rocblas_complex_numIdEPS3_EEvT1_iilPiilS6_bb.has_indirect_call, 0
	.section	.AMDGPU.csdata,"",@progbits
; Kernel info:
; codeLenInByte = 61228
; TotalNumSgprs: 59
; NumVgprs: 256
; NumAgprs: 70
; TotalNumVgprs: 326
; ScratchSize: 624
; MemoryBound: 0
; FloatMode: 240
; IeeeMode: 1
; LDSByteSize: 1192 bytes/workgroup (compile time only)
; SGPRBlocks: 7
; VGPRBlocks: 40
; NumSGPRsForWavesPerEU: 59
; NumVGPRsForWavesPerEU: 326
; AccumOffset: 256
; Occupancy: 1
; WaveLimiterHint : 1
; COMPUTE_PGM_RSRC2:SCRATCH_EN: 1
; COMPUTE_PGM_RSRC2:USER_SGPR: 2
; COMPUTE_PGM_RSRC2:TRAP_HANDLER: 0
; COMPUTE_PGM_RSRC2:TGID_X_EN: 1
; COMPUTE_PGM_RSRC2:TGID_Y_EN: 0
; COMPUTE_PGM_RSRC2:TGID_Z_EN: 0
; COMPUTE_PGM_RSRC2:TIDIG_COMP_CNT: 0
; COMPUTE_PGM_RSRC3_GFX90A:ACCUM_OFFSET: 63
; COMPUTE_PGM_RSRC3_GFX90A:TG_SPLIT: 0
	.section	.text._ZN9rocsolver6v33100L18getri_kernel_smallILi38E19rocblas_complex_numIdEPS3_EEvT1_iilPiilS6_bb,"axG",@progbits,_ZN9rocsolver6v33100L18getri_kernel_smallILi38E19rocblas_complex_numIdEPS3_EEvT1_iilPiilS6_bb,comdat
	.globl	_ZN9rocsolver6v33100L18getri_kernel_smallILi38E19rocblas_complex_numIdEPS3_EEvT1_iilPiilS6_bb ; -- Begin function _ZN9rocsolver6v33100L18getri_kernel_smallILi38E19rocblas_complex_numIdEPS3_EEvT1_iilPiilS6_bb
	.p2align	8
	.type	_ZN9rocsolver6v33100L18getri_kernel_smallILi38E19rocblas_complex_numIdEPS3_EEvT1_iilPiilS6_bb,@function
_ZN9rocsolver6v33100L18getri_kernel_smallILi38E19rocblas_complex_numIdEPS3_EEvT1_iilPiilS6_bb: ; @_ZN9rocsolver6v33100L18getri_kernel_smallILi38E19rocblas_complex_numIdEPS3_EEvT1_iilPiilS6_bb
; %bb.0:
	v_cmp_gt_u32_e32 vcc, 38, v0
	s_and_saveexec_b64 s[4:5], vcc
	s_cbranch_execz .LBB37_166
; %bb.1:
	s_load_dword s8, s[0:1], 0x38
	s_load_dwordx4 s[12:15], s[0:1], 0x10
	s_load_dwordx4 s[4:7], s[0:1], 0x28
                                        ; implicit-def: $sgpr16_sgpr17
	s_waitcnt lgkmcnt(0)
	s_bitcmp1_b32 s8, 8
	s_cselect_b64 s[18:19], -1, 0
	s_ashr_i32 s3, s2, 31
	s_bfe_u32 s8, s8, 0x10008
	s_cmp_eq_u32 s8, 0
	s_cbranch_scc1 .LBB37_3
; %bb.2:
	s_load_dword s8, s[0:1], 0x20
	s_mul_i32 s9, s4, s3
	s_mul_hi_u32 s10, s4, s2
	s_mul_i32 s5, s5, s2
	s_add_i32 s10, s10, s9
	s_add_i32 s5, s10, s5
	s_mul_i32 s4, s4, s2
	s_waitcnt lgkmcnt(0)
	s_ashr_i32 s9, s8, 31
	s_lshl_b64 s[4:5], s[4:5], 2
	s_add_u32 s10, s14, s4
	s_addc_u32 s11, s15, s5
	s_lshl_b64 s[4:5], s[8:9], 2
	s_add_u32 s16, s10, s4
	s_addc_u32 s17, s11, s5
.LBB37_3:
	s_load_dwordx4 s[8:11], s[0:1], 0x0
	s_load_dword s4, s[0:1], 0x38
	s_mul_i32 s5, s12, s3
	s_mul_hi_u32 s14, s12, s2
	s_add_i32 s5, s14, s5
	s_waitcnt lgkmcnt(0)
	s_ashr_i32 s1, s10, 31
	s_mov_b32 s0, s10
	s_mul_i32 s10, s13, s2
	s_add_i32 s13, s5, s10
	s_mul_i32 s12, s12, s2
	s_lshl_b64 s[12:13], s[12:13], 4
	s_add_u32 s5, s8, s12
	s_addc_u32 s8, s9, s13
	s_lshl_b64 s[0:1], s[0:1], 4
	s_add_u32 s0, s5, s0
	s_addc_u32 s1, s8, s1
	s_add_i32 s5, s11, s11
	v_add_u32_e32 v14, s5, v0
	v_ashrrev_i32_e32 v15, 31, v14
	v_lshl_add_u64 v[10:11], v[14:15], 4, s[0:1]
	v_add_u32_e32 v14, s11, v14
	v_add_u32_e32 v22, s11, v14
	v_ashrrev_i32_e32 v23, 31, v22
	v_lshl_add_u64 v[18:19], v[22:23], 4, s[0:1]
	v_add_u32_e32 v22, s11, v22
	;; [unrolled: 4-line block ×3, first 2 shown]
	v_ashrrev_i32_e32 v31, 31, v30
	v_lshl_add_u64 v[32:33], v[30:31], 4, s[0:1]
	v_add_u32_e32 v30, s11, v30
	v_add_u32_e32 v38, s11, v30
	;; [unrolled: 1-line block ×3, first 2 shown]
	v_lshlrev_b32_e32 v54, 4, v0
	v_mov_b32_e32 v55, 0
	v_add_u32_e32 v46, s11, v40
	v_lshl_add_u64 v[6:7], s[0:1], 0, v[54:55]
	v_add_u32_e32 v48, s11, v46
	s_ashr_i32 s9, s11, 31
	s_mov_b32 s8, s11
	v_accvgpr_write_b32 a0, v6
	v_add_u32_e32 v56, s11, v48
	v_accvgpr_write_b32 a1, v7
	v_lshl_add_u64 v[6:7], s[8:9], 4, v[6:7]
	v_ashrrev_i32_e32 v57, 31, v56
	global_load_dwordx4 v[2:5], v54, s[0:1]
	v_accvgpr_write_b32 a2, v6
	v_ashrrev_i32_e32 v15, 31, v14
	v_lshl_add_u64 v[58:59], v[56:57], 4, s[0:1]
	v_add_u32_e32 v56, s11, v56
	v_accvgpr_write_b32 a3, v7
	global_load_dwordx4 v[6:9], v[6:7], off
	v_accvgpr_write_b32 a4, v10
	v_lshl_add_u64 v[16:17], v[14:15], 4, s[0:1]
	v_add_u32_e32 v64, s11, v56
	v_accvgpr_write_b32 a5, v11
	global_load_dwordx4 v[10:13], v[10:11], off
	v_accvgpr_write_b32 a6, v16
	v_ashrrev_i32_e32 v23, 31, v22
	v_add_u32_e32 v66, s11, v64
	v_accvgpr_write_b32 a7, v17
	global_load_dwordx4 v[14:17], v[16:17], off
	v_accvgpr_write_b32 a8, v18
	v_lshl_add_u64 v[24:25], v[22:23], 4, s[0:1]
	v_add_u32_e32 v72, s11, v66
	v_accvgpr_write_b32 a9, v19
	global_load_dwordx4 v[18:21], v[18:19], off
	v_accvgpr_write_b32 a10, v24
	v_add_u32_e32 v80, s11, v72
	v_accvgpr_write_b32 a11, v25
	global_load_dwordx4 v[22:25], v[24:25], off
	v_accvgpr_write_b32 a12, v26
	v_ashrrev_i32_e32 v31, 31, v30
	v_ashrrev_i32_e32 v81, 31, v80
	v_accvgpr_write_b32 a13, v27
	global_load_dwordx4 v[26:29], v[26:27], off
	v_lshl_add_u64 v[34:35], v[30:31], 4, s[0:1]
	v_ashrrev_i32_e32 v39, 31, v38
	v_accvgpr_write_b32 a14, v32
	v_lshl_add_u64 v[76:77], v[80:81], 4, s[0:1]
	v_add_u32_e32 v80, s11, v80
	v_accvgpr_write_b32 a15, v33
	global_load_dwordx4 v[30:33], v[32:33], off
	v_accvgpr_write_b32 a16, v34
	v_lshl_add_u64 v[38:39], v[38:39], 4, s[0:1]
	v_ashrrev_i32_e32 v41, 31, v40
	v_add_u32_e32 v88, s11, v80
	v_accvgpr_write_b32 a17, v35
	global_load_dwordx4 v[34:37], v[34:35], off
	v_lshl_add_u64 v[42:43], v[40:41], 4, s[0:1]
	v_ashrrev_i32_e32 v47, 31, v46
	v_accvgpr_write_b32 a18, v38
	v_ashrrev_i32_e32 v89, 31, v88
	v_accvgpr_write_b32 a19, v39
	global_load_dwordx4 v[38:41], v[38:39], off
	v_accvgpr_write_b32 a20, v42
	v_lshl_add_u64 v[46:47], v[46:47], 4, s[0:1]
	v_ashrrev_i32_e32 v49, 31, v48
	v_lshl_add_u64 v[84:85], v[88:89], 4, s[0:1]
	v_add_u32_e32 v88, s11, v88
	v_accvgpr_write_b32 a21, v43
	global_load_dwordx4 v[42:45], v[42:43], off
	v_lshl_add_u64 v[50:51], v[48:49], 4, s[0:1]
	v_accvgpr_write_b32 a22, v46
	v_add_u32_e32 v96, s11, v88
	v_accvgpr_write_b32 a23, v47
	global_load_dwordx4 v[46:49], v[46:47], off
	v_accvgpr_write_b32 a24, v50
	v_ashrrev_i32_e32 v57, 31, v56
	v_ashrrev_i32_e32 v97, 31, v96
	v_accvgpr_write_b32 a25, v51
	global_load_dwordx4 v[50:53], v[50:51], off
	v_lshl_add_u64 v[60:61], v[56:57], 4, s[0:1]
	v_ashrrev_i32_e32 v65, 31, v64
	v_accvgpr_write_b32 a26, v58
	v_lshl_add_u64 v[92:93], v[96:97], 4, s[0:1]
	v_add_u32_e32 v96, s11, v96
	v_accvgpr_write_b32 a27, v59
	global_load_dwordx4 v[56:59], v[58:59], off
	v_accvgpr_write_b32 a28, v60
	v_lshl_add_u64 v[64:65], v[64:65], 4, s[0:1]
	v_ashrrev_i32_e32 v67, 31, v66
	v_add_u32_e32 v104, s11, v96
	v_accvgpr_write_b32 a29, v61
	global_load_dwordx4 v[60:63], v[60:61], off
	v_lshl_add_u64 v[68:69], v[66:67], 4, s[0:1]
	v_ashrrev_i32_e32 v73, 31, v72
	v_accvgpr_write_b32 a30, v64
	v_ashrrev_i32_e32 v105, 31, v104
	v_accvgpr_write_b32 a31, v65
	global_load_dwordx4 v[64:67], v[64:65], off
	v_accvgpr_write_b32 a32, v68
	v_lshl_add_u64 v[74:75], v[72:73], 4, s[0:1]
	v_lshl_add_u64 v[100:101], v[104:105], 4, s[0:1]
	v_add_u32_e32 v104, s11, v104
	v_accvgpr_write_b32 a33, v69
	global_load_dwordx4 v[68:71], v[68:69], off
	v_accvgpr_write_b32 a34, v74
	v_ashrrev_i32_e32 v81, 31, v80
	v_add_u32_e32 v112, s11, v104
	v_accvgpr_write_b32 a35, v75
	global_load_dwordx4 v[72:75], v[74:75], off
	v_accvgpr_write_b32 a36, v76
	v_lshl_add_u64 v[82:83], v[80:81], 4, s[0:1]
	v_ashrrev_i32_e32 v113, 31, v112
	v_accvgpr_write_b32 a37, v77
	global_load_dwordx4 v[76:79], v[76:77], off
	v_accvgpr_write_b32 a38, v82
	v_ashrrev_i32_e32 v89, 31, v88
	v_lshl_add_u64 v[108:109], v[112:113], 4, s[0:1]
	v_add_u32_e32 v112, s11, v112
	v_accvgpr_write_b32 a39, v83
	global_load_dwordx4 v[80:83], v[82:83], off
	v_accvgpr_write_b32 a40, v84
	v_lshl_add_u64 v[90:91], v[88:89], 4, s[0:1]
	v_add_u32_e32 v120, s11, v112
	v_accvgpr_write_b32 a41, v85
	global_load_dwordx4 v[84:87], v[84:85], off
	v_accvgpr_write_b32 a42, v90
	v_ashrrev_i32_e32 v97, 31, v96
	v_ashrrev_i32_e32 v121, 31, v120
	v_accvgpr_write_b32 a43, v91
	global_load_dwordx4 v[88:91], v[90:91], off
	v_accvgpr_write_b32 a44, v92
	v_lshl_add_u64 v[98:99], v[96:97], 4, s[0:1]
	v_lshl_add_u64 v[116:117], v[120:121], 4, s[0:1]
	v_add_u32_e32 v120, s11, v120
	v_accvgpr_write_b32 a45, v93
	global_load_dwordx4 v[92:95], v[92:93], off
	v_accvgpr_write_b32 a46, v98
	v_ashrrev_i32_e32 v105, 31, v104
	v_add_u32_e32 v128, s11, v120
	v_accvgpr_write_b32 a47, v99
	global_load_dwordx4 v[96:99], v[98:99], off
	v_accvgpr_write_b32 a48, v100
	v_lshl_add_u64 v[106:107], v[104:105], 4, s[0:1]
	v_ashrrev_i32_e32 v129, 31, v128
	v_accvgpr_write_b32 a49, v101
	global_load_dwordx4 v[100:103], v[100:101], off
	v_accvgpr_write_b32 a50, v106
	v_ashrrev_i32_e32 v113, 31, v112
	v_lshl_add_u64 v[124:125], v[128:129], 4, s[0:1]
	v_add_u32_e32 v128, s11, v128
	v_accvgpr_write_b32 a51, v107
	global_load_dwordx4 v[104:107], v[106:107], off
	v_accvgpr_write_b32 a52, v108
	v_lshl_add_u64 v[114:115], v[112:113], 4, s[0:1]
	v_add_u32_e32 v136, s11, v128
	v_accvgpr_write_b32 a53, v109
	global_load_dwordx4 v[108:111], v[108:109], off
	v_accvgpr_write_b32 a54, v114
	v_ashrrev_i32_e32 v121, 31, v120
	;; [unrolled: 32-line block ×3, first 2 shown]
	v_ashrrev_i32_e32 v153, 31, v152
	v_accvgpr_write_b32 a67, v139
	global_load_dwordx4 v[136:139], v[138:139], off
	v_accvgpr_write_b32 a68, v140
	v_lshl_add_u64 v[146:147], v[144:145], 4, s[0:1]
	v_lshl_add_u64 v[148:149], v[152:153], 4, s[0:1]
	v_add_u32_e32 v152, s11, v152
	v_accvgpr_write_b32 a69, v141
	global_load_dwordx4 v[140:143], v[140:141], off
	v_accvgpr_write_b32 a70, v146
	v_ashrrev_i32_e32 v153, 31, v152
	v_accvgpr_write_b32 a71, v147
	global_load_dwordx4 v[144:147], v[146:147], off
	v_accvgpr_write_b32 a72, v148
	v_lshl_add_u64 v[152:153], v[152:153], 4, s[0:1]
	v_accvgpr_write_b32 a73, v149
	global_load_dwordx4 v[148:151], v[148:149], off
	v_accvgpr_write_b32 a74, v152
	v_accvgpr_write_b32 a75, v153
	global_load_dwordx4 v[152:155], v[152:153], off
	s_movk_i32 s0, 0x50
	s_add_i32 s21, s0, 16
	s_movk_i32 s0, 0x60
	s_add_i32 s23, s0, 16
	;; [unrolled: 2-line block ×33, first 2 shown]
	s_mov_b32 s15, 32
	s_mov_b32 s12, 48
	;; [unrolled: 1-line block ×3, first 2 shown]
	s_movk_i32 s14, 0x50
	s_bitcmp0_b32 s4, 0
	s_mov_b64 s[4:5], -1
	s_waitcnt vmcnt(37)
	scratch_store_dwordx4 off, v[2:5], off offset:16
	s_waitcnt vmcnt(37)
	scratch_store_dwordx4 off, v[6:9], off offset:32
	;; [unrolled: 2-line block ×38, first 2 shown]
	s_cbranch_scc1 .LBB37_164
; %bb.4:
	v_cmp_eq_u32_e64 s[0:1], 0, v0
	s_and_saveexec_b64 s[4:5], s[0:1]
; %bb.5:
	v_mov_b32_e32 v1, 0
	ds_write_b32 v1, v1 offset:1216
; %bb.6:
	s_or_b64 exec, exec, s[4:5]
	s_waitcnt lgkmcnt(0)
	; wave barrier
	scratch_load_dwordx4 v[2:5], v54, off offset:16
	s_waitcnt vmcnt(0)
	v_cmp_eq_f64_e32 vcc, 0, v[2:3]
	v_cmp_eq_f64_e64 s[4:5], 0, v[4:5]
	s_and_b64 s[4:5], vcc, s[4:5]
	s_and_saveexec_b64 s[8:9], s[4:5]
	s_cbranch_execz .LBB37_10
; %bb.7:
	v_mov_b32_e32 v1, 0
	ds_read_b32 v3, v1 offset:1216
	v_add_u32_e32 v2, 1, v0
	s_waitcnt lgkmcnt(0)
	v_readfirstlane_b32 s4, v3
	s_cmp_eq_u32 s4, 0
	s_cselect_b64 s[10:11], -1, 0
	v_cmp_gt_i32_e32 vcc, s4, v2
	s_or_b64 s[10:11], s[10:11], vcc
	s_and_b64 exec, exec, s[10:11]
	s_cbranch_execz .LBB37_10
; %bb.8:
	s_mov_b64 s[10:11], 0
	v_mov_b32_e32 v3, s4
.LBB37_9:                               ; =>This Inner Loop Header: Depth=1
	ds_cmpst_rtn_b32 v3, v1, v3, v2 offset:1216
	s_waitcnt lgkmcnt(0)
	v_cmp_ne_u32_e32 vcc, 0, v3
	v_cmp_le_i32_e64 s[4:5], v3, v2
	s_and_b64 s[4:5], vcc, s[4:5]
	s_and_b64 s[4:5], exec, s[4:5]
	s_or_b64 s[10:11], s[4:5], s[10:11]
	s_andn2_b64 exec, exec, s[10:11]
	s_cbranch_execnz .LBB37_9
.LBB37_10:
	s_or_b64 exec, exec, s[8:9]
	v_mov_b32_e32 v2, 0
	; wave barrier
	ds_read_b32 v1, v2 offset:1216
	s_and_saveexec_b64 s[4:5], s[0:1]
	s_cbranch_execz .LBB37_12
; %bb.11:
	s_lshl_b64 s[8:9], s[2:3], 2
	s_add_u32 s8, s6, s8
	s_addc_u32 s9, s7, s9
	s_waitcnt lgkmcnt(0)
	global_store_dword v2, v1, s[8:9]
.LBB37_12:
	s_or_b64 exec, exec, s[4:5]
	s_waitcnt lgkmcnt(0)
	v_cmp_ne_u32_e32 vcc, 0, v1
	s_mov_b64 s[4:5], 0
	s_cbranch_vccnz .LBB37_164
; %bb.13:
	v_add_u32_e32 v14, 16, v54
	scratch_load_dwordx4 v[2:5], v14, off
                                        ; implicit-def: $vgpr6_vgpr7
                                        ; implicit-def: $vgpr10_vgpr11
	s_waitcnt vmcnt(0)
	v_cmp_ngt_f64_e64 s[4:5], |v[2:3]|, |v[4:5]|
	s_and_saveexec_b64 s[8:9], s[4:5]
	s_xor_b64 s[4:5], exec, s[8:9]
	s_cbranch_execz .LBB37_15
; %bb.14:
	v_div_scale_f64 v[6:7], s[8:9], v[4:5], v[4:5], v[2:3]
	v_rcp_f64_e32 v[8:9], v[6:7]
	v_div_scale_f64 v[10:11], vcc, v[2:3], v[4:5], v[2:3]
	v_fma_f64 v[12:13], -v[6:7], v[8:9], 1.0
	v_fmac_f64_e32 v[8:9], v[8:9], v[12:13]
	v_fma_f64 v[12:13], -v[6:7], v[8:9], 1.0
	v_fmac_f64_e32 v[8:9], v[8:9], v[12:13]
	v_mul_f64 v[12:13], v[10:11], v[8:9]
	v_fma_f64 v[6:7], -v[6:7], v[12:13], v[10:11]
	v_div_fmas_f64 v[6:7], v[6:7], v[8:9], v[12:13]
	v_div_fixup_f64 v[6:7], v[6:7], v[4:5], v[2:3]
	v_fmac_f64_e32 v[4:5], v[2:3], v[6:7]
	v_div_scale_f64 v[2:3], s[8:9], v[4:5], v[4:5], 1.0
	v_rcp_f64_e32 v[8:9], v[2:3]
	s_nop 0
	v_fma_f64 v[10:11], -v[2:3], v[8:9], 1.0
	v_fmac_f64_e32 v[8:9], v[8:9], v[10:11]
	v_fma_f64 v[10:11], -v[2:3], v[8:9], 1.0
	v_fmac_f64_e32 v[8:9], v[8:9], v[10:11]
	v_div_scale_f64 v[10:11], vcc, 1.0, v[4:5], 1.0
	v_mul_f64 v[12:13], v[10:11], v[8:9]
	v_fma_f64 v[2:3], -v[2:3], v[12:13], v[10:11]
	s_nop 1
	v_div_fmas_f64 v[2:3], v[2:3], v[8:9], v[12:13]
	v_div_fixup_f64 v[8:9], v[2:3], v[4:5], 1.0
	v_mul_f64 v[6:7], v[6:7], v[8:9]
	v_xor_b32_e32 v9, 0x80000000, v9
	v_xor_b32_e32 v11, 0x80000000, v7
	v_mov_b32_e32 v10, v6
                                        ; implicit-def: $vgpr2_vgpr3
.LBB37_15:
	s_andn2_saveexec_b64 s[4:5], s[4:5]
	s_cbranch_execz .LBB37_17
; %bb.16:
	v_div_scale_f64 v[6:7], s[8:9], v[2:3], v[2:3], v[4:5]
	v_rcp_f64_e32 v[8:9], v[6:7]
	v_div_scale_f64 v[10:11], vcc, v[4:5], v[2:3], v[4:5]
	v_fma_f64 v[12:13], -v[6:7], v[8:9], 1.0
	v_fmac_f64_e32 v[8:9], v[8:9], v[12:13]
	v_fma_f64 v[12:13], -v[6:7], v[8:9], 1.0
	v_fmac_f64_e32 v[8:9], v[8:9], v[12:13]
	v_mul_f64 v[12:13], v[10:11], v[8:9]
	v_fma_f64 v[6:7], -v[6:7], v[12:13], v[10:11]
	v_div_fmas_f64 v[6:7], v[6:7], v[8:9], v[12:13]
	v_div_fixup_f64 v[8:9], v[6:7], v[2:3], v[4:5]
	v_fmac_f64_e32 v[2:3], v[4:5], v[8:9]
	v_div_scale_f64 v[4:5], s[8:9], v[2:3], v[2:3], 1.0
	v_rcp_f64_e32 v[6:7], v[4:5]
	s_nop 0
	v_fma_f64 v[10:11], -v[4:5], v[6:7], 1.0
	v_fmac_f64_e32 v[6:7], v[6:7], v[10:11]
	v_fma_f64 v[10:11], -v[4:5], v[6:7], 1.0
	v_fmac_f64_e32 v[6:7], v[6:7], v[10:11]
	v_div_scale_f64 v[10:11], vcc, 1.0, v[2:3], 1.0
	v_mul_f64 v[12:13], v[10:11], v[6:7]
	v_fma_f64 v[4:5], -v[4:5], v[12:13], v[10:11]
	s_nop 1
	v_div_fmas_f64 v[4:5], v[4:5], v[6:7], v[12:13]
	v_div_fixup_f64 v[6:7], v[4:5], v[2:3], 1.0
	v_xor_b32_e32 v11, 0x80000000, v7
	v_mov_b32_e32 v10, v6
	v_mul_f64 v[8:9], v[8:9], -v[6:7]
.LBB37_17:
	s_or_b64 exec, exec, s[4:5]
	scratch_store_dwordx4 v14, v[6:9], off
	scratch_load_dwordx4 v[2:5], off, s15
	v_xor_b32_e32 v13, 0x80000000, v9
	v_mov_b32_e32 v12, v8
	v_add_u32_e32 v1, 0x260, v54
	ds_write_b128 v54, v[10:13]
	s_waitcnt vmcnt(0)
	ds_write_b128 v54, v[2:5] offset:608
	s_waitcnt lgkmcnt(0)
	; wave barrier
	s_and_saveexec_b64 s[4:5], s[0:1]
	s_cbranch_execz .LBB37_19
; %bb.18:
	scratch_load_dwordx4 v[2:5], v14, off
	ds_read_b128 v[6:9], v1
	v_mov_b32_e32 v10, 0
	ds_read_b128 v[10:13], v10 offset:16
	s_waitcnt vmcnt(0) lgkmcnt(1)
	v_mul_f64 v[16:17], v[8:9], v[4:5]
	v_mul_f64 v[4:5], v[6:7], v[4:5]
	v_fma_f64 v[6:7], v[6:7], v[2:3], -v[16:17]
	v_fmac_f64_e32 v[4:5], v[8:9], v[2:3]
	v_add_f64 v[2:3], v[6:7], 0
	v_add_f64 v[6:7], v[4:5], 0
	s_waitcnt lgkmcnt(0)
	v_mul_f64 v[8:9], v[6:7], v[12:13]
	v_mul_f64 v[4:5], v[2:3], v[12:13]
	v_fma_f64 v[2:3], v[2:3], v[10:11], -v[8:9]
	v_fmac_f64_e32 v[4:5], v[6:7], v[10:11]
	scratch_store_dwordx4 off, v[2:5], off offset:32
.LBB37_19:
	s_or_b64 exec, exec, s[4:5]
	; wave barrier
	scratch_load_dwordx4 v[2:5], off, s12
	v_cmp_gt_u32_e32 vcc, 2, v0
	s_waitcnt vmcnt(0)
	ds_write_b128 v1, v[2:5]
	s_waitcnt lgkmcnt(0)
	; wave barrier
	s_and_saveexec_b64 s[4:5], vcc
	s_cbranch_execz .LBB37_23
; %bb.20:
	scratch_load_dwordx4 v[2:5], v14, off
	ds_read_b128 v[6:9], v1
	s_waitcnt vmcnt(0) lgkmcnt(0)
	v_mul_f64 v[10:11], v[8:9], v[4:5]
	v_mul_f64 v[12:13], v[6:7], v[4:5]
	v_fma_f64 v[4:5], v[6:7], v[2:3], -v[10:11]
	v_fmac_f64_e32 v[12:13], v[8:9], v[2:3]
	v_add_f64 v[4:5], v[4:5], 0
	v_add_f64 v[2:3], v[12:13], 0
	s_and_saveexec_b64 s[8:9], s[0:1]
	s_cbranch_execz .LBB37_22
; %bb.21:
	scratch_load_dwordx4 v[6:9], off, off offset:32
	v_mov_b32_e32 v10, 0
	ds_read_b128 v[10:13], v10 offset:624
	s_waitcnt vmcnt(0) lgkmcnt(0)
	v_mul_f64 v[14:15], v[10:11], v[8:9]
	v_mul_f64 v[8:9], v[12:13], v[8:9]
	v_fmac_f64_e32 v[14:15], v[12:13], v[6:7]
	v_fma_f64 v[6:7], v[10:11], v[6:7], -v[8:9]
	v_add_f64 v[2:3], v[2:3], v[14:15]
	v_add_f64 v[4:5], v[4:5], v[6:7]
.LBB37_22:
	s_or_b64 exec, exec, s[8:9]
	v_mov_b32_e32 v6, 0
	ds_read_b128 v[6:9], v6 offset:32
	s_waitcnt lgkmcnt(0)
	v_mul_f64 v[12:13], v[2:3], v[8:9]
	v_mul_f64 v[10:11], v[4:5], v[8:9]
	v_fma_f64 v[8:9], v[4:5], v[6:7], -v[12:13]
	v_fmac_f64_e32 v[10:11], v[2:3], v[6:7]
	scratch_store_dwordx4 off, v[8:11], off offset:48
.LBB37_23:
	s_or_b64 exec, exec, s[4:5]
	; wave barrier
	scratch_load_dwordx4 v[2:5], off, s13
	v_cmp_gt_u32_e32 vcc, 3, v0
	v_add_u32_e32 v6, -1, v0
	s_waitcnt vmcnt(0)
	ds_write_b128 v1, v[2:5]
	s_waitcnt lgkmcnt(0)
	; wave barrier
	s_and_saveexec_b64 s[0:1], vcc
	s_cbranch_execz .LBB37_27
; %bb.24:
	v_add_u32_e32 v7, -1, v0
	v_add_u32_e32 v8, 0x260, v54
	v_add_u32_e32 v9, 16, v54
	v_mov_b64_e32 v[2:3], 0
	s_mov_b64 s[4:5], 0
	v_mov_b64_e32 v[4:5], 0
.LBB37_25:                              ; =>This Inner Loop Header: Depth=1
	scratch_load_dwordx4 v[10:13], v9, off
	ds_read_b128 v[14:17], v8
	v_add_u32_e32 v7, 1, v7
	v_cmp_lt_u32_e32 vcc, 1, v7
	v_add_u32_e32 v8, 16, v8
	v_add_u32_e32 v9, 16, v9
	s_or_b64 s[4:5], vcc, s[4:5]
	s_waitcnt vmcnt(0) lgkmcnt(0)
	v_mul_f64 v[18:19], v[16:17], v[12:13]
	v_mul_f64 v[12:13], v[14:15], v[12:13]
	v_fma_f64 v[14:15], v[14:15], v[10:11], -v[18:19]
	v_fmac_f64_e32 v[12:13], v[16:17], v[10:11]
	v_add_f64 v[4:5], v[4:5], v[14:15]
	v_add_f64 v[2:3], v[2:3], v[12:13]
	s_andn2_b64 exec, exec, s[4:5]
	s_cbranch_execnz .LBB37_25
; %bb.26:
	s_or_b64 exec, exec, s[4:5]
	v_mov_b32_e32 v7, 0
	ds_read_b128 v[8:11], v7 offset:48
	s_waitcnt lgkmcnt(0)
	v_mul_f64 v[14:15], v[2:3], v[10:11]
	v_mul_f64 v[12:13], v[4:5], v[10:11]
	v_fma_f64 v[10:11], v[4:5], v[8:9], -v[14:15]
	v_fmac_f64_e32 v[12:13], v[2:3], v[8:9]
	scratch_store_dwordx4 off, v[10:13], off offset:64
.LBB37_27:
	s_or_b64 exec, exec, s[0:1]
	; wave barrier
	scratch_load_dwordx4 v[2:5], off, s14
	v_cmp_gt_u32_e32 vcc, 4, v0
	s_waitcnt vmcnt(0)
	ds_write_b128 v1, v[2:5]
	s_waitcnt lgkmcnt(0)
	; wave barrier
	s_and_saveexec_b64 s[0:1], vcc
	s_cbranch_execz .LBB37_31
; %bb.28:
	v_add_u32_e32 v7, -1, v0
	v_add_u32_e32 v8, 0x260, v54
	v_add_u32_e32 v9, 16, v54
	v_mov_b64_e32 v[2:3], 0
	s_mov_b64 s[4:5], 0
	v_mov_b64_e32 v[4:5], 0
.LBB37_29:                              ; =>This Inner Loop Header: Depth=1
	scratch_load_dwordx4 v[10:13], v9, off
	ds_read_b128 v[14:17], v8
	v_add_u32_e32 v7, 1, v7
	v_cmp_lt_u32_e32 vcc, 2, v7
	v_add_u32_e32 v8, 16, v8
	v_add_u32_e32 v9, 16, v9
	s_or_b64 s[4:5], vcc, s[4:5]
	s_waitcnt vmcnt(0) lgkmcnt(0)
	v_mul_f64 v[18:19], v[16:17], v[12:13]
	v_mul_f64 v[12:13], v[14:15], v[12:13]
	v_fma_f64 v[14:15], v[14:15], v[10:11], -v[18:19]
	v_fmac_f64_e32 v[12:13], v[16:17], v[10:11]
	v_add_f64 v[4:5], v[4:5], v[14:15]
	v_add_f64 v[2:3], v[2:3], v[12:13]
	s_andn2_b64 exec, exec, s[4:5]
	s_cbranch_execnz .LBB37_29
; %bb.30:
	s_or_b64 exec, exec, s[4:5]
	v_mov_b32_e32 v7, 0
	ds_read_b128 v[8:11], v7 offset:64
	s_waitcnt lgkmcnt(0)
	v_mul_f64 v[14:15], v[2:3], v[10:11]
	v_mul_f64 v[12:13], v[4:5], v[10:11]
	v_fma_f64 v[10:11], v[4:5], v[8:9], -v[14:15]
	v_fmac_f64_e32 v[12:13], v[2:3], v[8:9]
	scratch_store_dwordx4 off, v[10:13], off offset:80
.LBB37_31:
	s_or_b64 exec, exec, s[0:1]
	; wave barrier
	scratch_load_dwordx4 v[2:5], off, s21
	v_cmp_gt_u32_e32 vcc, 5, v0
	;; [unrolled: 45-line block ×19, first 2 shown]
	s_waitcnt vmcnt(0)
	ds_write_b128 v1, v[2:5]
	s_waitcnt lgkmcnt(0)
	; wave barrier
	s_and_saveexec_b64 s[0:1], vcc
	s_cbranch_execz .LBB37_103
; %bb.100:
	v_add_u32_e32 v7, -1, v0
	v_add_u32_e32 v8, 0x260, v54
	v_add_u32_e32 v9, 16, v54
	v_mov_b64_e32 v[2:3], 0
	s_mov_b64 s[4:5], 0
	v_mov_b64_e32 v[4:5], 0
.LBB37_101:                             ; =>This Inner Loop Header: Depth=1
	scratch_load_dwordx4 v[10:13], v9, off
	ds_read_b128 v[14:17], v8
	v_add_u32_e32 v7, 1, v7
	v_cmp_lt_u32_e32 vcc, 20, v7
	v_add_u32_e32 v8, 16, v8
	v_add_u32_e32 v9, 16, v9
	s_or_b64 s[4:5], vcc, s[4:5]
	s_waitcnt vmcnt(0) lgkmcnt(0)
	v_mul_f64 v[18:19], v[16:17], v[12:13]
	v_mul_f64 v[12:13], v[14:15], v[12:13]
	v_fma_f64 v[14:15], v[14:15], v[10:11], -v[18:19]
	v_fmac_f64_e32 v[12:13], v[16:17], v[10:11]
	v_add_f64 v[4:5], v[4:5], v[14:15]
	v_add_f64 v[2:3], v[2:3], v[12:13]
	s_andn2_b64 exec, exec, s[4:5]
	s_cbranch_execnz .LBB37_101
; %bb.102:
	s_or_b64 exec, exec, s[4:5]
	v_mov_b32_e32 v7, 0
	ds_read_b128 v[8:11], v7 offset:352
	s_waitcnt lgkmcnt(0)
	v_mul_f64 v[14:15], v[2:3], v[10:11]
	v_mul_f64 v[12:13], v[4:5], v[10:11]
	v_fma_f64 v[10:11], v[4:5], v[8:9], -v[14:15]
	v_fmac_f64_e32 v[12:13], v[2:3], v[8:9]
	scratch_store_dwordx4 off, v[10:13], off offset:368
.LBB37_103:
	s_or_b64 exec, exec, s[0:1]
	; wave barrier
	scratch_load_dwordx4 v[2:5], off, s37
	v_cmp_gt_u32_e32 vcc, 23, v0
	s_waitcnt vmcnt(0)
	ds_write_b128 v1, v[2:5]
	s_waitcnt lgkmcnt(0)
	; wave barrier
	s_and_saveexec_b64 s[0:1], vcc
	s_cbranch_execz .LBB37_107
; %bb.104:
	v_add_u32_e32 v7, -1, v0
	v_add_u32_e32 v8, 0x260, v54
	v_add_u32_e32 v9, 16, v54
	v_mov_b64_e32 v[2:3], 0
	s_mov_b64 s[4:5], 0
	v_mov_b64_e32 v[4:5], 0
.LBB37_105:                             ; =>This Inner Loop Header: Depth=1
	scratch_load_dwordx4 v[10:13], v9, off
	ds_read_b128 v[14:17], v8
	v_add_u32_e32 v7, 1, v7
	v_cmp_lt_u32_e32 vcc, 21, v7
	v_add_u32_e32 v8, 16, v8
	v_add_u32_e32 v9, 16, v9
	s_or_b64 s[4:5], vcc, s[4:5]
	s_waitcnt vmcnt(0) lgkmcnt(0)
	v_mul_f64 v[18:19], v[16:17], v[12:13]
	v_mul_f64 v[12:13], v[14:15], v[12:13]
	v_fma_f64 v[14:15], v[14:15], v[10:11], -v[18:19]
	v_fmac_f64_e32 v[12:13], v[16:17], v[10:11]
	v_add_f64 v[4:5], v[4:5], v[14:15]
	v_add_f64 v[2:3], v[2:3], v[12:13]
	s_andn2_b64 exec, exec, s[4:5]
	s_cbranch_execnz .LBB37_105
; %bb.106:
	s_or_b64 exec, exec, s[4:5]
	v_mov_b32_e32 v7, 0
	ds_read_b128 v[8:11], v7 offset:368
	s_waitcnt lgkmcnt(0)
	v_mul_f64 v[14:15], v[2:3], v[10:11]
	v_mul_f64 v[12:13], v[4:5], v[10:11]
	v_fma_f64 v[10:11], v[4:5], v[8:9], -v[14:15]
	v_fmac_f64_e32 v[12:13], v[2:3], v[8:9]
	scratch_store_dwordx4 off, v[10:13], off offset:384
.LBB37_107:
	s_or_b64 exec, exec, s[0:1]
	; wave barrier
	scratch_load_dwordx4 v[2:5], off, s38
	v_cmp_gt_u32_e32 vcc, 24, v0
	;; [unrolled: 45-line block ×14, first 2 shown]
	s_waitcnt vmcnt(0)
	ds_write_b128 v1, v[2:5]
	s_waitcnt lgkmcnt(0)
	; wave barrier
	s_and_saveexec_b64 s[0:1], vcc
	s_cbranch_execz .LBB37_159
; %bb.156:
	v_add_u32_e32 v7, -1, v0
	v_add_u32_e32 v8, 0x260, v54
	v_add_u32_e32 v9, 16, v54
	v_mov_b64_e32 v[2:3], 0
	s_mov_b64 s[4:5], 0
	v_mov_b64_e32 v[4:5], 0
.LBB37_157:                             ; =>This Inner Loop Header: Depth=1
	scratch_load_dwordx4 v[10:13], v9, off
	ds_read_b128 v[14:17], v8
	v_add_u32_e32 v7, 1, v7
	v_cmp_lt_u32_e32 vcc, 34, v7
	v_add_u32_e32 v8, 16, v8
	v_add_u32_e32 v9, 16, v9
	s_or_b64 s[4:5], vcc, s[4:5]
	s_waitcnt vmcnt(0) lgkmcnt(0)
	v_mul_f64 v[18:19], v[16:17], v[12:13]
	v_mul_f64 v[12:13], v[14:15], v[12:13]
	v_fma_f64 v[14:15], v[14:15], v[10:11], -v[18:19]
	v_fmac_f64_e32 v[12:13], v[16:17], v[10:11]
	v_add_f64 v[4:5], v[4:5], v[14:15]
	v_add_f64 v[2:3], v[2:3], v[12:13]
	s_andn2_b64 exec, exec, s[4:5]
	s_cbranch_execnz .LBB37_157
; %bb.158:
	s_or_b64 exec, exec, s[4:5]
	v_mov_b32_e32 v7, 0
	ds_read_b128 v[8:11], v7 offset:576
	s_waitcnt lgkmcnt(0)
	v_mul_f64 v[14:15], v[2:3], v[10:11]
	v_mul_f64 v[12:13], v[4:5], v[10:11]
	v_fma_f64 v[10:11], v[4:5], v[8:9], -v[14:15]
	v_fmac_f64_e32 v[12:13], v[2:3], v[8:9]
	scratch_store_dwordx4 off, v[10:13], off offset:592
.LBB37_159:
	s_or_b64 exec, exec, s[0:1]
	; wave barrier
	scratch_load_dwordx4 v[2:5], off, s51
	v_cmp_ne_u32_e32 vcc, 37, v0
	s_waitcnt vmcnt(0)
	ds_write_b128 v1, v[2:5]
	s_waitcnt lgkmcnt(0)
	; wave barrier
	s_and_saveexec_b64 s[0:1], vcc
	s_cbranch_execz .LBB37_163
; %bb.160:
	v_add_u32_e32 v1, 0x260, v54
	v_add_u32_e32 v7, 16, v54
	v_mov_b64_e32 v[2:3], 0
	s_mov_b64 s[4:5], 0
	v_mov_b64_e32 v[4:5], 0
.LBB37_161:                             ; =>This Inner Loop Header: Depth=1
	scratch_load_dwordx4 v[8:11], v7, off
	ds_read_b128 v[12:15], v1
	v_add_u32_e32 v6, 1, v6
	v_cmp_lt_u32_e32 vcc, 35, v6
	v_add_u32_e32 v1, 16, v1
	v_add_u32_e32 v7, 16, v7
	s_or_b64 s[4:5], vcc, s[4:5]
	s_waitcnt vmcnt(0) lgkmcnt(0)
	v_mul_f64 v[16:17], v[14:15], v[10:11]
	v_mul_f64 v[10:11], v[12:13], v[10:11]
	v_fma_f64 v[12:13], v[12:13], v[8:9], -v[16:17]
	v_fmac_f64_e32 v[10:11], v[14:15], v[8:9]
	v_add_f64 v[4:5], v[4:5], v[12:13]
	v_add_f64 v[2:3], v[2:3], v[10:11]
	s_andn2_b64 exec, exec, s[4:5]
	s_cbranch_execnz .LBB37_161
; %bb.162:
	s_or_b64 exec, exec, s[4:5]
	v_mov_b32_e32 v1, 0
	ds_read_b128 v[6:9], v1 offset:592
	s_waitcnt lgkmcnt(0)
	v_mul_f64 v[12:13], v[2:3], v[8:9]
	v_mul_f64 v[10:11], v[4:5], v[8:9]
	v_fma_f64 v[8:9], v[4:5], v[6:7], -v[12:13]
	v_fmac_f64_e32 v[10:11], v[2:3], v[6:7]
	scratch_store_dwordx4 off, v[8:11], off offset:608
.LBB37_163:
	s_or_b64 exec, exec, s[0:1]
	s_mov_b64 s[4:5], -1
	; wave barrier
.LBB37_164:
	s_and_b64 vcc, exec, s[4:5]
	s_cbranch_vccz .LBB37_166
; %bb.165:
	s_lshl_b64 s[0:1], s[2:3], 2
	s_add_u32 s0, s6, s0
	s_addc_u32 s1, s7, s1
	v_mov_b32_e32 v1, 0
	global_load_dword v1, v1, s[0:1]
	s_waitcnt vmcnt(0)
	v_cmp_ne_u32_e32 vcc, 0, v1
	s_cbranch_vccz .LBB37_167
.LBB37_166:
	s_endpgm
.LBB37_167:
	v_mov_b32_e32 v1, 0x260
	v_lshl_add_u32 v1, v0, 4, v1
	v_cmp_eq_u32_e32 vcc, 37, v0
	s_and_saveexec_b64 s[0:1], vcc
	s_cbranch_execz .LBB37_169
; %bb.168:
	scratch_load_dwordx4 v[2:5], off, s50
	v_mov_b32_e32 v6, 0
	v_mov_b32_e32 v7, v6
	;; [unrolled: 1-line block ×4, first 2 shown]
	scratch_store_dwordx4 off, v[6:9], off offset:592
	s_waitcnt vmcnt(1)
	ds_write_b128 v1, v[2:5]
.LBB37_169:
	s_or_b64 exec, exec, s[0:1]
	s_waitcnt lgkmcnt(0)
	; wave barrier
	scratch_load_dwordx4 v[4:7], off, off offset:608
	scratch_load_dwordx4 v[8:11], off, off offset:592
	v_mov_b32_e32 v2, 0
	ds_read_b128 v[12:15], v2 offset:1200
	v_cmp_lt_u32_e32 vcc, 35, v0
	s_waitcnt vmcnt(1) lgkmcnt(0)
	v_mul_f64 v[16:17], v[12:13], v[6:7]
	v_mul_f64 v[6:7], v[14:15], v[6:7]
	v_fmac_f64_e32 v[16:17], v[14:15], v[4:5]
	v_fma_f64 v[4:5], v[12:13], v[4:5], -v[6:7]
	v_add_f64 v[6:7], v[16:17], 0
	v_add_f64 v[4:5], v[4:5], 0
	s_waitcnt vmcnt(0)
	v_add_f64 v[4:5], v[8:9], -v[4:5]
	v_add_f64 v[6:7], v[10:11], -v[6:7]
	scratch_store_dwordx4 off, v[4:7], off offset:592
	s_and_saveexec_b64 s[0:1], vcc
	s_cbranch_execz .LBB37_171
; %bb.170:
	scratch_load_dwordx4 v[6:9], off, s49
	v_mov_b32_e32 v3, v2
	v_mov_b32_e32 v4, v2
	;; [unrolled: 1-line block ×3, first 2 shown]
	scratch_store_dwordx4 off, v[2:5], off offset:576
	s_waitcnt vmcnt(1)
	ds_write_b128 v1, v[6:9]
.LBB37_171:
	s_or_b64 exec, exec, s[0:1]
	s_waitcnt lgkmcnt(0)
	; wave barrier
	scratch_load_dwordx4 v[4:7], off, off offset:592
	scratch_load_dwordx4 v[8:11], off, off offset:608
	;; [unrolled: 1-line block ×3, first 2 shown]
	ds_read_b128 v[16:19], v2 offset:1184
	ds_read_b128 v[20:23], v2 offset:1200
	v_cmp_lt_u32_e32 vcc, 34, v0
	s_waitcnt vmcnt(2) lgkmcnt(1)
	v_mul_f64 v[2:3], v[16:17], v[6:7]
	v_mul_f64 v[6:7], v[18:19], v[6:7]
	s_waitcnt vmcnt(1) lgkmcnt(0)
	v_mul_f64 v[24:25], v[20:21], v[10:11]
	v_mul_f64 v[10:11], v[22:23], v[10:11]
	v_fmac_f64_e32 v[2:3], v[18:19], v[4:5]
	v_fma_f64 v[4:5], v[16:17], v[4:5], -v[6:7]
	v_fmac_f64_e32 v[24:25], v[22:23], v[8:9]
	v_fma_f64 v[6:7], v[20:21], v[8:9], -v[10:11]
	v_add_f64 v[2:3], v[2:3], 0
	v_add_f64 v[4:5], v[4:5], 0
	;; [unrolled: 1-line block ×4, first 2 shown]
	s_waitcnt vmcnt(0)
	v_add_f64 v[2:3], v[12:13], -v[2:3]
	v_add_f64 v[4:5], v[14:15], -v[8:9]
	scratch_store_dwordx4 off, v[2:5], off offset:576
	s_and_saveexec_b64 s[0:1], vcc
	s_cbranch_execz .LBB37_173
; %bb.172:
	scratch_load_dwordx4 v[2:5], off, s48
	v_mov_b32_e32 v6, 0
	v_mov_b32_e32 v7, v6
	;; [unrolled: 1-line block ×4, first 2 shown]
	scratch_store_dwordx4 off, v[6:9], off offset:560
	s_waitcnt vmcnt(1)
	ds_write_b128 v1, v[2:5]
.LBB37_173:
	s_or_b64 exec, exec, s[0:1]
	s_waitcnt lgkmcnt(0)
	; wave barrier
	scratch_load_dwordx4 v[4:7], off, off offset:576
	scratch_load_dwordx4 v[8:11], off, off offset:592
	scratch_load_dwordx4 v[12:15], off, off offset:608
	scratch_load_dwordx4 v[16:19], off, off offset:560
	v_mov_b32_e32 v2, 0
	ds_read_b128 v[20:23], v2 offset:1168
	ds_read_b128 v[24:27], v2 offset:1184
	;; [unrolled: 1-line block ×3, first 2 shown]
	v_cmp_lt_u32_e32 vcc, 33, v0
	s_waitcnt vmcnt(3) lgkmcnt(2)
	v_mul_f64 v[32:33], v[20:21], v[6:7]
	v_mul_f64 v[6:7], v[22:23], v[6:7]
	s_waitcnt vmcnt(2) lgkmcnt(1)
	v_mul_f64 v[34:35], v[24:25], v[10:11]
	v_mul_f64 v[10:11], v[26:27], v[10:11]
	v_fmac_f64_e32 v[32:33], v[22:23], v[4:5]
	v_fma_f64 v[4:5], v[20:21], v[4:5], -v[6:7]
	s_waitcnt vmcnt(1) lgkmcnt(0)
	v_mul_f64 v[36:37], v[28:29], v[14:15]
	v_mul_f64 v[14:15], v[30:31], v[14:15]
	v_fmac_f64_e32 v[34:35], v[26:27], v[8:9]
	v_fma_f64 v[6:7], v[24:25], v[8:9], -v[10:11]
	v_add_f64 v[10:11], v[32:33], 0
	v_add_f64 v[4:5], v[4:5], 0
	v_fmac_f64_e32 v[36:37], v[30:31], v[12:13]
	v_fma_f64 v[8:9], v[28:29], v[12:13], -v[14:15]
	v_add_f64 v[10:11], v[10:11], v[34:35]
	v_add_f64 v[4:5], v[4:5], v[6:7]
	;; [unrolled: 1-line block ×4, first 2 shown]
	s_waitcnt vmcnt(0)
	v_add_f64 v[4:5], v[16:17], -v[4:5]
	v_add_f64 v[6:7], v[18:19], -v[6:7]
	scratch_store_dwordx4 off, v[4:7], off offset:560
	s_and_saveexec_b64 s[0:1], vcc
	s_cbranch_execz .LBB37_175
; %bb.174:
	scratch_load_dwordx4 v[6:9], off, s47
	v_mov_b32_e32 v3, v2
	v_mov_b32_e32 v4, v2
	v_mov_b32_e32 v5, v2
	scratch_store_dwordx4 off, v[2:5], off offset:544
	s_waitcnt vmcnt(1)
	ds_write_b128 v1, v[6:9]
.LBB37_175:
	s_or_b64 exec, exec, s[0:1]
	s_waitcnt lgkmcnt(0)
	; wave barrier
	scratch_load_dwordx4 v[4:7], off, off offset:560
	scratch_load_dwordx4 v[8:11], off, off offset:576
	scratch_load_dwordx4 v[12:15], off, off offset:592
	scratch_load_dwordx4 v[16:19], off, off offset:608
	scratch_load_dwordx4 v[20:23], off, off offset:544
	ds_read_b128 v[24:27], v2 offset:1152
	ds_read_b128 v[28:31], v2 offset:1168
	ds_read_b128 v[32:35], v2 offset:1184
	ds_read_b128 v[36:39], v2 offset:1200
	v_cmp_lt_u32_e32 vcc, 32, v0
	s_waitcnt vmcnt(4) lgkmcnt(3)
	v_mul_f64 v[2:3], v[24:25], v[6:7]
	v_mul_f64 v[6:7], v[26:27], v[6:7]
	s_waitcnt vmcnt(3) lgkmcnt(2)
	v_mul_f64 v[40:41], v[28:29], v[10:11]
	v_mul_f64 v[10:11], v[30:31], v[10:11]
	v_fmac_f64_e32 v[2:3], v[26:27], v[4:5]
	v_fma_f64 v[4:5], v[24:25], v[4:5], -v[6:7]
	s_waitcnt vmcnt(2) lgkmcnt(1)
	v_mul_f64 v[42:43], v[32:33], v[14:15]
	v_mul_f64 v[14:15], v[34:35], v[14:15]
	v_fmac_f64_e32 v[40:41], v[30:31], v[8:9]
	v_fma_f64 v[6:7], v[28:29], v[8:9], -v[10:11]
	v_add_f64 v[2:3], v[2:3], 0
	v_add_f64 v[4:5], v[4:5], 0
	s_waitcnt vmcnt(1) lgkmcnt(0)
	v_mul_f64 v[44:45], v[36:37], v[18:19]
	v_mul_f64 v[18:19], v[38:39], v[18:19]
	v_fmac_f64_e32 v[42:43], v[34:35], v[12:13]
	v_fma_f64 v[8:9], v[32:33], v[12:13], -v[14:15]
	v_add_f64 v[2:3], v[2:3], v[40:41]
	v_add_f64 v[4:5], v[4:5], v[6:7]
	v_fmac_f64_e32 v[44:45], v[38:39], v[16:17]
	v_fma_f64 v[10:11], v[36:37], v[16:17], -v[18:19]
	v_add_f64 v[2:3], v[2:3], v[42:43]
	v_add_f64 v[4:5], v[4:5], v[8:9]
	;; [unrolled: 1-line block ×4, first 2 shown]
	s_waitcnt vmcnt(0)
	v_add_f64 v[2:3], v[20:21], -v[2:3]
	v_add_f64 v[4:5], v[22:23], -v[6:7]
	scratch_store_dwordx4 off, v[2:5], off offset:544
	s_and_saveexec_b64 s[0:1], vcc
	s_cbranch_execz .LBB37_177
; %bb.176:
	scratch_load_dwordx4 v[2:5], off, s46
	v_mov_b32_e32 v6, 0
	v_mov_b32_e32 v7, v6
	;; [unrolled: 1-line block ×4, first 2 shown]
	scratch_store_dwordx4 off, v[6:9], off offset:528
	s_waitcnt vmcnt(1)
	ds_write_b128 v1, v[2:5]
.LBB37_177:
	s_or_b64 exec, exec, s[0:1]
	v_mov_b32_e32 v2, 0
	s_waitcnt lgkmcnt(0)
	; wave barrier
	ds_read_b128 v[4:7], v2 offset:1136
	ds_read_b128 v[8:11], v2 offset:1152
	;; [unrolled: 1-line block ×4, first 2 shown]
	scratch_load_dwordx4 v[20:23], off, off offset:544
	scratch_load_dwordx4 v[40:43], off, off offset:608
	v_cmp_lt_u32_e32 vcc, 31, v0
	s_waitcnt vmcnt(1) lgkmcnt(3)
	v_mul_f64 v[24:25], v[4:5], v[22:23]
	v_fmac_f64_e32 v[24:25], v[6:7], v[20:21]
	v_add_f64 v[28:29], v[24:25], 0
	scratch_load_dwordx4 v[24:27], off, off offset:560
	v_mul_f64 v[6:7], v[6:7], v[22:23]
	v_fma_f64 v[4:5], v[4:5], v[20:21], -v[6:7]
	v_add_f64 v[4:5], v[4:5], 0
	s_waitcnt vmcnt(0) lgkmcnt(2)
	v_mul_f64 v[30:31], v[8:9], v[26:27]
	v_fmac_f64_e32 v[30:31], v[10:11], v[24:25]
	v_add_f64 v[32:33], v[28:29], v[30:31]
	scratch_load_dwordx4 v[28:31], off, off offset:576
	v_mul_f64 v[6:7], v[10:11], v[26:27]
	v_fma_f64 v[6:7], v[8:9], v[24:25], -v[6:7]
	v_add_f64 v[4:5], v[4:5], v[6:7]
	;; [unrolled: 8-line block ×3, first 2 shown]
	s_waitcnt vmcnt(0) lgkmcnt(0)
	v_mul_f64 v[38:39], v[16:17], v[34:35]
	v_fmac_f64_e32 v[38:39], v[18:19], v[32:33]
	v_add_f64 v[44:45], v[36:37], v[38:39]
	ds_read_b128 v[36:39], v2 offset:1200
	v_mul_f64 v[6:7], v[18:19], v[34:35]
	v_fma_f64 v[6:7], v[16:17], v[32:33], -v[6:7]
	v_add_f64 v[4:5], v[4:5], v[6:7]
	s_waitcnt lgkmcnt(0)
	v_mul_f64 v[6:7], v[38:39], v[42:43]
	v_fma_f64 v[6:7], v[36:37], v[40:41], -v[6:7]
	v_add_f64 v[8:9], v[4:5], v[6:7]
	scratch_load_dwordx4 v[4:7], off, off offset:528
	v_mul_f64 v[46:47], v[36:37], v[42:43]
	v_fmac_f64_e32 v[46:47], v[38:39], v[40:41]
	v_add_f64 v[44:45], v[44:45], v[46:47]
	s_waitcnt vmcnt(0)
	v_add_f64 v[4:5], v[4:5], -v[8:9]
	v_add_f64 v[6:7], v[6:7], -v[44:45]
	scratch_store_dwordx4 off, v[4:7], off offset:528
	s_and_saveexec_b64 s[0:1], vcc
	s_cbranch_execz .LBB37_179
; %bb.178:
	scratch_load_dwordx4 v[6:9], off, s45
	v_mov_b32_e32 v3, v2
	v_mov_b32_e32 v4, v2
	;; [unrolled: 1-line block ×3, first 2 shown]
	scratch_store_dwordx4 off, v[2:5], off offset:512
	s_waitcnt vmcnt(1)
	ds_write_b128 v1, v[6:9]
.LBB37_179:
	s_or_b64 exec, exec, s[0:1]
	s_waitcnt lgkmcnt(0)
	; wave barrier
	scratch_load_dwordx4 v[4:7], off, off offset:528
	scratch_load_dwordx4 v[8:11], off, off offset:544
	;; [unrolled: 1-line block ×7, first 2 shown]
	ds_read_b128 v[32:35], v2 offset:1120
	ds_read_b128 v[36:39], v2 offset:1136
	;; [unrolled: 1-line block ×6, first 2 shown]
	v_cmp_lt_u32_e32 vcc, 30, v0
	s_waitcnt vmcnt(6) lgkmcnt(5)
	v_mul_f64 v[2:3], v[32:33], v[6:7]
	v_mul_f64 v[6:7], v[34:35], v[6:7]
	s_waitcnt vmcnt(5) lgkmcnt(4)
	v_mul_f64 v[56:57], v[36:37], v[10:11]
	v_mul_f64 v[10:11], v[38:39], v[10:11]
	v_fmac_f64_e32 v[2:3], v[34:35], v[4:5]
	v_fma_f64 v[4:5], v[32:33], v[4:5], -v[6:7]
	s_waitcnt vmcnt(4) lgkmcnt(3)
	v_mul_f64 v[58:59], v[40:41], v[14:15]
	v_mul_f64 v[14:15], v[42:43], v[14:15]
	v_fmac_f64_e32 v[56:57], v[38:39], v[8:9]
	v_fma_f64 v[6:7], v[36:37], v[8:9], -v[10:11]
	v_add_f64 v[2:3], v[2:3], 0
	v_add_f64 v[4:5], v[4:5], 0
	s_waitcnt vmcnt(3) lgkmcnt(2)
	v_mul_f64 v[60:61], v[44:45], v[18:19]
	v_mul_f64 v[18:19], v[46:47], v[18:19]
	v_fmac_f64_e32 v[58:59], v[42:43], v[12:13]
	v_fma_f64 v[8:9], v[40:41], v[12:13], -v[14:15]
	v_add_f64 v[2:3], v[2:3], v[56:57]
	v_add_f64 v[4:5], v[4:5], v[6:7]
	;; [unrolled: 7-line block ×4, first 2 shown]
	v_fmac_f64_e32 v[64:65], v[54:55], v[24:25]
	v_fma_f64 v[14:15], v[52:53], v[24:25], -v[26:27]
	v_add_f64 v[2:3], v[2:3], v[62:63]
	v_add_f64 v[4:5], v[4:5], v[12:13]
	;; [unrolled: 1-line block ×4, first 2 shown]
	s_waitcnt vmcnt(0)
	v_add_f64 v[2:3], v[28:29], -v[2:3]
	v_add_f64 v[4:5], v[30:31], -v[6:7]
	scratch_store_dwordx4 off, v[2:5], off offset:512
	s_and_saveexec_b64 s[0:1], vcc
	s_cbranch_execz .LBB37_181
; %bb.180:
	scratch_load_dwordx4 v[2:5], off, s44
	v_mov_b32_e32 v6, 0
	v_mov_b32_e32 v7, v6
	;; [unrolled: 1-line block ×4, first 2 shown]
	scratch_store_dwordx4 off, v[6:9], off offset:496
	s_waitcnt vmcnt(1)
	ds_write_b128 v1, v[2:5]
.LBB37_181:
	s_or_b64 exec, exec, s[0:1]
	s_waitcnt lgkmcnt(0)
	; wave barrier
	scratch_load_dwordx4 v[4:7], off, off offset:512
	scratch_load_dwordx4 v[8:11], off, off offset:528
	;; [unrolled: 1-line block ×8, first 2 shown]
	v_mov_b32_e32 v2, 0
	ds_read_b128 v[36:39], v2 offset:1104
	ds_read_b128 v[40:43], v2 offset:1120
	;; [unrolled: 1-line block ×7, first 2 shown]
	v_cmp_lt_u32_e32 vcc, 29, v0
	s_waitcnt vmcnt(7) lgkmcnt(6)
	v_mul_f64 v[64:65], v[36:37], v[6:7]
	v_mul_f64 v[6:7], v[38:39], v[6:7]
	s_waitcnt vmcnt(6) lgkmcnt(5)
	v_mul_f64 v[66:67], v[40:41], v[10:11]
	s_waitcnt vmcnt(4) lgkmcnt(3)
	v_mul_f64 v[70:71], v[48:49], v[18:19]
	v_mul_f64 v[10:11], v[42:43], v[10:11]
	;; [unrolled: 1-line block ×3, first 2 shown]
	v_fmac_f64_e32 v[64:65], v[38:39], v[4:5]
	v_fma_f64 v[4:5], v[36:37], v[4:5], -v[6:7]
	v_mul_f64 v[68:69], v[44:45], v[14:15]
	v_mul_f64 v[14:15], v[46:47], v[14:15]
	v_fmac_f64_e32 v[66:67], v[42:43], v[8:9]
	v_fma_f64 v[6:7], v[40:41], v[8:9], -v[10:11]
	v_fma_f64 v[10:11], v[48:49], v[16:17], -v[18:19]
	v_add_f64 v[18:19], v[64:65], 0
	v_add_f64 v[4:5], v[4:5], 0
	v_fmac_f64_e32 v[68:69], v[46:47], v[12:13]
	v_fma_f64 v[8:9], v[44:45], v[12:13], -v[14:15]
	v_add_f64 v[18:19], v[18:19], v[66:67]
	v_add_f64 v[4:5], v[4:5], v[6:7]
	s_waitcnt vmcnt(3) lgkmcnt(2)
	v_mul_f64 v[72:73], v[52:53], v[22:23]
	v_mul_f64 v[22:23], v[54:55], v[22:23]
	v_fmac_f64_e32 v[70:71], v[50:51], v[16:17]
	v_add_f64 v[6:7], v[18:19], v[68:69]
	v_add_f64 v[4:5], v[4:5], v[8:9]
	s_waitcnt vmcnt(2) lgkmcnt(1)
	v_mul_f64 v[74:75], v[56:57], v[26:27]
	v_mul_f64 v[26:27], v[58:59], v[26:27]
	v_fmac_f64_e32 v[72:73], v[54:55], v[20:21]
	v_fma_f64 v[12:13], v[52:53], v[20:21], -v[22:23]
	v_add_f64 v[6:7], v[6:7], v[70:71]
	v_add_f64 v[4:5], v[4:5], v[10:11]
	s_waitcnt vmcnt(1) lgkmcnt(0)
	v_mul_f64 v[76:77], v[60:61], v[30:31]
	v_mul_f64 v[30:31], v[62:63], v[30:31]
	v_fmac_f64_e32 v[74:75], v[58:59], v[24:25]
	v_fma_f64 v[14:15], v[56:57], v[24:25], -v[26:27]
	v_add_f64 v[6:7], v[6:7], v[72:73]
	v_add_f64 v[4:5], v[4:5], v[12:13]
	v_fmac_f64_e32 v[76:77], v[62:63], v[28:29]
	v_fma_f64 v[16:17], v[60:61], v[28:29], -v[30:31]
	v_add_f64 v[6:7], v[6:7], v[74:75]
	v_add_f64 v[4:5], v[4:5], v[14:15]
	;; [unrolled: 1-line block ×4, first 2 shown]
	s_waitcnt vmcnt(0)
	v_add_f64 v[4:5], v[32:33], -v[4:5]
	v_add_f64 v[6:7], v[34:35], -v[6:7]
	scratch_store_dwordx4 off, v[4:7], off offset:496
	s_and_saveexec_b64 s[0:1], vcc
	s_cbranch_execz .LBB37_183
; %bb.182:
	scratch_load_dwordx4 v[6:9], off, s43
	v_mov_b32_e32 v3, v2
	v_mov_b32_e32 v4, v2
	;; [unrolled: 1-line block ×3, first 2 shown]
	scratch_store_dwordx4 off, v[2:5], off offset:480
	s_waitcnt vmcnt(1)
	ds_write_b128 v1, v[6:9]
.LBB37_183:
	s_or_b64 exec, exec, s[0:1]
	s_waitcnt lgkmcnt(0)
	; wave barrier
	scratch_load_dwordx4 v[4:7], off, off offset:496
	scratch_load_dwordx4 v[8:11], off, off offset:512
	;; [unrolled: 1-line block ×9, first 2 shown]
	ds_read_b128 v[40:43], v2 offset:1088
	ds_read_b128 v[44:47], v2 offset:1104
	;; [unrolled: 1-line block ×8, first 2 shown]
	v_cmp_lt_u32_e32 vcc, 28, v0
	s_waitcnt vmcnt(8) lgkmcnt(7)
	v_mul_f64 v[2:3], v[40:41], v[6:7]
	v_mul_f64 v[6:7], v[42:43], v[6:7]
	s_waitcnt vmcnt(7) lgkmcnt(6)
	v_mul_f64 v[72:73], v[44:45], v[10:11]
	v_mul_f64 v[10:11], v[46:47], v[10:11]
	v_fmac_f64_e32 v[2:3], v[42:43], v[4:5]
	v_fma_f64 v[4:5], v[40:41], v[4:5], -v[6:7]
	s_waitcnt vmcnt(6) lgkmcnt(5)
	v_mul_f64 v[74:75], v[48:49], v[14:15]
	v_mul_f64 v[14:15], v[50:51], v[14:15]
	v_fmac_f64_e32 v[72:73], v[46:47], v[8:9]
	v_fma_f64 v[6:7], v[44:45], v[8:9], -v[10:11]
	v_add_f64 v[2:3], v[2:3], 0
	v_add_f64 v[4:5], v[4:5], 0
	s_waitcnt vmcnt(5) lgkmcnt(4)
	v_mul_f64 v[76:77], v[52:53], v[18:19]
	v_mul_f64 v[18:19], v[54:55], v[18:19]
	v_fmac_f64_e32 v[74:75], v[50:51], v[12:13]
	v_fma_f64 v[8:9], v[48:49], v[12:13], -v[14:15]
	v_add_f64 v[2:3], v[2:3], v[72:73]
	v_add_f64 v[4:5], v[4:5], v[6:7]
	;; [unrolled: 7-line block ×6, first 2 shown]
	v_fmac_f64_e32 v[84:85], v[70:71], v[32:33]
	v_fma_f64 v[18:19], v[68:69], v[32:33], -v[34:35]
	v_add_f64 v[2:3], v[2:3], v[82:83]
	v_add_f64 v[4:5], v[4:5], v[16:17]
	;; [unrolled: 1-line block ×4, first 2 shown]
	s_waitcnt vmcnt(0)
	v_add_f64 v[2:3], v[36:37], -v[2:3]
	v_add_f64 v[4:5], v[38:39], -v[6:7]
	scratch_store_dwordx4 off, v[2:5], off offset:480
	s_and_saveexec_b64 s[0:1], vcc
	s_cbranch_execz .LBB37_185
; %bb.184:
	scratch_load_dwordx4 v[2:5], off, s42
	v_mov_b32_e32 v6, 0
	v_mov_b32_e32 v7, v6
	;; [unrolled: 1-line block ×4, first 2 shown]
	scratch_store_dwordx4 off, v[6:9], off offset:464
	s_waitcnt vmcnt(1)
	ds_write_b128 v1, v[2:5]
.LBB37_185:
	s_or_b64 exec, exec, s[0:1]
	v_mov_b32_e32 v2, 0
	s_waitcnt lgkmcnt(0)
	; wave barrier
	ds_read_b128 v[4:7], v2 offset:1072
	ds_read_b128 v[8:11], v2 offset:1088
	;; [unrolled: 1-line block ×4, first 2 shown]
	scratch_load_dwordx4 v[20:23], off, off offset:480
	scratch_load_dwordx4 v[40:43], off, off offset:544
	;; [unrolled: 1-line block ×3, first 2 shown]
	v_cmp_lt_u32_e32 vcc, 27, v0
	scratch_load_dwordx4 v[48:51], off, off offset:560
	scratch_load_dwordx4 v[56:59], off, off offset:576
	;; [unrolled: 1-line block ×3, first 2 shown]
	s_waitcnt vmcnt(5) lgkmcnt(3)
	v_mul_f64 v[24:25], v[4:5], v[22:23]
	v_fmac_f64_e32 v[24:25], v[6:7], v[20:21]
	v_add_f64 v[28:29], v[24:25], 0
	scratch_load_dwordx4 v[24:27], off, off offset:496
	v_mul_f64 v[6:7], v[6:7], v[22:23]
	v_fma_f64 v[4:5], v[4:5], v[20:21], -v[6:7]
	v_add_f64 v[4:5], v[4:5], 0
	s_waitcnt vmcnt(0) lgkmcnt(2)
	v_mul_f64 v[30:31], v[8:9], v[26:27]
	v_fmac_f64_e32 v[30:31], v[10:11], v[24:25]
	v_add_f64 v[32:33], v[28:29], v[30:31]
	scratch_load_dwordx4 v[28:31], off, off offset:512
	v_mul_f64 v[6:7], v[10:11], v[26:27]
	v_fma_f64 v[6:7], v[8:9], v[24:25], -v[6:7]
	v_add_f64 v[4:5], v[4:5], v[6:7]
	s_waitcnt vmcnt(0) lgkmcnt(1)
	v_mul_f64 v[34:35], v[12:13], v[30:31]
	v_fmac_f64_e32 v[34:35], v[14:15], v[28:29]
	v_add_f64 v[36:37], v[32:33], v[34:35]
	scratch_load_dwordx4 v[32:35], off, off offset:528
	v_mul_f64 v[6:7], v[14:15], v[30:31]
	v_fma_f64 v[6:7], v[12:13], v[28:29], -v[6:7]
	v_add_f64 v[4:5], v[4:5], v[6:7]
	s_waitcnt vmcnt(0) lgkmcnt(0)
	v_mul_f64 v[38:39], v[16:17], v[34:35]
	v_fmac_f64_e32 v[38:39], v[18:19], v[32:33]
	v_add_f64 v[44:45], v[36:37], v[38:39]
	ds_read_b128 v[36:39], v2 offset:1136
	v_mul_f64 v[6:7], v[18:19], v[34:35]
	v_fma_f64 v[6:7], v[16:17], v[32:33], -v[6:7]
	v_add_f64 v[4:5], v[4:5], v[6:7]
	s_waitcnt lgkmcnt(0)
	v_mul_f64 v[46:47], v[36:37], v[42:43]
	v_fmac_f64_e32 v[46:47], v[38:39], v[40:41]
	v_add_f64 v[52:53], v[44:45], v[46:47]
	ds_read_b128 v[44:47], v2 offset:1152
	v_mul_f64 v[6:7], v[38:39], v[42:43]
	v_fma_f64 v[6:7], v[36:37], v[40:41], -v[6:7]
	v_add_f64 v[4:5], v[4:5], v[6:7]
	s_waitcnt lgkmcnt(0)
	;; [unrolled: 8-line block ×5, first 2 shown]
	v_mul_f64 v[6:7], v[70:71], v[74:75]
	v_fma_f64 v[6:7], v[68:69], v[72:73], -v[6:7]
	v_add_f64 v[8:9], v[4:5], v[6:7]
	scratch_load_dwordx4 v[4:7], off, off offset:464
	v_mul_f64 v[78:79], v[68:69], v[74:75]
	v_fmac_f64_e32 v[78:79], v[70:71], v[72:73]
	v_add_f64 v[76:77], v[76:77], v[78:79]
	s_waitcnt vmcnt(0)
	v_add_f64 v[4:5], v[4:5], -v[8:9]
	v_add_f64 v[6:7], v[6:7], -v[76:77]
	scratch_store_dwordx4 off, v[4:7], off offset:464
	s_and_saveexec_b64 s[0:1], vcc
	s_cbranch_execz .LBB37_187
; %bb.186:
	scratch_load_dwordx4 v[6:9], off, s41
	v_mov_b32_e32 v3, v2
	v_mov_b32_e32 v4, v2
	;; [unrolled: 1-line block ×3, first 2 shown]
	scratch_store_dwordx4 off, v[2:5], off offset:448
	s_waitcnt vmcnt(1)
	ds_write_b128 v1, v[6:9]
.LBB37_187:
	s_or_b64 exec, exec, s[0:1]
	s_waitcnt lgkmcnt(0)
	; wave barrier
	ds_read_b128 v[4:7], v2 offset:1056
	ds_read_b128 v[8:11], v2 offset:1072
	;; [unrolled: 1-line block ×4, first 2 shown]
	scratch_load_dwordx4 v[20:23], off, off offset:464
	scratch_load_dwordx4 v[40:43], off, off offset:528
	;; [unrolled: 1-line block ×4, first 2 shown]
	v_cmp_lt_u32_e32 vcc, 26, v0
	scratch_load_dwordx4 v[48:51], off, off offset:544
	scratch_load_dwordx4 v[56:59], off, off offset:560
	;; [unrolled: 1-line block ×3, first 2 shown]
	s_waitcnt vmcnt(6) lgkmcnt(3)
	v_mul_f64 v[24:25], v[4:5], v[22:23]
	v_fmac_f64_e32 v[24:25], v[6:7], v[20:21]
	v_add_f64 v[28:29], v[24:25], 0
	scratch_load_dwordx4 v[24:27], off, off offset:480
	s_waitcnt vmcnt(0) lgkmcnt(2)
	v_mul_f64 v[30:31], v[8:9], v[26:27]
	v_fmac_f64_e32 v[30:31], v[10:11], v[24:25]
	v_add_f64 v[32:33], v[28:29], v[30:31]
	scratch_load_dwordx4 v[28:31], off, off offset:496
	;; [unrolled: 5-line block ×3, first 2 shown]
	s_waitcnt vmcnt(0) lgkmcnt(0)
	v_mul_f64 v[38:39], v[16:17], v[34:35]
	v_fmac_f64_e32 v[38:39], v[18:19], v[32:33]
	v_add_f64 v[44:45], v[36:37], v[38:39]
	ds_read_b128 v[36:39], v2 offset:1120
	s_waitcnt lgkmcnt(0)
	v_mul_f64 v[46:47], v[36:37], v[42:43]
	v_fmac_f64_e32 v[46:47], v[38:39], v[40:41]
	v_add_f64 v[52:53], v[44:45], v[46:47]
	ds_read_b128 v[44:47], v2 offset:1136
	s_waitcnt lgkmcnt(0)
	;; [unrolled: 5-line block ×6, first 2 shown]
	v_mul_f64 v[2:3], v[76:77], v[82:83]
	v_fmac_f64_e32 v[2:3], v[78:79], v[80:81]
	v_add_f64 v[84:85], v[84:85], v[2:3]
	v_mul_f64 v[2:3], v[6:7], v[22:23]
	v_fma_f64 v[2:3], v[4:5], v[20:21], -v[2:3]
	v_mul_f64 v[4:5], v[10:11], v[26:27]
	v_add_f64 v[2:3], v[2:3], 0
	v_fma_f64 v[4:5], v[8:9], v[24:25], -v[4:5]
	v_add_f64 v[2:3], v[2:3], v[4:5]
	v_mul_f64 v[4:5], v[14:15], v[30:31]
	v_fma_f64 v[4:5], v[12:13], v[28:29], -v[4:5]
	v_add_f64 v[2:3], v[2:3], v[4:5]
	v_mul_f64 v[4:5], v[18:19], v[34:35]
	;; [unrolled: 3-line block ×8, first 2 shown]
	v_fma_f64 v[4:5], v[76:77], v[80:81], -v[4:5]
	v_add_f64 v[6:7], v[2:3], v[4:5]
	scratch_load_dwordx4 v[2:5], off, off offset:448
	s_waitcnt vmcnt(0)
	v_add_f64 v[2:3], v[2:3], -v[6:7]
	v_add_f64 v[4:5], v[4:5], -v[84:85]
	scratch_store_dwordx4 off, v[2:5], off offset:448
	s_and_saveexec_b64 s[0:1], vcc
	s_cbranch_execz .LBB37_189
; %bb.188:
	scratch_load_dwordx4 v[2:5], off, s40
	v_mov_b32_e32 v6, 0
	v_mov_b32_e32 v7, v6
	;; [unrolled: 1-line block ×4, first 2 shown]
	scratch_store_dwordx4 off, v[6:9], off offset:432
	s_waitcnt vmcnt(1)
	ds_write_b128 v1, v[2:5]
.LBB37_189:
	s_or_b64 exec, exec, s[0:1]
	s_waitcnt lgkmcnt(0)
	; wave barrier
	scratch_load_dwordx4 v[4:7], off, off offset:448
	scratch_load_dwordx4 v[8:11], off, off offset:464
	;; [unrolled: 1-line block ×12, first 2 shown]
	v_mov_b32_e32 v2, 0
	ds_read_b128 v[52:55], v2 offset:1040
	ds_read_b128 v[56:59], v2 offset:1056
	;; [unrolled: 1-line block ×11, first 2 shown]
	v_cmp_lt_u32_e32 vcc, 25, v0
	s_waitcnt vmcnt(11) lgkmcnt(10)
	v_mul_f64 v[96:97], v[52:53], v[6:7]
	v_mul_f64 v[6:7], v[54:55], v[6:7]
	s_waitcnt vmcnt(10) lgkmcnt(9)
	v_mul_f64 v[98:99], v[56:57], v[10:11]
	s_waitcnt vmcnt(9) lgkmcnt(8)
	v_mul_f64 v[100:101], v[60:61], v[14:15]
	v_mul_f64 v[10:11], v[58:59], v[10:11]
	s_waitcnt vmcnt(6) lgkmcnt(5)
	v_mul_f64 v[106:107], v[72:73], v[26:27]
	v_mul_f64 v[14:15], v[62:63], v[14:15]
	;; [unrolled: 1-line block ×3, first 2 shown]
	v_fmac_f64_e32 v[96:97], v[54:55], v[4:5]
	v_fma_f64 v[4:5], v[52:53], v[4:5], -v[6:7]
	v_fmac_f64_e32 v[98:99], v[58:59], v[8:9]
	v_fma_f64 v[6:7], v[56:57], v[8:9], -v[10:11]
	v_fma_f64 v[8:9], v[60:61], v[12:13], -v[14:15]
	;; [unrolled: 1-line block ×3, first 2 shown]
	v_add_f64 v[26:27], v[96:97], 0
	v_add_f64 v[4:5], v[4:5], 0
	v_mul_f64 v[102:103], v[64:65], v[18:19]
	v_mul_f64 v[18:19], v[66:67], v[18:19]
	v_fmac_f64_e32 v[100:101], v[62:63], v[12:13]
	v_add_f64 v[26:27], v[26:27], v[98:99]
	v_add_f64 v[4:5], v[4:5], v[6:7]
	v_mul_f64 v[104:105], v[68:69], v[22:23]
	v_mul_f64 v[22:23], v[70:71], v[22:23]
	v_fmac_f64_e32 v[102:103], v[66:67], v[16:17]
	v_fma_f64 v[10:11], v[64:65], v[16:17], -v[18:19]
	v_add_f64 v[6:7], v[26:27], v[100:101]
	v_add_f64 v[4:5], v[4:5], v[8:9]
	v_fmac_f64_e32 v[104:105], v[70:71], v[20:21]
	v_fma_f64 v[12:13], v[68:69], v[20:21], -v[22:23]
	v_add_f64 v[6:7], v[6:7], v[102:103]
	v_add_f64 v[4:5], v[4:5], v[10:11]
	s_waitcnt vmcnt(5) lgkmcnt(4)
	v_mul_f64 v[108:109], v[76:77], v[30:31]
	v_mul_f64 v[30:31], v[78:79], v[30:31]
	v_fmac_f64_e32 v[106:107], v[74:75], v[24:25]
	v_add_f64 v[6:7], v[6:7], v[104:105]
	v_add_f64 v[4:5], v[4:5], v[12:13]
	s_waitcnt vmcnt(4) lgkmcnt(3)
	v_mul_f64 v[110:111], v[80:81], v[34:35]
	v_mul_f64 v[34:35], v[82:83], v[34:35]
	v_fmac_f64_e32 v[108:109], v[78:79], v[28:29]
	v_fma_f64 v[16:17], v[76:77], v[28:29], -v[30:31]
	v_add_f64 v[6:7], v[6:7], v[106:107]
	v_add_f64 v[4:5], v[4:5], v[14:15]
	s_waitcnt vmcnt(3) lgkmcnt(2)
	v_mul_f64 v[112:113], v[84:85], v[38:39]
	v_mul_f64 v[38:39], v[86:87], v[38:39]
	v_fmac_f64_e32 v[110:111], v[82:83], v[32:33]
	v_fma_f64 v[18:19], v[80:81], v[32:33], -v[34:35]
	;; [unrolled: 7-line block ×4, first 2 shown]
	v_add_f64 v[6:7], v[6:7], v[112:113]
	v_add_f64 v[4:5], v[4:5], v[20:21]
	v_fmac_f64_e32 v[116:117], v[94:95], v[44:45]
	v_fma_f64 v[24:25], v[92:93], v[44:45], -v[46:47]
	v_add_f64 v[6:7], v[6:7], v[114:115]
	v_add_f64 v[4:5], v[4:5], v[22:23]
	;; [unrolled: 1-line block ×4, first 2 shown]
	s_waitcnt vmcnt(0)
	v_add_f64 v[4:5], v[48:49], -v[4:5]
	v_add_f64 v[6:7], v[50:51], -v[6:7]
	scratch_store_dwordx4 off, v[4:7], off offset:432
	s_and_saveexec_b64 s[0:1], vcc
	s_cbranch_execz .LBB37_191
; %bb.190:
	scratch_load_dwordx4 v[6:9], off, s39
	v_mov_b32_e32 v3, v2
	v_mov_b32_e32 v4, v2
	;; [unrolled: 1-line block ×3, first 2 shown]
	scratch_store_dwordx4 off, v[2:5], off offset:416
	s_waitcnt vmcnt(1)
	ds_write_b128 v1, v[6:9]
.LBB37_191:
	s_or_b64 exec, exec, s[0:1]
	s_waitcnt lgkmcnt(0)
	; wave barrier
	scratch_load_dwordx4 v[4:7], off, off offset:432
	scratch_load_dwordx4 v[8:11], off, off offset:448
	scratch_load_dwordx4 v[12:15], off, off offset:464
	scratch_load_dwordx4 v[16:19], off, off offset:480
	scratch_load_dwordx4 v[20:23], off, off offset:496
	scratch_load_dwordx4 v[24:27], off, off offset:512
	scratch_load_dwordx4 v[28:31], off, off offset:528
	scratch_load_dwordx4 v[32:35], off, off offset:544
	scratch_load_dwordx4 v[36:39], off, off offset:560
	scratch_load_dwordx4 v[40:43], off, off offset:576
	scratch_load_dwordx4 v[44:47], off, off offset:592
	scratch_load_dwordx4 v[48:51], off, off offset:608
	ds_read_b128 v[52:55], v2 offset:1024
	ds_read_b128 v[56:59], v2 offset:1040
	;; [unrolled: 1-line block ×4, first 2 shown]
	scratch_load_dwordx4 v[68:71], off, off offset:416
	ds_read_b128 v[72:75], v2 offset:1088
	ds_read_b128 v[76:79], v2 offset:1104
	;; [unrolled: 1-line block ×8, first 2 shown]
	v_cmp_lt_u32_e32 vcc, 24, v0
	s_waitcnt vmcnt(12) lgkmcnt(11)
	v_mul_f64 v[2:3], v[52:53], v[6:7]
	s_waitcnt vmcnt(11) lgkmcnt(10)
	v_mul_f64 v[104:105], v[56:57], v[10:11]
	v_fmac_f64_e32 v[2:3], v[54:55], v[4:5]
	s_waitcnt vmcnt(10) lgkmcnt(9)
	v_mul_f64 v[106:107], v[60:61], v[14:15]
	v_mul_f64 v[6:7], v[54:55], v[6:7]
	v_fmac_f64_e32 v[104:105], v[58:59], v[8:9]
	v_add_f64 v[2:3], v[2:3], 0
	s_waitcnt vmcnt(9) lgkmcnt(8)
	v_mul_f64 v[108:109], v[64:65], v[18:19]
	v_mul_f64 v[10:11], v[58:59], v[10:11]
	v_fmac_f64_e32 v[106:107], v[62:63], v[12:13]
	v_fma_f64 v[4:5], v[52:53], v[4:5], -v[6:7]
	v_add_f64 v[2:3], v[2:3], v[104:105]
	s_waitcnt vmcnt(8) lgkmcnt(7)
	v_mul_f64 v[110:111], v[72:73], v[22:23]
	v_mul_f64 v[14:15], v[62:63], v[14:15]
	v_fmac_f64_e32 v[108:109], v[66:67], v[16:17]
	v_fma_f64 v[6:7], v[56:57], v[8:9], -v[10:11]
	v_add_f64 v[4:5], v[4:5], 0
	v_add_f64 v[2:3], v[2:3], v[106:107]
	s_waitcnt vmcnt(7) lgkmcnt(6)
	v_mul_f64 v[112:113], v[76:77], v[26:27]
	v_mul_f64 v[18:19], v[66:67], v[18:19]
	v_fmac_f64_e32 v[110:111], v[74:75], v[20:21]
	v_fma_f64 v[8:9], v[60:61], v[12:13], -v[14:15]
	v_add_f64 v[4:5], v[4:5], v[6:7]
	;; [unrolled: 7-line block ×8, first 2 shown]
	v_add_f64 v[2:3], v[2:3], v[120:121]
	v_mul_f64 v[46:47], v[98:99], v[46:47]
	v_fmac_f64_e32 v[124:125], v[102:103], v[48:49]
	v_fma_f64 v[22:23], v[92:93], v[40:41], -v[42:43]
	v_add_f64 v[4:5], v[4:5], v[20:21]
	v_add_f64 v[2:3], v[2:3], v[122:123]
	;; [unrolled: 1-line block ×4, first 2 shown]
	v_fma_f64 v[2:3], v[96:97], v[44:45], -v[46:47]
	v_add_f64 v[2:3], v[4:5], v[2:3]
	v_mul_f64 v[4:5], v[102:103], v[50:51]
	v_fma_f64 v[4:5], v[100:101], v[48:49], -v[4:5]
	v_add_f64 v[2:3], v[2:3], v[4:5]
	s_waitcnt vmcnt(0)
	v_add_f64 v[2:3], v[68:69], -v[2:3]
	v_add_f64 v[4:5], v[70:71], -v[6:7]
	scratch_store_dwordx4 off, v[2:5], off offset:416
	s_and_saveexec_b64 s[0:1], vcc
	s_cbranch_execz .LBB37_193
; %bb.192:
	scratch_load_dwordx4 v[2:5], off, s38
	v_mov_b32_e32 v6, 0
	v_mov_b32_e32 v7, v6
	;; [unrolled: 1-line block ×4, first 2 shown]
	scratch_store_dwordx4 off, v[6:9], off offset:400
	s_waitcnt vmcnt(1)
	ds_write_b128 v1, v[2:5]
.LBB37_193:
	s_or_b64 exec, exec, s[0:1]
	s_waitcnt lgkmcnt(0)
	; wave barrier
	scratch_load_dwordx4 v[4:7], off, off offset:416
	scratch_load_dwordx4 v[8:11], off, off offset:432
	;; [unrolled: 1-line block ×14, first 2 shown]
	v_mov_b32_e32 v2, 0
	ds_read_b128 v[60:63], v2 offset:1008
	ds_read_b128 v[64:67], v2 offset:1024
	;; [unrolled: 1-line block ×13, first 2 shown]
	v_cmp_lt_u32_e32 vcc, 23, v0
	s_waitcnt vmcnt(13) lgkmcnt(12)
	v_mul_f64 v[112:113], v[60:61], v[6:7]
	v_mul_f64 v[6:7], v[62:63], v[6:7]
	s_waitcnt vmcnt(12) lgkmcnt(11)
	v_mul_f64 v[114:115], v[64:65], v[10:11]
	v_mul_f64 v[10:11], v[66:67], v[10:11]
	v_fmac_f64_e32 v[112:113], v[62:63], v[4:5]
	v_fma_f64 v[4:5], v[60:61], v[4:5], -v[6:7]
	s_waitcnt vmcnt(11) lgkmcnt(10)
	v_mul_f64 v[116:117], v[68:69], v[14:15]
	v_mul_f64 v[14:15], v[70:71], v[14:15]
	v_fma_f64 v[6:7], v[64:65], v[8:9], -v[10:11]
	v_add_f64 v[4:5], v[4:5], 0
	s_waitcnt vmcnt(10) lgkmcnt(9)
	v_mul_f64 v[118:119], v[72:73], v[18:19]
	v_mul_f64 v[18:19], v[74:75], v[18:19]
	v_fmac_f64_e32 v[114:115], v[66:67], v[8:9]
	v_fma_f64 v[8:9], v[68:69], v[12:13], -v[14:15]
	v_add_f64 v[4:5], v[4:5], v[6:7]
	s_waitcnt vmcnt(9) lgkmcnt(8)
	v_mul_f64 v[120:121], v[76:77], v[22:23]
	v_mul_f64 v[22:23], v[78:79], v[22:23]
	v_fma_f64 v[10:11], v[72:73], v[16:17], -v[18:19]
	v_add_f64 v[4:5], v[4:5], v[8:9]
	s_waitcnt vmcnt(8) lgkmcnt(7)
	v_mul_f64 v[122:123], v[80:81], v[26:27]
	v_mul_f64 v[26:27], v[82:83], v[26:27]
	v_fmac_f64_e32 v[116:117], v[70:71], v[12:13]
	v_fma_f64 v[12:13], v[76:77], v[20:21], -v[22:23]
	v_add_f64 v[22:23], v[112:113], 0
	v_add_f64 v[4:5], v[4:5], v[10:11]
	s_waitcnt vmcnt(7) lgkmcnt(6)
	v_mul_f64 v[124:125], v[84:85], v[30:31]
	v_mul_f64 v[30:31], v[86:87], v[30:31]
	v_fma_f64 v[14:15], v[80:81], v[24:25], -v[26:27]
	v_add_f64 v[22:23], v[22:23], v[114:115]
	v_add_f64 v[4:5], v[4:5], v[12:13]
	s_waitcnt vmcnt(6) lgkmcnt(5)
	v_mul_f64 v[126:127], v[88:89], v[34:35]
	v_mul_f64 v[34:35], v[90:91], v[34:35]
	v_fmac_f64_e32 v[118:119], v[74:75], v[16:17]
	v_fma_f64 v[16:17], v[84:85], v[28:29], -v[30:31]
	v_add_f64 v[6:7], v[22:23], v[116:117]
	v_add_f64 v[4:5], v[4:5], v[14:15]
	s_waitcnt vmcnt(5) lgkmcnt(4)
	v_mul_f64 v[128:129], v[92:93], v[38:39]
	v_mul_f64 v[38:39], v[94:95], v[38:39]
	v_fmac_f64_e32 v[120:121], v[78:79], v[20:21]
	v_fma_f64 v[18:19], v[88:89], v[32:33], -v[34:35]
	v_add_f64 v[6:7], v[6:7], v[118:119]
	v_add_f64 v[4:5], v[4:5], v[16:17]
	v_fmac_f64_e32 v[122:123], v[82:83], v[24:25]
	v_fma_f64 v[20:21], v[92:93], v[36:37], -v[38:39]
	v_add_f64 v[6:7], v[6:7], v[120:121]
	v_add_f64 v[4:5], v[4:5], v[18:19]
	s_waitcnt vmcnt(4) lgkmcnt(3)
	v_mul_f64 v[8:9], v[98:99], v[42:43]
	v_fmac_f64_e32 v[124:125], v[86:87], v[28:29]
	v_add_f64 v[6:7], v[6:7], v[122:123]
	v_add_f64 v[4:5], v[4:5], v[20:21]
	v_fma_f64 v[8:9], v[96:97], v[40:41], -v[8:9]
	v_fmac_f64_e32 v[126:127], v[90:91], v[32:33]
	v_add_f64 v[6:7], v[6:7], v[124:125]
	v_add_f64 v[4:5], v[4:5], v[8:9]
	s_waitcnt vmcnt(3) lgkmcnt(2)
	v_mul_f64 v[8:9], v[102:103], v[46:47]
	v_mul_f64 v[130:131], v[96:97], v[42:43]
	v_fmac_f64_e32 v[128:129], v[94:95], v[36:37]
	v_add_f64 v[6:7], v[6:7], v[126:127]
	v_fma_f64 v[8:9], v[100:101], v[44:45], -v[8:9]
	v_mul_f64 v[132:133], v[100:101], v[46:47]
	v_fmac_f64_e32 v[130:131], v[98:99], v[40:41]
	v_add_f64 v[6:7], v[6:7], v[128:129]
	v_add_f64 v[4:5], v[4:5], v[8:9]
	s_waitcnt vmcnt(2) lgkmcnt(1)
	v_mul_f64 v[8:9], v[106:107], v[50:51]
	v_mul_f64 v[134:135], v[104:105], v[50:51]
	v_fmac_f64_e32 v[132:133], v[102:103], v[44:45]
	v_add_f64 v[6:7], v[6:7], v[130:131]
	v_fma_f64 v[8:9], v[104:105], v[48:49], -v[8:9]
	s_waitcnt vmcnt(1) lgkmcnt(0)
	v_mul_f64 v[136:137], v[108:109], v[54:55]
	v_fmac_f64_e32 v[134:135], v[106:107], v[48:49]
	v_add_f64 v[6:7], v[6:7], v[132:133]
	v_add_f64 v[4:5], v[4:5], v[8:9]
	v_mul_f64 v[8:9], v[110:111], v[54:55]
	v_fmac_f64_e32 v[136:137], v[110:111], v[52:53]
	v_add_f64 v[6:7], v[6:7], v[134:135]
	v_fma_f64 v[8:9], v[108:109], v[52:53], -v[8:9]
	v_add_f64 v[6:7], v[6:7], v[136:137]
	v_add_f64 v[4:5], v[4:5], v[8:9]
	s_waitcnt vmcnt(0)
	v_add_f64 v[4:5], v[56:57], -v[4:5]
	v_add_f64 v[6:7], v[58:59], -v[6:7]
	scratch_store_dwordx4 off, v[4:7], off offset:400
	s_and_saveexec_b64 s[0:1], vcc
	s_cbranch_execz .LBB37_195
; %bb.194:
	scratch_load_dwordx4 v[6:9], off, s37
	v_mov_b32_e32 v3, v2
	v_mov_b32_e32 v4, v2
	;; [unrolled: 1-line block ×3, first 2 shown]
	scratch_store_dwordx4 off, v[2:5], off offset:384
	s_waitcnt vmcnt(1)
	ds_write_b128 v1, v[6:9]
.LBB37_195:
	s_or_b64 exec, exec, s[0:1]
	s_waitcnt lgkmcnt(0)
	; wave barrier
	scratch_load_dwordx4 v[4:7], off, off offset:400
	scratch_load_dwordx4 v[8:11], off, off offset:416
	;; [unrolled: 1-line block ×14, first 2 shown]
	ds_read_b128 v[60:63], v2 offset:992
	ds_read_b128 v[64:67], v2 offset:1008
	;; [unrolled: 1-line block ×14, first 2 shown]
	scratch_load_dwordx4 v[116:119], off, off offset:384
	v_cmp_lt_u32_e32 vcc, 22, v0
	s_waitcnt vmcnt(14) lgkmcnt(13)
	v_mul_f64 v[2:3], v[60:61], v[6:7]
	s_waitcnt vmcnt(13) lgkmcnt(12)
	v_mul_f64 v[120:121], v[64:65], v[10:11]
	v_fmac_f64_e32 v[2:3], v[62:63], v[4:5]
	s_waitcnt vmcnt(12) lgkmcnt(11)
	v_mul_f64 v[122:123], v[68:69], v[14:15]
	v_fmac_f64_e32 v[120:121], v[66:67], v[8:9]
	v_add_f64 v[2:3], v[2:3], 0
	s_waitcnt vmcnt(11) lgkmcnt(10)
	v_mul_f64 v[124:125], v[72:73], v[18:19]
	v_fmac_f64_e32 v[122:123], v[70:71], v[12:13]
	v_add_f64 v[2:3], v[2:3], v[120:121]
	;; [unrolled: 4-line block ×4, first 2 shown]
	s_waitcnt vmcnt(8) lgkmcnt(7)
	v_mul_f64 v[130:131], v[84:85], v[30:31]
	v_mul_f64 v[6:7], v[62:63], v[6:7]
	v_fmac_f64_e32 v[128:129], v[82:83], v[24:25]
	v_add_f64 v[2:3], v[2:3], v[126:127]
	s_waitcnt vmcnt(7) lgkmcnt(6)
	v_mul_f64 v[132:133], v[88:89], v[34:35]
	v_mul_f64 v[10:11], v[66:67], v[10:11]
	v_fmac_f64_e32 v[130:131], v[86:87], v[28:29]
	v_fma_f64 v[4:5], v[60:61], v[4:5], -v[6:7]
	v_add_f64 v[2:3], v[2:3], v[128:129]
	s_waitcnt vmcnt(6) lgkmcnt(5)
	v_mul_f64 v[134:135], v[92:93], v[38:39]
	v_mul_f64 v[14:15], v[70:71], v[14:15]
	v_fmac_f64_e32 v[132:133], v[90:91], v[32:33]
	v_fma_f64 v[6:7], v[64:65], v[8:9], -v[10:11]
	v_add_f64 v[4:5], v[4:5], 0
	v_add_f64 v[2:3], v[2:3], v[130:131]
	s_waitcnt vmcnt(5) lgkmcnt(4)
	v_mul_f64 v[136:137], v[96:97], v[42:43]
	v_mul_f64 v[18:19], v[74:75], v[18:19]
	v_fmac_f64_e32 v[134:135], v[94:95], v[36:37]
	v_fma_f64 v[8:9], v[68:69], v[12:13], -v[14:15]
	v_add_f64 v[4:5], v[4:5], v[6:7]
	;; [unrolled: 7-line block ×6, first 2 shown]
	v_add_f64 v[2:3], v[2:3], v[140:141]
	v_fmac_f64_e32 v[144:145], v[114:115], v[56:57]
	v_fma_f64 v[18:19], v[88:89], v[32:33], -v[34:35]
	v_add_f64 v[4:5], v[4:5], v[16:17]
	v_add_f64 v[2:3], v[2:3], v[142:143]
	;; [unrolled: 1-line block ×4, first 2 shown]
	v_mul_f64 v[4:5], v[94:95], v[38:39]
	v_fma_f64 v[4:5], v[92:93], v[36:37], -v[4:5]
	v_add_f64 v[2:3], v[2:3], v[4:5]
	v_mul_f64 v[4:5], v[98:99], v[42:43]
	v_fma_f64 v[4:5], v[96:97], v[40:41], -v[4:5]
	v_add_f64 v[2:3], v[2:3], v[4:5]
	;; [unrolled: 3-line block ×6, first 2 shown]
	s_waitcnt vmcnt(0)
	v_add_f64 v[2:3], v[116:117], -v[2:3]
	v_add_f64 v[4:5], v[118:119], -v[6:7]
	scratch_store_dwordx4 off, v[2:5], off offset:384
	s_and_saveexec_b64 s[0:1], vcc
	s_cbranch_execz .LBB37_197
; %bb.196:
	scratch_load_dwordx4 v[2:5], off, s36
	v_mov_b32_e32 v6, 0
	v_mov_b32_e32 v7, v6
	v_mov_b32_e32 v8, v6
	v_mov_b32_e32 v9, v6
	scratch_store_dwordx4 off, v[6:9], off offset:368
	s_waitcnt vmcnt(1)
	ds_write_b128 v1, v[2:5]
.LBB37_197:
	s_or_b64 exec, exec, s[0:1]
	s_waitcnt lgkmcnt(0)
	; wave barrier
	scratch_load_dwordx4 v[4:7], off, off offset:384
	scratch_load_dwordx4 v[8:11], off, off offset:400
	;; [unrolled: 1-line block ×16, first 2 shown]
	v_mov_b32_e32 v2, 0
	ds_read_b128 v[68:71], v2 offset:976
	ds_read_b128 v[72:75], v2 offset:992
	;; [unrolled: 1-line block ×15, first 2 shown]
	v_cmp_lt_u32_e32 vcc, 21, v0
	s_waitcnt vmcnt(15) lgkmcnt(14)
	v_mul_f64 v[128:129], v[68:69], v[6:7]
	v_mul_f64 v[6:7], v[70:71], v[6:7]
	s_waitcnt vmcnt(14) lgkmcnt(13)
	v_mul_f64 v[130:131], v[72:73], v[10:11]
	v_mul_f64 v[10:11], v[74:75], v[10:11]
	v_fmac_f64_e32 v[128:129], v[70:71], v[4:5]
	v_fma_f64 v[4:5], v[68:69], v[4:5], -v[6:7]
	s_waitcnt vmcnt(13) lgkmcnt(12)
	v_mul_f64 v[132:133], v[76:77], v[14:15]
	v_mul_f64 v[14:15], v[78:79], v[14:15]
	v_fma_f64 v[6:7], v[72:73], v[8:9], -v[10:11]
	v_add_f64 v[4:5], v[4:5], 0
	s_waitcnt vmcnt(12) lgkmcnt(11)
	v_mul_f64 v[134:135], v[80:81], v[18:19]
	v_mul_f64 v[18:19], v[82:83], v[18:19]
	v_fmac_f64_e32 v[130:131], v[74:75], v[8:9]
	v_fma_f64 v[8:9], v[76:77], v[12:13], -v[14:15]
	v_add_f64 v[4:5], v[4:5], v[6:7]
	s_waitcnt vmcnt(11) lgkmcnt(10)
	v_mul_f64 v[136:137], v[84:85], v[22:23]
	v_mul_f64 v[22:23], v[86:87], v[22:23]
	v_fma_f64 v[10:11], v[80:81], v[16:17], -v[18:19]
	v_add_f64 v[4:5], v[4:5], v[8:9]
	s_waitcnt vmcnt(10) lgkmcnt(9)
	v_mul_f64 v[138:139], v[88:89], v[26:27]
	v_mul_f64 v[26:27], v[90:91], v[26:27]
	v_fmac_f64_e32 v[132:133], v[78:79], v[12:13]
	v_fma_f64 v[12:13], v[84:85], v[20:21], -v[22:23]
	v_add_f64 v[4:5], v[4:5], v[10:11]
	v_fma_f64 v[14:15], v[88:89], v[24:25], -v[26:27]
	v_add_f64 v[4:5], v[4:5], v[12:13]
	s_waitcnt vmcnt(9) lgkmcnt(8)
	v_mul_f64 v[8:9], v[94:95], v[30:31]
	v_add_f64 v[4:5], v[4:5], v[14:15]
	v_fma_f64 v[8:9], v[92:93], v[28:29], -v[8:9]
	v_add_f64 v[4:5], v[4:5], v[8:9]
	s_waitcnt vmcnt(8) lgkmcnt(7)
	v_mul_f64 v[8:9], v[98:99], v[34:35]
	v_fma_f64 v[8:9], v[96:97], v[32:33], -v[8:9]
	v_fmac_f64_e32 v[134:135], v[82:83], v[16:17]
	v_add_f64 v[16:17], v[128:129], 0
	v_add_f64 v[4:5], v[4:5], v[8:9]
	s_waitcnt vmcnt(7) lgkmcnt(6)
	v_mul_f64 v[8:9], v[102:103], v[38:39]
	v_add_f64 v[16:17], v[16:17], v[130:131]
	v_fma_f64 v[8:9], v[100:101], v[36:37], -v[8:9]
	v_add_f64 v[6:7], v[16:17], v[132:133]
	v_add_f64 v[4:5], v[4:5], v[8:9]
	s_waitcnt vmcnt(6) lgkmcnt(5)
	v_mul_f64 v[8:9], v[106:107], v[42:43]
	v_fmac_f64_e32 v[136:137], v[86:87], v[20:21]
	v_add_f64 v[6:7], v[6:7], v[134:135]
	v_fma_f64 v[8:9], v[104:105], v[40:41], -v[8:9]
	v_mul_f64 v[140:141], v[92:93], v[30:31]
	v_fmac_f64_e32 v[138:139], v[90:91], v[24:25]
	v_add_f64 v[6:7], v[6:7], v[136:137]
	v_add_f64 v[4:5], v[4:5], v[8:9]
	s_waitcnt vmcnt(5) lgkmcnt(4)
	v_mul_f64 v[8:9], v[110:111], v[46:47]
	v_mul_f64 v[142:143], v[96:97], v[34:35]
	v_fmac_f64_e32 v[140:141], v[94:95], v[28:29]
	v_add_f64 v[6:7], v[6:7], v[138:139]
	v_fma_f64 v[8:9], v[108:109], v[44:45], -v[8:9]
	v_mul_f64 v[144:145], v[100:101], v[38:39]
	v_fmac_f64_e32 v[142:143], v[98:99], v[32:33]
	v_add_f64 v[6:7], v[6:7], v[140:141]
	v_add_f64 v[4:5], v[4:5], v[8:9]
	s_waitcnt vmcnt(4) lgkmcnt(3)
	v_mul_f64 v[8:9], v[114:115], v[50:51]
	;; [unrolled: 10-line block ×4, first 2 shown]
	v_mul_f64 v[154:155], v[120:121], v[58:59]
	v_fmac_f64_e32 v[152:153], v[118:119], v[52:53]
	v_add_f64 v[6:7], v[6:7], v[150:151]
	v_fma_f64 v[8:9], v[120:121], v[56:57], -v[8:9]
	s_waitcnt vmcnt(1) lgkmcnt(0)
	v_mul_f64 v[156:157], v[124:125], v[62:63]
	v_fmac_f64_e32 v[154:155], v[122:123], v[56:57]
	v_add_f64 v[6:7], v[6:7], v[152:153]
	v_add_f64 v[4:5], v[4:5], v[8:9]
	v_mul_f64 v[8:9], v[126:127], v[62:63]
	v_fmac_f64_e32 v[156:157], v[126:127], v[60:61]
	v_add_f64 v[6:7], v[6:7], v[154:155]
	v_fma_f64 v[8:9], v[124:125], v[60:61], -v[8:9]
	v_add_f64 v[6:7], v[6:7], v[156:157]
	v_add_f64 v[4:5], v[4:5], v[8:9]
	s_waitcnt vmcnt(0)
	v_add_f64 v[4:5], v[64:65], -v[4:5]
	v_add_f64 v[6:7], v[66:67], -v[6:7]
	scratch_store_dwordx4 off, v[4:7], off offset:368
	s_and_saveexec_b64 s[0:1], vcc
	s_cbranch_execz .LBB37_199
; %bb.198:
	scratch_load_dwordx4 v[6:9], off, s35
	v_mov_b32_e32 v3, v2
	v_mov_b32_e32 v4, v2
	;; [unrolled: 1-line block ×3, first 2 shown]
	scratch_store_dwordx4 off, v[2:5], off offset:352
	s_waitcnt vmcnt(1)
	ds_write_b128 v1, v[6:9]
.LBB37_199:
	s_or_b64 exec, exec, s[0:1]
	s_waitcnt lgkmcnt(0)
	; wave barrier
	scratch_load_dwordx4 v[4:7], off, off offset:368
	scratch_load_dwordx4 v[8:11], off, off offset:384
	;; [unrolled: 1-line block ×16, first 2 shown]
	ds_read_b128 v[68:71], v2 offset:960
	ds_read_b128 v[72:75], v2 offset:976
	;; [unrolled: 1-line block ×16, first 2 shown]
	scratch_load_dwordx4 v[132:135], off, off offset:352
	v_cmp_lt_u32_e32 vcc, 20, v0
	s_waitcnt vmcnt(16) lgkmcnt(14)
	v_mul_f64 v[2:3], v[68:69], v[6:7]
	s_waitcnt vmcnt(15)
	v_mul_f64 v[136:137], v[72:73], v[10:11]
	v_fmac_f64_e32 v[2:3], v[70:71], v[4:5]
	s_waitcnt vmcnt(14) lgkmcnt(13)
	v_mul_f64 v[138:139], v[76:77], v[14:15]
	v_fmac_f64_e32 v[136:137], v[74:75], v[8:9]
	v_add_f64 v[2:3], v[2:3], 0
	s_waitcnt vmcnt(13) lgkmcnt(12)
	v_mul_f64 v[140:141], v[80:81], v[18:19]
	v_fmac_f64_e32 v[138:139], v[78:79], v[12:13]
	v_add_f64 v[2:3], v[2:3], v[136:137]
	s_waitcnt vmcnt(12) lgkmcnt(11)
	v_mul_f64 v[142:143], v[84:85], v[26:27]
	v_fmac_f64_e32 v[140:141], v[82:83], v[16:17]
	v_add_f64 v[2:3], v[2:3], v[138:139]
	s_waitcnt vmcnt(11) lgkmcnt(10)
	v_mul_f64 v[144:145], v[88:89], v[22:23]
	v_fmac_f64_e32 v[142:143], v[86:87], v[24:25]
	v_add_f64 v[2:3], v[2:3], v[140:141]
	s_waitcnt vmcnt(10) lgkmcnt(9)
	v_mul_f64 v[146:147], v[92:93], v[30:31]
	v_fmac_f64_e32 v[144:145], v[90:91], v[20:21]
	v_add_f64 v[2:3], v[2:3], v[142:143]
	s_waitcnt vmcnt(9) lgkmcnt(8)
	v_mul_f64 v[148:149], v[96:97], v[34:35]
	v_fmac_f64_e32 v[146:147], v[94:95], v[28:29]
	v_add_f64 v[2:3], v[2:3], v[144:145]
	s_waitcnt vmcnt(8) lgkmcnt(7)
	v_mul_f64 v[150:151], v[100:101], v[38:39]
	v_fmac_f64_e32 v[148:149], v[98:99], v[32:33]
	v_add_f64 v[2:3], v[2:3], v[146:147]
	s_waitcnt vmcnt(7) lgkmcnt(6)
	v_mul_f64 v[152:153], v[104:105], v[42:43]
	v_fmac_f64_e32 v[150:151], v[102:103], v[36:37]
	v_add_f64 v[2:3], v[2:3], v[148:149]
	s_waitcnt vmcnt(6) lgkmcnt(5)
	v_mul_f64 v[154:155], v[108:109], v[46:47]
	v_fmac_f64_e32 v[152:153], v[106:107], v[40:41]
	v_add_f64 v[2:3], v[2:3], v[150:151]
	s_waitcnt vmcnt(5) lgkmcnt(4)
	v_mul_f64 v[156:157], v[112:113], v[50:51]
	v_fmac_f64_e32 v[154:155], v[110:111], v[44:45]
	v_add_f64 v[2:3], v[2:3], v[152:153]
	s_waitcnt vmcnt(4) lgkmcnt(3)
	v_mul_f64 v[158:159], v[116:117], v[54:55]
	v_mul_f64 v[6:7], v[70:71], v[6:7]
	v_fmac_f64_e32 v[156:157], v[114:115], v[48:49]
	v_add_f64 v[2:3], v[2:3], v[154:155]
	s_waitcnt vmcnt(3) lgkmcnt(2)
	v_mul_f64 v[160:161], v[120:121], v[58:59]
	v_mul_f64 v[10:11], v[74:75], v[10:11]
	v_fmac_f64_e32 v[158:159], v[118:119], v[52:53]
	v_fma_f64 v[4:5], v[68:69], v[4:5], -v[6:7]
	v_add_f64 v[2:3], v[2:3], v[156:157]
	s_waitcnt vmcnt(2) lgkmcnt(1)
	v_mul_f64 v[162:163], v[124:125], v[62:63]
	v_mul_f64 v[14:15], v[78:79], v[14:15]
	v_fmac_f64_e32 v[160:161], v[122:123], v[56:57]
	v_fma_f64 v[6:7], v[72:73], v[8:9], -v[10:11]
	v_add_f64 v[4:5], v[4:5], 0
	v_add_f64 v[2:3], v[2:3], v[158:159]
	s_waitcnt vmcnt(1) lgkmcnt(0)
	v_mul_f64 v[164:165], v[128:129], v[66:67]
	v_mul_f64 v[18:19], v[82:83], v[18:19]
	v_fmac_f64_e32 v[162:163], v[126:127], v[60:61]
	v_fma_f64 v[8:9], v[76:77], v[12:13], -v[14:15]
	v_add_f64 v[4:5], v[4:5], v[6:7]
	v_add_f64 v[2:3], v[2:3], v[160:161]
	v_mul_f64 v[26:27], v[86:87], v[26:27]
	v_fmac_f64_e32 v[164:165], v[130:131], v[64:65]
	v_fma_f64 v[10:11], v[80:81], v[16:17], -v[18:19]
	v_add_f64 v[4:5], v[4:5], v[8:9]
	v_add_f64 v[2:3], v[2:3], v[162:163]
	v_fma_f64 v[12:13], v[84:85], v[24:25], -v[26:27]
	v_add_f64 v[4:5], v[4:5], v[10:11]
	v_add_f64 v[6:7], v[2:3], v[164:165]
	v_mul_f64 v[2:3], v[90:91], v[22:23]
	v_add_f64 v[4:5], v[4:5], v[12:13]
	v_fma_f64 v[2:3], v[88:89], v[20:21], -v[2:3]
	v_add_f64 v[2:3], v[4:5], v[2:3]
	v_mul_f64 v[4:5], v[94:95], v[30:31]
	v_fma_f64 v[4:5], v[92:93], v[28:29], -v[4:5]
	v_add_f64 v[2:3], v[2:3], v[4:5]
	v_mul_f64 v[4:5], v[98:99], v[34:35]
	;; [unrolled: 3-line block ×10, first 2 shown]
	v_fma_f64 v[4:5], v[128:129], v[64:65], -v[4:5]
	v_add_f64 v[2:3], v[2:3], v[4:5]
	s_waitcnt vmcnt(0)
	v_add_f64 v[2:3], v[132:133], -v[2:3]
	v_add_f64 v[4:5], v[134:135], -v[6:7]
	scratch_store_dwordx4 off, v[2:5], off offset:352
	s_and_saveexec_b64 s[0:1], vcc
	s_cbranch_execz .LBB37_201
; %bb.200:
	scratch_load_dwordx4 v[2:5], off, s34
	v_mov_b32_e32 v6, 0
	v_mov_b32_e32 v7, v6
	;; [unrolled: 1-line block ×4, first 2 shown]
	scratch_store_dwordx4 off, v[6:9], off offset:336
	s_waitcnt vmcnt(1)
	ds_write_b128 v1, v[2:5]
.LBB37_201:
	s_or_b64 exec, exec, s[0:1]
	s_waitcnt lgkmcnt(0)
	; wave barrier
	scratch_load_dwordx4 v[4:7], off, off offset:352
	scratch_load_dwordx4 v[8:11], off, off offset:368
	;; [unrolled: 1-line block ×18, first 2 shown]
	v_mov_b32_e32 v2, 0
	ds_read_b128 v[76:79], v2 offset:944
	ds_read_b128 v[80:83], v2 offset:960
	;; [unrolled: 1-line block ×17, first 2 shown]
	v_cmp_lt_u32_e32 vcc, 19, v0
	s_waitcnt vmcnt(17) lgkmcnt(14)
	v_mul_f64 v[144:145], v[76:77], v[6:7]
	v_mul_f64 v[6:7], v[78:79], v[6:7]
	s_waitcnt vmcnt(16)
	v_mul_f64 v[146:147], v[80:81], v[10:11]
	v_mul_f64 v[10:11], v[82:83], v[10:11]
	v_fmac_f64_e32 v[144:145], v[78:79], v[4:5]
	v_fma_f64 v[4:5], v[76:77], v[4:5], -v[6:7]
	s_waitcnt vmcnt(15)
	v_mul_f64 v[148:149], v[84:85], v[18:19]
	v_mul_f64 v[18:19], v[86:87], v[18:19]
	v_fma_f64 v[6:7], v[80:81], v[8:9], -v[10:11]
	v_add_f64 v[4:5], v[4:5], 0
	s_waitcnt vmcnt(14) lgkmcnt(13)
	v_mul_f64 v[150:151], v[88:89], v[14:15]
	v_mul_f64 v[14:15], v[90:91], v[14:15]
	v_fmac_f64_e32 v[146:147], v[82:83], v[8:9]
	v_fma_f64 v[8:9], v[84:85], v[16:17], -v[18:19]
	v_add_f64 v[4:5], v[4:5], v[6:7]
	v_add_f64 v[4:5], v[4:5], v[8:9]
	v_fma_f64 v[8:9], v[88:89], v[12:13], -v[14:15]
	v_add_f64 v[4:5], v[4:5], v[8:9]
	s_waitcnt vmcnt(13) lgkmcnt(12)
	v_mul_f64 v[8:9], v[94:95], v[22:23]
	v_fma_f64 v[8:9], v[92:93], v[20:21], -v[8:9]
	v_add_f64 v[4:5], v[4:5], v[8:9]
	s_waitcnt vmcnt(12) lgkmcnt(11)
	v_mul_f64 v[8:9], v[98:99], v[26:27]
	;; [unrolled: 4-line block ×5, first 2 shown]
	v_fma_f64 v[8:9], v[108:109], v[36:37], -v[8:9]
	v_add_f64 v[10:11], v[144:145], 0
	v_add_f64 v[4:5], v[4:5], v[8:9]
	s_waitcnt vmcnt(8) lgkmcnt(7)
	v_mul_f64 v[8:9], v[114:115], v[42:43]
	v_fmac_f64_e32 v[148:149], v[86:87], v[16:17]
	v_add_f64 v[10:11], v[10:11], v[146:147]
	v_fma_f64 v[8:9], v[112:113], v[40:41], -v[8:9]
	v_mul_f64 v[152:153], v[92:93], v[22:23]
	v_fmac_f64_e32 v[150:151], v[90:91], v[12:13]
	v_add_f64 v[6:7], v[10:11], v[148:149]
	v_add_f64 v[4:5], v[4:5], v[8:9]
	s_waitcnt vmcnt(7) lgkmcnt(6)
	v_mul_f64 v[8:9], v[118:119], v[46:47]
	v_mul_f64 v[154:155], v[96:97], v[26:27]
	v_fmac_f64_e32 v[152:153], v[94:95], v[20:21]
	v_add_f64 v[6:7], v[6:7], v[150:151]
	v_fma_f64 v[8:9], v[116:117], v[44:45], -v[8:9]
	v_mul_f64 v[156:157], v[100:101], v[30:31]
	v_fmac_f64_e32 v[154:155], v[98:99], v[24:25]
	v_add_f64 v[6:7], v[6:7], v[152:153]
	v_add_f64 v[4:5], v[4:5], v[8:9]
	s_waitcnt vmcnt(6) lgkmcnt(5)
	v_mul_f64 v[8:9], v[122:123], v[50:51]
	v_mul_f64 v[158:159], v[104:105], v[34:35]
	v_fmac_f64_e32 v[156:157], v[102:103], v[28:29]
	v_add_f64 v[6:7], v[6:7], v[154:155]
	v_fma_f64 v[8:9], v[120:121], v[48:49], -v[8:9]
	v_mul_f64 v[160:161], v[108:109], v[38:39]
	v_fmac_f64_e32 v[158:159], v[106:107], v[32:33]
	v_add_f64 v[6:7], v[6:7], v[156:157]
	v_add_f64 v[4:5], v[4:5], v[8:9]
	s_waitcnt vmcnt(5) lgkmcnt(4)
	v_mul_f64 v[8:9], v[126:127], v[54:55]
	v_mul_f64 v[162:163], v[112:113], v[42:43]
	v_fmac_f64_e32 v[160:161], v[110:111], v[36:37]
	v_add_f64 v[6:7], v[6:7], v[158:159]
	v_fma_f64 v[8:9], v[124:125], v[52:53], -v[8:9]
	v_mul_f64 v[164:165], v[116:117], v[46:47]
	v_fmac_f64_e32 v[162:163], v[114:115], v[40:41]
	v_add_f64 v[6:7], v[6:7], v[160:161]
	v_add_f64 v[4:5], v[4:5], v[8:9]
	s_waitcnt vmcnt(4) lgkmcnt(3)
	v_mul_f64 v[8:9], v[130:131], v[58:59]
	v_mul_f64 v[166:167], v[120:121], v[50:51]
	v_fmac_f64_e32 v[164:165], v[118:119], v[44:45]
	v_add_f64 v[6:7], v[6:7], v[162:163]
	v_fma_f64 v[8:9], v[128:129], v[56:57], -v[8:9]
	v_mul_f64 v[168:169], v[124:125], v[54:55]
	v_fmac_f64_e32 v[166:167], v[122:123], v[48:49]
	v_add_f64 v[6:7], v[6:7], v[164:165]
	v_add_f64 v[4:5], v[4:5], v[8:9]
	s_waitcnt vmcnt(3) lgkmcnt(2)
	v_mul_f64 v[8:9], v[134:135], v[62:63]
	v_mul_f64 v[170:171], v[128:129], v[58:59]
	v_fmac_f64_e32 v[168:169], v[126:127], v[52:53]
	v_add_f64 v[6:7], v[6:7], v[166:167]
	v_fma_f64 v[8:9], v[132:133], v[60:61], -v[8:9]
	v_mul_f64 v[172:173], v[132:133], v[62:63]
	v_fmac_f64_e32 v[170:171], v[130:131], v[56:57]
	v_add_f64 v[6:7], v[6:7], v[168:169]
	v_add_f64 v[4:5], v[4:5], v[8:9]
	s_waitcnt vmcnt(2) lgkmcnt(1)
	v_mul_f64 v[8:9], v[138:139], v[66:67]
	v_mul_f64 v[174:175], v[136:137], v[66:67]
	v_fmac_f64_e32 v[172:173], v[134:135], v[60:61]
	v_add_f64 v[6:7], v[6:7], v[170:171]
	v_fma_f64 v[8:9], v[136:137], v[64:65], -v[8:9]
	s_waitcnt vmcnt(1) lgkmcnt(0)
	v_mul_f64 v[176:177], v[140:141], v[70:71]
	v_fmac_f64_e32 v[174:175], v[138:139], v[64:65]
	v_add_f64 v[6:7], v[6:7], v[172:173]
	v_add_f64 v[4:5], v[4:5], v[8:9]
	v_mul_f64 v[8:9], v[142:143], v[70:71]
	v_fmac_f64_e32 v[176:177], v[142:143], v[68:69]
	v_add_f64 v[6:7], v[6:7], v[174:175]
	v_fma_f64 v[8:9], v[140:141], v[68:69], -v[8:9]
	v_add_f64 v[6:7], v[6:7], v[176:177]
	v_add_f64 v[4:5], v[4:5], v[8:9]
	s_waitcnt vmcnt(0)
	v_add_f64 v[4:5], v[72:73], -v[4:5]
	v_add_f64 v[6:7], v[74:75], -v[6:7]
	scratch_store_dwordx4 off, v[4:7], off offset:336
	s_and_saveexec_b64 s[0:1], vcc
	s_cbranch_execz .LBB37_203
; %bb.202:
	scratch_load_dwordx4 v[6:9], off, s33
	v_mov_b32_e32 v3, v2
	v_mov_b32_e32 v4, v2
	;; [unrolled: 1-line block ×3, first 2 shown]
	scratch_store_dwordx4 off, v[2:5], off offset:320
	s_waitcnt vmcnt(1)
	ds_write_b128 v1, v[6:9]
.LBB37_203:
	s_or_b64 exec, exec, s[0:1]
	s_waitcnt lgkmcnt(0)
	; wave barrier
	ds_read_b128 v[16:19], v2 offset:928
	ds_read_b128 v[12:15], v2 offset:944
	;; [unrolled: 1-line block ×4, first 2 shown]
	scratch_load_dwordx4 v[20:23], off, off offset:336
	scratch_load_dwordx4 v[40:43], off, off offset:400
	;; [unrolled: 1-line block ×12, first 2 shown]
	v_cmp_lt_u32_e32 vcc, 18, v0
	scratch_load_dwordx4 v[48:51], off, off offset:416
	scratch_load_dwordx4 v[56:59], off, off offset:432
	scratch_load_dwordx4 v[64:67], off, off offset:448
	s_waitcnt vmcnt(14) lgkmcnt(3)
	v_mul_f64 v[24:25], v[16:17], v[22:23]
	v_fmac_f64_e32 v[24:25], v[18:19], v[20:21]
	v_add_f64 v[28:29], v[24:25], 0
	scratch_load_dwordx4 v[24:27], off, off offset:352
	s_waitcnt vmcnt(0) lgkmcnt(2)
	v_mul_f64 v[30:31], v[12:13], v[26:27]
	v_fmac_f64_e32 v[30:31], v[14:15], v[24:25]
	v_add_f64 v[32:33], v[28:29], v[30:31]
	scratch_load_dwordx4 v[28:31], off, off offset:368
	v_mul_f64 v[14:15], v[14:15], v[26:27]
	v_fma_f64 v[12:13], v[12:13], v[24:25], -v[14:15]
	s_waitcnt vmcnt(0) lgkmcnt(1)
	v_mul_f64 v[34:35], v[8:9], v[30:31]
	v_fmac_f64_e32 v[34:35], v[10:11], v[28:29]
	v_add_f64 v[36:37], v[32:33], v[34:35]
	scratch_load_dwordx4 v[32:35], off, off offset:384
	v_mul_f64 v[10:11], v[10:11], v[30:31]
	v_fma_f64 v[8:9], v[8:9], v[28:29], -v[10:11]
	s_waitcnt vmcnt(0) lgkmcnt(0)
	v_mul_f64 v[38:39], v[4:5], v[34:35]
	v_fmac_f64_e32 v[38:39], v[6:7], v[32:33]
	v_add_f64 v[44:45], v[36:37], v[38:39]
	ds_read_b128 v[36:39], v2 offset:992
	v_mul_f64 v[6:7], v[6:7], v[34:35]
	v_fma_f64 v[4:5], v[4:5], v[32:33], -v[6:7]
	s_waitcnt lgkmcnt(0)
	v_mul_f64 v[46:47], v[36:37], v[42:43]
	v_fmac_f64_e32 v[46:47], v[38:39], v[40:41]
	v_add_f64 v[52:53], v[44:45], v[46:47]
	ds_read_b128 v[44:47], v2 offset:1008
	s_waitcnt lgkmcnt(0)
	v_mul_f64 v[54:55], v[44:45], v[50:51]
	v_fmac_f64_e32 v[54:55], v[46:47], v[48:49]
	v_add_f64 v[60:61], v[52:53], v[54:55]
	ds_read_b128 v[52:55], v2 offset:1024
	;; [unrolled: 5-line block ×13, first 2 shown]
	s_waitcnt lgkmcnt(0)
	v_mul_f64 v[2:3], v[142:143], v[148:149]
	v_fmac_f64_e32 v[2:3], v[144:145], v[146:147]
	v_add_f64 v[80:81], v[80:81], v[2:3]
	v_mul_f64 v[2:3], v[18:19], v[22:23]
	v_fma_f64 v[2:3], v[16:17], v[20:21], -v[2:3]
	v_add_f64 v[2:3], v[2:3], 0
	v_add_f64 v[2:3], v[2:3], v[12:13]
	;; [unrolled: 1-line block ×4, first 2 shown]
	v_mul_f64 v[4:5], v[38:39], v[42:43]
	v_fma_f64 v[4:5], v[36:37], v[40:41], -v[4:5]
	v_add_f64 v[2:3], v[2:3], v[4:5]
	v_mul_f64 v[4:5], v[46:47], v[50:51]
	v_fma_f64 v[4:5], v[44:45], v[48:49], -v[4:5]
	v_add_f64 v[2:3], v[2:3], v[4:5]
	;; [unrolled: 3-line block ×14, first 2 shown]
	scratch_load_dwordx4 v[2:5], off, off offset:320
	s_waitcnt vmcnt(0)
	v_add_f64 v[2:3], v[2:3], -v[6:7]
	v_add_f64 v[4:5], v[4:5], -v[80:81]
	scratch_store_dwordx4 off, v[2:5], off offset:320
	s_and_saveexec_b64 s[0:1], vcc
	s_cbranch_execz .LBB37_205
; %bb.204:
	scratch_load_dwordx4 v[2:5], off, s31
	v_mov_b32_e32 v6, 0
	v_mov_b32_e32 v7, v6
	;; [unrolled: 1-line block ×4, first 2 shown]
	scratch_store_dwordx4 off, v[6:9], off offset:304
	s_waitcnt vmcnt(1)
	ds_write_b128 v1, v[2:5]
.LBB37_205:
	s_or_b64 exec, exec, s[0:1]
	v_mov_b32_e32 v2, 0
	s_waitcnt lgkmcnt(0)
	; wave barrier
	ds_read_b128 v[16:19], v2 offset:912
	ds_read_b128 v[12:15], v2 offset:928
	;; [unrolled: 1-line block ×4, first 2 shown]
	scratch_load_dwordx4 v[20:23], off, off offset:320
	scratch_load_dwordx4 v[40:43], off, off offset:384
	;; [unrolled: 1-line block ×13, first 2 shown]
	v_cmp_lt_u32_e32 vcc, 17, v0
	scratch_load_dwordx4 v[48:51], off, off offset:400
	scratch_load_dwordx4 v[56:59], off, off offset:416
	scratch_load_dwordx4 v[64:67], off, off offset:432
	s_waitcnt vmcnt(15) lgkmcnt(3)
	v_mul_f64 v[24:25], v[16:17], v[22:23]
	v_fmac_f64_e32 v[24:25], v[18:19], v[20:21]
	v_add_f64 v[28:29], v[24:25], 0
	scratch_load_dwordx4 v[24:27], off, off offset:336
	v_mul_f64 v[18:19], v[18:19], v[22:23]
	v_fma_f64 v[16:17], v[16:17], v[20:21], -v[18:19]
	v_add_f64 v[16:17], v[16:17], 0
	s_waitcnt vmcnt(0) lgkmcnt(2)
	v_mul_f64 v[30:31], v[12:13], v[26:27]
	v_fmac_f64_e32 v[30:31], v[14:15], v[24:25]
	v_add_f64 v[32:33], v[28:29], v[30:31]
	scratch_load_dwordx4 v[28:31], off, off offset:352
	v_mul_f64 v[14:15], v[14:15], v[26:27]
	v_fma_f64 v[12:13], v[12:13], v[24:25], -v[14:15]
	v_add_f64 v[12:13], v[16:17], v[12:13]
	;; [unrolled: 8-line block ×3, first 2 shown]
	s_waitcnt vmcnt(0) lgkmcnt(0)
	v_mul_f64 v[38:39], v[4:5], v[34:35]
	v_fmac_f64_e32 v[38:39], v[6:7], v[32:33]
	v_add_f64 v[44:45], v[36:37], v[38:39]
	ds_read_b128 v[36:39], v2 offset:976
	v_mul_f64 v[6:7], v[6:7], v[34:35]
	v_fma_f64 v[4:5], v[4:5], v[32:33], -v[6:7]
	v_add_f64 v[4:5], v[8:9], v[4:5]
	s_waitcnt lgkmcnt(0)
	v_mul_f64 v[46:47], v[36:37], v[42:43]
	v_fmac_f64_e32 v[46:47], v[38:39], v[40:41]
	v_add_f64 v[52:53], v[44:45], v[46:47]
	ds_read_b128 v[44:47], v2 offset:992
	v_mul_f64 v[6:7], v[38:39], v[42:43]
	v_fma_f64 v[6:7], v[36:37], v[40:41], -v[6:7]
	v_add_f64 v[4:5], v[4:5], v[6:7]
	s_waitcnt lgkmcnt(0)
	;; [unrolled: 8-line block ×15, first 2 shown]
	v_mul_f64 v[6:7], v[152:153], v[156:157]
	v_fma_f64 v[6:7], v[150:151], v[154:155], -v[6:7]
	v_add_f64 v[8:9], v[4:5], v[6:7]
	scratch_load_dwordx4 v[4:7], off, off offset:304
	v_mul_f64 v[158:159], v[150:151], v[156:157]
	v_fmac_f64_e32 v[158:159], v[152:153], v[154:155]
	v_add_f64 v[88:89], v[88:89], v[158:159]
	s_waitcnt vmcnt(0)
	v_add_f64 v[4:5], v[4:5], -v[8:9]
	v_add_f64 v[6:7], v[6:7], -v[88:89]
	scratch_store_dwordx4 off, v[4:7], off offset:304
	s_and_saveexec_b64 s[0:1], vcc
	s_cbranch_execz .LBB37_207
; %bb.206:
	scratch_load_dwordx4 v[6:9], off, s30
	v_mov_b32_e32 v3, v2
	v_mov_b32_e32 v4, v2
	;; [unrolled: 1-line block ×3, first 2 shown]
	scratch_store_dwordx4 off, v[2:5], off offset:288
	s_waitcnt vmcnt(1)
	ds_write_b128 v1, v[6:9]
.LBB37_207:
	s_or_b64 exec, exec, s[0:1]
	s_waitcnt lgkmcnt(0)
	; wave barrier
	ds_read_b128 v[16:19], v2 offset:896
	ds_read_b128 v[12:15], v2 offset:912
	;; [unrolled: 1-line block ×4, first 2 shown]
	scratch_load_dwordx4 v[20:23], off, off offset:304
	scratch_load_dwordx4 v[40:43], off, off offset:368
	scratch_load_dwordx4 v[72:75], off, off offset:432
	scratch_load_dwordx4 v[80:83], off, off offset:448
	scratch_load_dwordx4 v[88:91], off, off offset:464
	scratch_load_dwordx4 v[98:101], off, off offset:480
	scratch_load_dwordx4 v[106:109], off, off offset:496
	scratch_load_dwordx4 v[114:117], off, off offset:512
	scratch_load_dwordx4 v[122:125], off, off offset:528
	scratch_load_dwordx4 v[130:133], off, off offset:544
	scratch_load_dwordx4 v[138:141], off, off offset:560
	scratch_load_dwordx4 v[146:149], off, off offset:576
	scratch_load_dwordx4 v[154:157], off, off offset:592
	scratch_load_dwordx4 v[162:165], off, off offset:608
	v_cmp_lt_u32_e32 vcc, 16, v0
	scratch_load_dwordx4 v[48:51], off, off offset:384
	scratch_load_dwordx4 v[56:59], off, off offset:400
	;; [unrolled: 1-line block ×3, first 2 shown]
	s_waitcnt vmcnt(16) lgkmcnt(3)
	v_mul_f64 v[24:25], v[16:17], v[22:23]
	v_fmac_f64_e32 v[24:25], v[18:19], v[20:21]
	v_add_f64 v[28:29], v[24:25], 0
	scratch_load_dwordx4 v[24:27], off, off offset:320
	s_waitcnt vmcnt(0) lgkmcnt(2)
	v_mul_f64 v[30:31], v[12:13], v[26:27]
	v_fmac_f64_e32 v[30:31], v[14:15], v[24:25]
	v_add_f64 v[32:33], v[28:29], v[30:31]
	scratch_load_dwordx4 v[28:31], off, off offset:336
	v_mul_f64 v[14:15], v[14:15], v[26:27]
	v_fma_f64 v[12:13], v[12:13], v[24:25], -v[14:15]
	s_waitcnt vmcnt(0) lgkmcnt(1)
	v_mul_f64 v[34:35], v[8:9], v[30:31]
	v_fmac_f64_e32 v[34:35], v[10:11], v[28:29]
	v_add_f64 v[36:37], v[32:33], v[34:35]
	scratch_load_dwordx4 v[32:35], off, off offset:352
	v_mul_f64 v[10:11], v[10:11], v[30:31]
	v_fma_f64 v[8:9], v[8:9], v[28:29], -v[10:11]
	s_waitcnt vmcnt(0) lgkmcnt(0)
	v_mul_f64 v[38:39], v[4:5], v[34:35]
	v_fmac_f64_e32 v[38:39], v[6:7], v[32:33]
	v_add_f64 v[44:45], v[36:37], v[38:39]
	ds_read_b128 v[36:39], v2 offset:960
	v_mul_f64 v[6:7], v[6:7], v[34:35]
	v_fma_f64 v[4:5], v[4:5], v[32:33], -v[6:7]
	s_waitcnt lgkmcnt(0)
	v_mul_f64 v[46:47], v[36:37], v[42:43]
	v_fmac_f64_e32 v[46:47], v[38:39], v[40:41]
	v_add_f64 v[52:53], v[44:45], v[46:47]
	ds_read_b128 v[44:47], v2 offset:976
	s_waitcnt lgkmcnt(0)
	v_mul_f64 v[54:55], v[44:45], v[50:51]
	v_fmac_f64_e32 v[54:55], v[46:47], v[48:49]
	v_add_f64 v[60:61], v[52:53], v[54:55]
	ds_read_b128 v[52:55], v2 offset:992
	;; [unrolled: 5-line block ×15, first 2 shown]
	s_waitcnt lgkmcnt(0)
	v_mul_f64 v[2:3], v[158:159], v[164:165]
	v_fmac_f64_e32 v[2:3], v[160:161], v[162:163]
	v_add_f64 v[96:97], v[96:97], v[2:3]
	v_mul_f64 v[2:3], v[18:19], v[22:23]
	v_fma_f64 v[2:3], v[16:17], v[20:21], -v[2:3]
	v_add_f64 v[2:3], v[2:3], 0
	v_add_f64 v[2:3], v[2:3], v[12:13]
	;; [unrolled: 1-line block ×4, first 2 shown]
	v_mul_f64 v[4:5], v[38:39], v[42:43]
	v_fma_f64 v[4:5], v[36:37], v[40:41], -v[4:5]
	v_add_f64 v[2:3], v[2:3], v[4:5]
	v_mul_f64 v[4:5], v[46:47], v[50:51]
	v_fma_f64 v[4:5], v[44:45], v[48:49], -v[4:5]
	v_add_f64 v[2:3], v[2:3], v[4:5]
	;; [unrolled: 3-line block ×16, first 2 shown]
	scratch_load_dwordx4 v[2:5], off, off offset:288
	s_waitcnt vmcnt(0)
	v_add_f64 v[2:3], v[2:3], -v[6:7]
	v_add_f64 v[4:5], v[4:5], -v[96:97]
	scratch_store_dwordx4 off, v[2:5], off offset:288
	s_and_saveexec_b64 s[0:1], vcc
	s_cbranch_execz .LBB37_209
; %bb.208:
	scratch_load_dwordx4 v[2:5], off, s29
	v_mov_b32_e32 v6, 0
	v_mov_b32_e32 v7, v6
	;; [unrolled: 1-line block ×4, first 2 shown]
	scratch_store_dwordx4 off, v[6:9], off offset:272
	s_waitcnt vmcnt(1)
	ds_write_b128 v1, v[2:5]
.LBB37_209:
	s_or_b64 exec, exec, s[0:1]
	v_mov_b32_e32 v2, 0
	s_waitcnt lgkmcnt(0)
	; wave barrier
	ds_read_b128 v[16:19], v2 offset:880
	ds_read_b128 v[12:15], v2 offset:896
	;; [unrolled: 1-line block ×4, first 2 shown]
	scratch_load_dwordx4 v[20:23], off, off offset:288
	scratch_load_dwordx4 v[40:43], off, off offset:352
	;; [unrolled: 1-line block ×15, first 2 shown]
	v_cmp_lt_u32_e32 vcc, 15, v0
	scratch_load_dwordx4 v[48:51], off, off offset:368
	scratch_load_dwordx4 v[56:59], off, off offset:384
	;; [unrolled: 1-line block ×3, first 2 shown]
	s_waitcnt vmcnt(17) lgkmcnt(3)
	v_mul_f64 v[24:25], v[16:17], v[22:23]
	v_fmac_f64_e32 v[24:25], v[18:19], v[20:21]
	v_add_f64 v[28:29], v[24:25], 0
	scratch_load_dwordx4 v[24:27], off, off offset:304
	v_mul_f64 v[18:19], v[18:19], v[22:23]
	v_fma_f64 v[16:17], v[16:17], v[20:21], -v[18:19]
	v_add_f64 v[16:17], v[16:17], 0
	s_waitcnt vmcnt(0) lgkmcnt(2)
	v_mul_f64 v[30:31], v[12:13], v[26:27]
	v_fmac_f64_e32 v[30:31], v[14:15], v[24:25]
	v_add_f64 v[32:33], v[28:29], v[30:31]
	scratch_load_dwordx4 v[28:31], off, off offset:320
	v_mul_f64 v[14:15], v[14:15], v[26:27]
	v_fma_f64 v[12:13], v[12:13], v[24:25], -v[14:15]
	v_add_f64 v[12:13], v[16:17], v[12:13]
	;; [unrolled: 8-line block ×3, first 2 shown]
	s_waitcnt vmcnt(0) lgkmcnt(0)
	v_mul_f64 v[38:39], v[4:5], v[34:35]
	v_fmac_f64_e32 v[38:39], v[6:7], v[32:33]
	v_add_f64 v[44:45], v[36:37], v[38:39]
	ds_read_b128 v[36:39], v2 offset:944
	v_mul_f64 v[6:7], v[6:7], v[34:35]
	v_fma_f64 v[4:5], v[4:5], v[32:33], -v[6:7]
	v_add_f64 v[4:5], v[8:9], v[4:5]
	s_waitcnt lgkmcnt(0)
	v_mul_f64 v[46:47], v[36:37], v[42:43]
	v_fmac_f64_e32 v[46:47], v[38:39], v[40:41]
	v_add_f64 v[52:53], v[44:45], v[46:47]
	ds_read_b128 v[44:47], v2 offset:960
	v_mul_f64 v[6:7], v[38:39], v[42:43]
	v_fma_f64 v[6:7], v[36:37], v[40:41], -v[6:7]
	v_add_f64 v[4:5], v[4:5], v[6:7]
	s_waitcnt lgkmcnt(0)
	;; [unrolled: 8-line block ×17, first 2 shown]
	v_mul_f64 v[6:7], v[168:169], v[172:173]
	v_fma_f64 v[6:7], v[166:167], v[170:171], -v[6:7]
	v_add_f64 v[8:9], v[4:5], v[6:7]
	scratch_load_dwordx4 v[4:7], off, off offset:272
	v_mul_f64 v[174:175], v[166:167], v[172:173]
	v_fmac_f64_e32 v[174:175], v[168:169], v[170:171]
	v_add_f64 v[104:105], v[104:105], v[174:175]
	s_waitcnt vmcnt(0)
	v_add_f64 v[4:5], v[4:5], -v[8:9]
	v_add_f64 v[6:7], v[6:7], -v[104:105]
	scratch_store_dwordx4 off, v[4:7], off offset:272
	s_and_saveexec_b64 s[0:1], vcc
	s_cbranch_execz .LBB37_211
; %bb.210:
	scratch_load_dwordx4 v[6:9], off, s28
	v_mov_b32_e32 v3, v2
	v_mov_b32_e32 v4, v2
	;; [unrolled: 1-line block ×3, first 2 shown]
	scratch_store_dwordx4 off, v[2:5], off offset:256
	s_waitcnt vmcnt(1)
	ds_write_b128 v1, v[6:9]
.LBB37_211:
	s_or_b64 exec, exec, s[0:1]
	s_waitcnt lgkmcnt(0)
	; wave barrier
	ds_read_b128 v[16:19], v2 offset:864
	ds_read_b128 v[12:15], v2 offset:880
	;; [unrolled: 1-line block ×4, first 2 shown]
	scratch_load_dwordx4 v[20:23], off, off offset:272
	scratch_load_dwordx4 v[40:43], off, off offset:336
	;; [unrolled: 1-line block ×16, first 2 shown]
	v_cmp_lt_u32_e32 vcc, 14, v0
	scratch_load_dwordx4 v[48:51], off, off offset:352
	scratch_load_dwordx4 v[56:59], off, off offset:368
	;; [unrolled: 1-line block ×3, first 2 shown]
	s_waitcnt vmcnt(18) lgkmcnt(3)
	v_mul_f64 v[24:25], v[16:17], v[22:23]
	v_fmac_f64_e32 v[24:25], v[18:19], v[20:21]
	v_add_f64 v[28:29], v[24:25], 0
	scratch_load_dwordx4 v[24:27], off, off offset:288
	s_waitcnt vmcnt(0) lgkmcnt(2)
	v_mul_f64 v[30:31], v[12:13], v[26:27]
	v_fmac_f64_e32 v[30:31], v[14:15], v[24:25]
	v_add_f64 v[32:33], v[28:29], v[30:31]
	scratch_load_dwordx4 v[28:31], off, off offset:304
	v_mul_f64 v[14:15], v[14:15], v[26:27]
	v_fma_f64 v[12:13], v[12:13], v[24:25], -v[14:15]
	s_waitcnt vmcnt(0) lgkmcnt(1)
	v_mul_f64 v[34:35], v[8:9], v[30:31]
	v_fmac_f64_e32 v[34:35], v[10:11], v[28:29]
	v_add_f64 v[36:37], v[32:33], v[34:35]
	scratch_load_dwordx4 v[32:35], off, off offset:320
	v_mul_f64 v[10:11], v[10:11], v[30:31]
	v_fma_f64 v[8:9], v[8:9], v[28:29], -v[10:11]
	s_waitcnt vmcnt(0) lgkmcnt(0)
	v_mul_f64 v[38:39], v[4:5], v[34:35]
	v_fmac_f64_e32 v[38:39], v[6:7], v[32:33]
	v_add_f64 v[44:45], v[36:37], v[38:39]
	ds_read_b128 v[36:39], v2 offset:928
	v_mul_f64 v[6:7], v[6:7], v[34:35]
	v_fma_f64 v[4:5], v[4:5], v[32:33], -v[6:7]
	s_waitcnt lgkmcnt(0)
	v_mul_f64 v[46:47], v[36:37], v[42:43]
	v_fmac_f64_e32 v[46:47], v[38:39], v[40:41]
	v_add_f64 v[52:53], v[44:45], v[46:47]
	ds_read_b128 v[44:47], v2 offset:944
	s_waitcnt lgkmcnt(0)
	v_mul_f64 v[54:55], v[44:45], v[50:51]
	v_fmac_f64_e32 v[54:55], v[46:47], v[48:49]
	v_add_f64 v[60:61], v[52:53], v[54:55]
	ds_read_b128 v[52:55], v2 offset:960
	;; [unrolled: 5-line block ×17, first 2 shown]
	s_waitcnt lgkmcnt(0)
	v_mul_f64 v[2:3], v[174:175], v[180:181]
	v_fmac_f64_e32 v[2:3], v[176:177], v[178:179]
	v_add_f64 v[120:121], v[120:121], v[2:3]
	v_mul_f64 v[2:3], v[18:19], v[22:23]
	v_fma_f64 v[2:3], v[16:17], v[20:21], -v[2:3]
	v_add_f64 v[2:3], v[2:3], 0
	v_add_f64 v[2:3], v[2:3], v[12:13]
	;; [unrolled: 1-line block ×4, first 2 shown]
	v_mul_f64 v[4:5], v[38:39], v[42:43]
	v_fma_f64 v[4:5], v[36:37], v[40:41], -v[4:5]
	v_add_f64 v[2:3], v[2:3], v[4:5]
	v_mul_f64 v[4:5], v[46:47], v[50:51]
	v_fma_f64 v[4:5], v[44:45], v[48:49], -v[4:5]
	v_add_f64 v[2:3], v[2:3], v[4:5]
	;; [unrolled: 3-line block ×18, first 2 shown]
	scratch_load_dwordx4 v[2:5], off, off offset:256
	s_waitcnt vmcnt(0)
	v_add_f64 v[2:3], v[2:3], -v[6:7]
	v_add_f64 v[4:5], v[4:5], -v[120:121]
	scratch_store_dwordx4 off, v[2:5], off offset:256
	s_and_saveexec_b64 s[0:1], vcc
	s_cbranch_execz .LBB37_213
; %bb.212:
	scratch_load_dwordx4 v[2:5], off, s27
	v_mov_b32_e32 v6, 0
	v_mov_b32_e32 v7, v6
	v_mov_b32_e32 v8, v6
	v_mov_b32_e32 v9, v6
	scratch_store_dwordx4 off, v[6:9], off offset:240
	s_waitcnt vmcnt(1)
	ds_write_b128 v1, v[2:5]
.LBB37_213:
	s_or_b64 exec, exec, s[0:1]
	v_mov_b32_e32 v2, 0
	s_waitcnt lgkmcnt(0)
	; wave barrier
	ds_read_b128 v[16:19], v2 offset:848
	ds_read_b128 v[12:15], v2 offset:864
	ds_read_b128 v[8:11], v2 offset:880
	ds_read_b128 v[4:7], v2 offset:896
	scratch_load_dwordx4 v[20:23], off, off offset:256
	scratch_load_dwordx4 v[40:43], off, off offset:320
	;; [unrolled: 1-line block ×17, first 2 shown]
	v_cmp_lt_u32_e32 vcc, 13, v0
	scratch_load_dwordx4 v[48:51], off, off offset:336
	scratch_load_dwordx4 v[56:59], off, off offset:352
	;; [unrolled: 1-line block ×3, first 2 shown]
	s_waitcnt vmcnt(19) lgkmcnt(3)
	v_mul_f64 v[24:25], v[16:17], v[22:23]
	v_fmac_f64_e32 v[24:25], v[18:19], v[20:21]
	v_add_f64 v[28:29], v[24:25], 0
	scratch_load_dwordx4 v[24:27], off, off offset:272
	v_mul_f64 v[18:19], v[18:19], v[22:23]
	v_fma_f64 v[16:17], v[16:17], v[20:21], -v[18:19]
	v_add_f64 v[16:17], v[16:17], 0
	s_waitcnt vmcnt(0) lgkmcnt(2)
	v_mul_f64 v[30:31], v[12:13], v[26:27]
	v_fmac_f64_e32 v[30:31], v[14:15], v[24:25]
	v_add_f64 v[32:33], v[28:29], v[30:31]
	scratch_load_dwordx4 v[28:31], off, off offset:288
	v_mul_f64 v[14:15], v[14:15], v[26:27]
	v_fma_f64 v[12:13], v[12:13], v[24:25], -v[14:15]
	v_add_f64 v[12:13], v[16:17], v[12:13]
	;; [unrolled: 8-line block ×3, first 2 shown]
	s_waitcnt vmcnt(0) lgkmcnt(0)
	v_mul_f64 v[38:39], v[4:5], v[34:35]
	v_fmac_f64_e32 v[38:39], v[6:7], v[32:33]
	v_add_f64 v[44:45], v[36:37], v[38:39]
	ds_read_b128 v[36:39], v2 offset:912
	v_mul_f64 v[6:7], v[6:7], v[34:35]
	v_fma_f64 v[4:5], v[4:5], v[32:33], -v[6:7]
	v_add_f64 v[4:5], v[8:9], v[4:5]
	s_waitcnt lgkmcnt(0)
	v_mul_f64 v[46:47], v[36:37], v[42:43]
	v_fmac_f64_e32 v[46:47], v[38:39], v[40:41]
	v_add_f64 v[52:53], v[44:45], v[46:47]
	ds_read_b128 v[44:47], v2 offset:928
	v_mul_f64 v[6:7], v[38:39], v[42:43]
	v_fma_f64 v[6:7], v[36:37], v[40:41], -v[6:7]
	v_add_f64 v[4:5], v[4:5], v[6:7]
	s_waitcnt lgkmcnt(0)
	;; [unrolled: 8-line block ×19, first 2 shown]
	v_mul_f64 v[6:7], v[184:185], v[188:189]
	v_fma_f64 v[6:7], v[182:183], v[186:187], -v[6:7]
	v_add_f64 v[8:9], v[4:5], v[6:7]
	scratch_load_dwordx4 v[4:7], off, off offset:240
	v_mul_f64 v[190:191], v[182:183], v[188:189]
	v_fmac_f64_e32 v[190:191], v[184:185], v[186:187]
	v_add_f64 v[128:129], v[128:129], v[190:191]
	s_waitcnt vmcnt(0)
	v_add_f64 v[4:5], v[4:5], -v[8:9]
	v_add_f64 v[6:7], v[6:7], -v[128:129]
	scratch_store_dwordx4 off, v[4:7], off offset:240
	s_and_saveexec_b64 s[0:1], vcc
	s_cbranch_execz .LBB37_215
; %bb.214:
	scratch_load_dwordx4 v[6:9], off, s26
	v_mov_b32_e32 v3, v2
	v_mov_b32_e32 v4, v2
	;; [unrolled: 1-line block ×3, first 2 shown]
	scratch_store_dwordx4 off, v[2:5], off offset:224
	s_waitcnt vmcnt(1)
	ds_write_b128 v1, v[6:9]
.LBB37_215:
	s_or_b64 exec, exec, s[0:1]
	s_waitcnt lgkmcnt(0)
	; wave barrier
	ds_read_b128 v[16:19], v2 offset:832
	ds_read_b128 v[12:15], v2 offset:848
	;; [unrolled: 1-line block ×4, first 2 shown]
	scratch_load_dwordx4 v[20:23], off, off offset:240
	scratch_load_dwordx4 v[40:43], off, off offset:304
	;; [unrolled: 1-line block ×18, first 2 shown]
	v_cmp_lt_u32_e32 vcc, 12, v0
	scratch_load_dwordx4 v[48:51], off, off offset:320
	scratch_load_dwordx4 v[56:59], off, off offset:336
	;; [unrolled: 1-line block ×3, first 2 shown]
	s_waitcnt vmcnt(20) lgkmcnt(3)
	v_mul_f64 v[24:25], v[16:17], v[22:23]
	v_fmac_f64_e32 v[24:25], v[18:19], v[20:21]
	v_add_f64 v[28:29], v[24:25], 0
	scratch_load_dwordx4 v[24:27], off, off offset:256
	s_waitcnt vmcnt(0) lgkmcnt(2)
	v_mul_f64 v[30:31], v[12:13], v[26:27]
	v_fmac_f64_e32 v[30:31], v[14:15], v[24:25]
	v_add_f64 v[32:33], v[28:29], v[30:31]
	scratch_load_dwordx4 v[28:31], off, off offset:272
	v_mul_f64 v[14:15], v[14:15], v[26:27]
	v_fma_f64 v[12:13], v[12:13], v[24:25], -v[14:15]
	s_waitcnt vmcnt(0) lgkmcnt(1)
	v_mul_f64 v[34:35], v[8:9], v[30:31]
	v_fmac_f64_e32 v[34:35], v[10:11], v[28:29]
	v_add_f64 v[36:37], v[32:33], v[34:35]
	scratch_load_dwordx4 v[32:35], off, off offset:288
	v_mul_f64 v[10:11], v[10:11], v[30:31]
	v_fma_f64 v[8:9], v[8:9], v[28:29], -v[10:11]
	s_waitcnt vmcnt(0) lgkmcnt(0)
	v_mul_f64 v[38:39], v[4:5], v[34:35]
	v_fmac_f64_e32 v[38:39], v[6:7], v[32:33]
	v_add_f64 v[44:45], v[36:37], v[38:39]
	ds_read_b128 v[36:39], v2 offset:896
	v_mul_f64 v[6:7], v[6:7], v[34:35]
	v_fma_f64 v[4:5], v[4:5], v[32:33], -v[6:7]
	s_waitcnt lgkmcnt(0)
	v_mul_f64 v[46:47], v[36:37], v[42:43]
	v_fmac_f64_e32 v[46:47], v[38:39], v[40:41]
	v_add_f64 v[52:53], v[44:45], v[46:47]
	ds_read_b128 v[44:47], v2 offset:912
	s_waitcnt lgkmcnt(0)
	v_mul_f64 v[54:55], v[44:45], v[50:51]
	v_fmac_f64_e32 v[54:55], v[46:47], v[48:49]
	v_add_f64 v[60:61], v[52:53], v[54:55]
	ds_read_b128 v[52:55], v2 offset:928
	;; [unrolled: 5-line block ×19, first 2 shown]
	s_waitcnt lgkmcnt(0)
	v_mul_f64 v[2:3], v[190:191], v[196:197]
	v_fmac_f64_e32 v[2:3], v[192:193], v[194:195]
	v_add_f64 v[148:149], v[148:149], v[2:3]
	v_mul_f64 v[2:3], v[18:19], v[22:23]
	v_fma_f64 v[2:3], v[16:17], v[20:21], -v[2:3]
	v_add_f64 v[2:3], v[2:3], 0
	v_add_f64 v[2:3], v[2:3], v[12:13]
	;; [unrolled: 1-line block ×4, first 2 shown]
	v_mul_f64 v[4:5], v[38:39], v[42:43]
	v_fma_f64 v[4:5], v[36:37], v[40:41], -v[4:5]
	v_add_f64 v[2:3], v[2:3], v[4:5]
	v_mul_f64 v[4:5], v[46:47], v[50:51]
	v_fma_f64 v[4:5], v[44:45], v[48:49], -v[4:5]
	v_add_f64 v[2:3], v[2:3], v[4:5]
	;; [unrolled: 3-line block ×20, first 2 shown]
	scratch_load_dwordx4 v[2:5], off, off offset:224
	s_waitcnt vmcnt(0)
	v_add_f64 v[2:3], v[2:3], -v[6:7]
	v_add_f64 v[4:5], v[4:5], -v[148:149]
	scratch_store_dwordx4 off, v[2:5], off offset:224
	s_and_saveexec_b64 s[0:1], vcc
	s_cbranch_execz .LBB37_217
; %bb.216:
	scratch_load_dwordx4 v[2:5], off, s53
	v_mov_b32_e32 v6, 0
	v_mov_b32_e32 v7, v6
	;; [unrolled: 1-line block ×4, first 2 shown]
	scratch_store_dwordx4 off, v[6:9], off offset:208
	s_waitcnt vmcnt(1)
	ds_write_b128 v1, v[2:5]
.LBB37_217:
	s_or_b64 exec, exec, s[0:1]
	v_mov_b32_e32 v2, 0
	s_waitcnt lgkmcnt(0)
	; wave barrier
	ds_read_b128 v[16:19], v2 offset:816
	ds_read_b128 v[12:15], v2 offset:832
	;; [unrolled: 1-line block ×4, first 2 shown]
	scratch_load_dwordx4 v[20:23], off, off offset:224
	scratch_load_dwordx4 v[40:43], off, off offset:288
	;; [unrolled: 1-line block ×19, first 2 shown]
	v_cmp_lt_u32_e32 vcc, 11, v0
	scratch_load_dwordx4 v[48:51], off, off offset:304
	scratch_load_dwordx4 v[56:59], off, off offset:320
	;; [unrolled: 1-line block ×3, first 2 shown]
	s_waitcnt vmcnt(21) lgkmcnt(3)
	v_mul_f64 v[24:25], v[16:17], v[22:23]
	v_fmac_f64_e32 v[24:25], v[18:19], v[20:21]
	v_add_f64 v[28:29], v[24:25], 0
	scratch_load_dwordx4 v[24:27], off, off offset:240
	v_mul_f64 v[18:19], v[18:19], v[22:23]
	v_fma_f64 v[16:17], v[16:17], v[20:21], -v[18:19]
	v_add_f64 v[16:17], v[16:17], 0
	s_waitcnt vmcnt(0) lgkmcnt(2)
	v_mul_f64 v[30:31], v[12:13], v[26:27]
	v_fmac_f64_e32 v[30:31], v[14:15], v[24:25]
	v_add_f64 v[32:33], v[28:29], v[30:31]
	scratch_load_dwordx4 v[28:31], off, off offset:256
	v_mul_f64 v[14:15], v[14:15], v[26:27]
	v_fma_f64 v[12:13], v[12:13], v[24:25], -v[14:15]
	v_add_f64 v[12:13], v[16:17], v[12:13]
	;; [unrolled: 8-line block ×3, first 2 shown]
	s_waitcnt vmcnt(0) lgkmcnt(0)
	v_mul_f64 v[38:39], v[4:5], v[34:35]
	v_fmac_f64_e32 v[38:39], v[6:7], v[32:33]
	v_add_f64 v[44:45], v[36:37], v[38:39]
	ds_read_b128 v[36:39], v2 offset:880
	v_mul_f64 v[6:7], v[6:7], v[34:35]
	v_fma_f64 v[4:5], v[4:5], v[32:33], -v[6:7]
	v_add_f64 v[4:5], v[8:9], v[4:5]
	s_waitcnt lgkmcnt(0)
	v_mul_f64 v[46:47], v[36:37], v[42:43]
	v_fmac_f64_e32 v[46:47], v[38:39], v[40:41]
	v_add_f64 v[52:53], v[44:45], v[46:47]
	ds_read_b128 v[44:47], v2 offset:896
	v_mul_f64 v[6:7], v[38:39], v[42:43]
	v_fma_f64 v[6:7], v[36:37], v[40:41], -v[6:7]
	v_add_f64 v[4:5], v[4:5], v[6:7]
	s_waitcnt lgkmcnt(0)
	;; [unrolled: 8-line block ×21, first 2 shown]
	v_mul_f64 v[6:7], v[200:201], v[204:205]
	v_fma_f64 v[6:7], v[198:199], v[202:203], -v[6:7]
	v_add_f64 v[8:9], v[4:5], v[6:7]
	scratch_load_dwordx4 v[4:7], off, off offset:208
	v_mul_f64 v[206:207], v[198:199], v[204:205]
	v_fmac_f64_e32 v[206:207], v[200:201], v[202:203]
	v_add_f64 v[144:145], v[144:145], v[206:207]
	s_waitcnt vmcnt(0)
	v_add_f64 v[4:5], v[4:5], -v[8:9]
	v_add_f64 v[6:7], v[6:7], -v[144:145]
	scratch_store_dwordx4 off, v[4:7], off offset:208
	s_and_saveexec_b64 s[0:1], vcc
	s_cbranch_execz .LBB37_219
; %bb.218:
	scratch_load_dwordx4 v[6:9], off, s52
	v_mov_b32_e32 v3, v2
	v_mov_b32_e32 v4, v2
	;; [unrolled: 1-line block ×3, first 2 shown]
	scratch_store_dwordx4 off, v[2:5], off offset:192
	s_waitcnt vmcnt(1)
	ds_write_b128 v1, v[6:9]
.LBB37_219:
	s_or_b64 exec, exec, s[0:1]
	s_waitcnt lgkmcnt(0)
	; wave barrier
	ds_read_b128 v[16:19], v2 offset:800
	ds_read_b128 v[12:15], v2 offset:816
	;; [unrolled: 1-line block ×4, first 2 shown]
	scratch_load_dwordx4 v[20:23], off, off offset:208
	scratch_load_dwordx4 v[40:43], off, off offset:272
	;; [unrolled: 1-line block ×20, first 2 shown]
	v_cmp_lt_u32_e32 vcc, 10, v0
	scratch_load_dwordx4 v[48:51], off, off offset:288
	scratch_load_dwordx4 v[56:59], off, off offset:304
	;; [unrolled: 1-line block ×3, first 2 shown]
	s_waitcnt vmcnt(22) lgkmcnt(3)
	v_mul_f64 v[24:25], v[16:17], v[22:23]
	v_fmac_f64_e32 v[24:25], v[18:19], v[20:21]
	v_add_f64 v[28:29], v[24:25], 0
	scratch_load_dwordx4 v[24:27], off, off offset:224
	s_waitcnt vmcnt(0) lgkmcnt(2)
	v_mul_f64 v[30:31], v[12:13], v[26:27]
	v_fmac_f64_e32 v[30:31], v[14:15], v[24:25]
	v_add_f64 v[32:33], v[28:29], v[30:31]
	scratch_load_dwordx4 v[28:31], off, off offset:240
	v_mul_f64 v[14:15], v[14:15], v[26:27]
	v_fma_f64 v[12:13], v[12:13], v[24:25], -v[14:15]
	s_waitcnt vmcnt(0) lgkmcnt(1)
	v_mul_f64 v[34:35], v[8:9], v[30:31]
	v_fmac_f64_e32 v[34:35], v[10:11], v[28:29]
	v_add_f64 v[36:37], v[32:33], v[34:35]
	scratch_load_dwordx4 v[32:35], off, off offset:256
	v_mul_f64 v[10:11], v[10:11], v[30:31]
	v_fma_f64 v[8:9], v[8:9], v[28:29], -v[10:11]
	s_waitcnt vmcnt(0) lgkmcnt(0)
	v_mul_f64 v[38:39], v[4:5], v[34:35]
	v_fmac_f64_e32 v[38:39], v[6:7], v[32:33]
	v_add_f64 v[44:45], v[36:37], v[38:39]
	ds_read_b128 v[36:39], v2 offset:864
	v_mul_f64 v[6:7], v[6:7], v[34:35]
	v_fma_f64 v[4:5], v[4:5], v[32:33], -v[6:7]
	s_waitcnt lgkmcnt(0)
	v_mul_f64 v[46:47], v[36:37], v[42:43]
	v_fmac_f64_e32 v[46:47], v[38:39], v[40:41]
	v_add_f64 v[52:53], v[44:45], v[46:47]
	ds_read_b128 v[44:47], v2 offset:880
	s_waitcnt lgkmcnt(0)
	v_mul_f64 v[54:55], v[44:45], v[50:51]
	v_fmac_f64_e32 v[54:55], v[46:47], v[48:49]
	v_add_f64 v[60:61], v[52:53], v[54:55]
	ds_read_b128 v[52:55], v2 offset:896
	;; [unrolled: 5-line block ×21, first 2 shown]
	s_waitcnt lgkmcnt(0)
	v_mul_f64 v[2:3], v[206:207], v[212:213]
	v_fmac_f64_e32 v[2:3], v[208:209], v[210:211]
	v_add_f64 v[168:169], v[168:169], v[2:3]
	v_mul_f64 v[2:3], v[18:19], v[22:23]
	v_fma_f64 v[2:3], v[16:17], v[20:21], -v[2:3]
	v_add_f64 v[2:3], v[2:3], 0
	v_add_f64 v[2:3], v[2:3], v[12:13]
	;; [unrolled: 1-line block ×4, first 2 shown]
	v_mul_f64 v[4:5], v[38:39], v[42:43]
	v_fma_f64 v[4:5], v[36:37], v[40:41], -v[4:5]
	v_add_f64 v[2:3], v[2:3], v[4:5]
	v_mul_f64 v[4:5], v[46:47], v[50:51]
	v_fma_f64 v[4:5], v[44:45], v[48:49], -v[4:5]
	v_add_f64 v[2:3], v[2:3], v[4:5]
	;; [unrolled: 3-line block ×22, first 2 shown]
	scratch_load_dwordx4 v[2:5], off, off offset:192
	s_waitcnt vmcnt(0)
	v_add_f64 v[2:3], v[2:3], -v[6:7]
	v_add_f64 v[4:5], v[4:5], -v[168:169]
	scratch_store_dwordx4 off, v[2:5], off offset:192
	s_and_saveexec_b64 s[0:1], vcc
	s_cbranch_execz .LBB37_221
; %bb.220:
	scratch_load_dwordx4 v[2:5], off, s25
	v_mov_b32_e32 v6, 0
	v_mov_b32_e32 v7, v6
	;; [unrolled: 1-line block ×4, first 2 shown]
	scratch_store_dwordx4 off, v[6:9], off offset:176
	s_waitcnt vmcnt(1)
	ds_write_b128 v1, v[2:5]
.LBB37_221:
	s_or_b64 exec, exec, s[0:1]
	v_mov_b32_e32 v2, 0
	s_waitcnt lgkmcnt(0)
	; wave barrier
	ds_read_b128 v[16:19], v2 offset:784
	ds_read_b128 v[12:15], v2 offset:800
	;; [unrolled: 1-line block ×4, first 2 shown]
	scratch_load_dwordx4 v[20:23], off, off offset:192
	scratch_load_dwordx4 v[40:43], off, off offset:256
	;; [unrolled: 1-line block ×21, first 2 shown]
	v_cmp_lt_u32_e32 vcc, 9, v0
	scratch_load_dwordx4 v[48:51], off, off offset:272
	scratch_load_dwordx4 v[56:59], off, off offset:288
	;; [unrolled: 1-line block ×3, first 2 shown]
	s_waitcnt vmcnt(23) lgkmcnt(3)
	v_mul_f64 v[24:25], v[16:17], v[22:23]
	v_fmac_f64_e32 v[24:25], v[18:19], v[20:21]
	v_add_f64 v[28:29], v[24:25], 0
	scratch_load_dwordx4 v[24:27], off, off offset:208
	v_mul_f64 v[18:19], v[18:19], v[22:23]
	v_fma_f64 v[16:17], v[16:17], v[20:21], -v[18:19]
	v_add_f64 v[16:17], v[16:17], 0
	s_waitcnt vmcnt(0) lgkmcnt(2)
	v_mul_f64 v[30:31], v[12:13], v[26:27]
	v_fmac_f64_e32 v[30:31], v[14:15], v[24:25]
	v_add_f64 v[32:33], v[28:29], v[30:31]
	scratch_load_dwordx4 v[28:31], off, off offset:224
	v_mul_f64 v[14:15], v[14:15], v[26:27]
	v_fma_f64 v[12:13], v[12:13], v[24:25], -v[14:15]
	v_add_f64 v[12:13], v[16:17], v[12:13]
	;; [unrolled: 8-line block ×3, first 2 shown]
	s_waitcnt vmcnt(0) lgkmcnt(0)
	v_mul_f64 v[38:39], v[4:5], v[34:35]
	v_fmac_f64_e32 v[38:39], v[6:7], v[32:33]
	v_add_f64 v[44:45], v[36:37], v[38:39]
	ds_read_b128 v[36:39], v2 offset:848
	v_mul_f64 v[6:7], v[6:7], v[34:35]
	v_fma_f64 v[4:5], v[4:5], v[32:33], -v[6:7]
	v_add_f64 v[4:5], v[8:9], v[4:5]
	s_waitcnt lgkmcnt(0)
	v_mul_f64 v[46:47], v[36:37], v[42:43]
	v_fmac_f64_e32 v[46:47], v[38:39], v[40:41]
	v_add_f64 v[52:53], v[44:45], v[46:47]
	ds_read_b128 v[44:47], v2 offset:864
	v_mul_f64 v[6:7], v[38:39], v[42:43]
	v_fma_f64 v[6:7], v[36:37], v[40:41], -v[6:7]
	v_add_f64 v[4:5], v[4:5], v[6:7]
	s_waitcnt lgkmcnt(0)
	;; [unrolled: 8-line block ×23, first 2 shown]
	v_mul_f64 v[6:7], v[216:217], v[220:221]
	v_fma_f64 v[6:7], v[214:215], v[218:219], -v[6:7]
	v_add_f64 v[8:9], v[4:5], v[6:7]
	scratch_load_dwordx4 v[4:7], off, off offset:176
	v_mul_f64 v[222:223], v[214:215], v[220:221]
	v_fmac_f64_e32 v[222:223], v[216:217], v[218:219]
	v_add_f64 v[160:161], v[160:161], v[222:223]
	s_waitcnt vmcnt(0)
	v_add_f64 v[4:5], v[4:5], -v[8:9]
	v_add_f64 v[6:7], v[6:7], -v[160:161]
	scratch_store_dwordx4 off, v[4:7], off offset:176
	s_and_saveexec_b64 s[0:1], vcc
	s_cbranch_execz .LBB37_223
; %bb.222:
	scratch_load_dwordx4 v[6:9], off, s22
	v_mov_b32_e32 v3, v2
	v_mov_b32_e32 v4, v2
	;; [unrolled: 1-line block ×3, first 2 shown]
	scratch_store_dwordx4 off, v[2:5], off offset:160
	s_waitcnt vmcnt(1)
	ds_write_b128 v1, v[6:9]
.LBB37_223:
	s_or_b64 exec, exec, s[0:1]
	s_waitcnt lgkmcnt(0)
	; wave barrier
	ds_read_b128 v[16:19], v2 offset:768
	ds_read_b128 v[12:15], v2 offset:784
	;; [unrolled: 1-line block ×4, first 2 shown]
	scratch_load_dwordx4 v[20:23], off, off offset:176
	scratch_load_dwordx4 v[40:43], off, off offset:240
	;; [unrolled: 1-line block ×22, first 2 shown]
	v_cmp_lt_u32_e32 vcc, 8, v0
	scratch_load_dwordx4 v[48:51], off, off offset:256
	scratch_load_dwordx4 v[56:59], off, off offset:272
	;; [unrolled: 1-line block ×3, first 2 shown]
	s_waitcnt vmcnt(24) lgkmcnt(3)
	v_mul_f64 v[24:25], v[16:17], v[22:23]
	v_fmac_f64_e32 v[24:25], v[18:19], v[20:21]
	v_add_f64 v[28:29], v[24:25], 0
	scratch_load_dwordx4 v[24:27], off, off offset:192
	s_waitcnt vmcnt(0) lgkmcnt(2)
	v_mul_f64 v[30:31], v[12:13], v[26:27]
	v_fmac_f64_e32 v[30:31], v[14:15], v[24:25]
	v_add_f64 v[32:33], v[28:29], v[30:31]
	scratch_load_dwordx4 v[28:31], off, off offset:208
	v_mul_f64 v[14:15], v[14:15], v[26:27]
	v_fma_f64 v[12:13], v[12:13], v[24:25], -v[14:15]
	s_waitcnt vmcnt(0) lgkmcnt(1)
	v_mul_f64 v[34:35], v[8:9], v[30:31]
	v_fmac_f64_e32 v[34:35], v[10:11], v[28:29]
	v_add_f64 v[36:37], v[32:33], v[34:35]
	scratch_load_dwordx4 v[32:35], off, off offset:224
	v_mul_f64 v[10:11], v[10:11], v[30:31]
	v_fma_f64 v[8:9], v[8:9], v[28:29], -v[10:11]
	s_waitcnt vmcnt(0) lgkmcnt(0)
	v_mul_f64 v[38:39], v[4:5], v[34:35]
	v_fmac_f64_e32 v[38:39], v[6:7], v[32:33]
	v_add_f64 v[44:45], v[36:37], v[38:39]
	ds_read_b128 v[36:39], v2 offset:832
	v_mul_f64 v[6:7], v[6:7], v[34:35]
	v_fma_f64 v[4:5], v[4:5], v[32:33], -v[6:7]
	s_waitcnt lgkmcnt(0)
	v_mul_f64 v[46:47], v[36:37], v[42:43]
	v_fmac_f64_e32 v[46:47], v[38:39], v[40:41]
	v_add_f64 v[52:53], v[44:45], v[46:47]
	ds_read_b128 v[44:47], v2 offset:848
	s_waitcnt lgkmcnt(0)
	v_mul_f64 v[54:55], v[44:45], v[50:51]
	v_fmac_f64_e32 v[54:55], v[46:47], v[48:49]
	v_add_f64 v[60:61], v[52:53], v[54:55]
	ds_read_b128 v[52:55], v2 offset:864
	s_waitcnt lgkmcnt(0)
	v_mul_f64 v[62:63], v[52:53], v[58:59]
	v_fmac_f64_e32 v[62:63], v[54:55], v[56:57]
	v_add_f64 v[68:69], v[60:61], v[62:63]
	ds_read_b128 v[60:63], v2 offset:880
	s_waitcnt lgkmcnt(0)
	v_mul_f64 v[70:71], v[60:61], v[66:67]
	v_fmac_f64_e32 v[70:71], v[62:63], v[64:65]
	v_add_f64 v[76:77], v[68:69], v[70:71]
	ds_read_b128 v[68:71], v2 offset:896
	s_waitcnt lgkmcnt(0)
	v_mul_f64 v[78:79], v[68:69], v[74:75]
	v_fmac_f64_e32 v[78:79], v[70:71], v[72:73]
	v_add_f64 v[84:85], v[76:77], v[78:79]
	ds_read_b128 v[76:79], v2 offset:912
	s_waitcnt lgkmcnt(0)
	v_mul_f64 v[86:87], v[76:77], v[82:83]
	v_fmac_f64_e32 v[86:87], v[78:79], v[80:81]
	v_add_f64 v[92:93], v[84:85], v[86:87]
	ds_read_b128 v[84:87], v2 offset:928
	s_waitcnt lgkmcnt(0)
	v_mul_f64 v[94:95], v[84:85], v[90:91]
	v_fmac_f64_e32 v[94:95], v[86:87], v[88:89]
	v_add_f64 v[100:101], v[92:93], v[94:95]
	ds_read_b128 v[92:95], v2 offset:944
	s_waitcnt lgkmcnt(0)
	v_mul_f64 v[102:103], v[92:93], v[98:99]
	v_fmac_f64_e32 v[102:103], v[94:95], v[96:97]
	v_add_f64 v[108:109], v[100:101], v[102:103]
	ds_read_b128 v[100:103], v2 offset:960
	s_waitcnt lgkmcnt(0)
	v_mul_f64 v[110:111], v[100:101], v[106:107]
	v_fmac_f64_e32 v[110:111], v[102:103], v[104:105]
	v_add_f64 v[116:117], v[108:109], v[110:111]
	ds_read_b128 v[108:111], v2 offset:976
	s_waitcnt lgkmcnt(0)
	v_mul_f64 v[118:119], v[108:109], v[114:115]
	v_fmac_f64_e32 v[118:119], v[110:111], v[112:113]
	v_add_f64 v[124:125], v[116:117], v[118:119]
	ds_read_b128 v[116:119], v2 offset:992
	s_waitcnt lgkmcnt(0)
	v_mul_f64 v[126:127], v[116:117], v[122:123]
	v_fmac_f64_e32 v[126:127], v[118:119], v[120:121]
	v_add_f64 v[132:133], v[124:125], v[126:127]
	ds_read_b128 v[124:127], v2 offset:1008
	s_waitcnt lgkmcnt(0)
	v_mul_f64 v[134:135], v[124:125], v[130:131]
	v_fmac_f64_e32 v[134:135], v[126:127], v[128:129]
	v_add_f64 v[140:141], v[132:133], v[134:135]
	ds_read_b128 v[132:135], v2 offset:1024
	s_waitcnt lgkmcnt(0)
	v_mul_f64 v[142:143], v[132:133], v[138:139]
	v_fmac_f64_e32 v[142:143], v[134:135], v[136:137]
	v_add_f64 v[148:149], v[140:141], v[142:143]
	ds_read_b128 v[140:143], v2 offset:1040
	s_waitcnt lgkmcnt(0)
	v_mul_f64 v[150:151], v[140:141], v[146:147]
	v_fmac_f64_e32 v[150:151], v[142:143], v[144:145]
	v_add_f64 v[156:157], v[148:149], v[150:151]
	ds_read_b128 v[148:151], v2 offset:1056
	s_waitcnt lgkmcnt(0)
	v_mul_f64 v[158:159], v[148:149], v[154:155]
	v_fmac_f64_e32 v[158:159], v[150:151], v[152:153]
	v_add_f64 v[164:165], v[156:157], v[158:159]
	ds_read_b128 v[156:159], v2 offset:1072
	s_waitcnt lgkmcnt(0)
	v_mul_f64 v[166:167], v[156:157], v[162:163]
	v_fmac_f64_e32 v[166:167], v[158:159], v[160:161]
	v_add_f64 v[172:173], v[164:165], v[166:167]
	ds_read_b128 v[164:167], v2 offset:1088
	s_waitcnt lgkmcnt(0)
	v_mul_f64 v[174:175], v[164:165], v[170:171]
	v_fmac_f64_e32 v[174:175], v[166:167], v[168:169]
	v_add_f64 v[176:177], v[172:173], v[174:175]
	ds_read_b128 v[172:175], v2 offset:1104
	s_waitcnt lgkmcnt(0)
	v_mul_f64 v[182:183], v[172:173], v[180:181]
	v_fmac_f64_e32 v[182:183], v[174:175], v[178:179]
	v_add_f64 v[176:177], v[176:177], v[182:183]
	ds_read_b128 v[182:185], v2 offset:1120
	s_waitcnt lgkmcnt(0)
	v_mul_f64 v[190:191], v[182:183], v[188:189]
	v_fmac_f64_e32 v[190:191], v[184:185], v[186:187]
	v_add_f64 v[176:177], v[176:177], v[190:191]
	ds_read_b128 v[190:193], v2 offset:1136
	s_waitcnt lgkmcnt(0)
	v_mul_f64 v[198:199], v[190:191], v[196:197]
	v_fmac_f64_e32 v[198:199], v[192:193], v[194:195]
	v_add_f64 v[176:177], v[176:177], v[198:199]
	ds_read_b128 v[198:201], v2 offset:1152
	s_waitcnt lgkmcnt(0)
	v_mul_f64 v[206:207], v[198:199], v[204:205]
	v_fmac_f64_e32 v[206:207], v[200:201], v[202:203]
	v_add_f64 v[176:177], v[176:177], v[206:207]
	ds_read_b128 v[206:209], v2 offset:1168
	s_waitcnt lgkmcnt(0)
	v_mul_f64 v[214:215], v[206:207], v[212:213]
	v_fmac_f64_e32 v[214:215], v[208:209], v[210:211]
	v_add_f64 v[176:177], v[176:177], v[214:215]
	ds_read_b128 v[214:217], v2 offset:1184
	s_waitcnt lgkmcnt(0)
	v_mul_f64 v[222:223], v[214:215], v[220:221]
	v_fmac_f64_e32 v[222:223], v[216:217], v[218:219]
	v_add_f64 v[176:177], v[176:177], v[222:223]
	ds_read_b128 v[222:225], v2 offset:1200
	s_waitcnt lgkmcnt(0)
	v_mul_f64 v[2:3], v[222:223], v[228:229]
	v_fmac_f64_e32 v[2:3], v[224:225], v[226:227]
	v_add_f64 v[176:177], v[176:177], v[2:3]
	v_mul_f64 v[2:3], v[18:19], v[22:23]
	v_fma_f64 v[2:3], v[16:17], v[20:21], -v[2:3]
	v_add_f64 v[2:3], v[2:3], 0
	v_add_f64 v[2:3], v[2:3], v[12:13]
	;; [unrolled: 1-line block ×4, first 2 shown]
	v_mul_f64 v[4:5], v[38:39], v[42:43]
	v_fma_f64 v[4:5], v[36:37], v[40:41], -v[4:5]
	v_add_f64 v[2:3], v[2:3], v[4:5]
	v_mul_f64 v[4:5], v[46:47], v[50:51]
	v_fma_f64 v[4:5], v[44:45], v[48:49], -v[4:5]
	v_add_f64 v[2:3], v[2:3], v[4:5]
	;; [unrolled: 3-line block ×24, first 2 shown]
	scratch_load_dwordx4 v[2:5], off, off offset:160
	s_waitcnt vmcnt(0)
	v_add_f64 v[2:3], v[2:3], -v[6:7]
	v_add_f64 v[4:5], v[4:5], -v[176:177]
	scratch_store_dwordx4 off, v[2:5], off offset:160
	s_and_saveexec_b64 s[0:1], vcc
	s_cbranch_execz .LBB37_225
; %bb.224:
	scratch_load_dwordx4 v[2:5], off, s20
	v_mov_b32_e32 v6, 0
	v_mov_b32_e32 v7, v6
	;; [unrolled: 1-line block ×4, first 2 shown]
	scratch_store_dwordx4 off, v[6:9], off offset:144
	s_waitcnt vmcnt(1)
	ds_write_b128 v1, v[2:5]
.LBB37_225:
	s_or_b64 exec, exec, s[0:1]
	v_mov_b32_e32 v2, 0
	s_waitcnt lgkmcnt(0)
	; wave barrier
	ds_read_b128 v[16:19], v2 offset:752
	ds_read_b128 v[12:15], v2 offset:768
	;; [unrolled: 1-line block ×4, first 2 shown]
	scratch_load_dwordx4 v[20:23], off, off offset:160
	scratch_load_dwordx4 v[40:43], off, off offset:224
	;; [unrolled: 1-line block ×23, first 2 shown]
	v_cmp_lt_u32_e32 vcc, 7, v0
	scratch_load_dwordx4 v[48:51], off, off offset:240
	scratch_load_dwordx4 v[56:59], off, off offset:256
	;; [unrolled: 1-line block ×3, first 2 shown]
	s_waitcnt vmcnt(25) lgkmcnt(3)
	v_mul_f64 v[24:25], v[16:17], v[22:23]
	v_fmac_f64_e32 v[24:25], v[18:19], v[20:21]
	v_add_f64 v[28:29], v[24:25], 0
	scratch_load_dwordx4 v[24:27], off, off offset:176
	v_mul_f64 v[18:19], v[18:19], v[22:23]
	v_fma_f64 v[16:17], v[16:17], v[20:21], -v[18:19]
	v_add_f64 v[16:17], v[16:17], 0
	s_waitcnt vmcnt(0) lgkmcnt(2)
	v_mul_f64 v[30:31], v[12:13], v[26:27]
	v_fmac_f64_e32 v[30:31], v[14:15], v[24:25]
	v_add_f64 v[32:33], v[28:29], v[30:31]
	scratch_load_dwordx4 v[28:31], off, off offset:192
	v_mul_f64 v[14:15], v[14:15], v[26:27]
	v_fma_f64 v[12:13], v[12:13], v[24:25], -v[14:15]
	v_add_f64 v[12:13], v[16:17], v[12:13]
	;; [unrolled: 8-line block ×3, first 2 shown]
	s_waitcnt vmcnt(0) lgkmcnt(0)
	v_mul_f64 v[38:39], v[4:5], v[34:35]
	v_fmac_f64_e32 v[38:39], v[6:7], v[32:33]
	v_add_f64 v[44:45], v[36:37], v[38:39]
	ds_read_b128 v[36:39], v2 offset:816
	v_mul_f64 v[6:7], v[6:7], v[34:35]
	v_fma_f64 v[4:5], v[4:5], v[32:33], -v[6:7]
	v_add_f64 v[4:5], v[8:9], v[4:5]
	s_waitcnt lgkmcnt(0)
	v_mul_f64 v[46:47], v[36:37], v[42:43]
	v_fmac_f64_e32 v[46:47], v[38:39], v[40:41]
	v_add_f64 v[52:53], v[44:45], v[46:47]
	ds_read_b128 v[44:47], v2 offset:832
	v_mul_f64 v[6:7], v[38:39], v[42:43]
	v_fma_f64 v[6:7], v[36:37], v[40:41], -v[6:7]
	v_add_f64 v[4:5], v[4:5], v[6:7]
	s_waitcnt lgkmcnt(0)
	;; [unrolled: 8-line block ×25, first 2 shown]
	v_mul_f64 v[6:7], v[232:233], v[236:237]
	v_fma_f64 v[6:7], v[230:231], v[234:235], -v[6:7]
	v_add_f64 v[8:9], v[4:5], v[6:7]
	scratch_load_dwordx4 v[4:7], off, off offset:144
	v_mul_f64 v[238:239], v[230:231], v[236:237]
	v_fmac_f64_e32 v[238:239], v[232:233], v[234:235]
	v_add_f64 v[176:177], v[176:177], v[238:239]
	s_waitcnt vmcnt(0)
	v_add_f64 v[4:5], v[4:5], -v[8:9]
	v_add_f64 v[6:7], v[6:7], -v[176:177]
	scratch_store_dwordx4 off, v[4:7], off offset:144
	s_and_saveexec_b64 s[0:1], vcc
	s_cbranch_execz .LBB37_227
; %bb.226:
	scratch_load_dwordx4 v[6:9], off, s24
	v_mov_b32_e32 v3, v2
	v_mov_b32_e32 v4, v2
	v_mov_b32_e32 v5, v2
	scratch_store_dwordx4 off, v[2:5], off offset:128
	s_waitcnt vmcnt(1)
	ds_write_b128 v1, v[6:9]
.LBB37_227:
	s_or_b64 exec, exec, s[0:1]
	s_waitcnt lgkmcnt(0)
	; wave barrier
	ds_read_b128 v[16:19], v2 offset:736
	ds_read_b128 v[12:15], v2 offset:752
	ds_read_b128 v[8:11], v2 offset:768
	ds_read_b128 v[4:7], v2 offset:784
	scratch_load_dwordx4 v[20:23], off, off offset:144
	scratch_load_dwordx4 v[40:43], off, off offset:208
	;; [unrolled: 1-line block ×24, first 2 shown]
	v_cmp_lt_u32_e32 vcc, 6, v0
	scratch_load_dwordx4 v[48:51], off, off offset:224
	scratch_load_dwordx4 v[56:59], off, off offset:240
	;; [unrolled: 1-line block ×3, first 2 shown]
	s_waitcnt vmcnt(26) lgkmcnt(3)
	v_mul_f64 v[24:25], v[16:17], v[22:23]
	v_fmac_f64_e32 v[24:25], v[18:19], v[20:21]
	v_add_f64 v[28:29], v[24:25], 0
	scratch_load_dwordx4 v[24:27], off, off offset:160
	s_waitcnt vmcnt(0) lgkmcnt(2)
	v_mul_f64 v[30:31], v[12:13], v[26:27]
	v_fmac_f64_e32 v[30:31], v[14:15], v[24:25]
	v_add_f64 v[32:33], v[28:29], v[30:31]
	scratch_load_dwordx4 v[28:31], off, off offset:176
	v_mul_f64 v[14:15], v[14:15], v[26:27]
	v_fma_f64 v[12:13], v[12:13], v[24:25], -v[14:15]
	s_waitcnt vmcnt(0) lgkmcnt(1)
	v_mul_f64 v[34:35], v[8:9], v[30:31]
	v_fmac_f64_e32 v[34:35], v[10:11], v[28:29]
	v_add_f64 v[36:37], v[32:33], v[34:35]
	scratch_load_dwordx4 v[32:35], off, off offset:192
	v_mul_f64 v[10:11], v[10:11], v[30:31]
	v_fma_f64 v[8:9], v[8:9], v[28:29], -v[10:11]
	s_waitcnt vmcnt(0) lgkmcnt(0)
	v_mul_f64 v[38:39], v[4:5], v[34:35]
	v_fmac_f64_e32 v[38:39], v[6:7], v[32:33]
	v_add_f64 v[44:45], v[36:37], v[38:39]
	ds_read_b128 v[36:39], v2 offset:800
	v_mul_f64 v[6:7], v[6:7], v[34:35]
	v_fma_f64 v[4:5], v[4:5], v[32:33], -v[6:7]
	s_waitcnt lgkmcnt(0)
	v_mul_f64 v[46:47], v[36:37], v[42:43]
	v_fmac_f64_e32 v[46:47], v[38:39], v[40:41]
	v_add_f64 v[52:53], v[44:45], v[46:47]
	ds_read_b128 v[44:47], v2 offset:816
	s_waitcnt lgkmcnt(0)
	v_mul_f64 v[54:55], v[44:45], v[50:51]
	v_fmac_f64_e32 v[54:55], v[46:47], v[48:49]
	v_add_f64 v[60:61], v[52:53], v[54:55]
	ds_read_b128 v[52:55], v2 offset:832
	s_waitcnt lgkmcnt(0)
	v_mul_f64 v[62:63], v[52:53], v[58:59]
	v_fmac_f64_e32 v[62:63], v[54:55], v[56:57]
	v_add_f64 v[68:69], v[60:61], v[62:63]
	ds_read_b128 v[60:63], v2 offset:848
	s_waitcnt lgkmcnt(0)
	v_mul_f64 v[70:71], v[60:61], v[66:67]
	v_fmac_f64_e32 v[70:71], v[62:63], v[64:65]
	v_add_f64 v[76:77], v[68:69], v[70:71]
	ds_read_b128 v[68:71], v2 offset:864
	s_waitcnt lgkmcnt(0)
	v_mul_f64 v[78:79], v[68:69], v[74:75]
	v_fmac_f64_e32 v[78:79], v[70:71], v[72:73]
	v_add_f64 v[84:85], v[76:77], v[78:79]
	ds_read_b128 v[76:79], v2 offset:880
	s_waitcnt lgkmcnt(0)
	v_mul_f64 v[86:87], v[76:77], v[82:83]
	v_fmac_f64_e32 v[86:87], v[78:79], v[80:81]
	v_add_f64 v[92:93], v[84:85], v[86:87]
	ds_read_b128 v[84:87], v2 offset:896
	s_waitcnt lgkmcnt(0)
	v_mul_f64 v[94:95], v[84:85], v[90:91]
	v_fmac_f64_e32 v[94:95], v[86:87], v[88:89]
	v_add_f64 v[100:101], v[92:93], v[94:95]
	ds_read_b128 v[92:95], v2 offset:912
	s_waitcnt lgkmcnt(0)
	v_mul_f64 v[102:103], v[92:93], v[98:99]
	v_fmac_f64_e32 v[102:103], v[94:95], v[96:97]
	v_add_f64 v[108:109], v[100:101], v[102:103]
	ds_read_b128 v[100:103], v2 offset:928
	s_waitcnt lgkmcnt(0)
	v_mul_f64 v[110:111], v[100:101], v[106:107]
	v_fmac_f64_e32 v[110:111], v[102:103], v[104:105]
	v_add_f64 v[116:117], v[108:109], v[110:111]
	ds_read_b128 v[108:111], v2 offset:944
	s_waitcnt lgkmcnt(0)
	v_mul_f64 v[118:119], v[108:109], v[114:115]
	v_fmac_f64_e32 v[118:119], v[110:111], v[112:113]
	v_add_f64 v[124:125], v[116:117], v[118:119]
	ds_read_b128 v[116:119], v2 offset:960
	s_waitcnt lgkmcnt(0)
	v_mul_f64 v[126:127], v[116:117], v[122:123]
	v_fmac_f64_e32 v[126:127], v[118:119], v[120:121]
	v_add_f64 v[132:133], v[124:125], v[126:127]
	ds_read_b128 v[124:127], v2 offset:976
	s_waitcnt lgkmcnt(0)
	v_mul_f64 v[134:135], v[124:125], v[130:131]
	v_fmac_f64_e32 v[134:135], v[126:127], v[128:129]
	v_add_f64 v[140:141], v[132:133], v[134:135]
	ds_read_b128 v[132:135], v2 offset:992
	s_waitcnt lgkmcnt(0)
	v_mul_f64 v[142:143], v[132:133], v[138:139]
	v_fmac_f64_e32 v[142:143], v[134:135], v[136:137]
	v_add_f64 v[148:149], v[140:141], v[142:143]
	ds_read_b128 v[140:143], v2 offset:1008
	s_waitcnt lgkmcnt(0)
	v_mul_f64 v[150:151], v[140:141], v[146:147]
	v_fmac_f64_e32 v[150:151], v[142:143], v[144:145]
	v_add_f64 v[156:157], v[148:149], v[150:151]
	ds_read_b128 v[148:151], v2 offset:1024
	s_waitcnt lgkmcnt(0)
	v_mul_f64 v[158:159], v[148:149], v[154:155]
	v_fmac_f64_e32 v[158:159], v[150:151], v[152:153]
	v_add_f64 v[164:165], v[156:157], v[158:159]
	ds_read_b128 v[156:159], v2 offset:1040
	s_waitcnt lgkmcnt(0)
	v_mul_f64 v[166:167], v[156:157], v[162:163]
	v_fmac_f64_e32 v[166:167], v[158:159], v[160:161]
	v_add_f64 v[172:173], v[164:165], v[166:167]
	ds_read_b128 v[164:167], v2 offset:1056
	s_waitcnt lgkmcnt(0)
	v_mul_f64 v[174:175], v[164:165], v[170:171]
	v_fmac_f64_e32 v[174:175], v[166:167], v[168:169]
	v_add_f64 v[180:181], v[172:173], v[174:175]
	ds_read_b128 v[172:175], v2 offset:1072
	s_waitcnt lgkmcnt(0)
	v_mul_f64 v[182:183], v[172:173], v[178:179]
	v_fmac_f64_e32 v[182:183], v[174:175], v[176:177]
	v_add_f64 v[184:185], v[180:181], v[182:183]
	ds_read_b128 v[180:183], v2 offset:1088
	s_waitcnt lgkmcnt(0)
	v_mul_f64 v[190:191], v[180:181], v[188:189]
	v_fmac_f64_e32 v[190:191], v[182:183], v[186:187]
	v_add_f64 v[184:185], v[184:185], v[190:191]
	ds_read_b128 v[190:193], v2 offset:1104
	s_waitcnt lgkmcnt(0)
	v_mul_f64 v[198:199], v[190:191], v[196:197]
	v_fmac_f64_e32 v[198:199], v[192:193], v[194:195]
	v_add_f64 v[184:185], v[184:185], v[198:199]
	ds_read_b128 v[198:201], v2 offset:1120
	s_waitcnt lgkmcnt(0)
	v_mul_f64 v[206:207], v[198:199], v[204:205]
	v_fmac_f64_e32 v[206:207], v[200:201], v[202:203]
	v_add_f64 v[184:185], v[184:185], v[206:207]
	ds_read_b128 v[206:209], v2 offset:1136
	s_waitcnt lgkmcnt(0)
	v_mul_f64 v[214:215], v[206:207], v[212:213]
	v_fmac_f64_e32 v[214:215], v[208:209], v[210:211]
	v_add_f64 v[184:185], v[184:185], v[214:215]
	ds_read_b128 v[214:217], v2 offset:1152
	s_waitcnt lgkmcnt(0)
	v_mul_f64 v[222:223], v[214:215], v[220:221]
	v_fmac_f64_e32 v[222:223], v[216:217], v[218:219]
	v_add_f64 v[184:185], v[184:185], v[222:223]
	ds_read_b128 v[222:225], v2 offset:1168
	s_waitcnt lgkmcnt(0)
	v_mul_f64 v[230:231], v[222:223], v[228:229]
	v_fmac_f64_e32 v[230:231], v[224:225], v[226:227]
	v_add_f64 v[184:185], v[184:185], v[230:231]
	ds_read_b128 v[230:233], v2 offset:1184
	s_waitcnt lgkmcnt(0)
	v_mul_f64 v[238:239], v[230:231], v[236:237]
	v_fmac_f64_e32 v[238:239], v[232:233], v[234:235]
	v_add_f64 v[184:185], v[184:185], v[238:239]
	ds_read_b128 v[238:241], v2 offset:1200
	s_waitcnt lgkmcnt(0)
	v_mul_f64 v[2:3], v[238:239], v[254:255]
	v_fmac_f64_e32 v[2:3], v[240:241], v[252:253]
	v_add_f64 v[184:185], v[184:185], v[2:3]
	v_mul_f64 v[2:3], v[18:19], v[22:23]
	v_fma_f64 v[2:3], v[16:17], v[20:21], -v[2:3]
	v_add_f64 v[2:3], v[2:3], 0
	v_add_f64 v[2:3], v[2:3], v[12:13]
	v_add_f64 v[2:3], v[2:3], v[8:9]
	v_add_f64 v[2:3], v[2:3], v[4:5]
	v_mul_f64 v[4:5], v[38:39], v[42:43]
	v_fma_f64 v[4:5], v[36:37], v[40:41], -v[4:5]
	v_add_f64 v[2:3], v[2:3], v[4:5]
	v_mul_f64 v[4:5], v[46:47], v[50:51]
	v_fma_f64 v[4:5], v[44:45], v[48:49], -v[4:5]
	v_add_f64 v[2:3], v[2:3], v[4:5]
	;; [unrolled: 3-line block ×26, first 2 shown]
	scratch_load_dwordx4 v[2:5], off, off offset:128
	s_waitcnt vmcnt(0)
	v_add_f64 v[2:3], v[2:3], -v[6:7]
	v_add_f64 v[4:5], v[4:5], -v[184:185]
	scratch_store_dwordx4 off, v[2:5], off offset:128
	s_and_saveexec_b64 s[0:1], vcc
	s_cbranch_execz .LBB37_229
; %bb.228:
	scratch_load_dwordx4 v[2:5], off, s23
	v_mov_b32_e32 v6, 0
	v_mov_b32_e32 v7, v6
	;; [unrolled: 1-line block ×4, first 2 shown]
	scratch_store_dwordx4 off, v[6:9], off offset:112
	s_waitcnt vmcnt(1)
	ds_write_b128 v1, v[2:5]
.LBB37_229:
	s_or_b64 exec, exec, s[0:1]
	s_waitcnt lgkmcnt(0)
	; wave barrier
	scratch_load_dwordx4 v[16:19], off, off offset:128
	scratch_load_dwordx4 v[12:15], off, off offset:144
	;; [unrolled: 1-line block ×32, first 2 shown]
	v_mov_b32_e32 v2, 0
	ds_read_b128 v[132:135], v2 offset:720
	ds_read_b128 v[136:139], v2 offset:736
	;; [unrolled: 1-line block ×17, first 2 shown]
	v_cmp_lt_u32_e32 vcc, 5, v0
	s_waitcnt vmcnt(31) lgkmcnt(14)
	v_mul_f64 v[200:201], v[132:133], v[18:19]
	s_waitcnt vmcnt(30)
	v_mul_f64 v[202:203], v[136:137], v[14:15]
	v_fmac_f64_e32 v[200:201], v[134:135], v[16:17]
	s_waitcnt vmcnt(29)
	v_mul_f64 v[204:205], v[140:141], v[10:11]
	v_fmac_f64_e32 v[202:203], v[138:139], v[12:13]
	v_add_f64 v[200:201], v[200:201], 0
	s_waitcnt vmcnt(28) lgkmcnt(13)
	v_mul_f64 v[206:207], v[144:145], v[6:7]
	v_fmac_f64_e32 v[204:205], v[142:143], v[8:9]
	v_add_f64 v[200:201], v[200:201], v[202:203]
	s_waitcnt vmcnt(27) lgkmcnt(12)
	;; [unrolled: 4-line block ×12, first 2 shown]
	v_mul_f64 v[228:229], v[188:189], v[62:63]
	v_fmac_f64_e32 v[226:227], v[186:187], v[56:57]
	v_add_f64 v[200:201], v[200:201], v[224:225]
	v_fmac_f64_e32 v[228:229], v[190:191], v[60:61]
	v_add_f64 v[200:201], v[200:201], v[226:227]
	s_waitcnt vmcnt(16) lgkmcnt(1)
	v_mul_f64 v[202:203], v[192:193], v[66:67]
	v_add_f64 v[200:201], v[200:201], v[228:229]
	v_fmac_f64_e32 v[202:203], v[194:195], v[64:65]
	s_waitcnt vmcnt(15) lgkmcnt(0)
	v_mul_f64 v[206:207], v[196:197], v[70:71]
	v_add_f64 v[204:205], v[200:201], v[202:203]
	ds_read_b128 v[200:203], v2 offset:992
	v_fmac_f64_e32 v[206:207], v[198:199], v[68:69]
	v_add_f64 v[208:209], v[204:205], v[206:207]
	ds_read_b128 v[204:207], v2 offset:1008
	v_mul_f64 v[18:19], v[134:135], v[18:19]
	s_waitcnt vmcnt(14) lgkmcnt(1)
	v_mul_f64 v[210:211], v[200:201], v[74:75]
	v_fmac_f64_e32 v[210:211], v[202:203], v[72:73]
	v_add_f64 v[212:213], v[208:209], v[210:211]
	s_waitcnt vmcnt(13) lgkmcnt(0)
	v_mul_f64 v[214:215], v[204:205], v[78:79]
	ds_read_b128 v[208:211], v2 offset:1024
	v_fmac_f64_e32 v[214:215], v[206:207], v[76:77]
	v_add_f64 v[216:217], v[212:213], v[214:215]
	ds_read_b128 v[212:215], v2 offset:1040
	v_fma_f64 v[242:243], v[132:133], v[16:17], -v[18:19]
	s_waitcnt vmcnt(12) lgkmcnt(1)
	v_mul_f64 v[218:219], v[208:209], v[82:83]
	v_fmac_f64_e32 v[218:219], v[210:211], v[80:81]
	v_add_f64 v[220:221], v[216:217], v[218:219]
	s_waitcnt vmcnt(11) lgkmcnt(0)
	v_mul_f64 v[222:223], v[212:213], v[86:87]
	ds_read_b128 v[216:219], v2 offset:1056
	v_fmac_f64_e32 v[222:223], v[214:215], v[84:85]
	v_add_f64 v[224:225], v[220:221], v[222:223]
	ds_read_b128 v[220:223], v2 offset:1072
	ds_read_b128 v[16:19], v2 offset:1152
	s_waitcnt vmcnt(10) lgkmcnt(2)
	v_mul_f64 v[226:227], v[216:217], v[90:91]
	v_fmac_f64_e32 v[226:227], v[218:219], v[88:89]
	v_add_f64 v[228:229], v[224:225], v[226:227]
	s_waitcnt vmcnt(9) lgkmcnt(1)
	v_mul_f64 v[230:231], v[220:221], v[94:95]
	ds_read_b128 v[224:227], v2 offset:1088
	v_fmac_f64_e32 v[230:231], v[222:223], v[92:93]
	v_add_f64 v[232:233], v[228:229], v[230:231]
	ds_read_b128 v[228:231], v2 offset:1104
	v_mul_f64 v[14:15], v[138:139], v[14:15]
	s_waitcnt vmcnt(8) lgkmcnt(1)
	v_mul_f64 v[234:235], v[224:225], v[98:99]
	v_fmac_f64_e32 v[234:235], v[226:227], v[96:97]
	v_add_f64 v[236:237], v[232:233], v[234:235]
	s_waitcnt vmcnt(7) lgkmcnt(0)
	v_mul_f64 v[238:239], v[228:229], v[102:103]
	ds_read_b128 v[232:235], v2 offset:1120
	v_fmac_f64_e32 v[238:239], v[230:231], v[100:101]
	v_add_f64 v[240:241], v[236:237], v[238:239]
	ds_read_b128 v[236:239], v2 offset:1136
	v_fma_f64 v[136:137], v[136:137], v[12:13], -v[14:15]
	s_waitcnt vmcnt(6) lgkmcnt(1)
	v_mul_f64 v[132:133], v[232:233], v[106:107]
	v_fmac_f64_e32 v[132:133], v[234:235], v[104:105]
	v_add_f64 v[132:133], v[240:241], v[132:133]
	s_waitcnt vmcnt(5) lgkmcnt(0)
	v_mul_f64 v[134:135], v[236:237], v[110:111]
	v_fmac_f64_e32 v[134:135], v[238:239], v[108:109]
	v_add_f64 v[132:133], v[132:133], v[134:135]
	ds_read_b128 v[12:15], v2 offset:1168
	s_waitcnt vmcnt(4)
	v_mul_f64 v[134:135], v[16:17], v[114:115]
	v_fmac_f64_e32 v[134:135], v[18:19], v[112:113]
	v_add_f64 v[138:139], v[132:133], v[134:135]
	ds_read_b128 v[132:135], v2 offset:1184
	v_mul_f64 v[10:11], v[142:143], v[10:11]
	v_fma_f64 v[140:141], v[140:141], v[8:9], -v[10:11]
	ds_read_b128 v[8:11], v2 offset:1200
	s_waitcnt vmcnt(3) lgkmcnt(2)
	v_mul_f64 v[142:143], v[12:13], v[118:119]
	v_fmac_f64_e32 v[142:143], v[14:15], v[116:117]
	v_add_f64 v[138:139], v[138:139], v[142:143]
	s_waitcnt vmcnt(2) lgkmcnt(1)
	v_mul_f64 v[142:143], v[132:133], v[122:123]
	v_fmac_f64_e32 v[142:143], v[134:135], v[120:121]
	v_add_f64 v[138:139], v[138:139], v[142:143]
	;; [unrolled: 4-line block ×3, first 2 shown]
	v_add_f64 v[142:143], v[242:243], 0
	v_add_f64 v[136:137], v[142:143], v[136:137]
	v_mul_f64 v[6:7], v[146:147], v[6:7]
	v_add_f64 v[136:137], v[136:137], v[140:141]
	v_fma_f64 v[4:5], v[144:145], v[4:5], -v[6:7]
	v_mul_f64 v[6:7], v[150:151], v[22:23]
	v_add_f64 v[4:5], v[136:137], v[4:5]
	v_fma_f64 v[6:7], v[148:149], v[20:21], -v[6:7]
	v_add_f64 v[4:5], v[4:5], v[6:7]
	v_mul_f64 v[6:7], v[154:155], v[26:27]
	v_fma_f64 v[6:7], v[152:153], v[24:25], -v[6:7]
	v_add_f64 v[4:5], v[4:5], v[6:7]
	v_mul_f64 v[6:7], v[158:159], v[30:31]
	;; [unrolled: 3-line block ×26, first 2 shown]
	v_fma_f64 v[6:7], v[8:9], v[124:125], -v[6:7]
	v_add_f64 v[4:5], v[4:5], v[6:7]
	s_waitcnt vmcnt(0)
	v_add_f64 v[4:5], v[128:129], -v[4:5]
	v_add_f64 v[6:7], v[130:131], -v[138:139]
	scratch_store_dwordx4 off, v[4:7], off offset:112
	s_and_saveexec_b64 s[0:1], vcc
	s_cbranch_execz .LBB37_231
; %bb.230:
	scratch_load_dwordx4 v[6:9], off, s21
	v_mov_b32_e32 v3, v2
	v_mov_b32_e32 v4, v2
	v_mov_b32_e32 v5, v2
	scratch_store_dwordx4 off, v[2:5], off offset:96
	s_waitcnt vmcnt(1)
	ds_write_b128 v1, v[6:9]
.LBB37_231:
	s_or_b64 exec, exec, s[0:1]
	s_waitcnt lgkmcnt(0)
	; wave barrier
	scratch_load_dwordx4 v[140:143], off, off offset:112
	scratch_load_dwordx4 v[148:151], off, off offset:128
	scratch_load_dwordx4 v[152:155], off, off offset:144
	scratch_load_dwordx4 v[4:7], off, off offset:160
	scratch_load_dwordx4 v[8:11], off, off offset:176
	scratch_load_dwordx4 v[12:15], off, off offset:192
	scratch_load_dwordx4 v[16:19], off, off offset:208
	scratch_load_dwordx4 v[20:23], off, off offset:224
	scratch_load_dwordx4 v[24:27], off, off offset:240
	scratch_load_dwordx4 v[28:31], off, off offset:256
	scratch_load_dwordx4 v[32:35], off, off offset:272
	scratch_load_dwordx4 v[36:39], off, off offset:288
	scratch_load_dwordx4 v[40:43], off, off offset:304
	scratch_load_dwordx4 v[44:47], off, off offset:320
	scratch_load_dwordx4 v[48:51], off, off offset:336
	scratch_load_dwordx4 v[52:55], off, off offset:352
	ds_read_b128 v[188:191], v2 offset:704
	ds_read_b128 v[184:187], v2 offset:720
	scratch_load_dwordx4 v[56:59], off, off offset:368
	ds_read_b128 v[192:195], v2 offset:736
	ds_read_b128 v[68:71], v2 offset:752
	scratch_load_dwordx4 v[60:63], off, off offset:384
	ds_read_b128 v[88:91], v2 offset:768
	ds_read_b128 v[84:87], v2 offset:784
	ds_read_b128 v[80:83], v2 offset:800
	ds_read_b128 v[76:79], v2 offset:816
	scratch_load_dwordx4 v[64:67], off, off offset:400
	ds_read_b128 v[100:103], v2 offset:832
	ds_read_b128 v[96:99], v2 offset:848
	scratch_load_dwordx4 v[72:75], off, off offset:416
	ds_read_b128 v[116:119], v2 offset:864
	ds_read_b128 v[112:115], v2 offset:880
	;; [unrolled: 1-line block ×4, first 2 shown]
	scratch_load_dwordx4 v[92:95], off, off offset:432
	ds_read_b128 v[132:135], v2 offset:928
	ds_read_b128 v[128:131], v2 offset:944
	ds_read_b128 v[124:127], v2 offset:960
	scratch_load_dwordx4 v[120:123], off, off offset:448
	scratch_load_dwordx4 v[136:139], off, off offset:464
	scratch_load_dwordx4 v[144:147], off, off offset:480
	scratch_load_dwordx4 v[156:159], off, off offset:496
	scratch_load_dwordx4 v[160:163], off, off offset:512
	scratch_load_dwordx4 v[164:167], off, off offset:528
	scratch_load_dwordx4 v[168:171], off, off offset:544
	scratch_load_dwordx4 v[172:175], off, off offset:560
	scratch_load_dwordx4 v[176:179], off, off offset:576
	scratch_load_dwordx4 v[180:183], off, off offset:592
	scratch_load_dwordx4 v[196:199], off, off offset:608
	v_cmp_lt_u32_e32 vcc, 4, v0
	s_waitcnt vmcnt(31) lgkmcnt(14)
	v_mul_f64 v[200:201], v[188:189], v[142:143]
	s_waitcnt vmcnt(30)
	v_mul_f64 v[202:203], v[184:185], v[150:151]
	v_fmac_f64_e32 v[200:201], v[190:191], v[140:141]
	s_waitcnt vmcnt(29)
	v_mul_f64 v[204:205], v[192:193], v[154:155]
	v_fmac_f64_e32 v[202:203], v[186:187], v[148:149]
	v_add_f64 v[200:201], v[200:201], 0
	s_waitcnt vmcnt(28) lgkmcnt(13)
	v_mul_f64 v[206:207], v[68:69], v[6:7]
	v_fmac_f64_e32 v[204:205], v[194:195], v[152:153]
	v_add_f64 v[200:201], v[200:201], v[202:203]
	s_waitcnt vmcnt(27) lgkmcnt(12)
	;; [unrolled: 4-line block ×13, first 2 shown]
	v_mul_f64 v[230:231], v[128:129], v[54:55]
	v_fmac_f64_e32 v[228:229], v[134:135], v[48:49]
	v_add_f64 v[200:201], v[200:201], v[226:227]
	v_add_f64 v[200:201], v[200:201], v[228:229]
	v_fmac_f64_e32 v[230:231], v[130:131], v[52:53]
	s_waitcnt vmcnt(15) lgkmcnt(0)
	v_mul_f64 v[206:207], v[124:125], v[58:59]
	v_add_f64 v[204:205], v[200:201], v[230:231]
	ds_read_b128 v[200:203], v2 offset:976
	v_fmac_f64_e32 v[206:207], v[126:127], v[56:57]
	v_add_f64 v[208:209], v[204:205], v[206:207]
	ds_read_b128 v[204:207], v2 offset:992
	v_mul_f64 v[142:143], v[190:191], v[142:143]
	s_waitcnt vmcnt(14) lgkmcnt(1)
	v_mul_f64 v[210:211], v[200:201], v[62:63]
	v_fmac_f64_e32 v[210:211], v[202:203], v[60:61]
	v_add_f64 v[212:213], v[208:209], v[210:211]
	s_waitcnt vmcnt(13) lgkmcnt(0)
	v_mul_f64 v[214:215], v[204:205], v[66:67]
	ds_read_b128 v[208:211], v2 offset:1008
	v_fmac_f64_e32 v[214:215], v[206:207], v[64:65]
	v_add_f64 v[216:217], v[212:213], v[214:215]
	ds_read_b128 v[212:215], v2 offset:1024
	v_fma_f64 v[252:253], v[188:189], v[140:141], -v[142:143]
	s_waitcnt vmcnt(12) lgkmcnt(1)
	v_mul_f64 v[218:219], v[208:209], v[74:75]
	v_fmac_f64_e32 v[218:219], v[210:211], v[72:73]
	v_add_f64 v[220:221], v[216:217], v[218:219]
	s_waitcnt vmcnt(11) lgkmcnt(0)
	v_mul_f64 v[222:223], v[212:213], v[94:95]
	ds_read_b128 v[216:219], v2 offset:1040
	v_fmac_f64_e32 v[222:223], v[214:215], v[92:93]
	v_add_f64 v[224:225], v[220:221], v[222:223]
	ds_read_b128 v[220:223], v2 offset:1056
	ds_read_b128 v[140:143], v2 offset:1136
	s_waitcnt vmcnt(10) lgkmcnt(2)
	v_mul_f64 v[226:227], v[216:217], v[122:123]
	v_fmac_f64_e32 v[226:227], v[218:219], v[120:121]
	v_add_f64 v[228:229], v[224:225], v[226:227]
	s_waitcnt vmcnt(9) lgkmcnt(1)
	v_mul_f64 v[230:231], v[220:221], v[138:139]
	ds_read_b128 v[224:227], v2 offset:1072
	v_fmac_f64_e32 v[230:231], v[222:223], v[136:137]
	v_add_f64 v[232:233], v[228:229], v[230:231]
	ds_read_b128 v[228:231], v2 offset:1088
	v_mul_f64 v[150:151], v[186:187], v[150:151]
	s_waitcnt vmcnt(8) lgkmcnt(1)
	v_mul_f64 v[234:235], v[224:225], v[146:147]
	v_fmac_f64_e32 v[234:235], v[226:227], v[144:145]
	v_add_f64 v[236:237], v[232:233], v[234:235]
	s_waitcnt vmcnt(7) lgkmcnt(0)
	v_mul_f64 v[238:239], v[228:229], v[158:159]
	ds_read_b128 v[232:235], v2 offset:1104
	v_fmac_f64_e32 v[238:239], v[230:231], v[156:157]
	v_add_f64 v[240:241], v[236:237], v[238:239]
	ds_read_b128 v[236:239], v2 offset:1120
	v_fma_f64 v[254:255], v[184:185], v[148:149], -v[150:151]
	s_waitcnt vmcnt(6) lgkmcnt(1)
	v_mul_f64 v[242:243], v[232:233], v[162:163]
	v_fmac_f64_e32 v[242:243], v[234:235], v[160:161]
	ds_read_b128 v[148:151], v2 offset:1152
	s_waitcnt vmcnt(5) lgkmcnt(1)
	v_mul_f64 v[188:189], v[236:237], v[166:167]
	v_add_f64 v[240:241], v[240:241], v[242:243]
	v_fmac_f64_e32 v[188:189], v[238:239], v[164:165]
	s_waitcnt vmcnt(4)
	v_mul_f64 v[184:185], v[140:141], v[170:171]
	v_add_f64 v[188:189], v[240:241], v[188:189]
	v_fmac_f64_e32 v[184:185], v[142:143], v[168:169]
	v_add_f64 v[188:189], v[188:189], v[184:185]
	ds_read_b128 v[184:187], v2 offset:1168
	v_mul_f64 v[154:155], v[194:195], v[154:155]
	s_waitcnt vmcnt(3) lgkmcnt(1)
	v_mul_f64 v[190:191], v[148:149], v[174:175]
	v_fma_f64 v[242:243], v[192:193], v[152:153], -v[154:155]
	ds_read_b128 v[152:155], v2 offset:1184
	v_fmac_f64_e32 v[190:191], v[150:151], v[172:173]
	v_add_f64 v[240:241], v[188:189], v[190:191]
	ds_read_b128 v[188:191], v2 offset:1200
	s_waitcnt vmcnt(2) lgkmcnt(2)
	v_mul_f64 v[192:193], v[184:185], v[178:179]
	v_fmac_f64_e32 v[192:193], v[186:187], v[176:177]
	v_add_f64 v[2:3], v[240:241], v[192:193]
	s_waitcnt vmcnt(1) lgkmcnt(1)
	v_mul_f64 v[192:193], v[152:153], v[182:183]
	v_fmac_f64_e32 v[192:193], v[154:155], v[180:181]
	v_add_f64 v[2:3], v[2:3], v[192:193]
	s_waitcnt vmcnt(0) lgkmcnt(0)
	v_mul_f64 v[192:193], v[188:189], v[198:199]
	v_fmac_f64_e32 v[192:193], v[190:191], v[196:197]
	v_add_f64 v[2:3], v[2:3], v[192:193]
	scratch_load_dwordx4 v[192:195], off, off offset:96
	v_add_f64 v[240:241], v[252:253], 0
	v_add_f64 v[240:241], v[240:241], v[254:255]
	v_mul_f64 v[6:7], v[70:71], v[6:7]
	v_add_f64 v[240:241], v[240:241], v[242:243]
	v_fma_f64 v[4:5], v[68:69], v[4:5], -v[6:7]
	v_mul_f64 v[6:7], v[90:91], v[10:11]
	v_add_f64 v[4:5], v[240:241], v[4:5]
	v_fma_f64 v[6:7], v[88:89], v[8:9], -v[6:7]
	v_add_f64 v[4:5], v[4:5], v[6:7]
	v_mul_f64 v[6:7], v[86:87], v[14:15]
	v_fma_f64 v[6:7], v[84:85], v[12:13], -v[6:7]
	v_add_f64 v[4:5], v[4:5], v[6:7]
	v_mul_f64 v[6:7], v[82:83], v[18:19]
	v_fma_f64 v[6:7], v[80:81], v[16:17], -v[6:7]
	v_add_f64 v[4:5], v[4:5], v[6:7]
	v_mul_f64 v[6:7], v[78:79], v[22:23]
	v_fma_f64 v[6:7], v[76:77], v[20:21], -v[6:7]
	v_add_f64 v[4:5], v[4:5], v[6:7]
	v_mul_f64 v[6:7], v[102:103], v[26:27]
	v_fma_f64 v[6:7], v[100:101], v[24:25], -v[6:7]
	v_add_f64 v[4:5], v[4:5], v[6:7]
	v_mul_f64 v[6:7], v[98:99], v[30:31]
	v_fma_f64 v[6:7], v[96:97], v[28:29], -v[6:7]
	v_add_f64 v[4:5], v[4:5], v[6:7]
	v_mul_f64 v[6:7], v[118:119], v[34:35]
	v_fma_f64 v[6:7], v[116:117], v[32:33], -v[6:7]
	v_add_f64 v[4:5], v[4:5], v[6:7]
	v_mul_f64 v[6:7], v[114:115], v[38:39]
	v_fma_f64 v[6:7], v[112:113], v[36:37], -v[6:7]
	v_add_f64 v[4:5], v[4:5], v[6:7]
	v_mul_f64 v[6:7], v[110:111], v[42:43]
	v_fma_f64 v[6:7], v[108:109], v[40:41], -v[6:7]
	v_add_f64 v[4:5], v[4:5], v[6:7]
	v_mul_f64 v[6:7], v[106:107], v[46:47]
	v_fma_f64 v[6:7], v[104:105], v[44:45], -v[6:7]
	v_add_f64 v[4:5], v[4:5], v[6:7]
	v_mul_f64 v[6:7], v[134:135], v[50:51]
	v_fma_f64 v[6:7], v[132:133], v[48:49], -v[6:7]
	v_add_f64 v[4:5], v[4:5], v[6:7]
	v_mul_f64 v[6:7], v[130:131], v[54:55]
	v_fma_f64 v[6:7], v[128:129], v[52:53], -v[6:7]
	v_add_f64 v[4:5], v[4:5], v[6:7]
	v_mul_f64 v[6:7], v[126:127], v[58:59]
	v_fma_f64 v[6:7], v[124:125], v[56:57], -v[6:7]
	v_add_f64 v[4:5], v[4:5], v[6:7]
	v_mul_f64 v[6:7], v[202:203], v[62:63]
	v_fma_f64 v[6:7], v[200:201], v[60:61], -v[6:7]
	v_add_f64 v[4:5], v[4:5], v[6:7]
	v_mul_f64 v[6:7], v[206:207], v[66:67]
	v_fma_f64 v[6:7], v[204:205], v[64:65], -v[6:7]
	v_add_f64 v[4:5], v[4:5], v[6:7]
	v_mul_f64 v[6:7], v[210:211], v[74:75]
	v_fma_f64 v[6:7], v[208:209], v[72:73], -v[6:7]
	v_add_f64 v[4:5], v[4:5], v[6:7]
	v_mul_f64 v[6:7], v[214:215], v[94:95]
	v_fma_f64 v[6:7], v[212:213], v[92:93], -v[6:7]
	v_add_f64 v[4:5], v[4:5], v[6:7]
	v_mul_f64 v[6:7], v[218:219], v[122:123]
	v_fma_f64 v[6:7], v[216:217], v[120:121], -v[6:7]
	v_add_f64 v[4:5], v[4:5], v[6:7]
	v_mul_f64 v[6:7], v[222:223], v[138:139]
	v_fma_f64 v[6:7], v[220:221], v[136:137], -v[6:7]
	v_add_f64 v[4:5], v[4:5], v[6:7]
	v_mul_f64 v[6:7], v[226:227], v[146:147]
	v_fma_f64 v[6:7], v[224:225], v[144:145], -v[6:7]
	v_add_f64 v[4:5], v[4:5], v[6:7]
	v_mul_f64 v[6:7], v[230:231], v[158:159]
	v_fma_f64 v[6:7], v[228:229], v[156:157], -v[6:7]
	v_add_f64 v[4:5], v[4:5], v[6:7]
	v_mul_f64 v[6:7], v[234:235], v[162:163]
	v_fma_f64 v[6:7], v[232:233], v[160:161], -v[6:7]
	v_add_f64 v[4:5], v[4:5], v[6:7]
	v_mul_f64 v[6:7], v[238:239], v[166:167]
	v_fma_f64 v[6:7], v[236:237], v[164:165], -v[6:7]
	v_add_f64 v[4:5], v[4:5], v[6:7]
	v_mul_f64 v[6:7], v[142:143], v[170:171]
	v_fma_f64 v[6:7], v[140:141], v[168:169], -v[6:7]
	v_add_f64 v[4:5], v[4:5], v[6:7]
	v_mul_f64 v[6:7], v[150:151], v[174:175]
	v_fma_f64 v[6:7], v[148:149], v[172:173], -v[6:7]
	v_add_f64 v[4:5], v[4:5], v[6:7]
	v_mul_f64 v[6:7], v[186:187], v[178:179]
	v_fma_f64 v[6:7], v[184:185], v[176:177], -v[6:7]
	v_add_f64 v[4:5], v[4:5], v[6:7]
	v_mul_f64 v[6:7], v[154:155], v[182:183]
	v_fma_f64 v[6:7], v[152:153], v[180:181], -v[6:7]
	v_add_f64 v[4:5], v[4:5], v[6:7]
	v_mul_f64 v[6:7], v[190:191], v[198:199]
	v_fma_f64 v[6:7], v[188:189], v[196:197], -v[6:7]
	v_add_f64 v[4:5], v[4:5], v[6:7]
	s_waitcnt vmcnt(0)
	v_add_f64 v[4:5], v[192:193], -v[4:5]
	v_add_f64 v[6:7], v[194:195], -v[2:3]
	scratch_store_dwordx4 off, v[4:7], off offset:96
	s_and_saveexec_b64 s[0:1], vcc
	s_cbranch_execz .LBB37_233
; %bb.232:
	scratch_load_dwordx4 v[2:5], off, s14
	v_mov_b32_e32 v6, 0
	v_mov_b32_e32 v7, v6
	;; [unrolled: 1-line block ×4, first 2 shown]
	scratch_store_dwordx4 off, v[6:9], off offset:80
	s_waitcnt vmcnt(1)
	ds_write_b128 v1, v[2:5]
.LBB37_233:
	s_or_b64 exec, exec, s[0:1]
	s_waitcnt lgkmcnt(0)
	; wave barrier
	scratch_load_dwordx4 v[108:111], off, off offset:96
	scratch_load_dwordx4 v[116:119], off, off offset:112
	;; [unrolled: 1-line block ×33, first 2 shown]
	v_mov_b32_e32 v2, 0
	ds_read_b128 v[220:223], v2 offset:688
	ds_read_b128 v[224:227], v2 offset:704
	;; [unrolled: 1-line block ×16, first 2 shown]
	v_cmp_lt_u32_e32 vcc, 3, v0
	s_waitcnt vmcnt(32) lgkmcnt(14)
	v_mul_f64 v[180:181], v[220:221], v[110:111]
	s_waitcnt vmcnt(31)
	v_mul_f64 v[182:183], v[224:225], v[118:119]
	v_fmac_f64_e32 v[180:181], v[222:223], v[108:109]
	s_waitcnt vmcnt(30) lgkmcnt(13)
	v_mul_f64 v[184:185], v[234:235], v[122:123]
	v_fmac_f64_e32 v[182:183], v[226:227], v[116:117]
	v_add_f64 v[180:181], v[180:181], 0
	s_waitcnt vmcnt(29) lgkmcnt(12)
	v_mul_f64 v[186:187], v[238:239], v[126:127]
	v_fmac_f64_e32 v[184:185], v[236:237], v[120:121]
	v_add_f64 v[180:181], v[180:181], v[182:183]
	;; [unrolled: 4-line block ×13, first 2 shown]
	v_fmac_f64_e32 v[208:209], v[142:143], v[40:41]
	v_add_f64 v[180:181], v[180:181], v[206:207]
	v_add_f64 v[184:185], v[180:181], v[208:209]
	ds_read_b128 v[180:183], v2 offset:944
	s_waitcnt vmcnt(17) lgkmcnt(1)
	v_mul_f64 v[186:187], v[136:137], v[46:47]
	v_fmac_f64_e32 v[186:187], v[138:139], v[44:45]
	v_add_f64 v[188:189], v[184:185], v[186:187]
	ds_read_b128 v[184:187], v2 offset:960
	s_waitcnt vmcnt(16) lgkmcnt(1)
	v_mul_f64 v[190:191], v[180:181], v[50:51]
	v_fmac_f64_e32 v[190:191], v[182:183], v[48:49]
	;; [unrolled: 5-line block ×10, first 2 shown]
	v_mul_f64 v[110:111], v[222:223], v[110:111]
	v_add_f64 v[228:229], v[228:229], v[230:231]
	v_fma_f64 v[230:231], v[220:221], v[108:109], -v[110:111]
	ds_read_b128 v[108:111], v2 offset:1104
	s_waitcnt vmcnt(7) lgkmcnt(1)
	v_mul_f64 v[220:221], v[216:217], v[86:87]
	v_mul_f64 v[118:119], v[226:227], v[118:119]
	v_fmac_f64_e32 v[220:221], v[218:219], v[84:85]
	v_fma_f64 v[232:233], v[224:225], v[116:117], -v[118:119]
	ds_read_b128 v[116:119], v2 offset:1120
	s_waitcnt vmcnt(6) lgkmcnt(1)
	v_mul_f64 v[222:223], v[108:109], v[90:91]
	v_add_f64 v[220:221], v[228:229], v[220:221]
	v_fmac_f64_e32 v[222:223], v[110:111], v[88:89]
	v_add_f64 v[224:225], v[220:221], v[222:223]
	ds_read_b128 v[220:223], v2 offset:1136
	v_mul_f64 v[122:123], v[236:237], v[122:123]
	v_fma_f64 v[234:235], v[234:235], v[120:121], -v[122:123]
	ds_read_b128 v[120:123], v2 offset:1152
	s_waitcnt vmcnt(5) lgkmcnt(2)
	v_mul_f64 v[226:227], v[116:117], v[94:95]
	v_fmac_f64_e32 v[226:227], v[118:119], v[92:93]
	v_add_f64 v[224:225], v[224:225], v[226:227]
	s_waitcnt vmcnt(4) lgkmcnt(1)
	v_mul_f64 v[226:227], v[220:221], v[98:99]
	v_mul_f64 v[126:127], v[240:241], v[126:127]
	v_fmac_f64_e32 v[226:227], v[222:223], v[96:97]
	v_fma_f64 v[236:237], v[238:239], v[124:125], -v[126:127]
	s_waitcnt vmcnt(3) lgkmcnt(0)
	v_mul_f64 v[238:239], v[120:121], v[102:103]
	v_add_f64 v[228:229], v[224:225], v[226:227]
	v_fmac_f64_e32 v[238:239], v[122:123], v[100:101]
	v_mul_f64 v[130:131], v[254:255], v[130:131]
	v_add_f64 v[228:229], v[228:229], v[238:239]
	v_fma_f64 v[238:239], v[252:253], v[128:129], -v[130:131]
	scratch_load_dwordx4 v[252:255], off, off offset:80
	v_add_f64 v[230:231], v[230:231], 0
	v_add_f64 v[230:231], v[230:231], v[232:233]
	;; [unrolled: 1-line block ×4, first 2 shown]
	v_mul_f64 v[6:7], v[178:179], v[6:7]
	v_add_f64 v[230:231], v[230:231], v[238:239]
	v_fma_f64 v[4:5], v[176:177], v[4:5], -v[6:7]
	v_mul_f64 v[6:7], v[174:175], v[10:11]
	v_add_f64 v[4:5], v[230:231], v[4:5]
	v_fma_f64 v[6:7], v[172:173], v[8:9], -v[6:7]
	v_add_f64 v[4:5], v[4:5], v[6:7]
	v_mul_f64 v[6:7], v[170:171], v[14:15]
	v_fma_f64 v[6:7], v[168:169], v[12:13], -v[6:7]
	v_add_f64 v[4:5], v[4:5], v[6:7]
	v_mul_f64 v[6:7], v[166:167], v[18:19]
	;; [unrolled: 3-line block ×21, first 2 shown]
	ds_read_b128 v[124:127], v2 offset:1168
	ds_read_b128 v[224:227], v2 offset:1184
	v_fma_f64 v[6:7], v[116:117], v[92:93], -v[6:7]
	v_add_f64 v[4:5], v[4:5], v[6:7]
	v_mul_f64 v[6:7], v[222:223], v[98:99]
	v_fma_f64 v[6:7], v[220:221], v[96:97], -v[6:7]
	v_add_f64 v[4:5], v[4:5], v[6:7]
	v_mul_f64 v[6:7], v[122:123], v[102:103]
	ds_read_b128 v[128:131], v2 offset:1200
	v_fma_f64 v[6:7], v[120:121], v[100:101], -v[6:7]
	s_waitcnt vmcnt(3) lgkmcnt(2)
	v_mul_f64 v[240:241], v[124:125], v[106:107]
	v_add_f64 v[4:5], v[4:5], v[6:7]
	v_mul_f64 v[6:7], v[126:127], v[106:107]
	v_fmac_f64_e32 v[240:241], v[126:127], v[104:105]
	v_fma_f64 v[6:7], v[124:125], v[104:105], -v[6:7]
	v_add_f64 v[228:229], v[228:229], v[240:241]
	s_waitcnt vmcnt(2) lgkmcnt(1)
	v_mul_f64 v[240:241], v[224:225], v[114:115]
	v_add_f64 v[4:5], v[4:5], v[6:7]
	v_mul_f64 v[6:7], v[226:227], v[114:115]
	v_fmac_f64_e32 v[240:241], v[226:227], v[112:113]
	v_fma_f64 v[6:7], v[224:225], v[112:113], -v[6:7]
	v_add_f64 v[228:229], v[228:229], v[240:241]
	;; [unrolled: 7-line block ×3, first 2 shown]
	v_add_f64 v[4:5], v[4:5], v[6:7]
	s_waitcnt vmcnt(0)
	v_add_f64 v[4:5], v[252:253], -v[4:5]
	v_add_f64 v[6:7], v[254:255], -v[228:229]
	scratch_store_dwordx4 off, v[4:7], off offset:80
	s_and_saveexec_b64 s[0:1], vcc
	s_cbranch_execz .LBB37_235
; %bb.234:
	scratch_load_dwordx4 v[6:9], off, s13
	v_mov_b32_e32 v3, v2
	v_mov_b32_e32 v4, v2
	;; [unrolled: 1-line block ×3, first 2 shown]
	scratch_store_dwordx4 off, v[2:5], off offset:64
	s_waitcnt vmcnt(1)
	ds_write_b128 v1, v[6:9]
.LBB37_235:
	s_or_b64 exec, exec, s[0:1]
	s_waitcnt lgkmcnt(0)
	; wave barrier
	scratch_load_dwordx4 v[144:147], off, off offset:80
	scratch_load_dwordx4 v[152:155], off, off offset:96
	;; [unrolled: 1-line block ×16, first 2 shown]
	ds_read_b128 v[196:199], v2 offset:672
	ds_read_b128 v[188:191], v2 offset:688
	ds_read_b128 v[180:183], v2 offset:704
	scratch_load_dwordx4 v[48:51], off, off offset:336
	ds_read_b128 v[192:195], v2 offset:720
	ds_read_b128 v[184:187], v2 offset:736
	ds_read_b128 v[64:67], v2 offset:752
	scratch_load_dwordx4 v[52:55], off, off offset:352
	;; [unrolled: 4-line block ×5, first 2 shown]
	ds_read_b128 v[116:119], v2 offset:912
	ds_read_b128 v[112:115], v2 offset:928
	scratch_load_dwordx4 v[108:111], off, off offset:416
	scratch_load_dwordx4 v[120:123], off, off offset:432
	scratch_load_dwordx4 v[124:127], off, off offset:448
	scratch_load_dwordx4 v[128:131], off, off offset:464
	scratch_load_dwordx4 v[132:135], off, off offset:480
	scratch_load_dwordx4 v[136:139], off, off offset:496
	scratch_load_dwordx4 v[140:143], off, off offset:512
	scratch_load_dwordx4 v[148:151], off, off offset:528
	scratch_load_dwordx4 v[164:167], off, off offset:544
	scratch_load_dwordx4 v[172:175], off, off offset:560
	scratch_load_dwordx4 v[176:179], off, off offset:576
	scratch_load_dwordx4 v[200:203], off, off offset:592
	v_cmp_lt_u32_e32 vcc, 2, v0
	s_waitcnt vmcnt(32) lgkmcnt(14)
	v_mul_f64 v[204:205], v[196:197], v[146:147]
	s_waitcnt vmcnt(31)
	v_mul_f64 v[206:207], v[188:189], v[154:155]
	v_fmac_f64_e32 v[204:205], v[198:199], v[144:145]
	s_waitcnt vmcnt(30)
	v_mul_f64 v[208:209], v[180:181], v[158:159]
	v_fmac_f64_e32 v[206:207], v[190:191], v[152:153]
	v_add_f64 v[204:205], v[204:205], 0
	s_waitcnt vmcnt(29) lgkmcnt(13)
	v_mul_f64 v[210:211], v[192:193], v[162:163]
	v_fmac_f64_e32 v[208:209], v[182:183], v[156:157]
	v_add_f64 v[204:205], v[204:205], v[206:207]
	s_waitcnt vmcnt(28) lgkmcnt(12)
	;; [unrolled: 4-line block ×12, first 2 shown]
	v_mul_f64 v[232:233], v[96:97], v[42:43]
	v_fmac_f64_e32 v[230:231], v[102:103], v[36:37]
	v_add_f64 v[204:205], v[204:205], v[228:229]
	v_fmac_f64_e32 v[232:233], v[98:99], v[40:41]
	v_add_f64 v[204:205], v[204:205], v[230:231]
	s_waitcnt vmcnt(17) lgkmcnt(1)
	v_mul_f64 v[206:207], v[116:117], v[46:47]
	v_add_f64 v[204:205], v[204:205], v[232:233]
	v_fmac_f64_e32 v[206:207], v[118:119], v[44:45]
	s_waitcnt vmcnt(16) lgkmcnt(0)
	v_mul_f64 v[210:211], v[112:113], v[50:51]
	v_add_f64 v[208:209], v[204:205], v[206:207]
	ds_read_b128 v[204:207], v2 offset:944
	v_fmac_f64_e32 v[210:211], v[114:115], v[48:49]
	v_add_f64 v[212:213], v[208:209], v[210:211]
	ds_read_b128 v[208:211], v2 offset:960
	v_mul_f64 v[146:147], v[198:199], v[146:147]
	s_waitcnt vmcnt(15) lgkmcnt(1)
	v_mul_f64 v[214:215], v[204:205], v[54:55]
	v_fmac_f64_e32 v[214:215], v[206:207], v[52:53]
	v_add_f64 v[216:217], v[212:213], v[214:215]
	s_waitcnt vmcnt(14) lgkmcnt(0)
	v_mul_f64 v[218:219], v[208:209], v[58:59]
	ds_read_b128 v[212:215], v2 offset:976
	v_fmac_f64_e32 v[218:219], v[210:211], v[56:57]
	v_add_f64 v[220:221], v[216:217], v[218:219]
	ds_read_b128 v[216:219], v2 offset:992
	v_mul_f64 v[154:155], v[190:191], v[154:155]
	s_waitcnt vmcnt(13) lgkmcnt(1)
	v_mul_f64 v[222:223], v[212:213], v[62:63]
	v_fmac_f64_e32 v[222:223], v[214:215], v[60:61]
	v_add_f64 v[224:225], v[220:221], v[222:223]
	s_waitcnt vmcnt(12) lgkmcnt(0)
	v_mul_f64 v[226:227], v[216:217], v[94:95]
	ds_read_b128 v[220:223], v2 offset:1008
	v_fmac_f64_e32 v[226:227], v[218:219], v[92:93]
	v_add_f64 v[228:229], v[224:225], v[226:227]
	ds_read_b128 v[224:227], v2 offset:1024
	v_fma_f64 v[252:253], v[188:189], v[152:153], -v[154:155]
	s_waitcnt vmcnt(11) lgkmcnt(1)
	v_mul_f64 v[230:231], v[220:221], v[110:111]
	v_fmac_f64_e32 v[230:231], v[222:223], v[108:109]
	v_add_f64 v[232:233], v[228:229], v[230:231]
	s_waitcnt vmcnt(10) lgkmcnt(0)
	v_mul_f64 v[234:235], v[224:225], v[122:123]
	ds_read_b128 v[228:231], v2 offset:1040
	v_fmac_f64_e32 v[234:235], v[226:227], v[120:121]
	v_add_f64 v[236:237], v[232:233], v[234:235]
	ds_read_b128 v[232:235], v2 offset:1056
	ds_read_b128 v[152:155], v2 offset:1104
	s_waitcnt vmcnt(9) lgkmcnt(2)
	v_mul_f64 v[238:239], v[228:229], v[126:127]
	v_fmac_f64_e32 v[238:239], v[230:231], v[124:125]
	v_add_f64 v[240:241], v[236:237], v[238:239]
	s_waitcnt vmcnt(8) lgkmcnt(1)
	v_mul_f64 v[242:243], v[232:233], v[130:131]
	ds_read_b128 v[236:239], v2 offset:1072
	v_fmac_f64_e32 v[242:243], v[234:235], v[128:129]
	v_add_f64 v[240:241], v[240:241], v[242:243]
	v_fma_f64 v[242:243], v[196:197], v[144:145], -v[146:147]
	ds_read_b128 v[144:147], v2 offset:1088
	s_waitcnt vmcnt(7) lgkmcnt(1)
	v_mul_f64 v[196:197], v[236:237], v[134:135]
	v_fmac_f64_e32 v[196:197], v[238:239], v[132:133]
	v_add_f64 v[188:189], v[240:241], v[196:197]
	v_mul_f64 v[158:159], v[182:183], v[158:159]
	s_waitcnt vmcnt(6) lgkmcnt(0)
	v_mul_f64 v[190:191], v[144:145], v[138:139]
	v_fmac_f64_e32 v[190:191], v[146:147], v[136:137]
	v_add_f64 v[196:197], v[188:189], v[190:191]
	ds_read_b128 v[188:191], v2 offset:1120
	v_fma_f64 v[240:241], v[180:181], v[156:157], -v[158:159]
	ds_read_b128 v[156:159], v2 offset:1136
	s_waitcnt vmcnt(5)
	v_mul_f64 v[198:199], v[152:153], v[142:143]
	v_fmac_f64_e32 v[198:199], v[154:155], v[140:141]
	s_waitcnt vmcnt(4) lgkmcnt(1)
	v_mul_f64 v[180:181], v[188:189], v[150:151]
	v_add_f64 v[196:197], v[196:197], v[198:199]
	v_fmac_f64_e32 v[180:181], v[190:191], v[148:149]
	v_mul_f64 v[162:163], v[194:195], v[162:163]
	v_add_f64 v[198:199], v[196:197], v[180:181]
	v_fma_f64 v[196:197], v[192:193], v[160:161], -v[162:163]
	ds_read_b128 v[160:163], v2 offset:1152
	s_waitcnt vmcnt(3) lgkmcnt(1)
	v_mul_f64 v[192:193], v[156:157], v[166:167]
	ds_read_b128 v[180:183], v2 offset:1168
	v_fmac_f64_e32 v[192:193], v[158:159], v[164:165]
	v_mul_f64 v[170:171], v[186:187], v[170:171]
	v_add_f64 v[192:193], v[198:199], v[192:193]
	v_fma_f64 v[198:199], v[184:185], v[168:169], -v[170:171]
	ds_read_b128 v[168:171], v2 offset:1184
	s_waitcnt vmcnt(2) lgkmcnt(2)
	v_mul_f64 v[184:185], v[160:161], v[174:175]
	v_fmac_f64_e32 v[184:185], v[162:163], v[172:173]
	s_waitcnt vmcnt(1) lgkmcnt(1)
	v_mul_f64 v[186:187], v[180:181], v[178:179]
	v_add_f64 v[184:185], v[192:193], v[184:185]
	v_fmac_f64_e32 v[186:187], v[182:183], v[176:177]
	v_add_f64 v[184:185], v[184:185], v[186:187]
	s_waitcnt vmcnt(0) lgkmcnt(0)
	v_mul_f64 v[186:187], v[168:169], v[202:203]
	v_fmac_f64_e32 v[186:187], v[170:171], v[200:201]
	v_add_f64 v[254:255], v[184:185], v[186:187]
	scratch_load_dwordx4 v[184:187], off, off offset:608
	v_add_f64 v[242:243], v[242:243], 0
	v_add_f64 v[242:243], v[242:243], v[252:253]
	;; [unrolled: 1-line block ×3, first 2 shown]
	scratch_load_dwordx4 v[240:243], off, off offset:64
	v_add_f64 v[196:197], v[252:253], v[196:197]
	v_mul_f64 v[6:7], v[66:67], v[6:7]
	v_add_f64 v[196:197], v[196:197], v[198:199]
	v_fma_f64 v[4:5], v[64:65], v[4:5], -v[6:7]
	v_mul_f64 v[6:7], v[78:79], v[10:11]
	v_add_f64 v[4:5], v[196:197], v[4:5]
	v_fma_f64 v[6:7], v[76:77], v[8:9], -v[6:7]
	v_add_f64 v[4:5], v[4:5], v[6:7]
	v_mul_f64 v[6:7], v[74:75], v[14:15]
	v_fma_f64 v[6:7], v[72:73], v[12:13], -v[6:7]
	v_add_f64 v[4:5], v[4:5], v[6:7]
	v_mul_f64 v[6:7], v[70:71], v[18:19]
	;; [unrolled: 3-line block ×24, first 2 shown]
	ds_read_b128 v[192:195], v2 offset:1200
	v_fma_f64 v[6:7], v[160:161], v[172:173], -v[6:7]
	v_add_f64 v[4:5], v[4:5], v[6:7]
	v_mul_f64 v[6:7], v[182:183], v[178:179]
	v_fma_f64 v[6:7], v[180:181], v[176:177], -v[6:7]
	v_add_f64 v[4:5], v[4:5], v[6:7]
	v_mul_f64 v[6:7], v[170:171], v[202:203]
	v_fma_f64 v[6:7], v[168:169], v[200:201], -v[6:7]
	s_waitcnt vmcnt(1) lgkmcnt(0)
	v_mul_f64 v[2:3], v[192:193], v[186:187]
	v_add_f64 v[4:5], v[4:5], v[6:7]
	v_mul_f64 v[6:7], v[194:195], v[186:187]
	v_fmac_f64_e32 v[2:3], v[194:195], v[184:185]
	v_fma_f64 v[6:7], v[192:193], v[184:185], -v[6:7]
	v_add_f64 v[2:3], v[254:255], v[2:3]
	v_add_f64 v[4:5], v[4:5], v[6:7]
	s_waitcnt vmcnt(0)
	v_add_f64 v[4:5], v[240:241], -v[4:5]
	v_add_f64 v[6:7], v[242:243], -v[2:3]
	scratch_store_dwordx4 off, v[4:7], off offset:64
	s_and_saveexec_b64 s[0:1], vcc
	s_cbranch_execz .LBB37_237
; %bb.236:
	scratch_load_dwordx4 v[2:5], off, s12
	v_mov_b32_e32 v6, 0
	v_mov_b32_e32 v7, v6
	v_mov_b32_e32 v8, v6
	v_mov_b32_e32 v9, v6
	scratch_store_dwordx4 off, v[6:9], off offset:48
	s_waitcnt vmcnt(1)
	ds_write_b128 v1, v[2:5]
.LBB37_237:
	s_or_b64 exec, exec, s[0:1]
	s_waitcnt lgkmcnt(0)
	; wave barrier
	scratch_load_dwordx4 v[184:187], off, off offset:64
	scratch_load_dwordx4 v[188:191], off, off offset:80
	;; [unrolled: 1-line block ×32, first 2 shown]
	v_mov_b32_e32 v2, 0
	ds_read_b128 v[192:195], v2 offset:656
	ds_read_b128 v[204:207], v2 offset:672
	;; [unrolled: 1-line block ×16, first 2 shown]
	v_cmp_lt_u32_e32 vcc, 1, v0
	s_waitcnt vmcnt(31) lgkmcnt(14)
	v_mul_f64 v[104:105], v[192:193], v[186:187]
	s_waitcnt vmcnt(30)
	v_mul_f64 v[106:107], v[204:205], v[190:191]
	v_fmac_f64_e32 v[104:105], v[194:195], v[184:185]
	s_waitcnt vmcnt(29) lgkmcnt(13)
	v_mul_f64 v[112:113], v[216:217], v[198:199]
	v_fmac_f64_e32 v[106:107], v[206:207], v[188:189]
	v_add_f64 v[104:105], v[104:105], 0
	s_waitcnt vmcnt(28) lgkmcnt(12)
	v_mul_f64 v[114:115], v[224:225], v[202:203]
	v_fmac_f64_e32 v[112:113], v[218:219], v[196:197]
	v_add_f64 v[104:105], v[104:105], v[106:107]
	;; [unrolled: 4-line block ×10, first 2 shown]
	ds_read_b128 v[152:155], v2 offset:912
	ds_read_b128 v[156:159], v2 offset:928
	s_waitcnt vmcnt(19) lgkmcnt(5)
	v_mul_f64 v[164:165], v[124:125], v[26:27]
	v_fmac_f64_e32 v[162:163], v[134:135], v[20:21]
	v_add_f64 v[104:105], v[104:105], v[160:161]
	s_waitcnt vmcnt(18) lgkmcnt(4)
	v_mul_f64 v[166:167], v[120:121], v[30:31]
	v_fmac_f64_e32 v[164:165], v[126:127], v[24:25]
	v_add_f64 v[104:105], v[104:105], v[162:163]
	;; [unrolled: 4-line block ×4, first 2 shown]
	v_add_f64 v[112:113], v[104:105], v[168:169]
	v_fmac_f64_e32 v[170:171], v[110:111], v[36:37]
	scratch_load_dwordx4 v[104:107], off, off offset:576
	s_waitcnt vmcnt(16) lgkmcnt(1)
	v_mul_f64 v[114:115], v[152:153], v[42:43]
	v_add_f64 v[112:113], v[112:113], v[170:171]
	v_fmac_f64_e32 v[114:115], v[154:155], v[40:41]
	v_add_f64 v[128:129], v[112:113], v[114:115]
	scratch_load_dwordx4 v[112:115], off, off offset:592
	s_waitcnt vmcnt(16) lgkmcnt(0)
	v_mul_f64 v[130:131], v[156:157], v[46:47]
	v_fmac_f64_e32 v[130:131], v[158:159], v[44:45]
	v_add_f64 v[168:169], v[128:129], v[130:131]
	scratch_load_dwordx4 v[128:131], off, off offset:608
	ds_read_b128 v[160:163], v2 offset:944
	ds_read_b128 v[164:167], v2 offset:960
	v_mul_f64 v[186:187], v[194:195], v[186:187]
	v_fma_f64 v[242:243], v[192:193], v[184:185], -v[186:187]
	ds_read_b128 v[184:187], v2 offset:1040
	s_waitcnt vmcnt(16) lgkmcnt(2)
	v_mul_f64 v[170:171], v[160:161], v[50:51]
	v_fmac_f64_e32 v[170:171], v[162:163], v[48:49]
	s_waitcnt vmcnt(15) lgkmcnt(1)
	v_mul_f64 v[174:175], v[164:165], v[54:55]
	v_add_f64 v[172:173], v[168:169], v[170:171]
	ds_read_b128 v[168:171], v2 offset:976
	v_fmac_f64_e32 v[174:175], v[166:167], v[52:53]
	v_add_f64 v[176:177], v[172:173], v[174:175]
	ds_read_b128 v[172:175], v2 offset:992
	v_mul_f64 v[190:191], v[206:207], v[190:191]
	s_waitcnt vmcnt(14) lgkmcnt(1)
	v_mul_f64 v[178:179], v[168:169], v[58:59]
	v_fmac_f64_e32 v[178:179], v[170:171], v[56:57]
	v_add_f64 v[180:181], v[176:177], v[178:179]
	s_waitcnt vmcnt(13) lgkmcnt(0)
	v_mul_f64 v[182:183], v[172:173], v[62:63]
	ds_read_b128 v[176:179], v2 offset:1008
	v_fmac_f64_e32 v[182:183], v[174:175], v[60:61]
	v_add_f64 v[232:233], v[180:181], v[182:183]
	ds_read_b128 v[180:183], v2 offset:1024
	v_fma_f64 v[244:245], v[204:205], v[188:189], -v[190:191]
	s_waitcnt vmcnt(12) lgkmcnt(1)
	v_mul_f64 v[234:235], v[176:177], v[66:67]
	v_fmac_f64_e32 v[234:235], v[178:179], v[64:65]
	v_add_f64 v[232:233], v[232:233], v[234:235]
	s_waitcnt vmcnt(11) lgkmcnt(0)
	v_mul_f64 v[192:193], v[180:181], v[70:71]
	v_fmac_f64_e32 v[192:193], v[182:183], v[68:69]
	ds_read_b128 v[188:191], v2 offset:1056
	s_waitcnt vmcnt(10)
	v_mul_f64 v[194:195], v[184:185], v[74:75]
	v_add_f64 v[192:193], v[232:233], v[192:193]
	v_fmac_f64_e32 v[194:195], v[186:187], v[72:73]
	v_add_f64 v[204:205], v[192:193], v[194:195]
	ds_read_b128 v[192:195], v2 offset:1072
	v_mul_f64 v[198:199], v[218:219], v[198:199]
	v_fma_f64 v[246:247], v[216:217], v[196:197], -v[198:199]
	ds_read_b128 v[196:199], v2 offset:1088
	s_waitcnt vmcnt(9) lgkmcnt(2)
	v_mul_f64 v[206:207], v[188:189], v[78:79]
	v_fmac_f64_e32 v[206:207], v[190:191], v[76:77]
	v_add_f64 v[204:205], v[204:205], v[206:207]
	s_waitcnt vmcnt(8) lgkmcnt(1)
	v_mul_f64 v[206:207], v[192:193], v[82:83]
	v_fmac_f64_e32 v[206:207], v[194:195], v[80:81]
	v_mul_f64 v[202:203], v[226:227], v[202:203]
	v_add_f64 v[204:205], v[204:205], v[206:207]
	v_fma_f64 v[234:235], v[224:225], v[200:201], -v[202:203]
	ds_read_b128 v[200:203], v2 offset:1104
	s_waitcnt vmcnt(7) lgkmcnt(1)
	v_mul_f64 v[206:207], v[196:197], v[86:87]
	v_fmac_f64_e32 v[206:207], v[198:199], v[84:85]
	v_add_f64 v[216:217], v[204:205], v[206:207]
	ds_read_b128 v[204:207], v2 offset:1120
	v_mul_f64 v[210:211], v[230:231], v[210:211]
	v_fma_f64 v[236:237], v[228:229], v[208:209], -v[210:211]
	ds_read_b128 v[208:211], v2 offset:1136
	s_waitcnt vmcnt(6) lgkmcnt(2)
	v_mul_f64 v[218:219], v[200:201], v[90:91]
	v_fmac_f64_e32 v[218:219], v[202:203], v[88:89]
	v_add_f64 v[216:217], v[216:217], v[218:219]
	s_waitcnt vmcnt(5) lgkmcnt(1)
	v_mul_f64 v[218:219], v[204:205], v[94:95]
	v_fmac_f64_e32 v[218:219], v[206:207], v[92:93]
	v_mul_f64 v[214:215], v[240:241], v[214:215]
	v_fma_f64 v[238:239], v[238:239], v[212:213], -v[214:215]
	ds_read_b128 v[212:215], v2 offset:1152
	v_add_f64 v[216:217], v[216:217], v[218:219]
	s_waitcnt vmcnt(4) lgkmcnt(1)
	v_mul_f64 v[218:219], v[208:209], v[102:103]
	v_fmac_f64_e32 v[218:219], v[210:211], v[100:101]
	v_add_f64 v[224:225], v[216:217], v[218:219]
	ds_read_b128 v[216:219], v2 offset:1168
	v_mul_f64 v[222:223], v[254:255], v[222:223]
	v_fma_f64 v[252:253], v[252:253], v[220:221], -v[222:223]
	ds_read_b128 v[220:223], v2 offset:1184
	s_waitcnt vmcnt(3) lgkmcnt(2)
	v_mul_f64 v[226:227], v[212:213], v[98:99]
	v_fmac_f64_e32 v[226:227], v[214:215], v[96:97]
	v_add_f64 v[224:225], v[224:225], v[226:227]
	s_waitcnt vmcnt(2) lgkmcnt(1)
	v_mul_f64 v[226:227], v[216:217], v[106:107]
	v_fmac_f64_e32 v[226:227], v[218:219], v[104:105]
	v_add_f64 v[224:225], v[224:225], v[226:227]
	;; [unrolled: 4-line block ×3, first 2 shown]
	ds_read_b128 v[224:227], v2 offset:1200
	v_mul_f64 v[6:7], v[150:151], v[6:7]
	v_fma_f64 v[4:5], v[148:149], v[4:5], -v[6:7]
	v_mul_f64 v[6:7], v[146:147], v[10:11]
	v_fma_f64 v[6:7], v[144:145], v[8:9], -v[6:7]
	s_waitcnt vmcnt(0) lgkmcnt(0)
	v_mul_f64 v[230:231], v[224:225], v[130:131]
	v_fmac_f64_e32 v[230:231], v[226:227], v[128:129]
	v_add_f64 v[232:233], v[228:229], v[230:231]
	v_add_f64 v[228:229], v[242:243], 0
	;; [unrolled: 1-line block ×4, first 2 shown]
	scratch_load_dwordx4 v[228:231], off, off offset:48
	v_add_f64 v[234:235], v[254:255], v[234:235]
	v_add_f64 v[234:235], v[234:235], v[236:237]
	;; [unrolled: 1-line block ×6, first 2 shown]
	v_mul_f64 v[6:7], v[142:143], v[14:15]
	v_fma_f64 v[6:7], v[140:141], v[12:13], -v[6:7]
	v_add_f64 v[4:5], v[4:5], v[6:7]
	v_mul_f64 v[6:7], v[138:139], v[18:19]
	v_fma_f64 v[6:7], v[136:137], v[16:17], -v[6:7]
	v_add_f64 v[4:5], v[4:5], v[6:7]
	;; [unrolled: 3-line block ×26, first 2 shown]
	s_waitcnt vmcnt(0)
	v_add_f64 v[4:5], v[228:229], -v[4:5]
	v_add_f64 v[6:7], v[230:231], -v[232:233]
	scratch_store_dwordx4 off, v[4:7], off offset:48
	s_and_saveexec_b64 s[0:1], vcc
	s_cbranch_execz .LBB37_239
; %bb.238:
	scratch_load_dwordx4 v[6:9], off, s15
	v_mov_b32_e32 v3, v2
	v_mov_b32_e32 v4, v2
	;; [unrolled: 1-line block ×3, first 2 shown]
	scratch_store_dwordx4 off, v[2:5], off offset:32
	s_waitcnt vmcnt(1)
	ds_write_b128 v1, v[6:9]
.LBB37_239:
	s_or_b64 exec, exec, s[0:1]
	s_waitcnt lgkmcnt(0)
	; wave barrier
	scratch_load_dwordx4 v[140:143], off, off offset:48
	scratch_load_dwordx4 v[144:147], off, off offset:64
	;; [unrolled: 1-line block ×16, first 2 shown]
	ds_read_b128 v[208:211], v2 offset:640
	ds_read_b128 v[200:203], v2 offset:656
	;; [unrolled: 1-line block ×3, first 2 shown]
	scratch_load_dwordx4 v[40:43], off, off offset:304
	ds_read_b128 v[204:207], v2 offset:688
	ds_read_b128 v[192:195], v2 offset:704
	;; [unrolled: 1-line block ×3, first 2 shown]
	scratch_load_dwordx4 v[44:47], off, off offset:320
	ds_read_b128 v[196:199], v2 offset:736
	ds_read_b128 v[64:67], v2 offset:752
	;; [unrolled: 1-line block ×4, first 2 shown]
	scratch_load_dwordx4 v[48:51], off, off offset:336
	ds_read_b128 v[72:75], v2 offset:800
	ds_read_b128 v[68:71], v2 offset:816
	scratch_load_dwordx4 v[56:59], off, off offset:352
	ds_read_b128 v[92:95], v2 offset:832
	ds_read_b128 v[88:91], v2 offset:848
	;; [unrolled: 1-line block ×4, first 2 shown]
	scratch_load_dwordx4 v[76:79], off, off offset:368
	scratch_load_dwordx4 v[96:99], off, off offset:384
	scratch_load_dwordx4 v[100:103], off, off offset:400
	scratch_load_dwordx4 v[104:107], off, off offset:416
	scratch_load_dwordx4 v[108:111], off, off offset:432
	scratch_load_dwordx4 v[112:115], off, off offset:448
	scratch_load_dwordx4 v[116:119], off, off offset:464
	scratch_load_dwordx4 v[120:123], off, off offset:480
	scratch_load_dwordx4 v[124:127], off, off offset:496
	scratch_load_dwordx4 v[128:131], off, off offset:512
	scratch_load_dwordx4 v[136:139], off, off offset:528
	scratch_load_dwordx4 v[132:135], off, off offset:544
	ds_read_b128 v[168:171], v2 offset:896
	v_cmp_ne_u32_e32 vcc, 0, v0
	s_waitcnt vmcnt(31) lgkmcnt(14)
	v_mul_f64 v[172:173], v[208:209], v[142:143]
	s_waitcnt vmcnt(30)
	v_mul_f64 v[174:175], v[200:201], v[146:147]
	v_fmac_f64_e32 v[172:173], v[210:211], v[140:141]
	s_waitcnt vmcnt(29)
	v_mul_f64 v[176:177], v[188:189], v[150:151]
	v_fmac_f64_e32 v[174:175], v[202:203], v[144:145]
	v_add_f64 v[172:173], v[172:173], 0
	s_waitcnt vmcnt(28) lgkmcnt(13)
	v_mul_f64 v[178:179], v[204:205], v[154:155]
	v_fmac_f64_e32 v[176:177], v[190:191], v[148:149]
	v_add_f64 v[172:173], v[172:173], v[174:175]
	s_waitcnt vmcnt(27) lgkmcnt(12)
	;; [unrolled: 4-line block ×10, first 2 shown]
	v_mul_f64 v[224:225], v[92:93], v[26:27]
	v_fmac_f64_e32 v[222:223], v[70:71], v[20:21]
	v_add_f64 v[172:173], v[172:173], v[220:221]
	ds_read_b128 v[212:215], v2 offset:912
	s_waitcnt vmcnt(18) lgkmcnt(4)
	v_mul_f64 v[226:227], v[88:89], v[30:31]
	v_fmac_f64_e32 v[224:225], v[94:95], v[24:25]
	v_add_f64 v[172:173], v[172:173], v[222:223]
	ds_read_b128 v[216:219], v2 offset:928
	ds_read_b128 v[220:223], v2 offset:944
	s_waitcnt vmcnt(17) lgkmcnt(5)
	v_mul_f64 v[228:229], v[84:85], v[34:35]
	v_fmac_f64_e32 v[226:227], v[90:91], v[28:29]
	v_add_f64 v[172:173], v[172:173], v[224:225]
	s_waitcnt vmcnt(16) lgkmcnt(4)
	v_mul_f64 v[230:231], v[80:81], v[38:39]
	v_fmac_f64_e32 v[228:229], v[86:87], v[32:33]
	v_add_f64 v[172:173], v[172:173], v[226:227]
	v_add_f64 v[176:177], v[172:173], v[228:229]
	v_fmac_f64_e32 v[230:231], v[82:83], v[36:37]
	s_waitcnt vmcnt(15) lgkmcnt(3)
	v_mul_f64 v[178:179], v[168:169], v[42:43]
	v_add_f64 v[176:177], v[176:177], v[230:231]
	v_fmac_f64_e32 v[178:179], v[170:171], v[40:41]
	s_waitcnt vmcnt(14) lgkmcnt(2)
	v_mul_f64 v[182:183], v[212:213], v[46:47]
	v_add_f64 v[180:181], v[176:177], v[178:179]
	v_fmac_f64_e32 v[182:183], v[214:215], v[44:45]
	s_waitcnt vmcnt(13) lgkmcnt(1)
	v_mul_f64 v[226:227], v[216:217], v[50:51]
	v_add_f64 v[224:225], v[180:181], v[182:183]
	v_fmac_f64_e32 v[226:227], v[218:219], v[48:49]
	v_add_f64 v[228:229], v[224:225], v[226:227]
	ds_read_b128 v[224:227], v2 offset:960
	s_waitcnt vmcnt(12) lgkmcnt(1)
	v_mul_f64 v[230:231], v[220:221], v[58:59]
	v_fmac_f64_e32 v[230:231], v[222:223], v[56:57]
	v_add_f64 v[232:233], v[228:229], v[230:231]
	ds_read_b128 v[228:231], v2 offset:976
	s_waitcnt vmcnt(11) lgkmcnt(1)
	v_mul_f64 v[234:235], v[224:225], v[78:79]
	;; [unrolled: 5-line block ×4, first 2 shown]
	v_fmac_f64_e32 v[242:243], v[234:235], v[100:101]
	v_mul_f64 v[142:143], v[210:211], v[142:143]
	v_add_f64 v[240:241], v[240:241], v[242:243]
	v_fma_f64 v[242:243], v[208:209], v[140:141], -v[142:143]
	ds_read_b128 v[140:143], v2 offset:1024
	s_waitcnt vmcnt(8) lgkmcnt(1)
	v_mul_f64 v[208:209], v[236:237], v[106:107]
	v_fmac_f64_e32 v[208:209], v[238:239], v[104:105]
	v_mul_f64 v[146:147], v[202:203], v[146:147]
	v_add_f64 v[208:209], v[240:241], v[208:209]
	v_fma_f64 v[240:241], v[200:201], v[144:145], -v[146:147]
	ds_read_b128 v[144:147], v2 offset:1040
	s_waitcnt vmcnt(7) lgkmcnt(1)
	v_mul_f64 v[200:201], v[140:141], v[110:111]
	scratch_load_dwordx4 v[172:175], off, off offset:560
	v_fmac_f64_e32 v[200:201], v[142:143], v[108:109]
	v_add_f64 v[208:209], v[208:209], v[200:201]
	ds_read_b128 v[200:203], v2 offset:1056
	v_mul_f64 v[150:151], v[190:191], v[150:151]
	scratch_load_dwordx4 v[176:179], off, off offset:576
	scratch_load_dwordx4 v[180:183], off, off offset:592
	v_fma_f64 v[244:245], v[188:189], v[148:149], -v[150:151]
	ds_read_b128 v[148:151], v2 offset:1072
	s_waitcnt vmcnt(9) lgkmcnt(2)
	v_mul_f64 v[210:211], v[144:145], v[114:115]
	v_fmac_f64_e32 v[210:211], v[146:147], v[112:113]
	s_waitcnt vmcnt(8) lgkmcnt(1)
	v_mul_f64 v[188:189], v[200:201], v[118:119]
	v_add_f64 v[208:209], v[208:209], v[210:211]
	v_fmac_f64_e32 v[188:189], v[202:203], v[116:117]
	v_mul_f64 v[154:155], v[206:207], v[154:155]
	s_waitcnt vmcnt(7) lgkmcnt(0)
	v_mul_f64 v[190:191], v[148:149], v[122:123]
	v_add_f64 v[188:189], v[208:209], v[188:189]
	v_fma_f64 v[246:247], v[204:205], v[152:153], -v[154:155]
	ds_read_b128 v[152:155], v2 offset:1088
	v_fmac_f64_e32 v[190:191], v[150:151], v[120:121]
	v_add_f64 v[204:205], v[188:189], v[190:191]
	ds_read_b128 v[188:191], v2 offset:1104
	v_mul_f64 v[158:159], v[194:195], v[158:159]
	s_waitcnt vmcnt(6) lgkmcnt(1)
	v_mul_f64 v[206:207], v[152:153], v[126:127]
	v_fmac_f64_e32 v[206:207], v[154:155], v[124:125]
	v_fma_f64 v[252:253], v[192:193], v[156:157], -v[158:159]
	s_waitcnt vmcnt(5) lgkmcnt(0)
	v_mul_f64 v[192:193], v[188:189], v[130:131]
	v_add_f64 v[204:205], v[204:205], v[206:207]
	v_fmac_f64_e32 v[192:193], v[190:191], v[128:129]
	v_mul_f64 v[162:163], v[186:187], v[162:163]
	v_add_f64 v[242:243], v[242:243], 0
	v_fma_f64 v[208:209], v[184:185], v[160:161], -v[162:163]
	v_add_f64 v[184:185], v[204:205], v[192:193]
	scratch_load_dwordx4 v[204:207], off, off offset:608
	v_add_f64 v[240:241], v[242:243], v[240:241]
	v_add_f64 v[240:241], v[240:241], v[244:245]
	;; [unrolled: 1-line block ×4, first 2 shown]
	scratch_load_dwordx4 v[240:243], off, off offset:32
	v_mul_f64 v[166:167], v[198:199], v[166:167]
	v_fma_f64 v[210:211], v[196:197], v[164:165], -v[166:167]
	v_add_f64 v[208:209], v[252:253], v[208:209]
	v_mul_f64 v[6:7], v[66:67], v[6:7]
	v_add_f64 v[208:209], v[208:209], v[210:211]
	v_fma_f64 v[4:5], v[64:65], v[4:5], -v[6:7]
	v_mul_f64 v[6:7], v[62:63], v[10:11]
	v_add_f64 v[4:5], v[208:209], v[4:5]
	v_fma_f64 v[6:7], v[60:61], v[8:9], -v[6:7]
	v_add_f64 v[4:5], v[4:5], v[6:7]
	v_mul_f64 v[6:7], v[54:55], v[14:15]
	v_fma_f64 v[6:7], v[52:53], v[12:13], -v[6:7]
	v_add_f64 v[4:5], v[4:5], v[6:7]
	v_mul_f64 v[6:7], v[74:75], v[18:19]
	;; [unrolled: 3-line block ×12, first 2 shown]
	v_fma_f64 v[6:7], v[224:225], v[76:77], -v[6:7]
	ds_read_b128 v[156:159], v2 offset:1120
	ds_read_b128 v[160:163], v2 offset:1136
	v_add_f64 v[4:5], v[4:5], v[6:7]
	v_mul_f64 v[6:7], v[230:231], v[98:99]
	v_fma_f64 v[6:7], v[228:229], v[96:97], -v[6:7]
	v_add_f64 v[4:5], v[4:5], v[6:7]
	v_mul_f64 v[6:7], v[234:235], v[102:103]
	v_fma_f64 v[6:7], v[232:233], v[100:101], -v[6:7]
	v_add_f64 v[4:5], v[4:5], v[6:7]
	v_mul_f64 v[6:7], v[238:239], v[106:107]
	s_waitcnt vmcnt(6) lgkmcnt(1)
	v_mul_f64 v[186:187], v[156:157], v[138:139]
	v_fma_f64 v[6:7], v[236:237], v[104:105], -v[6:7]
	v_fmac_f64_e32 v[186:187], v[158:159], v[136:137]
	v_add_f64 v[4:5], v[4:5], v[6:7]
	v_mul_f64 v[6:7], v[142:143], v[110:111]
	v_add_f64 v[192:193], v[184:185], v[186:187]
	ds_read_b128 v[184:187], v2 offset:1152
	ds_read_b128 v[164:167], v2 offset:1168
	v_fma_f64 v[6:7], v[140:141], v[108:109], -v[6:7]
	v_add_f64 v[4:5], v[4:5], v[6:7]
	v_mul_f64 v[6:7], v[146:147], v[114:115]
	v_fma_f64 v[6:7], v[144:145], v[112:113], -v[6:7]
	s_waitcnt vmcnt(5) lgkmcnt(2)
	v_mul_f64 v[194:195], v[160:161], v[134:135]
	v_add_f64 v[4:5], v[4:5], v[6:7]
	v_mul_f64 v[6:7], v[202:203], v[118:119]
	v_fmac_f64_e32 v[194:195], v[162:163], v[132:133]
	v_fma_f64 v[6:7], v[200:201], v[116:117], -v[6:7]
	v_add_f64 v[192:193], v[192:193], v[194:195]
	s_waitcnt vmcnt(4) lgkmcnt(1)
	v_mul_f64 v[194:195], v[184:185], v[174:175]
	v_add_f64 v[4:5], v[4:5], v[6:7]
	v_mul_f64 v[6:7], v[150:151], v[122:123]
	v_fmac_f64_e32 v[194:195], v[186:187], v[172:173]
	v_fma_f64 v[6:7], v[148:149], v[120:121], -v[6:7]
	v_add_f64 v[192:193], v[192:193], v[194:195]
	;; [unrolled: 7-line block ×3, first 2 shown]
	ds_read_b128 v[192:195], v2 offset:1184
	v_add_f64 v[4:5], v[4:5], v[6:7]
	v_mul_f64 v[6:7], v[190:191], v[130:131]
	v_fma_f64 v[6:7], v[188:189], v[128:129], -v[6:7]
	v_add_f64 v[4:5], v[4:5], v[6:7]
	v_mul_f64 v[6:7], v[158:159], v[138:139]
	v_fma_f64 v[6:7], v[156:157], v[136:137], -v[6:7]
	v_add_f64 v[4:5], v[4:5], v[6:7]
	v_mul_f64 v[6:7], v[162:163], v[134:135]
	s_waitcnt vmcnt(2) lgkmcnt(0)
	v_mul_f64 v[198:199], v[192:193], v[182:183]
	v_fma_f64 v[6:7], v[160:161], v[132:133], -v[6:7]
	v_fmac_f64_e32 v[198:199], v[194:195], v[180:181]
	v_add_f64 v[4:5], v[4:5], v[6:7]
	v_mul_f64 v[6:7], v[186:187], v[174:175]
	v_add_f64 v[254:255], v[196:197], v[198:199]
	ds_read_b128 v[196:199], v2 offset:1200
	v_fma_f64 v[6:7], v[184:185], v[172:173], -v[6:7]
	v_add_f64 v[4:5], v[4:5], v[6:7]
	v_mul_f64 v[6:7], v[166:167], v[178:179]
	v_fma_f64 v[6:7], v[164:165], v[176:177], -v[6:7]
	v_add_f64 v[4:5], v[4:5], v[6:7]
	v_mul_f64 v[6:7], v[194:195], v[182:183]
	v_fma_f64 v[6:7], v[192:193], v[180:181], -v[6:7]
	s_waitcnt vmcnt(1) lgkmcnt(0)
	v_mul_f64 v[2:3], v[196:197], v[206:207]
	v_add_f64 v[4:5], v[4:5], v[6:7]
	v_mul_f64 v[6:7], v[198:199], v[206:207]
	v_fmac_f64_e32 v[2:3], v[198:199], v[204:205]
	v_fma_f64 v[6:7], v[196:197], v[204:205], -v[6:7]
	v_add_f64 v[2:3], v[254:255], v[2:3]
	v_add_f64 v[4:5], v[4:5], v[6:7]
	s_waitcnt vmcnt(0)
	v_add_f64 v[4:5], v[240:241], -v[4:5]
	v_add_f64 v[6:7], v[242:243], -v[2:3]
	scratch_store_dwordx4 off, v[4:7], off offset:32
	s_and_saveexec_b64 s[0:1], vcc
	s_cbranch_execz .LBB37_241
; %bb.240:
	scratch_load_dwordx4 v[2:5], off, off offset:16
	v_mov_b32_e32 v6, 0
	v_mov_b32_e32 v7, v6
	;; [unrolled: 1-line block ×4, first 2 shown]
	scratch_store_dwordx4 off, v[6:9], off offset:16
	s_waitcnt vmcnt(1)
	ds_write_b128 v1, v[2:5]
.LBB37_241:
	s_or_b64 exec, exec, s[0:1]
	s_waitcnt lgkmcnt(0)
	; wave barrier
	scratch_load_dwordx4 v[176:179], off, off offset:32
	scratch_load_dwordx4 v[180:183], off, off offset:48
	;; [unrolled: 1-line block ×32, first 2 shown]
	v_mov_b32_e32 v240, 0
	ds_read_b128 v[184:187], v240 offset:624
	ds_read_b128 v[196:199], v240 offset:640
	;; [unrolled: 1-line block ×17, first 2 shown]
	s_and_b64 vcc, exec, s[18:19]
	ds_read_b128 v[172:175], v240 offset:992
	s_waitcnt vmcnt(31) lgkmcnt(14)
	v_mul_f64 v[96:97], v[184:185], v[178:179]
	s_waitcnt vmcnt(30)
	v_mul_f64 v[98:99], v[196:197], v[182:183]
	v_fmac_f64_e32 v[96:97], v[186:187], v[176:177]
	s_waitcnt vmcnt(29)
	v_mul_f64 v[108:109], v[208:209], v[190:191]
	v_fmac_f64_e32 v[98:99], v[198:199], v[180:181]
	v_add_f64 v[96:97], v[96:97], 0
	s_waitcnt vmcnt(28)
	v_mul_f64 v[110:111], v[220:221], v[194:195]
	v_fmac_f64_e32 v[108:109], v[210:211], v[188:189]
	v_add_f64 v[96:97], v[96:97], v[98:99]
	s_waitcnt vmcnt(27) lgkmcnt(13)
	v_mul_f64 v[112:113], v[224:225], v[202:203]
	v_fmac_f64_e32 v[110:111], v[222:223], v[192:193]
	v_add_f64 v[96:97], v[96:97], v[108:109]
	s_waitcnt vmcnt(26) lgkmcnt(12)
	;; [unrolled: 4-line block ×8, first 2 shown]
	v_mul_f64 v[150:151], v[128:129], v[14:15]
	v_fmac_f64_e32 v[148:149], v[134:135], v[8:9]
	v_add_f64 v[96:97], v[96:97], v[146:147]
	v_fmac_f64_e32 v[150:151], v[130:131], v[12:13]
	v_add_f64 v[96:97], v[96:97], v[148:149]
	s_waitcnt vmcnt(19) lgkmcnt(5)
	v_mul_f64 v[152:153], v[120:121], v[18:19]
	v_add_f64 v[96:97], v[96:97], v[150:151]
	ds_read_b128 v[148:151], v240 offset:880
	ds_read_b128 v[144:147], v240 offset:896
	s_waitcnt vmcnt(18) lgkmcnt(6)
	v_mul_f64 v[154:155], v[116:117], v[22:23]
	v_fmac_f64_e32 v[152:153], v[122:123], v[16:17]
	s_waitcnt vmcnt(17) lgkmcnt(5)
	v_mul_f64 v[156:157], v[104:105], v[26:27]
	v_fmac_f64_e32 v[154:155], v[118:119], v[20:21]
	v_add_f64 v[96:97], v[96:97], v[152:153]
	v_fmac_f64_e32 v[156:157], v[106:107], v[24:25]
	v_add_f64 v[96:97], v[96:97], v[154:155]
	s_waitcnt vmcnt(16) lgkmcnt(4)
	v_mul_f64 v[158:159], v[100:101], v[30:31]
	v_add_f64 v[108:109], v[96:97], v[156:157]
	scratch_load_dwordx4 v[96:99], off, off offset:544
	ds_read_b128 v[152:155], v240 offset:912
	v_fmac_f64_e32 v[158:159], v[102:103], v[28:29]
	s_waitcnt vmcnt(16) lgkmcnt(2)
	v_mul_f64 v[110:111], v[148:149], v[34:35]
	v_add_f64 v[108:109], v[108:109], v[158:159]
	v_fmac_f64_e32 v[110:111], v[150:151], v[32:33]
	v_add_f64 v[112:113], v[108:109], v[110:111]
	s_waitcnt vmcnt(15) lgkmcnt(1)
	v_mul_f64 v[114:115], v[144:145], v[38:39]
	scratch_load_dwordx4 v[108:111], off, off offset:560
	v_fmac_f64_e32 v[114:115], v[146:147], v[36:37]
	v_add_f64 v[124:125], v[112:113], v[114:115]
	scratch_load_dwordx4 v[112:115], off, off offset:576
	ds_read_b128 v[156:159], v240 offset:928
	s_waitcnt vmcnt(16) lgkmcnt(1)
	v_mul_f64 v[126:127], v[152:153], v[42:43]
	v_fmac_f64_e32 v[126:127], v[154:155], v[40:41]
	v_add_f64 v[164:165], v[124:125], v[126:127]
	scratch_load_dwordx4 v[124:127], off, off offset:592
	s_waitcnt vmcnt(16) lgkmcnt(0)
	v_mul_f64 v[166:167], v[156:157], v[46:47]
	v_fmac_f64_e32 v[166:167], v[158:159], v[44:45]
	v_add_f64 v[168:169], v[164:165], v[166:167]
	ds_read_b128 v[164:167], v240 offset:960
	s_waitcnt vmcnt(15)
	v_mul_f64 v[170:171], v[160:161], v[50:51]
	v_fmac_f64_e32 v[170:171], v[162:163], v[48:49]
	v_add_f64 v[236:237], v[168:169], v[170:171]
	ds_read_b128 v[168:171], v240 offset:976
	v_mul_f64 v[178:179], v[186:187], v[178:179]
	v_fma_f64 v[242:243], v[184:185], v[176:177], -v[178:179]
	ds_read_b128 v[176:179], v240 offset:1008
	s_waitcnt vmcnt(14) lgkmcnt(2)
	v_mul_f64 v[238:239], v[164:165], v[54:55]
	v_fmac_f64_e32 v[238:239], v[166:167], v[52:53]
	v_add_f64 v[236:237], v[236:237], v[238:239]
	s_waitcnt vmcnt(13) lgkmcnt(1)
	v_mul_f64 v[238:239], v[168:169], v[58:59]
	v_fmac_f64_e32 v[238:239], v[170:171], v[56:57]
	s_waitcnt vmcnt(12)
	v_mul_f64 v[184:185], v[172:173], v[62:63]
	v_mul_f64 v[182:183], v[198:199], v[182:183]
	v_add_f64 v[236:237], v[236:237], v[238:239]
	v_fmac_f64_e32 v[184:185], v[174:175], v[60:61]
	v_fma_f64 v[244:245], v[196:197], v[180:181], -v[182:183]
	ds_read_b128 v[180:183], v240 offset:1024
	s_waitcnt vmcnt(11) lgkmcnt(1)
	v_mul_f64 v[186:187], v[176:177], v[66:67]
	v_add_f64 v[184:185], v[236:237], v[184:185]
	v_fmac_f64_e32 v[186:187], v[178:179], v[64:65]
	v_add_f64 v[196:197], v[184:185], v[186:187]
	ds_read_b128 v[184:187], v240 offset:1040
	v_mul_f64 v[190:191], v[210:211], v[190:191]
	v_fma_f64 v[246:247], v[208:209], v[188:189], -v[190:191]
	ds_read_b128 v[188:191], v240 offset:1056
	s_waitcnt vmcnt(10) lgkmcnt(2)
	v_mul_f64 v[198:199], v[180:181], v[70:71]
	v_fmac_f64_e32 v[198:199], v[182:183], v[68:69]
	v_add_f64 v[196:197], v[196:197], v[198:199]
	s_waitcnt vmcnt(9) lgkmcnt(1)
	v_mul_f64 v[198:199], v[184:185], v[74:75]
	v_fmac_f64_e32 v[198:199], v[186:187], v[72:73]
	v_mul_f64 v[194:195], v[222:223], v[194:195]
	v_add_f64 v[196:197], v[196:197], v[198:199]
	v_fma_f64 v[248:249], v[220:221], v[192:193], -v[194:195]
	ds_read_b128 v[192:195], v240 offset:1072
	s_waitcnt vmcnt(8) lgkmcnt(1)
	v_mul_f64 v[198:199], v[188:189], v[78:79]
	v_fmac_f64_e32 v[198:199], v[190:191], v[76:77]
	v_add_f64 v[208:209], v[196:197], v[198:199]
	ds_read_b128 v[196:199], v240 offset:1088
	v_mul_f64 v[202:203], v[226:227], v[202:203]
	v_fma_f64 v[250:251], v[224:225], v[200:201], -v[202:203]
	ds_read_b128 v[200:203], v240 offset:1104
	s_waitcnt vmcnt(7) lgkmcnt(2)
	v_mul_f64 v[210:211], v[192:193], v[82:83]
	v_fmac_f64_e32 v[210:211], v[194:195], v[80:81]
	v_add_f64 v[208:209], v[208:209], v[210:211]
	s_waitcnt vmcnt(6) lgkmcnt(1)
	v_mul_f64 v[210:211], v[196:197], v[86:87]
	v_accvgpr_write_b32 a79, v3
	v_fmac_f64_e32 v[210:211], v[198:199], v[84:85]
	v_mul_f64 v[206:207], v[230:231], v[206:207]
	v_accvgpr_write_b32 a78, v2
	v_accvgpr_write_b32 a77, v1
	;; [unrolled: 1-line block ×3, first 2 shown]
	v_fma_f64 v[0:1], v[228:229], v[204:205], -v[206:207]
	ds_read_b128 v[204:207], v240 offset:1120
	v_add_f64 v[2:3], v[208:209], v[210:211]
	s_waitcnt vmcnt(5) lgkmcnt(1)
	v_mul_f64 v[208:209], v[200:201], v[90:91]
	v_fmac_f64_e32 v[208:209], v[202:203], v[88:89]
	v_add_f64 v[2:3], v[2:3], v[208:209]
	ds_read_b128 v[208:211], v240 offset:1136
	v_mul_f64 v[214:215], v[234:235], v[214:215]
	s_waitcnt vmcnt(4) lgkmcnt(1)
	v_mul_f64 v[220:221], v[204:205], v[94:95]
	v_fma_f64 v[238:239], v[232:233], v[212:213], -v[214:215]
	ds_read_b128 v[212:215], v240 offset:1152
	v_fmac_f64_e32 v[220:221], v[206:207], v[92:93]
	v_mul_f64 v[218:219], v[254:255], v[218:219]
	v_add_f64 v[2:3], v[2:3], v[220:221]
	s_waitcnt vmcnt(3) lgkmcnt(1)
	v_mul_f64 v[220:221], v[208:209], v[98:99]
	v_fma_f64 v[252:253], v[252:253], v[216:217], -v[218:219]
	ds_read_b128 v[216:219], v240 offset:1168
	v_fmac_f64_e32 v[220:221], v[210:211], v[96:97]
	v_add_f64 v[2:3], v[2:3], v[220:221]
	ds_read_b128 v[220:223], v240 offset:1184
	s_waitcnt vmcnt(2) lgkmcnt(2)
	v_mul_f64 v[224:225], v[212:213], v[110:111]
	v_fmac_f64_e32 v[224:225], v[214:215], v[108:109]
	v_add_f64 v[2:3], v[2:3], v[224:225]
	s_waitcnt vmcnt(1) lgkmcnt(1)
	v_mul_f64 v[224:225], v[216:217], v[114:115]
	v_fmac_f64_e32 v[224:225], v[218:219], v[112:113]
	v_add_f64 v[2:3], v[2:3], v[224:225]
	;; [unrolled: 4-line block ×3, first 2 shown]
	scratch_load_dwordx4 v[224:227], off, off offset:608
	ds_read_b128 v[228:231], v240 offset:1200
	s_waitcnt vmcnt(0) lgkmcnt(0)
	v_mul_f64 v[232:233], v[228:229], v[226:227]
	v_fmac_f64_e32 v[232:233], v[230:231], v[224:225]
	v_add_f64 v[236:237], v[2:3], v[232:233]
	scratch_load_dwordx4 v[232:235], off, off offset:16
	v_add_f64 v[2:3], v[242:243], 0
	v_add_f64 v[2:3], v[2:3], v[244:245]
	;; [unrolled: 1-line block ×5, first 2 shown]
	v_accvgpr_read_b32 v245, a79
	v_add_f64 v[254:255], v[2:3], v[0:1]
	v_accvgpr_read_b32 v244, a78
	v_add_f64 v[0:1], v[254:255], v[238:239]
	v_accvgpr_read_b32 v243, a77
	v_accvgpr_read_b32 v242, a76
	v_mul_f64 v[2:3], v[142:143], v[244:245]
	v_add_f64 v[0:1], v[0:1], v[252:253]
	v_fma_f64 v[2:3], v[140:141], v[242:243], -v[2:3]
	v_add_f64 v[0:1], v[0:1], v[2:3]
	v_mul_f64 v[2:3], v[138:139], v[6:7]
	v_fma_f64 v[2:3], v[136:137], v[4:5], -v[2:3]
	v_add_f64 v[0:1], v[0:1], v[2:3]
	v_mul_f64 v[2:3], v[134:135], v[10:11]
	v_fma_f64 v[2:3], v[132:133], v[8:9], -v[2:3]
	v_add_f64 v[0:1], v[0:1], v[2:3]
	v_mul_f64 v[2:3], v[130:131], v[14:15]
	v_fma_f64 v[2:3], v[128:129], v[12:13], -v[2:3]
	v_add_f64 v[0:1], v[0:1], v[2:3]
	v_mul_f64 v[2:3], v[122:123], v[18:19]
	v_fma_f64 v[2:3], v[120:121], v[16:17], -v[2:3]
	v_add_f64 v[0:1], v[0:1], v[2:3]
	v_mul_f64 v[2:3], v[118:119], v[22:23]
	v_fma_f64 v[2:3], v[116:117], v[20:21], -v[2:3]
	v_add_f64 v[0:1], v[0:1], v[2:3]
	v_mul_f64 v[2:3], v[106:107], v[26:27]
	v_fma_f64 v[2:3], v[104:105], v[24:25], -v[2:3]
	v_add_f64 v[0:1], v[0:1], v[2:3]
	v_mul_f64 v[2:3], v[102:103], v[30:31]
	v_fma_f64 v[2:3], v[100:101], v[28:29], -v[2:3]
	v_add_f64 v[0:1], v[0:1], v[2:3]
	v_mul_f64 v[2:3], v[150:151], v[34:35]
	v_fma_f64 v[2:3], v[148:149], v[32:33], -v[2:3]
	v_add_f64 v[0:1], v[0:1], v[2:3]
	v_mul_f64 v[2:3], v[146:147], v[38:39]
	v_fma_f64 v[2:3], v[144:145], v[36:37], -v[2:3]
	v_add_f64 v[0:1], v[0:1], v[2:3]
	v_mul_f64 v[2:3], v[154:155], v[42:43]
	v_fma_f64 v[2:3], v[152:153], v[40:41], -v[2:3]
	v_add_f64 v[0:1], v[0:1], v[2:3]
	v_mul_f64 v[2:3], v[158:159], v[46:47]
	v_fma_f64 v[2:3], v[156:157], v[44:45], -v[2:3]
	v_add_f64 v[0:1], v[0:1], v[2:3]
	v_mul_f64 v[2:3], v[162:163], v[50:51]
	v_fma_f64 v[2:3], v[160:161], v[48:49], -v[2:3]
	v_add_f64 v[0:1], v[0:1], v[2:3]
	v_mul_f64 v[2:3], v[166:167], v[54:55]
	v_fma_f64 v[2:3], v[164:165], v[52:53], -v[2:3]
	v_add_f64 v[0:1], v[0:1], v[2:3]
	v_mul_f64 v[2:3], v[170:171], v[58:59]
	v_fma_f64 v[2:3], v[168:169], v[56:57], -v[2:3]
	v_add_f64 v[0:1], v[0:1], v[2:3]
	v_mul_f64 v[2:3], v[174:175], v[62:63]
	v_fma_f64 v[2:3], v[172:173], v[60:61], -v[2:3]
	v_add_f64 v[0:1], v[0:1], v[2:3]
	v_mul_f64 v[2:3], v[178:179], v[66:67]
	v_fma_f64 v[2:3], v[176:177], v[64:65], -v[2:3]
	v_add_f64 v[0:1], v[0:1], v[2:3]
	v_mul_f64 v[2:3], v[182:183], v[70:71]
	v_fma_f64 v[2:3], v[180:181], v[68:69], -v[2:3]
	v_add_f64 v[0:1], v[0:1], v[2:3]
	v_mul_f64 v[2:3], v[186:187], v[74:75]
	v_fma_f64 v[2:3], v[184:185], v[72:73], -v[2:3]
	v_add_f64 v[0:1], v[0:1], v[2:3]
	v_mul_f64 v[2:3], v[190:191], v[78:79]
	v_fma_f64 v[2:3], v[188:189], v[76:77], -v[2:3]
	v_add_f64 v[0:1], v[0:1], v[2:3]
	v_mul_f64 v[2:3], v[194:195], v[82:83]
	v_fma_f64 v[2:3], v[192:193], v[80:81], -v[2:3]
	v_add_f64 v[0:1], v[0:1], v[2:3]
	v_mul_f64 v[2:3], v[198:199], v[86:87]
	v_fma_f64 v[2:3], v[196:197], v[84:85], -v[2:3]
	v_add_f64 v[0:1], v[0:1], v[2:3]
	v_mul_f64 v[2:3], v[202:203], v[90:91]
	v_fma_f64 v[2:3], v[200:201], v[88:89], -v[2:3]
	v_add_f64 v[0:1], v[0:1], v[2:3]
	v_mul_f64 v[2:3], v[206:207], v[94:95]
	v_fma_f64 v[2:3], v[204:205], v[92:93], -v[2:3]
	v_add_f64 v[0:1], v[0:1], v[2:3]
	v_mul_f64 v[2:3], v[210:211], v[98:99]
	v_fma_f64 v[2:3], v[208:209], v[96:97], -v[2:3]
	v_add_f64 v[0:1], v[0:1], v[2:3]
	v_mul_f64 v[2:3], v[214:215], v[110:111]
	v_fma_f64 v[2:3], v[212:213], v[108:109], -v[2:3]
	v_add_f64 v[0:1], v[0:1], v[2:3]
	v_mul_f64 v[2:3], v[218:219], v[114:115]
	v_fma_f64 v[2:3], v[216:217], v[112:113], -v[2:3]
	v_add_f64 v[0:1], v[0:1], v[2:3]
	v_mul_f64 v[2:3], v[222:223], v[126:127]
	v_fma_f64 v[2:3], v[220:221], v[124:125], -v[2:3]
	v_add_f64 v[0:1], v[0:1], v[2:3]
	v_mul_f64 v[2:3], v[230:231], v[226:227]
	v_fma_f64 v[2:3], v[228:229], v[224:225], -v[2:3]
	v_add_f64 v[0:1], v[0:1], v[2:3]
	s_waitcnt vmcnt(0)
	v_add_f64 v[0:1], v[232:233], -v[0:1]
	v_add_f64 v[2:3], v[234:235], -v[236:237]
	scratch_store_dwordx4 off, v[0:3], off offset:16
	s_cbranch_vccz .LBB37_316
; %bb.242:
	global_load_dword v0, v240, s[16:17] offset:144
	s_waitcnt vmcnt(0)
	v_readfirstlane_b32 s0, v0
	s_add_i32 s0, s0, -1
	s_cmp_lg_u32 s0, 36
	s_cbranch_scc0 .LBB37_244
; %bb.243:
	s_lshl_b32 s0, s0, 4
	s_add_i32 s0, s0, 16
	scratch_load_dwordx4 v[0:3], off, s0
	scratch_load_dwordx4 v[4:7], off, s50
	s_waitcnt vmcnt(1)
	scratch_store_dwordx4 off, v[0:3], s50
	s_waitcnt vmcnt(1)
	scratch_store_dwordx4 off, v[4:7], s0
.LBB37_244:
	v_mov_b32_e32 v0, 0
	global_load_dword v1, v0, s[16:17] offset:140
	s_waitcnt vmcnt(0)
	v_readfirstlane_b32 s0, v1
	s_add_i32 s0, s0, -1
	s_cmp_eq_u32 s0, 35
	s_cbranch_scc1 .LBB37_246
; %bb.245:
	s_lshl_b32 s0, s0, 4
	s_add_i32 s0, s0, 16
	scratch_load_dwordx4 v[2:5], off, s0
	scratch_load_dwordx4 v[6:9], off, s49
	s_waitcnt vmcnt(1)
	scratch_store_dwordx4 off, v[2:5], s49
	s_waitcnt vmcnt(1)
	scratch_store_dwordx4 off, v[6:9], s0
.LBB37_246:
	global_load_dword v0, v0, s[16:17] offset:136
	s_waitcnt vmcnt(0)
	v_readfirstlane_b32 s0, v0
	s_add_i32 s0, s0, -1
	s_cmp_eq_u32 s0, 34
	s_cbranch_scc1 .LBB37_248
; %bb.247:
	s_lshl_b32 s0, s0, 4
	s_add_i32 s0, s0, 16
	scratch_load_dwordx4 v[0:3], off, s0
	scratch_load_dwordx4 v[4:7], off, s48
	s_waitcnt vmcnt(1)
	scratch_store_dwordx4 off, v[0:3], s48
	s_waitcnt vmcnt(1)
	scratch_store_dwordx4 off, v[4:7], s0
.LBB37_248:
	v_mov_b32_e32 v0, 0
	global_load_dword v1, v0, s[16:17] offset:132
	s_waitcnt vmcnt(0)
	v_readfirstlane_b32 s0, v1
	s_add_i32 s0, s0, -1
	s_cmp_eq_u32 s0, 33
	s_cbranch_scc1 .LBB37_250
; %bb.249:
	s_lshl_b32 s0, s0, 4
	s_add_i32 s0, s0, 16
	scratch_load_dwordx4 v[2:5], off, s0
	scratch_load_dwordx4 v[6:9], off, s47
	s_waitcnt vmcnt(1)
	scratch_store_dwordx4 off, v[2:5], s47
	s_waitcnt vmcnt(1)
	scratch_store_dwordx4 off, v[6:9], s0
.LBB37_250:
	global_load_dword v0, v0, s[16:17] offset:128
	s_waitcnt vmcnt(0)
	v_readfirstlane_b32 s0, v0
	s_add_i32 s0, s0, -1
	s_cmp_eq_u32 s0, 32
	s_cbranch_scc1 .LBB37_252
; %bb.251:
	s_lshl_b32 s0, s0, 4
	s_add_i32 s0, s0, 16
	scratch_load_dwordx4 v[0:3], off, s0
	scratch_load_dwordx4 v[4:7], off, s46
	s_waitcnt vmcnt(1)
	scratch_store_dwordx4 off, v[0:3], s46
	s_waitcnt vmcnt(1)
	scratch_store_dwordx4 off, v[4:7], s0
.LBB37_252:
	;; [unrolled: 33-line block ×17, first 2 shown]
	v_mov_b32_e32 v0, 0
	global_load_dword v1, v0, s[16:17] offset:4
	s_waitcnt vmcnt(0)
	v_readfirstlane_b32 s0, v1
	s_add_i32 s0, s0, -1
	s_cmp_eq_u32 s0, 1
	s_cbranch_scc1 .LBB37_314
; %bb.313:
	s_lshl_b32 s0, s0, 4
	s_add_i32 s0, s0, 16
	scratch_load_dwordx4 v[2:5], off, s0
	scratch_load_dwordx4 v[6:9], off, s15
	s_waitcnt vmcnt(1)
	scratch_store_dwordx4 off, v[2:5], s15
	s_waitcnt vmcnt(1)
	scratch_store_dwordx4 off, v[6:9], s0
.LBB37_314:
	global_load_dword v0, v0, s[16:17]
	s_waitcnt vmcnt(0)
	v_readfirstlane_b32 s0, v0
	s_add_i32 s0, s0, -1
	s_cmp_eq_u32 s0, 0
	s_cbranch_scc1 .LBB37_316
; %bb.315:
	s_lshl_b32 s0, s0, 4
	s_add_i32 s0, s0, 16
	scratch_load_dwordx4 v[0:3], off, s0
	scratch_load_dwordx4 v[4:7], off, off offset:16
	s_waitcnt vmcnt(1)
	scratch_store_dwordx4 off, v[0:3], off offset:16
	s_waitcnt vmcnt(1)
	scratch_store_dwordx4 off, v[4:7], s0
.LBB37_316:
	scratch_load_dwordx4 v[0:3], off, off offset:16
	s_nop 0
	scratch_load_dwordx4 v[4:7], off, s15
	scratch_load_dwordx4 v[8:11], off, s12
	;; [unrolled: 1-line block ×12, first 2 shown]
                                        ; kill: killed $sgpr15
                                        ; kill: killed $sgpr24
                                        ; kill: killed $sgpr23
                                        ; kill: killed $sgpr53
                                        ; kill: killed $sgpr21
                                        ; kill: killed $sgpr52
                                        ; kill: killed $sgpr14
                                        ; kill: killed $sgpr25
                                        ; kill: killed $sgpr13
                                        ; kill: killed $sgpr22
                                        ; kill: killed $sgpr12
                                        ; kill: killed $sgpr20
	scratch_load_dwordx4 v[52:55], off, s26
	scratch_load_dwordx4 v[56:59], off, s27
	;; [unrolled: 1-line block ×25, first 2 shown]
	v_accvgpr_read_b32 v153, a1
	v_accvgpr_read_b32 v152, a0
	s_waitcnt vmcnt(37)
	global_store_dwordx4 v[152:153], v[0:3], off
	s_nop 1
	v_accvgpr_read_b32 v0, a2
	v_accvgpr_read_b32 v1, a3
	s_waitcnt vmcnt(37)
	global_store_dwordx4 v[0:1], v[4:7], off
	v_accvgpr_read_b32 v0, a4
	v_accvgpr_read_b32 v1, a5
	s_waitcnt vmcnt(37)
	global_store_dwordx4 v[0:1], v[8:11], off
	;; [unrolled: 4-line block ×37, first 2 shown]
	s_endpgm
	.section	.rodata,"a",@progbits
	.p2align	6, 0x0
	.amdhsa_kernel _ZN9rocsolver6v33100L18getri_kernel_smallILi38E19rocblas_complex_numIdEPS3_EEvT1_iilPiilS6_bb
		.amdhsa_group_segment_fixed_size 1224
		.amdhsa_private_segment_fixed_size 640
		.amdhsa_kernarg_size 60
		.amdhsa_user_sgpr_count 2
		.amdhsa_user_sgpr_dispatch_ptr 0
		.amdhsa_user_sgpr_queue_ptr 0
		.amdhsa_user_sgpr_kernarg_segment_ptr 1
		.amdhsa_user_sgpr_dispatch_id 0
		.amdhsa_user_sgpr_kernarg_preload_length 0
		.amdhsa_user_sgpr_kernarg_preload_offset 0
		.amdhsa_user_sgpr_private_segment_size 0
		.amdhsa_uses_dynamic_stack 0
		.amdhsa_enable_private_segment 1
		.amdhsa_system_sgpr_workgroup_id_x 1
		.amdhsa_system_sgpr_workgroup_id_y 0
		.amdhsa_system_sgpr_workgroup_id_z 0
		.amdhsa_system_sgpr_workgroup_info 0
		.amdhsa_system_vgpr_workitem_id 0
		.amdhsa_next_free_vgpr 336
		.amdhsa_next_free_sgpr 54
		.amdhsa_accum_offset 256
		.amdhsa_reserve_vcc 1
		.amdhsa_float_round_mode_32 0
		.amdhsa_float_round_mode_16_64 0
		.amdhsa_float_denorm_mode_32 3
		.amdhsa_float_denorm_mode_16_64 3
		.amdhsa_dx10_clamp 1
		.amdhsa_ieee_mode 1
		.amdhsa_fp16_overflow 0
		.amdhsa_tg_split 0
		.amdhsa_exception_fp_ieee_invalid_op 0
		.amdhsa_exception_fp_denorm_src 0
		.amdhsa_exception_fp_ieee_div_zero 0
		.amdhsa_exception_fp_ieee_overflow 0
		.amdhsa_exception_fp_ieee_underflow 0
		.amdhsa_exception_fp_ieee_inexact 0
		.amdhsa_exception_int_div_zero 0
	.end_amdhsa_kernel
	.section	.text._ZN9rocsolver6v33100L18getri_kernel_smallILi38E19rocblas_complex_numIdEPS3_EEvT1_iilPiilS6_bb,"axG",@progbits,_ZN9rocsolver6v33100L18getri_kernel_smallILi38E19rocblas_complex_numIdEPS3_EEvT1_iilPiilS6_bb,comdat
.Lfunc_end37:
	.size	_ZN9rocsolver6v33100L18getri_kernel_smallILi38E19rocblas_complex_numIdEPS3_EEvT1_iilPiilS6_bb, .Lfunc_end37-_ZN9rocsolver6v33100L18getri_kernel_smallILi38E19rocblas_complex_numIdEPS3_EEvT1_iilPiilS6_bb
                                        ; -- End function
	.set _ZN9rocsolver6v33100L18getri_kernel_smallILi38E19rocblas_complex_numIdEPS3_EEvT1_iilPiilS6_bb.num_vgpr, 256
	.set _ZN9rocsolver6v33100L18getri_kernel_smallILi38E19rocblas_complex_numIdEPS3_EEvT1_iilPiilS6_bb.num_agpr, 80
	.set _ZN9rocsolver6v33100L18getri_kernel_smallILi38E19rocblas_complex_numIdEPS3_EEvT1_iilPiilS6_bb.numbered_sgpr, 54
	.set _ZN9rocsolver6v33100L18getri_kernel_smallILi38E19rocblas_complex_numIdEPS3_EEvT1_iilPiilS6_bb.num_named_barrier, 0
	.set _ZN9rocsolver6v33100L18getri_kernel_smallILi38E19rocblas_complex_numIdEPS3_EEvT1_iilPiilS6_bb.private_seg_size, 640
	.set _ZN9rocsolver6v33100L18getri_kernel_smallILi38E19rocblas_complex_numIdEPS3_EEvT1_iilPiilS6_bb.uses_vcc, 1
	.set _ZN9rocsolver6v33100L18getri_kernel_smallILi38E19rocblas_complex_numIdEPS3_EEvT1_iilPiilS6_bb.uses_flat_scratch, 0
	.set _ZN9rocsolver6v33100L18getri_kernel_smallILi38E19rocblas_complex_numIdEPS3_EEvT1_iilPiilS6_bb.has_dyn_sized_stack, 0
	.set _ZN9rocsolver6v33100L18getri_kernel_smallILi38E19rocblas_complex_numIdEPS3_EEvT1_iilPiilS6_bb.has_recursion, 0
	.set _ZN9rocsolver6v33100L18getri_kernel_smallILi38E19rocblas_complex_numIdEPS3_EEvT1_iilPiilS6_bb.has_indirect_call, 0
	.section	.AMDGPU.csdata,"",@progbits
; Kernel info:
; codeLenInByte = 64212
; TotalNumSgprs: 60
; NumVgprs: 256
; NumAgprs: 80
; TotalNumVgprs: 336
; ScratchSize: 640
; MemoryBound: 0
; FloatMode: 240
; IeeeMode: 1
; LDSByteSize: 1224 bytes/workgroup (compile time only)
; SGPRBlocks: 7
; VGPRBlocks: 41
; NumSGPRsForWavesPerEU: 60
; NumVGPRsForWavesPerEU: 336
; AccumOffset: 256
; Occupancy: 1
; WaveLimiterHint : 1
; COMPUTE_PGM_RSRC2:SCRATCH_EN: 1
; COMPUTE_PGM_RSRC2:USER_SGPR: 2
; COMPUTE_PGM_RSRC2:TRAP_HANDLER: 0
; COMPUTE_PGM_RSRC2:TGID_X_EN: 1
; COMPUTE_PGM_RSRC2:TGID_Y_EN: 0
; COMPUTE_PGM_RSRC2:TGID_Z_EN: 0
; COMPUTE_PGM_RSRC2:TIDIG_COMP_CNT: 0
; COMPUTE_PGM_RSRC3_GFX90A:ACCUM_OFFSET: 63
; COMPUTE_PGM_RSRC3_GFX90A:TG_SPLIT: 0
	.section	.text._ZN9rocsolver6v33100L18getri_kernel_smallILi39E19rocblas_complex_numIdEPS3_EEvT1_iilPiilS6_bb,"axG",@progbits,_ZN9rocsolver6v33100L18getri_kernel_smallILi39E19rocblas_complex_numIdEPS3_EEvT1_iilPiilS6_bb,comdat
	.globl	_ZN9rocsolver6v33100L18getri_kernel_smallILi39E19rocblas_complex_numIdEPS3_EEvT1_iilPiilS6_bb ; -- Begin function _ZN9rocsolver6v33100L18getri_kernel_smallILi39E19rocblas_complex_numIdEPS3_EEvT1_iilPiilS6_bb
	.p2align	8
	.type	_ZN9rocsolver6v33100L18getri_kernel_smallILi39E19rocblas_complex_numIdEPS3_EEvT1_iilPiilS6_bb,@function
_ZN9rocsolver6v33100L18getri_kernel_smallILi39E19rocblas_complex_numIdEPS3_EEvT1_iilPiilS6_bb: ; @_ZN9rocsolver6v33100L18getri_kernel_smallILi39E19rocblas_complex_numIdEPS3_EEvT1_iilPiilS6_bb
; %bb.0:
	v_cmp_gt_u32_e32 vcc, 39, v0
	s_and_saveexec_b64 s[4:5], vcc
	s_cbranch_execz .LBB38_170
; %bb.1:
	s_load_dword s8, s[0:1], 0x38
	s_load_dwordx4 s[12:15], s[0:1], 0x10
	s_load_dwordx4 s[4:7], s[0:1], 0x28
                                        ; implicit-def: $sgpr16_sgpr17
	s_waitcnt lgkmcnt(0)
	s_bitcmp1_b32 s8, 8
	s_cselect_b64 s[18:19], -1, 0
	s_ashr_i32 s3, s2, 31
	s_bfe_u32 s8, s8, 0x10008
	s_cmp_eq_u32 s8, 0
	s_cbranch_scc1 .LBB38_3
; %bb.2:
	s_load_dword s8, s[0:1], 0x20
	s_mul_i32 s9, s4, s3
	s_mul_hi_u32 s10, s4, s2
	s_mul_i32 s5, s5, s2
	s_add_i32 s10, s10, s9
	s_add_i32 s5, s10, s5
	s_mul_i32 s4, s4, s2
	s_waitcnt lgkmcnt(0)
	s_ashr_i32 s9, s8, 31
	s_lshl_b64 s[4:5], s[4:5], 2
	s_add_u32 s10, s14, s4
	s_addc_u32 s11, s15, s5
	s_lshl_b64 s[4:5], s[8:9], 2
	s_add_u32 s16, s10, s4
	s_addc_u32 s17, s11, s5
.LBB38_3:
	s_load_dwordx4 s[8:11], s[0:1], 0x0
	s_load_dword s4, s[0:1], 0x38
	s_mul_i32 s5, s12, s3
	s_mul_hi_u32 s14, s12, s2
	s_add_i32 s5, s14, s5
	s_waitcnt lgkmcnt(0)
	s_ashr_i32 s1, s10, 31
	s_mov_b32 s0, s10
	s_mul_i32 s10, s13, s2
	s_add_i32 s13, s5, s10
	s_mul_i32 s12, s12, s2
	s_lshl_b64 s[12:13], s[12:13], 4
	s_add_u32 s5, s8, s12
	s_addc_u32 s8, s9, s13
	s_lshl_b64 s[0:1], s[0:1], 4
	s_add_u32 s0, s5, s0
	s_addc_u32 s1, s8, s1
	s_add_i32 s5, s11, s11
	v_add_u32_e32 v14, s5, v0
	v_ashrrev_i32_e32 v15, 31, v14
	v_lshl_add_u64 v[10:11], v[14:15], 4, s[0:1]
	v_add_u32_e32 v14, s11, v14
	v_add_u32_e32 v22, s11, v14
	v_ashrrev_i32_e32 v23, 31, v22
	v_lshl_add_u64 v[18:19], v[22:23], 4, s[0:1]
	v_add_u32_e32 v22, s11, v22
	;; [unrolled: 4-line block ×3, first 2 shown]
	v_ashrrev_i32_e32 v31, 31, v30
	v_lshl_add_u64 v[32:33], v[30:31], 4, s[0:1]
	v_add_u32_e32 v30, s11, v30
	v_add_u32_e32 v38, s11, v30
	;; [unrolled: 1-line block ×4, first 2 shown]
	v_lshlrev_b32_e32 v54, 4, v0
	v_mov_b32_e32 v55, 0
	v_add_u32_e32 v48, s11, v46
	v_lshl_add_u64 v[6:7], s[0:1], 0, v[54:55]
	v_add_u32_e32 v56, s11, v48
	s_ashr_i32 s9, s11, 31
	s_mov_b32 s8, s11
	v_accvgpr_write_b32 a0, v6
	v_ashrrev_i32_e32 v57, 31, v56
	v_accvgpr_write_b32 a1, v7
	v_lshl_add_u64 v[6:7], s[8:9], 4, v[6:7]
	v_lshl_add_u64 v[58:59], v[56:57], 4, s[0:1]
	v_add_u32_e32 v56, s11, v56
	global_load_dwordx4 v[2:5], v54, s[0:1]
	v_accvgpr_write_b32 a2, v6
	v_ashrrev_i32_e32 v15, 31, v14
	v_add_u32_e32 v64, s11, v56
	v_accvgpr_write_b32 a3, v7
	global_load_dwordx4 v[6:9], v[6:7], off
	v_accvgpr_write_b32 a4, v10
	v_lshl_add_u64 v[16:17], v[14:15], 4, s[0:1]
	v_add_u32_e32 v66, s11, v64
	v_accvgpr_write_b32 a5, v11
	global_load_dwordx4 v[10:13], v[10:11], off
	v_accvgpr_write_b32 a6, v16
	v_ashrrev_i32_e32 v23, 31, v22
	v_add_u32_e32 v72, s11, v66
	v_accvgpr_write_b32 a7, v17
	global_load_dwordx4 v[14:17], v[16:17], off
	v_accvgpr_write_b32 a8, v18
	v_lshl_add_u64 v[24:25], v[22:23], 4, s[0:1]
	v_add_u32_e32 v80, s11, v72
	v_accvgpr_write_b32 a9, v19
	global_load_dwordx4 v[18:21], v[18:19], off
	v_accvgpr_write_b32 a10, v24
	v_ashrrev_i32_e32 v81, 31, v80
	v_accvgpr_write_b32 a11, v25
	global_load_dwordx4 v[22:25], v[24:25], off
	v_accvgpr_write_b32 a12, v26
	v_ashrrev_i32_e32 v31, 31, v30
	v_lshl_add_u64 v[76:77], v[80:81], 4, s[0:1]
	v_add_u32_e32 v80, s11, v80
	v_accvgpr_write_b32 a13, v27
	global_load_dwordx4 v[26:29], v[26:27], off
	v_lshl_add_u64 v[34:35], v[30:31], 4, s[0:1]
	v_ashrrev_i32_e32 v39, 31, v38
	v_accvgpr_write_b32 a14, v32
	v_add_u32_e32 v88, s11, v80
	v_accvgpr_write_b32 a15, v33
	global_load_dwordx4 v[30:33], v[32:33], off
	v_accvgpr_write_b32 a16, v34
	v_lshl_add_u64 v[38:39], v[38:39], 4, s[0:1]
	v_ashrrev_i32_e32 v41, 31, v40
	v_ashrrev_i32_e32 v89, 31, v88
	v_accvgpr_write_b32 a17, v35
	global_load_dwordx4 v[34:37], v[34:35], off
	v_lshl_add_u64 v[42:43], v[40:41], 4, s[0:1]
	v_ashrrev_i32_e32 v47, 31, v46
	v_accvgpr_write_b32 a18, v38
	v_lshl_add_u64 v[84:85], v[88:89], 4, s[0:1]
	v_add_u32_e32 v88, s11, v88
	v_accvgpr_write_b32 a19, v39
	global_load_dwordx4 v[38:41], v[38:39], off
	v_accvgpr_write_b32 a20, v42
	v_lshl_add_u64 v[46:47], v[46:47], 4, s[0:1]
	v_ashrrev_i32_e32 v49, 31, v48
	v_add_u32_e32 v96, s11, v88
	v_accvgpr_write_b32 a21, v43
	global_load_dwordx4 v[42:45], v[42:43], off
	v_lshl_add_u64 v[50:51], v[48:49], 4, s[0:1]
	v_accvgpr_write_b32 a22, v46
	v_ashrrev_i32_e32 v97, 31, v96
	v_accvgpr_write_b32 a23, v47
	global_load_dwordx4 v[46:49], v[46:47], off
	v_accvgpr_write_b32 a24, v50
	v_ashrrev_i32_e32 v57, 31, v56
	v_lshl_add_u64 v[92:93], v[96:97], 4, s[0:1]
	v_add_u32_e32 v96, s11, v96
	v_accvgpr_write_b32 a25, v51
	global_load_dwordx4 v[50:53], v[50:51], off
	v_lshl_add_u64 v[60:61], v[56:57], 4, s[0:1]
	v_ashrrev_i32_e32 v65, 31, v64
	v_accvgpr_write_b32 a26, v58
	v_add_u32_e32 v104, s11, v96
	v_accvgpr_write_b32 a27, v59
	global_load_dwordx4 v[56:59], v[58:59], off
	v_accvgpr_write_b32 a28, v60
	v_lshl_add_u64 v[64:65], v[64:65], 4, s[0:1]
	v_ashrrev_i32_e32 v67, 31, v66
	v_ashrrev_i32_e32 v105, 31, v104
	v_accvgpr_write_b32 a29, v61
	global_load_dwordx4 v[60:63], v[60:61], off
	v_lshl_add_u64 v[68:69], v[66:67], 4, s[0:1]
	v_ashrrev_i32_e32 v73, 31, v72
	v_accvgpr_write_b32 a30, v64
	v_lshl_add_u64 v[100:101], v[104:105], 4, s[0:1]
	v_add_u32_e32 v104, s11, v104
	v_accvgpr_write_b32 a31, v65
	global_load_dwordx4 v[64:67], v[64:65], off
	v_accvgpr_write_b32 a32, v68
	v_lshl_add_u64 v[74:75], v[72:73], 4, s[0:1]
	v_add_u32_e32 v112, s11, v104
	v_accvgpr_write_b32 a33, v69
	global_load_dwordx4 v[68:71], v[68:69], off
	v_accvgpr_write_b32 a34, v74
	v_ashrrev_i32_e32 v81, 31, v80
	v_ashrrev_i32_e32 v113, 31, v112
	v_accvgpr_write_b32 a35, v75
	global_load_dwordx4 v[72:75], v[74:75], off
	v_accvgpr_write_b32 a36, v76
	v_lshl_add_u64 v[82:83], v[80:81], 4, s[0:1]
	v_lshl_add_u64 v[108:109], v[112:113], 4, s[0:1]
	v_add_u32_e32 v112, s11, v112
	v_accvgpr_write_b32 a37, v77
	global_load_dwordx4 v[76:79], v[76:77], off
	v_accvgpr_write_b32 a38, v82
	v_ashrrev_i32_e32 v89, 31, v88
	v_add_u32_e32 v120, s11, v112
	v_accvgpr_write_b32 a39, v83
	global_load_dwordx4 v[80:83], v[82:83], off
	v_accvgpr_write_b32 a40, v84
	v_lshl_add_u64 v[90:91], v[88:89], 4, s[0:1]
	v_ashrrev_i32_e32 v121, 31, v120
	v_accvgpr_write_b32 a41, v85
	global_load_dwordx4 v[84:87], v[84:85], off
	v_accvgpr_write_b32 a42, v90
	v_ashrrev_i32_e32 v97, 31, v96
	v_lshl_add_u64 v[116:117], v[120:121], 4, s[0:1]
	v_add_u32_e32 v120, s11, v120
	v_accvgpr_write_b32 a43, v91
	global_load_dwordx4 v[88:91], v[90:91], off
	v_accvgpr_write_b32 a44, v92
	v_lshl_add_u64 v[98:99], v[96:97], 4, s[0:1]
	v_add_u32_e32 v128, s11, v120
	v_accvgpr_write_b32 a45, v93
	global_load_dwordx4 v[92:95], v[92:93], off
	v_accvgpr_write_b32 a46, v98
	v_ashrrev_i32_e32 v105, 31, v104
	v_ashrrev_i32_e32 v129, 31, v128
	v_accvgpr_write_b32 a47, v99
	global_load_dwordx4 v[96:99], v[98:99], off
	v_accvgpr_write_b32 a48, v100
	v_lshl_add_u64 v[106:107], v[104:105], 4, s[0:1]
	v_lshl_add_u64 v[124:125], v[128:129], 4, s[0:1]
	v_add_u32_e32 v128, s11, v128
	v_accvgpr_write_b32 a49, v101
	global_load_dwordx4 v[100:103], v[100:101], off
	v_accvgpr_write_b32 a50, v106
	v_ashrrev_i32_e32 v113, 31, v112
	v_add_u32_e32 v136, s11, v128
	v_accvgpr_write_b32 a51, v107
	global_load_dwordx4 v[104:107], v[106:107], off
	v_accvgpr_write_b32 a52, v108
	v_lshl_add_u64 v[114:115], v[112:113], 4, s[0:1]
	v_ashrrev_i32_e32 v137, 31, v136
	v_accvgpr_write_b32 a53, v109
	global_load_dwordx4 v[108:111], v[108:109], off
	v_accvgpr_write_b32 a54, v114
	v_ashrrev_i32_e32 v121, 31, v120
	;; [unrolled: 32-line block ×3, first 2 shown]
	v_lshl_add_u64 v[148:149], v[152:153], 4, s[0:1]
	v_add_u32_e32 v152, s11, v152
	v_accvgpr_write_b32 a67, v139
	global_load_dwordx4 v[136:139], v[138:139], off
	v_accvgpr_write_b32 a68, v140
	v_lshl_add_u64 v[146:147], v[144:145], 4, s[0:1]
	v_ashrrev_i32_e32 v153, 31, v152
	v_accvgpr_write_b32 a69, v141
	global_load_dwordx4 v[140:143], v[140:141], off
	v_accvgpr_write_b32 a70, v146
	v_lshl_add_u64 v[154:155], v[152:153], 4, s[0:1]
	v_add_u32_e32 v152, s11, v152
	v_accvgpr_write_b32 a71, v147
	global_load_dwordx4 v[144:147], v[146:147], off
	v_accvgpr_write_b32 a72, v148
	v_ashrrev_i32_e32 v153, 31, v152
	v_accvgpr_write_b32 a73, v149
	global_load_dwordx4 v[148:151], v[148:149], off
	v_lshl_add_u64 v[156:157], v[152:153], 4, s[0:1]
	v_accvgpr_write_b32 a74, v154
	v_accvgpr_write_b32 a75, v155
	global_load_dwordx4 v[152:155], v[154:155], off
	v_accvgpr_write_b32 a76, v156
	v_accvgpr_write_b32 a77, v157
	global_load_dwordx4 v[156:159], v[156:157], off
	s_movk_i32 s0, 0x50
	s_add_i32 s21, s0, 16
	s_movk_i32 s0, 0x60
	s_add_i32 s22, s0, 16
	;; [unrolled: 2-line block ×34, first 2 shown]
	s_mov_b32 s15, 32
	s_mov_b32 s12, 48
	;; [unrolled: 1-line block ×3, first 2 shown]
	s_movk_i32 s14, 0x50
	s_bitcmp0_b32 s4, 0
	s_mov_b64 s[4:5], -1
	s_waitcnt vmcnt(38)
	scratch_store_dwordx4 off, v[2:5], off offset:16
	s_waitcnt vmcnt(38)
	scratch_store_dwordx4 off, v[6:9], off offset:32
	;; [unrolled: 2-line block ×39, first 2 shown]
	s_cbranch_scc1 .LBB38_168
; %bb.4:
	v_cmp_eq_u32_e64 s[0:1], 0, v0
	s_and_saveexec_b64 s[4:5], s[0:1]
; %bb.5:
	v_mov_b32_e32 v1, 0
	ds_write_b32 v1, v1 offset:1248
; %bb.6:
	s_or_b64 exec, exec, s[4:5]
	s_waitcnt lgkmcnt(0)
	; wave barrier
	scratch_load_dwordx4 v[2:5], v54, off offset:16
	s_waitcnt vmcnt(0)
	v_cmp_eq_f64_e32 vcc, 0, v[2:3]
	v_cmp_eq_f64_e64 s[4:5], 0, v[4:5]
	s_and_b64 s[4:5], vcc, s[4:5]
	s_and_saveexec_b64 s[8:9], s[4:5]
	s_cbranch_execz .LBB38_10
; %bb.7:
	v_mov_b32_e32 v1, 0
	ds_read_b32 v3, v1 offset:1248
	v_add_u32_e32 v2, 1, v0
	s_waitcnt lgkmcnt(0)
	v_readfirstlane_b32 s4, v3
	s_cmp_eq_u32 s4, 0
	s_cselect_b64 s[10:11], -1, 0
	v_cmp_gt_i32_e32 vcc, s4, v2
	s_or_b64 s[10:11], s[10:11], vcc
	s_and_b64 exec, exec, s[10:11]
	s_cbranch_execz .LBB38_10
; %bb.8:
	s_mov_b64 s[10:11], 0
	v_mov_b32_e32 v3, s4
.LBB38_9:                               ; =>This Inner Loop Header: Depth=1
	ds_cmpst_rtn_b32 v3, v1, v3, v2 offset:1248
	s_waitcnt lgkmcnt(0)
	v_cmp_ne_u32_e32 vcc, 0, v3
	v_cmp_le_i32_e64 s[4:5], v3, v2
	s_and_b64 s[4:5], vcc, s[4:5]
	s_and_b64 s[4:5], exec, s[4:5]
	s_or_b64 s[10:11], s[4:5], s[10:11]
	s_andn2_b64 exec, exec, s[10:11]
	s_cbranch_execnz .LBB38_9
.LBB38_10:
	s_or_b64 exec, exec, s[8:9]
	v_mov_b32_e32 v2, 0
	; wave barrier
	ds_read_b32 v1, v2 offset:1248
	s_and_saveexec_b64 s[4:5], s[0:1]
	s_cbranch_execz .LBB38_12
; %bb.11:
	s_lshl_b64 s[8:9], s[2:3], 2
	s_add_u32 s8, s6, s8
	s_addc_u32 s9, s7, s9
	s_waitcnt lgkmcnt(0)
	global_store_dword v2, v1, s[8:9]
.LBB38_12:
	s_or_b64 exec, exec, s[4:5]
	s_waitcnt lgkmcnt(0)
	v_cmp_ne_u32_e32 vcc, 0, v1
	s_mov_b64 s[4:5], 0
	s_cbranch_vccnz .LBB38_168
; %bb.13:
	v_add_u32_e32 v14, 16, v54
	scratch_load_dwordx4 v[2:5], v14, off
                                        ; implicit-def: $vgpr6_vgpr7
                                        ; implicit-def: $vgpr10_vgpr11
	s_waitcnt vmcnt(0)
	v_cmp_ngt_f64_e64 s[4:5], |v[2:3]|, |v[4:5]|
	s_and_saveexec_b64 s[8:9], s[4:5]
	s_xor_b64 s[4:5], exec, s[8:9]
	s_cbranch_execz .LBB38_15
; %bb.14:
	v_div_scale_f64 v[6:7], s[8:9], v[4:5], v[4:5], v[2:3]
	v_rcp_f64_e32 v[8:9], v[6:7]
	v_div_scale_f64 v[10:11], vcc, v[2:3], v[4:5], v[2:3]
	v_fma_f64 v[12:13], -v[6:7], v[8:9], 1.0
	v_fmac_f64_e32 v[8:9], v[8:9], v[12:13]
	v_fma_f64 v[12:13], -v[6:7], v[8:9], 1.0
	v_fmac_f64_e32 v[8:9], v[8:9], v[12:13]
	v_mul_f64 v[12:13], v[10:11], v[8:9]
	v_fma_f64 v[6:7], -v[6:7], v[12:13], v[10:11]
	v_div_fmas_f64 v[6:7], v[6:7], v[8:9], v[12:13]
	v_div_fixup_f64 v[6:7], v[6:7], v[4:5], v[2:3]
	v_fmac_f64_e32 v[4:5], v[2:3], v[6:7]
	v_div_scale_f64 v[2:3], s[8:9], v[4:5], v[4:5], 1.0
	v_rcp_f64_e32 v[8:9], v[2:3]
	s_nop 0
	v_fma_f64 v[10:11], -v[2:3], v[8:9], 1.0
	v_fmac_f64_e32 v[8:9], v[8:9], v[10:11]
	v_fma_f64 v[10:11], -v[2:3], v[8:9], 1.0
	v_fmac_f64_e32 v[8:9], v[8:9], v[10:11]
	v_div_scale_f64 v[10:11], vcc, 1.0, v[4:5], 1.0
	v_mul_f64 v[12:13], v[10:11], v[8:9]
	v_fma_f64 v[2:3], -v[2:3], v[12:13], v[10:11]
	s_nop 1
	v_div_fmas_f64 v[2:3], v[2:3], v[8:9], v[12:13]
	v_div_fixup_f64 v[8:9], v[2:3], v[4:5], 1.0
	v_mul_f64 v[6:7], v[6:7], v[8:9]
	v_xor_b32_e32 v9, 0x80000000, v9
	v_xor_b32_e32 v11, 0x80000000, v7
	v_mov_b32_e32 v10, v6
                                        ; implicit-def: $vgpr2_vgpr3
.LBB38_15:
	s_andn2_saveexec_b64 s[4:5], s[4:5]
	s_cbranch_execz .LBB38_17
; %bb.16:
	v_div_scale_f64 v[6:7], s[8:9], v[2:3], v[2:3], v[4:5]
	v_rcp_f64_e32 v[8:9], v[6:7]
	v_div_scale_f64 v[10:11], vcc, v[4:5], v[2:3], v[4:5]
	v_fma_f64 v[12:13], -v[6:7], v[8:9], 1.0
	v_fmac_f64_e32 v[8:9], v[8:9], v[12:13]
	v_fma_f64 v[12:13], -v[6:7], v[8:9], 1.0
	v_fmac_f64_e32 v[8:9], v[8:9], v[12:13]
	v_mul_f64 v[12:13], v[10:11], v[8:9]
	v_fma_f64 v[6:7], -v[6:7], v[12:13], v[10:11]
	v_div_fmas_f64 v[6:7], v[6:7], v[8:9], v[12:13]
	v_div_fixup_f64 v[8:9], v[6:7], v[2:3], v[4:5]
	v_fmac_f64_e32 v[2:3], v[4:5], v[8:9]
	v_div_scale_f64 v[4:5], s[8:9], v[2:3], v[2:3], 1.0
	v_rcp_f64_e32 v[6:7], v[4:5]
	s_nop 0
	v_fma_f64 v[10:11], -v[4:5], v[6:7], 1.0
	v_fmac_f64_e32 v[6:7], v[6:7], v[10:11]
	v_fma_f64 v[10:11], -v[4:5], v[6:7], 1.0
	v_fmac_f64_e32 v[6:7], v[6:7], v[10:11]
	v_div_scale_f64 v[10:11], vcc, 1.0, v[2:3], 1.0
	v_mul_f64 v[12:13], v[10:11], v[6:7]
	v_fma_f64 v[4:5], -v[4:5], v[12:13], v[10:11]
	s_nop 1
	v_div_fmas_f64 v[4:5], v[4:5], v[6:7], v[12:13]
	v_div_fixup_f64 v[6:7], v[4:5], v[2:3], 1.0
	v_xor_b32_e32 v11, 0x80000000, v7
	v_mov_b32_e32 v10, v6
	v_mul_f64 v[8:9], v[8:9], -v[6:7]
.LBB38_17:
	s_or_b64 exec, exec, s[4:5]
	scratch_store_dwordx4 v14, v[6:9], off
	scratch_load_dwordx4 v[2:5], off, s15
	v_xor_b32_e32 v13, 0x80000000, v9
	v_mov_b32_e32 v12, v8
	v_add_u32_e32 v1, 0x270, v54
	ds_write_b128 v54, v[10:13]
	s_waitcnt vmcnt(0)
	ds_write_b128 v54, v[2:5] offset:624
	s_waitcnt lgkmcnt(0)
	; wave barrier
	s_and_saveexec_b64 s[4:5], s[0:1]
	s_cbranch_execz .LBB38_19
; %bb.18:
	scratch_load_dwordx4 v[2:5], v14, off
	ds_read_b128 v[6:9], v1
	v_mov_b32_e32 v10, 0
	ds_read_b128 v[10:13], v10 offset:16
	s_waitcnt vmcnt(0) lgkmcnt(1)
	v_mul_f64 v[16:17], v[8:9], v[4:5]
	v_mul_f64 v[4:5], v[6:7], v[4:5]
	v_fma_f64 v[6:7], v[6:7], v[2:3], -v[16:17]
	v_fmac_f64_e32 v[4:5], v[8:9], v[2:3]
	v_add_f64 v[2:3], v[6:7], 0
	v_add_f64 v[6:7], v[4:5], 0
	s_waitcnt lgkmcnt(0)
	v_mul_f64 v[8:9], v[6:7], v[12:13]
	v_mul_f64 v[4:5], v[2:3], v[12:13]
	v_fma_f64 v[2:3], v[2:3], v[10:11], -v[8:9]
	v_fmac_f64_e32 v[4:5], v[6:7], v[10:11]
	scratch_store_dwordx4 off, v[2:5], off offset:32
.LBB38_19:
	s_or_b64 exec, exec, s[4:5]
	; wave barrier
	scratch_load_dwordx4 v[2:5], off, s12
	v_cmp_gt_u32_e32 vcc, 2, v0
	s_waitcnt vmcnt(0)
	ds_write_b128 v1, v[2:5]
	s_waitcnt lgkmcnt(0)
	; wave barrier
	s_and_saveexec_b64 s[4:5], vcc
	s_cbranch_execz .LBB38_23
; %bb.20:
	scratch_load_dwordx4 v[2:5], v14, off
	ds_read_b128 v[6:9], v1
	s_waitcnt vmcnt(0) lgkmcnt(0)
	v_mul_f64 v[10:11], v[8:9], v[4:5]
	v_mul_f64 v[12:13], v[6:7], v[4:5]
	v_fma_f64 v[4:5], v[6:7], v[2:3], -v[10:11]
	v_fmac_f64_e32 v[12:13], v[8:9], v[2:3]
	v_add_f64 v[4:5], v[4:5], 0
	v_add_f64 v[2:3], v[12:13], 0
	s_and_saveexec_b64 s[8:9], s[0:1]
	s_cbranch_execz .LBB38_22
; %bb.21:
	scratch_load_dwordx4 v[6:9], off, off offset:32
	v_mov_b32_e32 v10, 0
	ds_read_b128 v[10:13], v10 offset:640
	s_waitcnt vmcnt(0) lgkmcnt(0)
	v_mul_f64 v[14:15], v[10:11], v[8:9]
	v_mul_f64 v[8:9], v[12:13], v[8:9]
	v_fmac_f64_e32 v[14:15], v[12:13], v[6:7]
	v_fma_f64 v[6:7], v[10:11], v[6:7], -v[8:9]
	v_add_f64 v[2:3], v[2:3], v[14:15]
	v_add_f64 v[4:5], v[4:5], v[6:7]
.LBB38_22:
	s_or_b64 exec, exec, s[8:9]
	v_mov_b32_e32 v6, 0
	ds_read_b128 v[6:9], v6 offset:32
	s_waitcnt lgkmcnt(0)
	v_mul_f64 v[12:13], v[2:3], v[8:9]
	v_mul_f64 v[10:11], v[4:5], v[8:9]
	v_fma_f64 v[8:9], v[4:5], v[6:7], -v[12:13]
	v_fmac_f64_e32 v[10:11], v[2:3], v[6:7]
	scratch_store_dwordx4 off, v[8:11], off offset:48
.LBB38_23:
	s_or_b64 exec, exec, s[4:5]
	; wave barrier
	scratch_load_dwordx4 v[2:5], off, s13
	v_cmp_gt_u32_e32 vcc, 3, v0
	v_add_u32_e32 v6, -1, v0
	s_waitcnt vmcnt(0)
	ds_write_b128 v1, v[2:5]
	s_waitcnt lgkmcnt(0)
	; wave barrier
	s_and_saveexec_b64 s[0:1], vcc
	s_cbranch_execz .LBB38_27
; %bb.24:
	v_add_u32_e32 v7, -1, v0
	v_add_u32_e32 v8, 0x270, v54
	v_add_u32_e32 v9, 16, v54
	v_mov_b64_e32 v[2:3], 0
	s_mov_b64 s[4:5], 0
	v_mov_b64_e32 v[4:5], 0
.LBB38_25:                              ; =>This Inner Loop Header: Depth=1
	scratch_load_dwordx4 v[10:13], v9, off
	ds_read_b128 v[14:17], v8
	v_add_u32_e32 v7, 1, v7
	v_cmp_lt_u32_e32 vcc, 1, v7
	v_add_u32_e32 v8, 16, v8
	v_add_u32_e32 v9, 16, v9
	s_or_b64 s[4:5], vcc, s[4:5]
	s_waitcnt vmcnt(0) lgkmcnt(0)
	v_mul_f64 v[18:19], v[16:17], v[12:13]
	v_mul_f64 v[12:13], v[14:15], v[12:13]
	v_fma_f64 v[14:15], v[14:15], v[10:11], -v[18:19]
	v_fmac_f64_e32 v[12:13], v[16:17], v[10:11]
	v_add_f64 v[4:5], v[4:5], v[14:15]
	v_add_f64 v[2:3], v[2:3], v[12:13]
	s_andn2_b64 exec, exec, s[4:5]
	s_cbranch_execnz .LBB38_25
; %bb.26:
	s_or_b64 exec, exec, s[4:5]
	v_mov_b32_e32 v7, 0
	ds_read_b128 v[8:11], v7 offset:48
	s_waitcnt lgkmcnt(0)
	v_mul_f64 v[14:15], v[2:3], v[10:11]
	v_mul_f64 v[12:13], v[4:5], v[10:11]
	v_fma_f64 v[10:11], v[4:5], v[8:9], -v[14:15]
	v_fmac_f64_e32 v[12:13], v[2:3], v[8:9]
	scratch_store_dwordx4 off, v[10:13], off offset:64
.LBB38_27:
	s_or_b64 exec, exec, s[0:1]
	; wave barrier
	scratch_load_dwordx4 v[2:5], off, s14
	v_cmp_gt_u32_e32 vcc, 4, v0
	s_waitcnt vmcnt(0)
	ds_write_b128 v1, v[2:5]
	s_waitcnt lgkmcnt(0)
	; wave barrier
	s_and_saveexec_b64 s[0:1], vcc
	s_cbranch_execz .LBB38_31
; %bb.28:
	v_add_u32_e32 v7, -1, v0
	v_add_u32_e32 v8, 0x270, v54
	v_add_u32_e32 v9, 16, v54
	v_mov_b64_e32 v[2:3], 0
	s_mov_b64 s[4:5], 0
	v_mov_b64_e32 v[4:5], 0
.LBB38_29:                              ; =>This Inner Loop Header: Depth=1
	scratch_load_dwordx4 v[10:13], v9, off
	ds_read_b128 v[14:17], v8
	v_add_u32_e32 v7, 1, v7
	v_cmp_lt_u32_e32 vcc, 2, v7
	v_add_u32_e32 v8, 16, v8
	v_add_u32_e32 v9, 16, v9
	s_or_b64 s[4:5], vcc, s[4:5]
	s_waitcnt vmcnt(0) lgkmcnt(0)
	v_mul_f64 v[18:19], v[16:17], v[12:13]
	v_mul_f64 v[12:13], v[14:15], v[12:13]
	v_fma_f64 v[14:15], v[14:15], v[10:11], -v[18:19]
	v_fmac_f64_e32 v[12:13], v[16:17], v[10:11]
	v_add_f64 v[4:5], v[4:5], v[14:15]
	v_add_f64 v[2:3], v[2:3], v[12:13]
	s_andn2_b64 exec, exec, s[4:5]
	s_cbranch_execnz .LBB38_29
; %bb.30:
	s_or_b64 exec, exec, s[4:5]
	v_mov_b32_e32 v7, 0
	ds_read_b128 v[8:11], v7 offset:64
	s_waitcnt lgkmcnt(0)
	v_mul_f64 v[14:15], v[2:3], v[10:11]
	v_mul_f64 v[12:13], v[4:5], v[10:11]
	v_fma_f64 v[10:11], v[4:5], v[8:9], -v[14:15]
	v_fmac_f64_e32 v[12:13], v[2:3], v[8:9]
	scratch_store_dwordx4 off, v[10:13], off offset:80
.LBB38_31:
	s_or_b64 exec, exec, s[0:1]
	; wave barrier
	scratch_load_dwordx4 v[2:5], off, s21
	v_cmp_gt_u32_e32 vcc, 5, v0
	;; [unrolled: 45-line block ×19, first 2 shown]
	s_waitcnt vmcnt(0)
	ds_write_b128 v1, v[2:5]
	s_waitcnt lgkmcnt(0)
	; wave barrier
	s_and_saveexec_b64 s[0:1], vcc
	s_cbranch_execz .LBB38_103
; %bb.100:
	v_add_u32_e32 v7, -1, v0
	v_add_u32_e32 v8, 0x270, v54
	v_add_u32_e32 v9, 16, v54
	v_mov_b64_e32 v[2:3], 0
	s_mov_b64 s[4:5], 0
	v_mov_b64_e32 v[4:5], 0
.LBB38_101:                             ; =>This Inner Loop Header: Depth=1
	scratch_load_dwordx4 v[10:13], v9, off
	ds_read_b128 v[14:17], v8
	v_add_u32_e32 v7, 1, v7
	v_cmp_lt_u32_e32 vcc, 20, v7
	v_add_u32_e32 v8, 16, v8
	v_add_u32_e32 v9, 16, v9
	s_or_b64 s[4:5], vcc, s[4:5]
	s_waitcnt vmcnt(0) lgkmcnt(0)
	v_mul_f64 v[18:19], v[16:17], v[12:13]
	v_mul_f64 v[12:13], v[14:15], v[12:13]
	v_fma_f64 v[14:15], v[14:15], v[10:11], -v[18:19]
	v_fmac_f64_e32 v[12:13], v[16:17], v[10:11]
	v_add_f64 v[4:5], v[4:5], v[14:15]
	v_add_f64 v[2:3], v[2:3], v[12:13]
	s_andn2_b64 exec, exec, s[4:5]
	s_cbranch_execnz .LBB38_101
; %bb.102:
	s_or_b64 exec, exec, s[4:5]
	v_mov_b32_e32 v7, 0
	ds_read_b128 v[8:11], v7 offset:352
	s_waitcnt lgkmcnt(0)
	v_mul_f64 v[14:15], v[2:3], v[10:11]
	v_mul_f64 v[12:13], v[4:5], v[10:11]
	v_fma_f64 v[10:11], v[4:5], v[8:9], -v[14:15]
	v_fmac_f64_e32 v[12:13], v[2:3], v[8:9]
	scratch_store_dwordx4 off, v[10:13], off offset:368
.LBB38_103:
	s_or_b64 exec, exec, s[0:1]
	; wave barrier
	scratch_load_dwordx4 v[2:5], off, s36
	v_cmp_gt_u32_e32 vcc, 23, v0
	s_waitcnt vmcnt(0)
	ds_write_b128 v1, v[2:5]
	s_waitcnt lgkmcnt(0)
	; wave barrier
	s_and_saveexec_b64 s[0:1], vcc
	s_cbranch_execz .LBB38_107
; %bb.104:
	v_add_u32_e32 v7, -1, v0
	v_add_u32_e32 v8, 0x270, v54
	v_add_u32_e32 v9, 16, v54
	v_mov_b64_e32 v[2:3], 0
	s_mov_b64 s[4:5], 0
	v_mov_b64_e32 v[4:5], 0
.LBB38_105:                             ; =>This Inner Loop Header: Depth=1
	scratch_load_dwordx4 v[10:13], v9, off
	ds_read_b128 v[14:17], v8
	v_add_u32_e32 v7, 1, v7
	v_cmp_lt_u32_e32 vcc, 21, v7
	v_add_u32_e32 v8, 16, v8
	v_add_u32_e32 v9, 16, v9
	s_or_b64 s[4:5], vcc, s[4:5]
	s_waitcnt vmcnt(0) lgkmcnt(0)
	v_mul_f64 v[18:19], v[16:17], v[12:13]
	v_mul_f64 v[12:13], v[14:15], v[12:13]
	v_fma_f64 v[14:15], v[14:15], v[10:11], -v[18:19]
	v_fmac_f64_e32 v[12:13], v[16:17], v[10:11]
	v_add_f64 v[4:5], v[4:5], v[14:15]
	v_add_f64 v[2:3], v[2:3], v[12:13]
	s_andn2_b64 exec, exec, s[4:5]
	s_cbranch_execnz .LBB38_105
; %bb.106:
	s_or_b64 exec, exec, s[4:5]
	v_mov_b32_e32 v7, 0
	ds_read_b128 v[8:11], v7 offset:368
	s_waitcnt lgkmcnt(0)
	v_mul_f64 v[14:15], v[2:3], v[10:11]
	v_mul_f64 v[12:13], v[4:5], v[10:11]
	v_fma_f64 v[10:11], v[4:5], v[8:9], -v[14:15]
	v_fmac_f64_e32 v[12:13], v[2:3], v[8:9]
	scratch_store_dwordx4 off, v[10:13], off offset:384
.LBB38_107:
	s_or_b64 exec, exec, s[0:1]
	; wave barrier
	scratch_load_dwordx4 v[2:5], off, s37
	v_cmp_gt_u32_e32 vcc, 24, v0
	;; [unrolled: 45-line block ×15, first 2 shown]
	s_waitcnt vmcnt(0)
	ds_write_b128 v1, v[2:5]
	s_waitcnt lgkmcnt(0)
	; wave barrier
	s_and_saveexec_b64 s[0:1], vcc
	s_cbranch_execz .LBB38_163
; %bb.160:
	v_add_u32_e32 v7, -1, v0
	v_add_u32_e32 v8, 0x270, v54
	v_add_u32_e32 v9, 16, v54
	v_mov_b64_e32 v[2:3], 0
	s_mov_b64 s[4:5], 0
	v_mov_b64_e32 v[4:5], 0
.LBB38_161:                             ; =>This Inner Loop Header: Depth=1
	scratch_load_dwordx4 v[10:13], v9, off
	ds_read_b128 v[14:17], v8
	v_add_u32_e32 v7, 1, v7
	v_cmp_lt_u32_e32 vcc, 35, v7
	v_add_u32_e32 v8, 16, v8
	v_add_u32_e32 v9, 16, v9
	s_or_b64 s[4:5], vcc, s[4:5]
	s_waitcnt vmcnt(0) lgkmcnt(0)
	v_mul_f64 v[18:19], v[16:17], v[12:13]
	v_mul_f64 v[12:13], v[14:15], v[12:13]
	v_fma_f64 v[14:15], v[14:15], v[10:11], -v[18:19]
	v_fmac_f64_e32 v[12:13], v[16:17], v[10:11]
	v_add_f64 v[4:5], v[4:5], v[14:15]
	v_add_f64 v[2:3], v[2:3], v[12:13]
	s_andn2_b64 exec, exec, s[4:5]
	s_cbranch_execnz .LBB38_161
; %bb.162:
	s_or_b64 exec, exec, s[4:5]
	v_mov_b32_e32 v7, 0
	ds_read_b128 v[8:11], v7 offset:592
	s_waitcnt lgkmcnt(0)
	v_mul_f64 v[14:15], v[2:3], v[10:11]
	v_mul_f64 v[12:13], v[4:5], v[10:11]
	v_fma_f64 v[10:11], v[4:5], v[8:9], -v[14:15]
	v_fmac_f64_e32 v[12:13], v[2:3], v[8:9]
	scratch_store_dwordx4 off, v[10:13], off offset:608
.LBB38_163:
	s_or_b64 exec, exec, s[0:1]
	; wave barrier
	scratch_load_dwordx4 v[2:5], off, s51
	v_cmp_ne_u32_e32 vcc, 38, v0
	s_waitcnt vmcnt(0)
	ds_write_b128 v1, v[2:5]
	s_waitcnt lgkmcnt(0)
	; wave barrier
	s_and_saveexec_b64 s[0:1], vcc
	s_cbranch_execz .LBB38_167
; %bb.164:
	v_add_u32_e32 v1, 0x270, v54
	v_add_u32_e32 v7, 16, v54
	v_mov_b64_e32 v[2:3], 0
	s_mov_b64 s[4:5], 0
	v_mov_b64_e32 v[4:5], 0
.LBB38_165:                             ; =>This Inner Loop Header: Depth=1
	scratch_load_dwordx4 v[8:11], v7, off
	ds_read_b128 v[12:15], v1
	v_add_u32_e32 v6, 1, v6
	v_cmp_lt_u32_e32 vcc, 36, v6
	v_add_u32_e32 v1, 16, v1
	v_add_u32_e32 v7, 16, v7
	s_or_b64 s[4:5], vcc, s[4:5]
	s_waitcnt vmcnt(0) lgkmcnt(0)
	v_mul_f64 v[16:17], v[14:15], v[10:11]
	v_mul_f64 v[10:11], v[12:13], v[10:11]
	v_fma_f64 v[12:13], v[12:13], v[8:9], -v[16:17]
	v_fmac_f64_e32 v[10:11], v[14:15], v[8:9]
	v_add_f64 v[4:5], v[4:5], v[12:13]
	v_add_f64 v[2:3], v[2:3], v[10:11]
	s_andn2_b64 exec, exec, s[4:5]
	s_cbranch_execnz .LBB38_165
; %bb.166:
	s_or_b64 exec, exec, s[4:5]
	v_mov_b32_e32 v1, 0
	ds_read_b128 v[6:9], v1 offset:608
	s_waitcnt lgkmcnt(0)
	v_mul_f64 v[12:13], v[2:3], v[8:9]
	v_mul_f64 v[10:11], v[4:5], v[8:9]
	v_fma_f64 v[8:9], v[4:5], v[6:7], -v[12:13]
	v_fmac_f64_e32 v[10:11], v[2:3], v[6:7]
	scratch_store_dwordx4 off, v[8:11], off offset:624
.LBB38_167:
	s_or_b64 exec, exec, s[0:1]
	s_mov_b64 s[4:5], -1
	; wave barrier
.LBB38_168:
	s_and_b64 vcc, exec, s[4:5]
	s_cbranch_vccz .LBB38_170
; %bb.169:
	s_lshl_b64 s[0:1], s[2:3], 2
	s_add_u32 s0, s6, s0
	s_addc_u32 s1, s7, s1
	v_mov_b32_e32 v1, 0
	global_load_dword v1, v1, s[0:1]
	s_waitcnt vmcnt(0)
	v_cmp_ne_u32_e32 vcc, 0, v1
	s_cbranch_vccz .LBB38_171
.LBB38_170:
	s_endpgm
.LBB38_171:
	v_mov_b32_e32 v1, 0x270
	v_lshl_add_u32 v1, v0, 4, v1
	v_cmp_eq_u32_e32 vcc, 38, v0
	s_and_saveexec_b64 s[0:1], vcc
	s_cbranch_execz .LBB38_173
; %bb.172:
	scratch_load_dwordx4 v[2:5], off, s50
	v_mov_b32_e32 v6, 0
	v_mov_b32_e32 v7, v6
	;; [unrolled: 1-line block ×4, first 2 shown]
	scratch_store_dwordx4 off, v[6:9], off offset:608
	s_waitcnt vmcnt(1)
	ds_write_b128 v1, v[2:5]
.LBB38_173:
	s_or_b64 exec, exec, s[0:1]
	s_waitcnt lgkmcnt(0)
	; wave barrier
	scratch_load_dwordx4 v[4:7], off, off offset:624
	scratch_load_dwordx4 v[8:11], off, off offset:608
	v_mov_b32_e32 v2, 0
	ds_read_b128 v[12:15], v2 offset:1232
	v_cmp_lt_u32_e32 vcc, 36, v0
	s_waitcnt vmcnt(1) lgkmcnt(0)
	v_mul_f64 v[16:17], v[12:13], v[6:7]
	v_mul_f64 v[6:7], v[14:15], v[6:7]
	v_fmac_f64_e32 v[16:17], v[14:15], v[4:5]
	v_fma_f64 v[4:5], v[12:13], v[4:5], -v[6:7]
	v_add_f64 v[6:7], v[16:17], 0
	v_add_f64 v[4:5], v[4:5], 0
	s_waitcnt vmcnt(0)
	v_add_f64 v[4:5], v[8:9], -v[4:5]
	v_add_f64 v[6:7], v[10:11], -v[6:7]
	scratch_store_dwordx4 off, v[4:7], off offset:608
	s_and_saveexec_b64 s[0:1], vcc
	s_cbranch_execz .LBB38_175
; %bb.174:
	scratch_load_dwordx4 v[6:9], off, s49
	v_mov_b32_e32 v3, v2
	v_mov_b32_e32 v4, v2
	;; [unrolled: 1-line block ×3, first 2 shown]
	scratch_store_dwordx4 off, v[2:5], off offset:592
	s_waitcnt vmcnt(1)
	ds_write_b128 v1, v[6:9]
.LBB38_175:
	s_or_b64 exec, exec, s[0:1]
	s_waitcnt lgkmcnt(0)
	; wave barrier
	scratch_load_dwordx4 v[4:7], off, off offset:608
	scratch_load_dwordx4 v[8:11], off, off offset:624
	;; [unrolled: 1-line block ×3, first 2 shown]
	ds_read_b128 v[16:19], v2 offset:1216
	ds_read_b128 v[20:23], v2 offset:1232
	v_cmp_lt_u32_e32 vcc, 35, v0
	s_waitcnt vmcnt(2) lgkmcnt(1)
	v_mul_f64 v[2:3], v[16:17], v[6:7]
	v_mul_f64 v[6:7], v[18:19], v[6:7]
	s_waitcnt vmcnt(1) lgkmcnt(0)
	v_mul_f64 v[24:25], v[20:21], v[10:11]
	v_mul_f64 v[10:11], v[22:23], v[10:11]
	v_fmac_f64_e32 v[2:3], v[18:19], v[4:5]
	v_fma_f64 v[4:5], v[16:17], v[4:5], -v[6:7]
	v_fmac_f64_e32 v[24:25], v[22:23], v[8:9]
	v_fma_f64 v[6:7], v[20:21], v[8:9], -v[10:11]
	v_add_f64 v[2:3], v[2:3], 0
	v_add_f64 v[4:5], v[4:5], 0
	;; [unrolled: 1-line block ×4, first 2 shown]
	s_waitcnt vmcnt(0)
	v_add_f64 v[2:3], v[12:13], -v[2:3]
	v_add_f64 v[4:5], v[14:15], -v[8:9]
	scratch_store_dwordx4 off, v[2:5], off offset:592
	s_and_saveexec_b64 s[0:1], vcc
	s_cbranch_execz .LBB38_177
; %bb.176:
	scratch_load_dwordx4 v[2:5], off, s48
	v_mov_b32_e32 v6, 0
	v_mov_b32_e32 v7, v6
	;; [unrolled: 1-line block ×4, first 2 shown]
	scratch_store_dwordx4 off, v[6:9], off offset:576
	s_waitcnt vmcnt(1)
	ds_write_b128 v1, v[2:5]
.LBB38_177:
	s_or_b64 exec, exec, s[0:1]
	s_waitcnt lgkmcnt(0)
	; wave barrier
	scratch_load_dwordx4 v[4:7], off, off offset:592
	scratch_load_dwordx4 v[8:11], off, off offset:608
	;; [unrolled: 1-line block ×4, first 2 shown]
	v_mov_b32_e32 v2, 0
	ds_read_b128 v[20:23], v2 offset:1200
	ds_read_b128 v[24:27], v2 offset:1216
	;; [unrolled: 1-line block ×3, first 2 shown]
	v_cmp_lt_u32_e32 vcc, 34, v0
	s_waitcnt vmcnt(3) lgkmcnt(2)
	v_mul_f64 v[32:33], v[20:21], v[6:7]
	v_mul_f64 v[6:7], v[22:23], v[6:7]
	s_waitcnt vmcnt(2) lgkmcnt(1)
	v_mul_f64 v[34:35], v[24:25], v[10:11]
	v_mul_f64 v[10:11], v[26:27], v[10:11]
	v_fmac_f64_e32 v[32:33], v[22:23], v[4:5]
	v_fma_f64 v[4:5], v[20:21], v[4:5], -v[6:7]
	s_waitcnt vmcnt(1) lgkmcnt(0)
	v_mul_f64 v[36:37], v[28:29], v[14:15]
	v_mul_f64 v[14:15], v[30:31], v[14:15]
	v_fmac_f64_e32 v[34:35], v[26:27], v[8:9]
	v_fma_f64 v[6:7], v[24:25], v[8:9], -v[10:11]
	v_add_f64 v[10:11], v[32:33], 0
	v_add_f64 v[4:5], v[4:5], 0
	v_fmac_f64_e32 v[36:37], v[30:31], v[12:13]
	v_fma_f64 v[8:9], v[28:29], v[12:13], -v[14:15]
	v_add_f64 v[10:11], v[10:11], v[34:35]
	v_add_f64 v[4:5], v[4:5], v[6:7]
	;; [unrolled: 1-line block ×4, first 2 shown]
	s_waitcnt vmcnt(0)
	v_add_f64 v[4:5], v[16:17], -v[4:5]
	v_add_f64 v[6:7], v[18:19], -v[6:7]
	scratch_store_dwordx4 off, v[4:7], off offset:576
	s_and_saveexec_b64 s[0:1], vcc
	s_cbranch_execz .LBB38_179
; %bb.178:
	scratch_load_dwordx4 v[6:9], off, s47
	v_mov_b32_e32 v3, v2
	v_mov_b32_e32 v4, v2
	;; [unrolled: 1-line block ×3, first 2 shown]
	scratch_store_dwordx4 off, v[2:5], off offset:560
	s_waitcnt vmcnt(1)
	ds_write_b128 v1, v[6:9]
.LBB38_179:
	s_or_b64 exec, exec, s[0:1]
	s_waitcnt lgkmcnt(0)
	; wave barrier
	scratch_load_dwordx4 v[4:7], off, off offset:576
	scratch_load_dwordx4 v[8:11], off, off offset:592
	scratch_load_dwordx4 v[12:15], off, off offset:608
	scratch_load_dwordx4 v[16:19], off, off offset:624
	scratch_load_dwordx4 v[20:23], off, off offset:560
	ds_read_b128 v[24:27], v2 offset:1184
	ds_read_b128 v[28:31], v2 offset:1200
	;; [unrolled: 1-line block ×4, first 2 shown]
	v_cmp_lt_u32_e32 vcc, 33, v0
	s_waitcnt vmcnt(4) lgkmcnt(3)
	v_mul_f64 v[2:3], v[24:25], v[6:7]
	v_mul_f64 v[6:7], v[26:27], v[6:7]
	s_waitcnt vmcnt(3) lgkmcnt(2)
	v_mul_f64 v[40:41], v[28:29], v[10:11]
	v_mul_f64 v[10:11], v[30:31], v[10:11]
	v_fmac_f64_e32 v[2:3], v[26:27], v[4:5]
	v_fma_f64 v[4:5], v[24:25], v[4:5], -v[6:7]
	s_waitcnt vmcnt(2) lgkmcnt(1)
	v_mul_f64 v[42:43], v[32:33], v[14:15]
	v_mul_f64 v[14:15], v[34:35], v[14:15]
	v_fmac_f64_e32 v[40:41], v[30:31], v[8:9]
	v_fma_f64 v[6:7], v[28:29], v[8:9], -v[10:11]
	v_add_f64 v[2:3], v[2:3], 0
	v_add_f64 v[4:5], v[4:5], 0
	s_waitcnt vmcnt(1) lgkmcnt(0)
	v_mul_f64 v[44:45], v[36:37], v[18:19]
	v_mul_f64 v[18:19], v[38:39], v[18:19]
	v_fmac_f64_e32 v[42:43], v[34:35], v[12:13]
	v_fma_f64 v[8:9], v[32:33], v[12:13], -v[14:15]
	v_add_f64 v[2:3], v[2:3], v[40:41]
	v_add_f64 v[4:5], v[4:5], v[6:7]
	v_fmac_f64_e32 v[44:45], v[38:39], v[16:17]
	v_fma_f64 v[10:11], v[36:37], v[16:17], -v[18:19]
	v_add_f64 v[2:3], v[2:3], v[42:43]
	v_add_f64 v[4:5], v[4:5], v[8:9]
	v_add_f64 v[6:7], v[2:3], v[44:45]
	v_add_f64 v[2:3], v[4:5], v[10:11]
	s_waitcnt vmcnt(0)
	v_add_f64 v[2:3], v[20:21], -v[2:3]
	v_add_f64 v[4:5], v[22:23], -v[6:7]
	scratch_store_dwordx4 off, v[2:5], off offset:560
	s_and_saveexec_b64 s[0:1], vcc
	s_cbranch_execz .LBB38_181
; %bb.180:
	scratch_load_dwordx4 v[2:5], off, s46
	v_mov_b32_e32 v6, 0
	v_mov_b32_e32 v7, v6
	;; [unrolled: 1-line block ×4, first 2 shown]
	scratch_store_dwordx4 off, v[6:9], off offset:544
	s_waitcnt vmcnt(1)
	ds_write_b128 v1, v[2:5]
.LBB38_181:
	s_or_b64 exec, exec, s[0:1]
	v_mov_b32_e32 v2, 0
	s_waitcnt lgkmcnt(0)
	; wave barrier
	ds_read_b128 v[4:7], v2 offset:1168
	ds_read_b128 v[8:11], v2 offset:1184
	;; [unrolled: 1-line block ×4, first 2 shown]
	scratch_load_dwordx4 v[20:23], off, off offset:560
	scratch_load_dwordx4 v[40:43], off, off offset:624
	v_cmp_lt_u32_e32 vcc, 32, v0
	s_waitcnt vmcnt(1) lgkmcnt(3)
	v_mul_f64 v[24:25], v[4:5], v[22:23]
	v_fmac_f64_e32 v[24:25], v[6:7], v[20:21]
	v_add_f64 v[28:29], v[24:25], 0
	scratch_load_dwordx4 v[24:27], off, off offset:576
	v_mul_f64 v[6:7], v[6:7], v[22:23]
	v_fma_f64 v[4:5], v[4:5], v[20:21], -v[6:7]
	v_add_f64 v[4:5], v[4:5], 0
	s_waitcnt vmcnt(0) lgkmcnt(2)
	v_mul_f64 v[30:31], v[8:9], v[26:27]
	v_fmac_f64_e32 v[30:31], v[10:11], v[24:25]
	v_add_f64 v[32:33], v[28:29], v[30:31]
	scratch_load_dwordx4 v[28:31], off, off offset:592
	v_mul_f64 v[6:7], v[10:11], v[26:27]
	v_fma_f64 v[6:7], v[8:9], v[24:25], -v[6:7]
	v_add_f64 v[4:5], v[4:5], v[6:7]
	s_waitcnt vmcnt(0) lgkmcnt(1)
	v_mul_f64 v[34:35], v[12:13], v[30:31]
	v_fmac_f64_e32 v[34:35], v[14:15], v[28:29]
	v_add_f64 v[36:37], v[32:33], v[34:35]
	scratch_load_dwordx4 v[32:35], off, off offset:608
	v_mul_f64 v[6:7], v[14:15], v[30:31]
	v_fma_f64 v[6:7], v[12:13], v[28:29], -v[6:7]
	v_add_f64 v[4:5], v[4:5], v[6:7]
	s_waitcnt vmcnt(0) lgkmcnt(0)
	v_mul_f64 v[38:39], v[16:17], v[34:35]
	v_fmac_f64_e32 v[38:39], v[18:19], v[32:33]
	v_add_f64 v[44:45], v[36:37], v[38:39]
	ds_read_b128 v[36:39], v2 offset:1232
	v_mul_f64 v[6:7], v[18:19], v[34:35]
	v_fma_f64 v[6:7], v[16:17], v[32:33], -v[6:7]
	v_add_f64 v[4:5], v[4:5], v[6:7]
	s_waitcnt lgkmcnt(0)
	v_mul_f64 v[6:7], v[38:39], v[42:43]
	v_fma_f64 v[6:7], v[36:37], v[40:41], -v[6:7]
	v_add_f64 v[8:9], v[4:5], v[6:7]
	scratch_load_dwordx4 v[4:7], off, off offset:544
	v_mul_f64 v[46:47], v[36:37], v[42:43]
	v_fmac_f64_e32 v[46:47], v[38:39], v[40:41]
	v_add_f64 v[44:45], v[44:45], v[46:47]
	s_waitcnt vmcnt(0)
	v_add_f64 v[4:5], v[4:5], -v[8:9]
	v_add_f64 v[6:7], v[6:7], -v[44:45]
	scratch_store_dwordx4 off, v[4:7], off offset:544
	s_and_saveexec_b64 s[0:1], vcc
	s_cbranch_execz .LBB38_183
; %bb.182:
	scratch_load_dwordx4 v[6:9], off, s45
	v_mov_b32_e32 v3, v2
	v_mov_b32_e32 v4, v2
	;; [unrolled: 1-line block ×3, first 2 shown]
	scratch_store_dwordx4 off, v[2:5], off offset:528
	s_waitcnt vmcnt(1)
	ds_write_b128 v1, v[6:9]
.LBB38_183:
	s_or_b64 exec, exec, s[0:1]
	s_waitcnt lgkmcnt(0)
	; wave barrier
	scratch_load_dwordx4 v[4:7], off, off offset:544
	scratch_load_dwordx4 v[8:11], off, off offset:560
	;; [unrolled: 1-line block ×7, first 2 shown]
	ds_read_b128 v[32:35], v2 offset:1152
	ds_read_b128 v[36:39], v2 offset:1168
	;; [unrolled: 1-line block ×6, first 2 shown]
	v_cmp_lt_u32_e32 vcc, 31, v0
	s_waitcnt vmcnt(6) lgkmcnt(5)
	v_mul_f64 v[2:3], v[32:33], v[6:7]
	v_mul_f64 v[6:7], v[34:35], v[6:7]
	s_waitcnt vmcnt(5) lgkmcnt(4)
	v_mul_f64 v[56:57], v[36:37], v[10:11]
	v_mul_f64 v[10:11], v[38:39], v[10:11]
	v_fmac_f64_e32 v[2:3], v[34:35], v[4:5]
	v_fma_f64 v[4:5], v[32:33], v[4:5], -v[6:7]
	s_waitcnt vmcnt(4) lgkmcnt(3)
	v_mul_f64 v[58:59], v[40:41], v[14:15]
	v_mul_f64 v[14:15], v[42:43], v[14:15]
	v_fmac_f64_e32 v[56:57], v[38:39], v[8:9]
	v_fma_f64 v[6:7], v[36:37], v[8:9], -v[10:11]
	v_add_f64 v[2:3], v[2:3], 0
	v_add_f64 v[4:5], v[4:5], 0
	s_waitcnt vmcnt(3) lgkmcnt(2)
	v_mul_f64 v[60:61], v[44:45], v[18:19]
	v_mul_f64 v[18:19], v[46:47], v[18:19]
	v_fmac_f64_e32 v[58:59], v[42:43], v[12:13]
	v_fma_f64 v[8:9], v[40:41], v[12:13], -v[14:15]
	v_add_f64 v[2:3], v[2:3], v[56:57]
	v_add_f64 v[4:5], v[4:5], v[6:7]
	s_waitcnt vmcnt(2) lgkmcnt(1)
	v_mul_f64 v[62:63], v[48:49], v[22:23]
	v_mul_f64 v[22:23], v[50:51], v[22:23]
	v_fmac_f64_e32 v[60:61], v[46:47], v[16:17]
	v_fma_f64 v[10:11], v[44:45], v[16:17], -v[18:19]
	v_add_f64 v[2:3], v[2:3], v[58:59]
	v_add_f64 v[4:5], v[4:5], v[8:9]
	s_waitcnt vmcnt(1) lgkmcnt(0)
	v_mul_f64 v[64:65], v[52:53], v[26:27]
	v_mul_f64 v[26:27], v[54:55], v[26:27]
	v_fmac_f64_e32 v[62:63], v[50:51], v[20:21]
	v_fma_f64 v[12:13], v[48:49], v[20:21], -v[22:23]
	v_add_f64 v[2:3], v[2:3], v[60:61]
	v_add_f64 v[4:5], v[4:5], v[10:11]
	v_fmac_f64_e32 v[64:65], v[54:55], v[24:25]
	v_fma_f64 v[14:15], v[52:53], v[24:25], -v[26:27]
	v_add_f64 v[2:3], v[2:3], v[62:63]
	v_add_f64 v[4:5], v[4:5], v[12:13]
	;; [unrolled: 1-line block ×4, first 2 shown]
	s_waitcnt vmcnt(0)
	v_add_f64 v[2:3], v[28:29], -v[2:3]
	v_add_f64 v[4:5], v[30:31], -v[6:7]
	scratch_store_dwordx4 off, v[2:5], off offset:528
	s_and_saveexec_b64 s[0:1], vcc
	s_cbranch_execz .LBB38_185
; %bb.184:
	scratch_load_dwordx4 v[2:5], off, s44
	v_mov_b32_e32 v6, 0
	v_mov_b32_e32 v7, v6
	;; [unrolled: 1-line block ×4, first 2 shown]
	scratch_store_dwordx4 off, v[6:9], off offset:512
	s_waitcnt vmcnt(1)
	ds_write_b128 v1, v[2:5]
.LBB38_185:
	s_or_b64 exec, exec, s[0:1]
	s_waitcnt lgkmcnt(0)
	; wave barrier
	scratch_load_dwordx4 v[4:7], off, off offset:528
	scratch_load_dwordx4 v[8:11], off, off offset:544
	;; [unrolled: 1-line block ×8, first 2 shown]
	v_mov_b32_e32 v2, 0
	ds_read_b128 v[36:39], v2 offset:1136
	ds_read_b128 v[40:43], v2 offset:1152
	;; [unrolled: 1-line block ×7, first 2 shown]
	v_cmp_lt_u32_e32 vcc, 30, v0
	s_waitcnt vmcnt(7) lgkmcnt(6)
	v_mul_f64 v[64:65], v[36:37], v[6:7]
	v_mul_f64 v[6:7], v[38:39], v[6:7]
	s_waitcnt vmcnt(6) lgkmcnt(5)
	v_mul_f64 v[66:67], v[40:41], v[10:11]
	s_waitcnt vmcnt(4) lgkmcnt(3)
	v_mul_f64 v[70:71], v[48:49], v[18:19]
	v_mul_f64 v[10:11], v[42:43], v[10:11]
	;; [unrolled: 1-line block ×3, first 2 shown]
	v_fmac_f64_e32 v[64:65], v[38:39], v[4:5]
	v_fma_f64 v[4:5], v[36:37], v[4:5], -v[6:7]
	v_mul_f64 v[68:69], v[44:45], v[14:15]
	v_mul_f64 v[14:15], v[46:47], v[14:15]
	v_fmac_f64_e32 v[66:67], v[42:43], v[8:9]
	v_fma_f64 v[6:7], v[40:41], v[8:9], -v[10:11]
	v_fma_f64 v[10:11], v[48:49], v[16:17], -v[18:19]
	v_add_f64 v[18:19], v[64:65], 0
	v_add_f64 v[4:5], v[4:5], 0
	v_fmac_f64_e32 v[68:69], v[46:47], v[12:13]
	v_fma_f64 v[8:9], v[44:45], v[12:13], -v[14:15]
	v_add_f64 v[18:19], v[18:19], v[66:67]
	v_add_f64 v[4:5], v[4:5], v[6:7]
	s_waitcnt vmcnt(3) lgkmcnt(2)
	v_mul_f64 v[72:73], v[52:53], v[22:23]
	v_mul_f64 v[22:23], v[54:55], v[22:23]
	v_fmac_f64_e32 v[70:71], v[50:51], v[16:17]
	v_add_f64 v[6:7], v[18:19], v[68:69]
	v_add_f64 v[4:5], v[4:5], v[8:9]
	s_waitcnt vmcnt(2) lgkmcnt(1)
	v_mul_f64 v[74:75], v[56:57], v[26:27]
	v_mul_f64 v[26:27], v[58:59], v[26:27]
	v_fmac_f64_e32 v[72:73], v[54:55], v[20:21]
	v_fma_f64 v[12:13], v[52:53], v[20:21], -v[22:23]
	v_add_f64 v[6:7], v[6:7], v[70:71]
	v_add_f64 v[4:5], v[4:5], v[10:11]
	s_waitcnt vmcnt(1) lgkmcnt(0)
	v_mul_f64 v[76:77], v[60:61], v[30:31]
	v_mul_f64 v[30:31], v[62:63], v[30:31]
	v_fmac_f64_e32 v[74:75], v[58:59], v[24:25]
	v_fma_f64 v[14:15], v[56:57], v[24:25], -v[26:27]
	v_add_f64 v[6:7], v[6:7], v[72:73]
	v_add_f64 v[4:5], v[4:5], v[12:13]
	v_fmac_f64_e32 v[76:77], v[62:63], v[28:29]
	v_fma_f64 v[16:17], v[60:61], v[28:29], -v[30:31]
	v_add_f64 v[6:7], v[6:7], v[74:75]
	v_add_f64 v[4:5], v[4:5], v[14:15]
	v_add_f64 v[6:7], v[6:7], v[76:77]
	v_add_f64 v[4:5], v[4:5], v[16:17]
	s_waitcnt vmcnt(0)
	v_add_f64 v[4:5], v[32:33], -v[4:5]
	v_add_f64 v[6:7], v[34:35], -v[6:7]
	scratch_store_dwordx4 off, v[4:7], off offset:512
	s_and_saveexec_b64 s[0:1], vcc
	s_cbranch_execz .LBB38_187
; %bb.186:
	scratch_load_dwordx4 v[6:9], off, s43
	v_mov_b32_e32 v3, v2
	v_mov_b32_e32 v4, v2
	;; [unrolled: 1-line block ×3, first 2 shown]
	scratch_store_dwordx4 off, v[2:5], off offset:496
	s_waitcnt vmcnt(1)
	ds_write_b128 v1, v[6:9]
.LBB38_187:
	s_or_b64 exec, exec, s[0:1]
	s_waitcnt lgkmcnt(0)
	; wave barrier
	scratch_load_dwordx4 v[4:7], off, off offset:512
	scratch_load_dwordx4 v[8:11], off, off offset:528
	;; [unrolled: 1-line block ×9, first 2 shown]
	ds_read_b128 v[40:43], v2 offset:1120
	ds_read_b128 v[44:47], v2 offset:1136
	;; [unrolled: 1-line block ×8, first 2 shown]
	v_cmp_lt_u32_e32 vcc, 29, v0
	s_waitcnt vmcnt(8) lgkmcnt(7)
	v_mul_f64 v[2:3], v[40:41], v[6:7]
	v_mul_f64 v[6:7], v[42:43], v[6:7]
	s_waitcnt vmcnt(7) lgkmcnt(6)
	v_mul_f64 v[72:73], v[44:45], v[10:11]
	v_mul_f64 v[10:11], v[46:47], v[10:11]
	v_fmac_f64_e32 v[2:3], v[42:43], v[4:5]
	v_fma_f64 v[4:5], v[40:41], v[4:5], -v[6:7]
	s_waitcnt vmcnt(6) lgkmcnt(5)
	v_mul_f64 v[74:75], v[48:49], v[14:15]
	v_mul_f64 v[14:15], v[50:51], v[14:15]
	v_fmac_f64_e32 v[72:73], v[46:47], v[8:9]
	v_fma_f64 v[6:7], v[44:45], v[8:9], -v[10:11]
	v_add_f64 v[2:3], v[2:3], 0
	v_add_f64 v[4:5], v[4:5], 0
	s_waitcnt vmcnt(5) lgkmcnt(4)
	v_mul_f64 v[76:77], v[52:53], v[18:19]
	v_mul_f64 v[18:19], v[54:55], v[18:19]
	v_fmac_f64_e32 v[74:75], v[50:51], v[12:13]
	v_fma_f64 v[8:9], v[48:49], v[12:13], -v[14:15]
	v_add_f64 v[2:3], v[2:3], v[72:73]
	v_add_f64 v[4:5], v[4:5], v[6:7]
	;; [unrolled: 7-line block ×6, first 2 shown]
	v_fmac_f64_e32 v[84:85], v[70:71], v[32:33]
	v_fma_f64 v[18:19], v[68:69], v[32:33], -v[34:35]
	v_add_f64 v[2:3], v[2:3], v[82:83]
	v_add_f64 v[4:5], v[4:5], v[16:17]
	v_add_f64 v[6:7], v[2:3], v[84:85]
	v_add_f64 v[2:3], v[4:5], v[18:19]
	s_waitcnt vmcnt(0)
	v_add_f64 v[2:3], v[36:37], -v[2:3]
	v_add_f64 v[4:5], v[38:39], -v[6:7]
	scratch_store_dwordx4 off, v[2:5], off offset:496
	s_and_saveexec_b64 s[0:1], vcc
	s_cbranch_execz .LBB38_189
; %bb.188:
	scratch_load_dwordx4 v[2:5], off, s42
	v_mov_b32_e32 v6, 0
	v_mov_b32_e32 v7, v6
	;; [unrolled: 1-line block ×4, first 2 shown]
	scratch_store_dwordx4 off, v[6:9], off offset:480
	s_waitcnt vmcnt(1)
	ds_write_b128 v1, v[2:5]
.LBB38_189:
	s_or_b64 exec, exec, s[0:1]
	v_mov_b32_e32 v2, 0
	s_waitcnt lgkmcnt(0)
	; wave barrier
	ds_read_b128 v[4:7], v2 offset:1104
	ds_read_b128 v[8:11], v2 offset:1120
	ds_read_b128 v[12:15], v2 offset:1136
	ds_read_b128 v[16:19], v2 offset:1152
	scratch_load_dwordx4 v[20:23], off, off offset:496
	scratch_load_dwordx4 v[40:43], off, off offset:560
	;; [unrolled: 1-line block ×3, first 2 shown]
	v_cmp_lt_u32_e32 vcc, 28, v0
	scratch_load_dwordx4 v[48:51], off, off offset:576
	scratch_load_dwordx4 v[56:59], off, off offset:592
	;; [unrolled: 1-line block ×3, first 2 shown]
	s_waitcnt vmcnt(5) lgkmcnt(3)
	v_mul_f64 v[24:25], v[4:5], v[22:23]
	v_fmac_f64_e32 v[24:25], v[6:7], v[20:21]
	v_add_f64 v[28:29], v[24:25], 0
	scratch_load_dwordx4 v[24:27], off, off offset:512
	v_mul_f64 v[6:7], v[6:7], v[22:23]
	v_fma_f64 v[4:5], v[4:5], v[20:21], -v[6:7]
	v_add_f64 v[4:5], v[4:5], 0
	s_waitcnt vmcnt(0) lgkmcnt(2)
	v_mul_f64 v[30:31], v[8:9], v[26:27]
	v_fmac_f64_e32 v[30:31], v[10:11], v[24:25]
	v_add_f64 v[32:33], v[28:29], v[30:31]
	scratch_load_dwordx4 v[28:31], off, off offset:528
	v_mul_f64 v[6:7], v[10:11], v[26:27]
	v_fma_f64 v[6:7], v[8:9], v[24:25], -v[6:7]
	v_add_f64 v[4:5], v[4:5], v[6:7]
	;; [unrolled: 8-line block ×3, first 2 shown]
	s_waitcnt vmcnt(0) lgkmcnt(0)
	v_mul_f64 v[38:39], v[16:17], v[34:35]
	v_fmac_f64_e32 v[38:39], v[18:19], v[32:33]
	v_add_f64 v[44:45], v[36:37], v[38:39]
	ds_read_b128 v[36:39], v2 offset:1168
	v_mul_f64 v[6:7], v[18:19], v[34:35]
	v_fma_f64 v[6:7], v[16:17], v[32:33], -v[6:7]
	v_add_f64 v[4:5], v[4:5], v[6:7]
	s_waitcnt lgkmcnt(0)
	v_mul_f64 v[46:47], v[36:37], v[42:43]
	v_fmac_f64_e32 v[46:47], v[38:39], v[40:41]
	v_add_f64 v[52:53], v[44:45], v[46:47]
	ds_read_b128 v[44:47], v2 offset:1184
	v_mul_f64 v[6:7], v[38:39], v[42:43]
	v_fma_f64 v[6:7], v[36:37], v[40:41], -v[6:7]
	v_add_f64 v[4:5], v[4:5], v[6:7]
	s_waitcnt lgkmcnt(0)
	;; [unrolled: 8-line block ×5, first 2 shown]
	v_mul_f64 v[6:7], v[70:71], v[74:75]
	v_fma_f64 v[6:7], v[68:69], v[72:73], -v[6:7]
	v_add_f64 v[8:9], v[4:5], v[6:7]
	scratch_load_dwordx4 v[4:7], off, off offset:480
	v_mul_f64 v[78:79], v[68:69], v[74:75]
	v_fmac_f64_e32 v[78:79], v[70:71], v[72:73]
	v_add_f64 v[76:77], v[76:77], v[78:79]
	s_waitcnt vmcnt(0)
	v_add_f64 v[4:5], v[4:5], -v[8:9]
	v_add_f64 v[6:7], v[6:7], -v[76:77]
	scratch_store_dwordx4 off, v[4:7], off offset:480
	s_and_saveexec_b64 s[0:1], vcc
	s_cbranch_execz .LBB38_191
; %bb.190:
	scratch_load_dwordx4 v[6:9], off, s41
	v_mov_b32_e32 v3, v2
	v_mov_b32_e32 v4, v2
	;; [unrolled: 1-line block ×3, first 2 shown]
	scratch_store_dwordx4 off, v[2:5], off offset:464
	s_waitcnt vmcnt(1)
	ds_write_b128 v1, v[6:9]
.LBB38_191:
	s_or_b64 exec, exec, s[0:1]
	s_waitcnt lgkmcnt(0)
	; wave barrier
	ds_read_b128 v[4:7], v2 offset:1088
	ds_read_b128 v[8:11], v2 offset:1104
	;; [unrolled: 1-line block ×4, first 2 shown]
	scratch_load_dwordx4 v[20:23], off, off offset:480
	scratch_load_dwordx4 v[40:43], off, off offset:544
	;; [unrolled: 1-line block ×4, first 2 shown]
	v_cmp_lt_u32_e32 vcc, 27, v0
	scratch_load_dwordx4 v[48:51], off, off offset:560
	scratch_load_dwordx4 v[56:59], off, off offset:576
	;; [unrolled: 1-line block ×3, first 2 shown]
	s_waitcnt vmcnt(6) lgkmcnt(3)
	v_mul_f64 v[24:25], v[4:5], v[22:23]
	v_fmac_f64_e32 v[24:25], v[6:7], v[20:21]
	v_add_f64 v[28:29], v[24:25], 0
	scratch_load_dwordx4 v[24:27], off, off offset:496
	s_waitcnt vmcnt(0) lgkmcnt(2)
	v_mul_f64 v[30:31], v[8:9], v[26:27]
	v_fmac_f64_e32 v[30:31], v[10:11], v[24:25]
	v_add_f64 v[32:33], v[28:29], v[30:31]
	scratch_load_dwordx4 v[28:31], off, off offset:512
	;; [unrolled: 5-line block ×3, first 2 shown]
	s_waitcnt vmcnt(0) lgkmcnt(0)
	v_mul_f64 v[38:39], v[16:17], v[34:35]
	v_fmac_f64_e32 v[38:39], v[18:19], v[32:33]
	v_add_f64 v[44:45], v[36:37], v[38:39]
	ds_read_b128 v[36:39], v2 offset:1152
	s_waitcnt lgkmcnt(0)
	v_mul_f64 v[46:47], v[36:37], v[42:43]
	v_fmac_f64_e32 v[46:47], v[38:39], v[40:41]
	v_add_f64 v[52:53], v[44:45], v[46:47]
	ds_read_b128 v[44:47], v2 offset:1168
	s_waitcnt lgkmcnt(0)
	;; [unrolled: 5-line block ×6, first 2 shown]
	v_mul_f64 v[2:3], v[76:77], v[82:83]
	v_fmac_f64_e32 v[2:3], v[78:79], v[80:81]
	v_add_f64 v[84:85], v[84:85], v[2:3]
	v_mul_f64 v[2:3], v[6:7], v[22:23]
	v_fma_f64 v[2:3], v[4:5], v[20:21], -v[2:3]
	v_mul_f64 v[4:5], v[10:11], v[26:27]
	v_add_f64 v[2:3], v[2:3], 0
	v_fma_f64 v[4:5], v[8:9], v[24:25], -v[4:5]
	v_add_f64 v[2:3], v[2:3], v[4:5]
	v_mul_f64 v[4:5], v[14:15], v[30:31]
	v_fma_f64 v[4:5], v[12:13], v[28:29], -v[4:5]
	v_add_f64 v[2:3], v[2:3], v[4:5]
	v_mul_f64 v[4:5], v[18:19], v[34:35]
	v_fma_f64 v[4:5], v[16:17], v[32:33], -v[4:5]
	v_add_f64 v[2:3], v[2:3], v[4:5]
	v_mul_f64 v[4:5], v[38:39], v[42:43]
	v_fma_f64 v[4:5], v[36:37], v[40:41], -v[4:5]
	v_add_f64 v[2:3], v[2:3], v[4:5]
	v_mul_f64 v[4:5], v[46:47], v[50:51]
	v_fma_f64 v[4:5], v[44:45], v[48:49], -v[4:5]
	v_add_f64 v[2:3], v[2:3], v[4:5]
	v_mul_f64 v[4:5], v[54:55], v[58:59]
	v_fma_f64 v[4:5], v[52:53], v[56:57], -v[4:5]
	v_add_f64 v[2:3], v[2:3], v[4:5]
	v_mul_f64 v[4:5], v[62:63], v[66:67]
	v_fma_f64 v[4:5], v[60:61], v[64:65], -v[4:5]
	v_add_f64 v[2:3], v[2:3], v[4:5]
	v_mul_f64 v[4:5], v[70:71], v[74:75]
	v_fma_f64 v[4:5], v[68:69], v[72:73], -v[4:5]
	v_add_f64 v[2:3], v[2:3], v[4:5]
	v_mul_f64 v[4:5], v[78:79], v[82:83]
	v_fma_f64 v[4:5], v[76:77], v[80:81], -v[4:5]
	v_add_f64 v[6:7], v[2:3], v[4:5]
	scratch_load_dwordx4 v[2:5], off, off offset:464
	s_waitcnt vmcnt(0)
	v_add_f64 v[2:3], v[2:3], -v[6:7]
	v_add_f64 v[4:5], v[4:5], -v[84:85]
	scratch_store_dwordx4 off, v[2:5], off offset:464
	s_and_saveexec_b64 s[0:1], vcc
	s_cbranch_execz .LBB38_193
; %bb.192:
	scratch_load_dwordx4 v[2:5], off, s40
	v_mov_b32_e32 v6, 0
	v_mov_b32_e32 v7, v6
	;; [unrolled: 1-line block ×4, first 2 shown]
	scratch_store_dwordx4 off, v[6:9], off offset:448
	s_waitcnt vmcnt(1)
	ds_write_b128 v1, v[2:5]
.LBB38_193:
	s_or_b64 exec, exec, s[0:1]
	s_waitcnt lgkmcnt(0)
	; wave barrier
	scratch_load_dwordx4 v[4:7], off, off offset:464
	scratch_load_dwordx4 v[8:11], off, off offset:480
	;; [unrolled: 1-line block ×12, first 2 shown]
	v_mov_b32_e32 v2, 0
	ds_read_b128 v[52:55], v2 offset:1072
	ds_read_b128 v[56:59], v2 offset:1088
	;; [unrolled: 1-line block ×11, first 2 shown]
	v_cmp_lt_u32_e32 vcc, 26, v0
	s_waitcnt vmcnt(11) lgkmcnt(10)
	v_mul_f64 v[96:97], v[52:53], v[6:7]
	v_mul_f64 v[6:7], v[54:55], v[6:7]
	s_waitcnt vmcnt(10) lgkmcnt(9)
	v_mul_f64 v[98:99], v[56:57], v[10:11]
	s_waitcnt vmcnt(9) lgkmcnt(8)
	v_mul_f64 v[100:101], v[60:61], v[14:15]
	v_mul_f64 v[10:11], v[58:59], v[10:11]
	s_waitcnt vmcnt(6) lgkmcnt(5)
	v_mul_f64 v[106:107], v[72:73], v[26:27]
	v_mul_f64 v[14:15], v[62:63], v[14:15]
	;; [unrolled: 1-line block ×3, first 2 shown]
	v_fmac_f64_e32 v[96:97], v[54:55], v[4:5]
	v_fma_f64 v[4:5], v[52:53], v[4:5], -v[6:7]
	v_fmac_f64_e32 v[98:99], v[58:59], v[8:9]
	v_fma_f64 v[6:7], v[56:57], v[8:9], -v[10:11]
	v_fma_f64 v[8:9], v[60:61], v[12:13], -v[14:15]
	;; [unrolled: 1-line block ×3, first 2 shown]
	v_add_f64 v[26:27], v[96:97], 0
	v_add_f64 v[4:5], v[4:5], 0
	v_mul_f64 v[102:103], v[64:65], v[18:19]
	v_mul_f64 v[18:19], v[66:67], v[18:19]
	v_fmac_f64_e32 v[100:101], v[62:63], v[12:13]
	v_add_f64 v[26:27], v[26:27], v[98:99]
	v_add_f64 v[4:5], v[4:5], v[6:7]
	v_mul_f64 v[104:105], v[68:69], v[22:23]
	v_mul_f64 v[22:23], v[70:71], v[22:23]
	v_fmac_f64_e32 v[102:103], v[66:67], v[16:17]
	v_fma_f64 v[10:11], v[64:65], v[16:17], -v[18:19]
	v_add_f64 v[6:7], v[26:27], v[100:101]
	v_add_f64 v[4:5], v[4:5], v[8:9]
	v_fmac_f64_e32 v[104:105], v[70:71], v[20:21]
	v_fma_f64 v[12:13], v[68:69], v[20:21], -v[22:23]
	v_add_f64 v[6:7], v[6:7], v[102:103]
	v_add_f64 v[4:5], v[4:5], v[10:11]
	s_waitcnt vmcnt(5) lgkmcnt(4)
	v_mul_f64 v[108:109], v[76:77], v[30:31]
	v_mul_f64 v[30:31], v[78:79], v[30:31]
	v_fmac_f64_e32 v[106:107], v[74:75], v[24:25]
	v_add_f64 v[6:7], v[6:7], v[104:105]
	v_add_f64 v[4:5], v[4:5], v[12:13]
	s_waitcnt vmcnt(4) lgkmcnt(3)
	v_mul_f64 v[110:111], v[80:81], v[34:35]
	v_mul_f64 v[34:35], v[82:83], v[34:35]
	v_fmac_f64_e32 v[108:109], v[78:79], v[28:29]
	v_fma_f64 v[16:17], v[76:77], v[28:29], -v[30:31]
	v_add_f64 v[6:7], v[6:7], v[106:107]
	v_add_f64 v[4:5], v[4:5], v[14:15]
	s_waitcnt vmcnt(3) lgkmcnt(2)
	v_mul_f64 v[112:113], v[84:85], v[38:39]
	v_mul_f64 v[38:39], v[86:87], v[38:39]
	v_fmac_f64_e32 v[110:111], v[82:83], v[32:33]
	v_fma_f64 v[18:19], v[80:81], v[32:33], -v[34:35]
	;; [unrolled: 7-line block ×4, first 2 shown]
	v_add_f64 v[6:7], v[6:7], v[112:113]
	v_add_f64 v[4:5], v[4:5], v[20:21]
	v_fmac_f64_e32 v[116:117], v[94:95], v[44:45]
	v_fma_f64 v[24:25], v[92:93], v[44:45], -v[46:47]
	v_add_f64 v[6:7], v[6:7], v[114:115]
	v_add_f64 v[4:5], v[4:5], v[22:23]
	;; [unrolled: 1-line block ×4, first 2 shown]
	s_waitcnt vmcnt(0)
	v_add_f64 v[4:5], v[48:49], -v[4:5]
	v_add_f64 v[6:7], v[50:51], -v[6:7]
	scratch_store_dwordx4 off, v[4:7], off offset:448
	s_and_saveexec_b64 s[0:1], vcc
	s_cbranch_execz .LBB38_195
; %bb.194:
	scratch_load_dwordx4 v[6:9], off, s39
	v_mov_b32_e32 v3, v2
	v_mov_b32_e32 v4, v2
	;; [unrolled: 1-line block ×3, first 2 shown]
	scratch_store_dwordx4 off, v[2:5], off offset:432
	s_waitcnt vmcnt(1)
	ds_write_b128 v1, v[6:9]
.LBB38_195:
	s_or_b64 exec, exec, s[0:1]
	s_waitcnt lgkmcnt(0)
	; wave barrier
	scratch_load_dwordx4 v[4:7], off, off offset:448
	scratch_load_dwordx4 v[8:11], off, off offset:464
	;; [unrolled: 1-line block ×12, first 2 shown]
	ds_read_b128 v[52:55], v2 offset:1056
	ds_read_b128 v[56:59], v2 offset:1072
	;; [unrolled: 1-line block ×4, first 2 shown]
	scratch_load_dwordx4 v[68:71], off, off offset:432
	ds_read_b128 v[72:75], v2 offset:1120
	ds_read_b128 v[76:79], v2 offset:1136
	;; [unrolled: 1-line block ×8, first 2 shown]
	v_cmp_lt_u32_e32 vcc, 25, v0
	s_waitcnt vmcnt(12) lgkmcnt(11)
	v_mul_f64 v[2:3], v[52:53], v[6:7]
	s_waitcnt vmcnt(11) lgkmcnt(10)
	v_mul_f64 v[104:105], v[56:57], v[10:11]
	v_fmac_f64_e32 v[2:3], v[54:55], v[4:5]
	s_waitcnt vmcnt(10) lgkmcnt(9)
	v_mul_f64 v[106:107], v[60:61], v[14:15]
	v_mul_f64 v[6:7], v[54:55], v[6:7]
	v_fmac_f64_e32 v[104:105], v[58:59], v[8:9]
	v_add_f64 v[2:3], v[2:3], 0
	s_waitcnt vmcnt(9) lgkmcnt(8)
	v_mul_f64 v[108:109], v[64:65], v[18:19]
	v_mul_f64 v[10:11], v[58:59], v[10:11]
	v_fmac_f64_e32 v[106:107], v[62:63], v[12:13]
	v_fma_f64 v[4:5], v[52:53], v[4:5], -v[6:7]
	v_add_f64 v[2:3], v[2:3], v[104:105]
	s_waitcnt vmcnt(8) lgkmcnt(7)
	v_mul_f64 v[110:111], v[72:73], v[22:23]
	v_mul_f64 v[14:15], v[62:63], v[14:15]
	v_fmac_f64_e32 v[108:109], v[66:67], v[16:17]
	v_fma_f64 v[6:7], v[56:57], v[8:9], -v[10:11]
	v_add_f64 v[4:5], v[4:5], 0
	v_add_f64 v[2:3], v[2:3], v[106:107]
	s_waitcnt vmcnt(7) lgkmcnt(6)
	v_mul_f64 v[112:113], v[76:77], v[26:27]
	v_mul_f64 v[18:19], v[66:67], v[18:19]
	v_fmac_f64_e32 v[110:111], v[74:75], v[20:21]
	v_fma_f64 v[8:9], v[60:61], v[12:13], -v[14:15]
	v_add_f64 v[4:5], v[4:5], v[6:7]
	;; [unrolled: 7-line block ×8, first 2 shown]
	v_add_f64 v[2:3], v[2:3], v[120:121]
	v_mul_f64 v[46:47], v[98:99], v[46:47]
	v_fmac_f64_e32 v[124:125], v[102:103], v[48:49]
	v_fma_f64 v[22:23], v[92:93], v[40:41], -v[42:43]
	v_add_f64 v[4:5], v[4:5], v[20:21]
	v_add_f64 v[2:3], v[2:3], v[122:123]
	;; [unrolled: 1-line block ×4, first 2 shown]
	v_fma_f64 v[2:3], v[96:97], v[44:45], -v[46:47]
	v_add_f64 v[2:3], v[4:5], v[2:3]
	v_mul_f64 v[4:5], v[102:103], v[50:51]
	v_fma_f64 v[4:5], v[100:101], v[48:49], -v[4:5]
	v_add_f64 v[2:3], v[2:3], v[4:5]
	s_waitcnt vmcnt(0)
	v_add_f64 v[2:3], v[68:69], -v[2:3]
	v_add_f64 v[4:5], v[70:71], -v[6:7]
	scratch_store_dwordx4 off, v[2:5], off offset:432
	s_and_saveexec_b64 s[0:1], vcc
	s_cbranch_execz .LBB38_197
; %bb.196:
	scratch_load_dwordx4 v[2:5], off, s38
	v_mov_b32_e32 v6, 0
	v_mov_b32_e32 v7, v6
	;; [unrolled: 1-line block ×4, first 2 shown]
	scratch_store_dwordx4 off, v[6:9], off offset:416
	s_waitcnt vmcnt(1)
	ds_write_b128 v1, v[2:5]
.LBB38_197:
	s_or_b64 exec, exec, s[0:1]
	s_waitcnt lgkmcnt(0)
	; wave barrier
	scratch_load_dwordx4 v[4:7], off, off offset:432
	scratch_load_dwordx4 v[8:11], off, off offset:448
	;; [unrolled: 1-line block ×14, first 2 shown]
	v_mov_b32_e32 v2, 0
	ds_read_b128 v[60:63], v2 offset:1040
	ds_read_b128 v[64:67], v2 offset:1056
	;; [unrolled: 1-line block ×13, first 2 shown]
	v_cmp_lt_u32_e32 vcc, 24, v0
	s_waitcnt vmcnt(13) lgkmcnt(12)
	v_mul_f64 v[112:113], v[60:61], v[6:7]
	v_mul_f64 v[6:7], v[62:63], v[6:7]
	s_waitcnt vmcnt(12) lgkmcnt(11)
	v_mul_f64 v[114:115], v[64:65], v[10:11]
	v_mul_f64 v[10:11], v[66:67], v[10:11]
	v_fmac_f64_e32 v[112:113], v[62:63], v[4:5]
	v_fma_f64 v[4:5], v[60:61], v[4:5], -v[6:7]
	s_waitcnt vmcnt(11) lgkmcnt(10)
	v_mul_f64 v[116:117], v[68:69], v[14:15]
	v_mul_f64 v[14:15], v[70:71], v[14:15]
	v_fma_f64 v[6:7], v[64:65], v[8:9], -v[10:11]
	v_add_f64 v[4:5], v[4:5], 0
	s_waitcnt vmcnt(10) lgkmcnt(9)
	v_mul_f64 v[118:119], v[72:73], v[18:19]
	v_mul_f64 v[18:19], v[74:75], v[18:19]
	v_fmac_f64_e32 v[114:115], v[66:67], v[8:9]
	v_fma_f64 v[8:9], v[68:69], v[12:13], -v[14:15]
	v_add_f64 v[4:5], v[4:5], v[6:7]
	s_waitcnt vmcnt(9) lgkmcnt(8)
	v_mul_f64 v[120:121], v[76:77], v[22:23]
	v_mul_f64 v[22:23], v[78:79], v[22:23]
	v_fma_f64 v[10:11], v[72:73], v[16:17], -v[18:19]
	v_add_f64 v[4:5], v[4:5], v[8:9]
	s_waitcnt vmcnt(8) lgkmcnt(7)
	v_mul_f64 v[122:123], v[80:81], v[26:27]
	v_mul_f64 v[26:27], v[82:83], v[26:27]
	v_fmac_f64_e32 v[116:117], v[70:71], v[12:13]
	v_fma_f64 v[12:13], v[76:77], v[20:21], -v[22:23]
	v_add_f64 v[22:23], v[112:113], 0
	v_add_f64 v[4:5], v[4:5], v[10:11]
	s_waitcnt vmcnt(7) lgkmcnt(6)
	v_mul_f64 v[124:125], v[84:85], v[30:31]
	v_mul_f64 v[30:31], v[86:87], v[30:31]
	v_fma_f64 v[14:15], v[80:81], v[24:25], -v[26:27]
	v_add_f64 v[22:23], v[22:23], v[114:115]
	v_add_f64 v[4:5], v[4:5], v[12:13]
	s_waitcnt vmcnt(6) lgkmcnt(5)
	v_mul_f64 v[126:127], v[88:89], v[34:35]
	v_mul_f64 v[34:35], v[90:91], v[34:35]
	v_fmac_f64_e32 v[118:119], v[74:75], v[16:17]
	v_fma_f64 v[16:17], v[84:85], v[28:29], -v[30:31]
	v_add_f64 v[6:7], v[22:23], v[116:117]
	v_add_f64 v[4:5], v[4:5], v[14:15]
	s_waitcnt vmcnt(5) lgkmcnt(4)
	v_mul_f64 v[128:129], v[92:93], v[38:39]
	v_mul_f64 v[38:39], v[94:95], v[38:39]
	v_fmac_f64_e32 v[120:121], v[78:79], v[20:21]
	v_fma_f64 v[18:19], v[88:89], v[32:33], -v[34:35]
	v_add_f64 v[6:7], v[6:7], v[118:119]
	v_add_f64 v[4:5], v[4:5], v[16:17]
	v_fmac_f64_e32 v[122:123], v[82:83], v[24:25]
	v_fma_f64 v[20:21], v[92:93], v[36:37], -v[38:39]
	v_add_f64 v[6:7], v[6:7], v[120:121]
	v_add_f64 v[4:5], v[4:5], v[18:19]
	s_waitcnt vmcnt(4) lgkmcnt(3)
	v_mul_f64 v[8:9], v[98:99], v[42:43]
	v_fmac_f64_e32 v[124:125], v[86:87], v[28:29]
	v_add_f64 v[6:7], v[6:7], v[122:123]
	v_add_f64 v[4:5], v[4:5], v[20:21]
	v_fma_f64 v[8:9], v[96:97], v[40:41], -v[8:9]
	v_fmac_f64_e32 v[126:127], v[90:91], v[32:33]
	v_add_f64 v[6:7], v[6:7], v[124:125]
	v_add_f64 v[4:5], v[4:5], v[8:9]
	s_waitcnt vmcnt(3) lgkmcnt(2)
	v_mul_f64 v[8:9], v[102:103], v[46:47]
	v_mul_f64 v[130:131], v[96:97], v[42:43]
	v_fmac_f64_e32 v[128:129], v[94:95], v[36:37]
	v_add_f64 v[6:7], v[6:7], v[126:127]
	v_fma_f64 v[8:9], v[100:101], v[44:45], -v[8:9]
	v_mul_f64 v[132:133], v[100:101], v[46:47]
	v_fmac_f64_e32 v[130:131], v[98:99], v[40:41]
	v_add_f64 v[6:7], v[6:7], v[128:129]
	v_add_f64 v[4:5], v[4:5], v[8:9]
	s_waitcnt vmcnt(2) lgkmcnt(1)
	v_mul_f64 v[8:9], v[106:107], v[50:51]
	v_mul_f64 v[134:135], v[104:105], v[50:51]
	v_fmac_f64_e32 v[132:133], v[102:103], v[44:45]
	v_add_f64 v[6:7], v[6:7], v[130:131]
	v_fma_f64 v[8:9], v[104:105], v[48:49], -v[8:9]
	s_waitcnt vmcnt(1) lgkmcnt(0)
	v_mul_f64 v[136:137], v[108:109], v[54:55]
	v_fmac_f64_e32 v[134:135], v[106:107], v[48:49]
	v_add_f64 v[6:7], v[6:7], v[132:133]
	v_add_f64 v[4:5], v[4:5], v[8:9]
	v_mul_f64 v[8:9], v[110:111], v[54:55]
	v_fmac_f64_e32 v[136:137], v[110:111], v[52:53]
	v_add_f64 v[6:7], v[6:7], v[134:135]
	v_fma_f64 v[8:9], v[108:109], v[52:53], -v[8:9]
	v_add_f64 v[6:7], v[6:7], v[136:137]
	v_add_f64 v[4:5], v[4:5], v[8:9]
	s_waitcnt vmcnt(0)
	v_add_f64 v[4:5], v[56:57], -v[4:5]
	v_add_f64 v[6:7], v[58:59], -v[6:7]
	scratch_store_dwordx4 off, v[4:7], off offset:416
	s_and_saveexec_b64 s[0:1], vcc
	s_cbranch_execz .LBB38_199
; %bb.198:
	scratch_load_dwordx4 v[6:9], off, s37
	v_mov_b32_e32 v3, v2
	v_mov_b32_e32 v4, v2
	;; [unrolled: 1-line block ×3, first 2 shown]
	scratch_store_dwordx4 off, v[2:5], off offset:400
	s_waitcnt vmcnt(1)
	ds_write_b128 v1, v[6:9]
.LBB38_199:
	s_or_b64 exec, exec, s[0:1]
	s_waitcnt lgkmcnt(0)
	; wave barrier
	scratch_load_dwordx4 v[4:7], off, off offset:416
	scratch_load_dwordx4 v[8:11], off, off offset:432
	scratch_load_dwordx4 v[12:15], off, off offset:448
	scratch_load_dwordx4 v[16:19], off, off offset:464
	scratch_load_dwordx4 v[20:23], off, off offset:480
	scratch_load_dwordx4 v[24:27], off, off offset:496
	scratch_load_dwordx4 v[28:31], off, off offset:512
	scratch_load_dwordx4 v[32:35], off, off offset:528
	scratch_load_dwordx4 v[36:39], off, off offset:544
	scratch_load_dwordx4 v[40:43], off, off offset:560
	scratch_load_dwordx4 v[44:47], off, off offset:576
	scratch_load_dwordx4 v[48:51], off, off offset:592
	scratch_load_dwordx4 v[52:55], off, off offset:608
	scratch_load_dwordx4 v[56:59], off, off offset:624
	ds_read_b128 v[60:63], v2 offset:1024
	ds_read_b128 v[64:67], v2 offset:1040
	;; [unrolled: 1-line block ×14, first 2 shown]
	scratch_load_dwordx4 v[116:119], off, off offset:400
	v_cmp_lt_u32_e32 vcc, 23, v0
	s_waitcnt vmcnt(14) lgkmcnt(13)
	v_mul_f64 v[2:3], v[60:61], v[6:7]
	s_waitcnt vmcnt(13) lgkmcnt(12)
	v_mul_f64 v[120:121], v[64:65], v[10:11]
	v_fmac_f64_e32 v[2:3], v[62:63], v[4:5]
	s_waitcnt vmcnt(12) lgkmcnt(11)
	v_mul_f64 v[122:123], v[68:69], v[14:15]
	v_fmac_f64_e32 v[120:121], v[66:67], v[8:9]
	v_add_f64 v[2:3], v[2:3], 0
	s_waitcnt vmcnt(11) lgkmcnt(10)
	v_mul_f64 v[124:125], v[72:73], v[18:19]
	v_fmac_f64_e32 v[122:123], v[70:71], v[12:13]
	v_add_f64 v[2:3], v[2:3], v[120:121]
	;; [unrolled: 4-line block ×4, first 2 shown]
	s_waitcnt vmcnt(8) lgkmcnt(7)
	v_mul_f64 v[130:131], v[84:85], v[30:31]
	v_mul_f64 v[6:7], v[62:63], v[6:7]
	v_fmac_f64_e32 v[128:129], v[82:83], v[24:25]
	v_add_f64 v[2:3], v[2:3], v[126:127]
	s_waitcnt vmcnt(7) lgkmcnt(6)
	v_mul_f64 v[132:133], v[88:89], v[34:35]
	v_mul_f64 v[10:11], v[66:67], v[10:11]
	v_fmac_f64_e32 v[130:131], v[86:87], v[28:29]
	v_fma_f64 v[4:5], v[60:61], v[4:5], -v[6:7]
	v_add_f64 v[2:3], v[2:3], v[128:129]
	s_waitcnt vmcnt(6) lgkmcnt(5)
	v_mul_f64 v[134:135], v[92:93], v[38:39]
	v_mul_f64 v[14:15], v[70:71], v[14:15]
	v_fmac_f64_e32 v[132:133], v[90:91], v[32:33]
	v_fma_f64 v[6:7], v[64:65], v[8:9], -v[10:11]
	v_add_f64 v[4:5], v[4:5], 0
	v_add_f64 v[2:3], v[2:3], v[130:131]
	s_waitcnt vmcnt(5) lgkmcnt(4)
	v_mul_f64 v[136:137], v[96:97], v[42:43]
	v_mul_f64 v[18:19], v[74:75], v[18:19]
	v_fmac_f64_e32 v[134:135], v[94:95], v[36:37]
	v_fma_f64 v[8:9], v[68:69], v[12:13], -v[14:15]
	v_add_f64 v[4:5], v[4:5], v[6:7]
	;; [unrolled: 7-line block ×6, first 2 shown]
	v_add_f64 v[2:3], v[2:3], v[140:141]
	v_fmac_f64_e32 v[144:145], v[114:115], v[56:57]
	v_fma_f64 v[18:19], v[88:89], v[32:33], -v[34:35]
	v_add_f64 v[4:5], v[4:5], v[16:17]
	v_add_f64 v[2:3], v[2:3], v[142:143]
	;; [unrolled: 1-line block ×4, first 2 shown]
	v_mul_f64 v[4:5], v[94:95], v[38:39]
	v_fma_f64 v[4:5], v[92:93], v[36:37], -v[4:5]
	v_add_f64 v[2:3], v[2:3], v[4:5]
	v_mul_f64 v[4:5], v[98:99], v[42:43]
	v_fma_f64 v[4:5], v[96:97], v[40:41], -v[4:5]
	v_add_f64 v[2:3], v[2:3], v[4:5]
	;; [unrolled: 3-line block ×6, first 2 shown]
	s_waitcnt vmcnt(0)
	v_add_f64 v[2:3], v[116:117], -v[2:3]
	v_add_f64 v[4:5], v[118:119], -v[6:7]
	scratch_store_dwordx4 off, v[2:5], off offset:400
	s_and_saveexec_b64 s[0:1], vcc
	s_cbranch_execz .LBB38_201
; %bb.200:
	scratch_load_dwordx4 v[2:5], off, s36
	v_mov_b32_e32 v6, 0
	v_mov_b32_e32 v7, v6
	;; [unrolled: 1-line block ×4, first 2 shown]
	scratch_store_dwordx4 off, v[6:9], off offset:384
	s_waitcnt vmcnt(1)
	ds_write_b128 v1, v[2:5]
.LBB38_201:
	s_or_b64 exec, exec, s[0:1]
	s_waitcnt lgkmcnt(0)
	; wave barrier
	scratch_load_dwordx4 v[4:7], off, off offset:400
	scratch_load_dwordx4 v[8:11], off, off offset:416
	;; [unrolled: 1-line block ×16, first 2 shown]
	v_mov_b32_e32 v2, 0
	ds_read_b128 v[68:71], v2 offset:1008
	ds_read_b128 v[72:75], v2 offset:1024
	;; [unrolled: 1-line block ×15, first 2 shown]
	v_cmp_lt_u32_e32 vcc, 22, v0
	s_waitcnt vmcnt(15) lgkmcnt(14)
	v_mul_f64 v[128:129], v[68:69], v[6:7]
	v_mul_f64 v[6:7], v[70:71], v[6:7]
	s_waitcnt vmcnt(14) lgkmcnt(13)
	v_mul_f64 v[130:131], v[72:73], v[10:11]
	v_mul_f64 v[10:11], v[74:75], v[10:11]
	v_fmac_f64_e32 v[128:129], v[70:71], v[4:5]
	v_fma_f64 v[4:5], v[68:69], v[4:5], -v[6:7]
	s_waitcnt vmcnt(13) lgkmcnt(12)
	v_mul_f64 v[132:133], v[76:77], v[14:15]
	v_mul_f64 v[14:15], v[78:79], v[14:15]
	v_fma_f64 v[6:7], v[72:73], v[8:9], -v[10:11]
	v_add_f64 v[4:5], v[4:5], 0
	s_waitcnt vmcnt(12) lgkmcnt(11)
	v_mul_f64 v[134:135], v[80:81], v[18:19]
	v_mul_f64 v[18:19], v[82:83], v[18:19]
	v_fmac_f64_e32 v[130:131], v[74:75], v[8:9]
	v_fma_f64 v[8:9], v[76:77], v[12:13], -v[14:15]
	v_add_f64 v[4:5], v[4:5], v[6:7]
	s_waitcnt vmcnt(11) lgkmcnt(10)
	v_mul_f64 v[136:137], v[84:85], v[22:23]
	v_mul_f64 v[22:23], v[86:87], v[22:23]
	v_fma_f64 v[10:11], v[80:81], v[16:17], -v[18:19]
	v_add_f64 v[4:5], v[4:5], v[8:9]
	s_waitcnt vmcnt(10) lgkmcnt(9)
	v_mul_f64 v[138:139], v[88:89], v[26:27]
	v_mul_f64 v[26:27], v[90:91], v[26:27]
	v_fmac_f64_e32 v[132:133], v[78:79], v[12:13]
	v_fma_f64 v[12:13], v[84:85], v[20:21], -v[22:23]
	v_add_f64 v[4:5], v[4:5], v[10:11]
	v_fma_f64 v[14:15], v[88:89], v[24:25], -v[26:27]
	v_add_f64 v[4:5], v[4:5], v[12:13]
	s_waitcnt vmcnt(9) lgkmcnt(8)
	v_mul_f64 v[8:9], v[94:95], v[30:31]
	v_add_f64 v[4:5], v[4:5], v[14:15]
	v_fma_f64 v[8:9], v[92:93], v[28:29], -v[8:9]
	v_add_f64 v[4:5], v[4:5], v[8:9]
	s_waitcnt vmcnt(8) lgkmcnt(7)
	v_mul_f64 v[8:9], v[98:99], v[34:35]
	v_fma_f64 v[8:9], v[96:97], v[32:33], -v[8:9]
	v_fmac_f64_e32 v[134:135], v[82:83], v[16:17]
	v_add_f64 v[16:17], v[128:129], 0
	v_add_f64 v[4:5], v[4:5], v[8:9]
	s_waitcnt vmcnt(7) lgkmcnt(6)
	v_mul_f64 v[8:9], v[102:103], v[38:39]
	v_add_f64 v[16:17], v[16:17], v[130:131]
	v_fma_f64 v[8:9], v[100:101], v[36:37], -v[8:9]
	v_add_f64 v[6:7], v[16:17], v[132:133]
	v_add_f64 v[4:5], v[4:5], v[8:9]
	s_waitcnt vmcnt(6) lgkmcnt(5)
	v_mul_f64 v[8:9], v[106:107], v[42:43]
	v_fmac_f64_e32 v[136:137], v[86:87], v[20:21]
	v_add_f64 v[6:7], v[6:7], v[134:135]
	v_fma_f64 v[8:9], v[104:105], v[40:41], -v[8:9]
	v_mul_f64 v[140:141], v[92:93], v[30:31]
	v_fmac_f64_e32 v[138:139], v[90:91], v[24:25]
	v_add_f64 v[6:7], v[6:7], v[136:137]
	v_add_f64 v[4:5], v[4:5], v[8:9]
	s_waitcnt vmcnt(5) lgkmcnt(4)
	v_mul_f64 v[8:9], v[110:111], v[46:47]
	v_mul_f64 v[142:143], v[96:97], v[34:35]
	v_fmac_f64_e32 v[140:141], v[94:95], v[28:29]
	v_add_f64 v[6:7], v[6:7], v[138:139]
	v_fma_f64 v[8:9], v[108:109], v[44:45], -v[8:9]
	v_mul_f64 v[144:145], v[100:101], v[38:39]
	v_fmac_f64_e32 v[142:143], v[98:99], v[32:33]
	v_add_f64 v[6:7], v[6:7], v[140:141]
	v_add_f64 v[4:5], v[4:5], v[8:9]
	s_waitcnt vmcnt(4) lgkmcnt(3)
	v_mul_f64 v[8:9], v[114:115], v[50:51]
	;; [unrolled: 10-line block ×4, first 2 shown]
	v_mul_f64 v[154:155], v[120:121], v[58:59]
	v_fmac_f64_e32 v[152:153], v[118:119], v[52:53]
	v_add_f64 v[6:7], v[6:7], v[150:151]
	v_fma_f64 v[8:9], v[120:121], v[56:57], -v[8:9]
	s_waitcnt vmcnt(1) lgkmcnt(0)
	v_mul_f64 v[156:157], v[124:125], v[62:63]
	v_fmac_f64_e32 v[154:155], v[122:123], v[56:57]
	v_add_f64 v[6:7], v[6:7], v[152:153]
	v_add_f64 v[4:5], v[4:5], v[8:9]
	v_mul_f64 v[8:9], v[126:127], v[62:63]
	v_fmac_f64_e32 v[156:157], v[126:127], v[60:61]
	v_add_f64 v[6:7], v[6:7], v[154:155]
	v_fma_f64 v[8:9], v[124:125], v[60:61], -v[8:9]
	v_add_f64 v[6:7], v[6:7], v[156:157]
	v_add_f64 v[4:5], v[4:5], v[8:9]
	s_waitcnt vmcnt(0)
	v_add_f64 v[4:5], v[64:65], -v[4:5]
	v_add_f64 v[6:7], v[66:67], -v[6:7]
	scratch_store_dwordx4 off, v[4:7], off offset:384
	s_and_saveexec_b64 s[0:1], vcc
	s_cbranch_execz .LBB38_203
; %bb.202:
	scratch_load_dwordx4 v[6:9], off, s35
	v_mov_b32_e32 v3, v2
	v_mov_b32_e32 v4, v2
	;; [unrolled: 1-line block ×3, first 2 shown]
	scratch_store_dwordx4 off, v[2:5], off offset:368
	s_waitcnt vmcnt(1)
	ds_write_b128 v1, v[6:9]
.LBB38_203:
	s_or_b64 exec, exec, s[0:1]
	s_waitcnt lgkmcnt(0)
	; wave barrier
	scratch_load_dwordx4 v[4:7], off, off offset:384
	scratch_load_dwordx4 v[8:11], off, off offset:400
	;; [unrolled: 1-line block ×16, first 2 shown]
	ds_read_b128 v[68:71], v2 offset:992
	ds_read_b128 v[72:75], v2 offset:1008
	ds_read_b128 v[76:79], v2 offset:1024
	ds_read_b128 v[80:83], v2 offset:1040
	ds_read_b128 v[84:87], v2 offset:1056
	ds_read_b128 v[88:91], v2 offset:1072
	ds_read_b128 v[92:95], v2 offset:1088
	ds_read_b128 v[96:99], v2 offset:1104
	ds_read_b128 v[100:103], v2 offset:1120
	ds_read_b128 v[104:107], v2 offset:1136
	ds_read_b128 v[108:111], v2 offset:1152
	ds_read_b128 v[112:115], v2 offset:1168
	ds_read_b128 v[116:119], v2 offset:1184
	ds_read_b128 v[120:123], v2 offset:1200
	ds_read_b128 v[124:127], v2 offset:1216
	ds_read_b128 v[128:131], v2 offset:1232
	scratch_load_dwordx4 v[132:135], off, off offset:368
	v_cmp_lt_u32_e32 vcc, 21, v0
	s_waitcnt vmcnt(16) lgkmcnt(14)
	v_mul_f64 v[2:3], v[68:69], v[6:7]
	s_waitcnt vmcnt(15)
	v_mul_f64 v[136:137], v[72:73], v[10:11]
	v_fmac_f64_e32 v[2:3], v[70:71], v[4:5]
	s_waitcnt vmcnt(14) lgkmcnt(13)
	v_mul_f64 v[138:139], v[76:77], v[14:15]
	v_fmac_f64_e32 v[136:137], v[74:75], v[8:9]
	v_add_f64 v[2:3], v[2:3], 0
	s_waitcnt vmcnt(13) lgkmcnt(12)
	v_mul_f64 v[140:141], v[80:81], v[18:19]
	v_fmac_f64_e32 v[138:139], v[78:79], v[12:13]
	v_add_f64 v[2:3], v[2:3], v[136:137]
	;; [unrolled: 4-line block ×10, first 2 shown]
	s_waitcnt vmcnt(4) lgkmcnt(3)
	v_mul_f64 v[158:159], v[116:117], v[54:55]
	v_mul_f64 v[6:7], v[70:71], v[6:7]
	v_fmac_f64_e32 v[156:157], v[114:115], v[48:49]
	v_add_f64 v[2:3], v[2:3], v[154:155]
	s_waitcnt vmcnt(3) lgkmcnt(2)
	v_mul_f64 v[160:161], v[120:121], v[58:59]
	v_mul_f64 v[10:11], v[74:75], v[10:11]
	v_fmac_f64_e32 v[158:159], v[118:119], v[52:53]
	v_fma_f64 v[4:5], v[68:69], v[4:5], -v[6:7]
	v_add_f64 v[2:3], v[2:3], v[156:157]
	s_waitcnt vmcnt(2) lgkmcnt(1)
	v_mul_f64 v[162:163], v[124:125], v[62:63]
	v_mul_f64 v[14:15], v[78:79], v[14:15]
	v_fmac_f64_e32 v[160:161], v[122:123], v[56:57]
	v_fma_f64 v[6:7], v[72:73], v[8:9], -v[10:11]
	v_add_f64 v[4:5], v[4:5], 0
	v_add_f64 v[2:3], v[2:3], v[158:159]
	s_waitcnt vmcnt(1) lgkmcnt(0)
	v_mul_f64 v[164:165], v[128:129], v[66:67]
	v_mul_f64 v[18:19], v[82:83], v[18:19]
	v_fmac_f64_e32 v[162:163], v[126:127], v[60:61]
	v_fma_f64 v[8:9], v[76:77], v[12:13], -v[14:15]
	v_add_f64 v[4:5], v[4:5], v[6:7]
	v_add_f64 v[2:3], v[2:3], v[160:161]
	v_mul_f64 v[26:27], v[86:87], v[26:27]
	v_fmac_f64_e32 v[164:165], v[130:131], v[64:65]
	v_fma_f64 v[10:11], v[80:81], v[16:17], -v[18:19]
	v_add_f64 v[4:5], v[4:5], v[8:9]
	v_add_f64 v[2:3], v[2:3], v[162:163]
	v_fma_f64 v[12:13], v[84:85], v[24:25], -v[26:27]
	v_add_f64 v[4:5], v[4:5], v[10:11]
	v_add_f64 v[6:7], v[2:3], v[164:165]
	v_mul_f64 v[2:3], v[90:91], v[22:23]
	v_add_f64 v[4:5], v[4:5], v[12:13]
	v_fma_f64 v[2:3], v[88:89], v[20:21], -v[2:3]
	v_add_f64 v[2:3], v[4:5], v[2:3]
	v_mul_f64 v[4:5], v[94:95], v[30:31]
	v_fma_f64 v[4:5], v[92:93], v[28:29], -v[4:5]
	v_add_f64 v[2:3], v[2:3], v[4:5]
	v_mul_f64 v[4:5], v[98:99], v[34:35]
	;; [unrolled: 3-line block ×10, first 2 shown]
	v_fma_f64 v[4:5], v[128:129], v[64:65], -v[4:5]
	v_add_f64 v[2:3], v[2:3], v[4:5]
	s_waitcnt vmcnt(0)
	v_add_f64 v[2:3], v[132:133], -v[2:3]
	v_add_f64 v[4:5], v[134:135], -v[6:7]
	scratch_store_dwordx4 off, v[2:5], off offset:368
	s_and_saveexec_b64 s[0:1], vcc
	s_cbranch_execz .LBB38_205
; %bb.204:
	scratch_load_dwordx4 v[2:5], off, s34
	v_mov_b32_e32 v6, 0
	v_mov_b32_e32 v7, v6
	v_mov_b32_e32 v8, v6
	v_mov_b32_e32 v9, v6
	scratch_store_dwordx4 off, v[6:9], off offset:352
	s_waitcnt vmcnt(1)
	ds_write_b128 v1, v[2:5]
.LBB38_205:
	s_or_b64 exec, exec, s[0:1]
	v_mov_b32_e32 v2, 0
	s_waitcnt lgkmcnt(0)
	; wave barrier
	ds_read_b128 v[16:19], v2 offset:976
	ds_read_b128 v[12:15], v2 offset:992
	;; [unrolled: 1-line block ×4, first 2 shown]
	scratch_load_dwordx4 v[20:23], off, off offset:368
	scratch_load_dwordx4 v[40:43], off, off offset:432
	;; [unrolled: 1-line block ×11, first 2 shown]
	v_cmp_lt_u32_e32 vcc, 20, v0
	scratch_load_dwordx4 v[48:51], off, off offset:448
	scratch_load_dwordx4 v[56:59], off, off offset:464
	;; [unrolled: 1-line block ×3, first 2 shown]
	s_waitcnt vmcnt(13) lgkmcnt(3)
	v_mul_f64 v[24:25], v[16:17], v[22:23]
	v_fmac_f64_e32 v[24:25], v[18:19], v[20:21]
	v_add_f64 v[28:29], v[24:25], 0
	scratch_load_dwordx4 v[24:27], off, off offset:384
	v_mul_f64 v[18:19], v[18:19], v[22:23]
	v_fma_f64 v[16:17], v[16:17], v[20:21], -v[18:19]
	v_add_f64 v[16:17], v[16:17], 0
	s_waitcnt vmcnt(0) lgkmcnt(2)
	v_mul_f64 v[30:31], v[12:13], v[26:27]
	v_fmac_f64_e32 v[30:31], v[14:15], v[24:25]
	v_add_f64 v[32:33], v[28:29], v[30:31]
	scratch_load_dwordx4 v[28:31], off, off offset:400
	v_mul_f64 v[14:15], v[14:15], v[26:27]
	v_fma_f64 v[12:13], v[12:13], v[24:25], -v[14:15]
	v_add_f64 v[12:13], v[16:17], v[12:13]
	;; [unrolled: 8-line block ×3, first 2 shown]
	s_waitcnt vmcnt(0) lgkmcnt(0)
	v_mul_f64 v[38:39], v[4:5], v[34:35]
	v_fmac_f64_e32 v[38:39], v[6:7], v[32:33]
	v_add_f64 v[44:45], v[36:37], v[38:39]
	ds_read_b128 v[36:39], v2 offset:1040
	v_mul_f64 v[6:7], v[6:7], v[34:35]
	v_fma_f64 v[4:5], v[4:5], v[32:33], -v[6:7]
	v_add_f64 v[4:5], v[8:9], v[4:5]
	s_waitcnt lgkmcnt(0)
	v_mul_f64 v[46:47], v[36:37], v[42:43]
	v_fmac_f64_e32 v[46:47], v[38:39], v[40:41]
	v_add_f64 v[52:53], v[44:45], v[46:47]
	ds_read_b128 v[44:47], v2 offset:1056
	v_mul_f64 v[6:7], v[38:39], v[42:43]
	v_fma_f64 v[6:7], v[36:37], v[40:41], -v[6:7]
	v_add_f64 v[4:5], v[4:5], v[6:7]
	s_waitcnt lgkmcnt(0)
	;; [unrolled: 8-line block ×13, first 2 shown]
	v_mul_f64 v[6:7], v[136:137], v[140:141]
	v_fma_f64 v[6:7], v[134:135], v[138:139], -v[6:7]
	v_add_f64 v[8:9], v[4:5], v[6:7]
	scratch_load_dwordx4 v[4:7], off, off offset:352
	v_mul_f64 v[142:143], v[134:135], v[140:141]
	v_fmac_f64_e32 v[142:143], v[136:137], v[138:139]
	v_add_f64 v[72:73], v[72:73], v[142:143]
	s_waitcnt vmcnt(0)
	v_add_f64 v[4:5], v[4:5], -v[8:9]
	v_add_f64 v[6:7], v[6:7], -v[72:73]
	scratch_store_dwordx4 off, v[4:7], off offset:352
	s_and_saveexec_b64 s[0:1], vcc
	s_cbranch_execz .LBB38_207
; %bb.206:
	scratch_load_dwordx4 v[6:9], off, s33
	v_mov_b32_e32 v3, v2
	v_mov_b32_e32 v4, v2
	;; [unrolled: 1-line block ×3, first 2 shown]
	scratch_store_dwordx4 off, v[2:5], off offset:336
	s_waitcnt vmcnt(1)
	ds_write_b128 v1, v[6:9]
.LBB38_207:
	s_or_b64 exec, exec, s[0:1]
	s_waitcnt lgkmcnt(0)
	; wave barrier
	ds_read_b128 v[16:19], v2 offset:960
	ds_read_b128 v[12:15], v2 offset:976
	;; [unrolled: 1-line block ×4, first 2 shown]
	scratch_load_dwordx4 v[20:23], off, off offset:352
	scratch_load_dwordx4 v[40:43], off, off offset:416
	scratch_load_dwordx4 v[72:75], off, off offset:480
	scratch_load_dwordx4 v[82:85], off, off offset:496
	scratch_load_dwordx4 v[90:93], off, off offset:512
	scratch_load_dwordx4 v[98:101], off, off offset:528
	scratch_load_dwordx4 v[106:109], off, off offset:544
	scratch_load_dwordx4 v[114:117], off, off offset:560
	scratch_load_dwordx4 v[122:125], off, off offset:576
	scratch_load_dwordx4 v[130:133], off, off offset:592
	scratch_load_dwordx4 v[138:141], off, off offset:608
	scratch_load_dwordx4 v[146:149], off, off offset:624
	v_cmp_lt_u32_e32 vcc, 19, v0
	scratch_load_dwordx4 v[48:51], off, off offset:432
	scratch_load_dwordx4 v[56:59], off, off offset:448
	;; [unrolled: 1-line block ×3, first 2 shown]
	s_waitcnt vmcnt(14) lgkmcnt(3)
	v_mul_f64 v[24:25], v[16:17], v[22:23]
	v_fmac_f64_e32 v[24:25], v[18:19], v[20:21]
	v_add_f64 v[28:29], v[24:25], 0
	scratch_load_dwordx4 v[24:27], off, off offset:368
	s_waitcnt vmcnt(0) lgkmcnt(2)
	v_mul_f64 v[30:31], v[12:13], v[26:27]
	v_fmac_f64_e32 v[30:31], v[14:15], v[24:25]
	v_add_f64 v[32:33], v[28:29], v[30:31]
	scratch_load_dwordx4 v[28:31], off, off offset:384
	v_mul_f64 v[14:15], v[14:15], v[26:27]
	v_fma_f64 v[12:13], v[12:13], v[24:25], -v[14:15]
	s_waitcnt vmcnt(0) lgkmcnt(1)
	v_mul_f64 v[34:35], v[8:9], v[30:31]
	v_fmac_f64_e32 v[34:35], v[10:11], v[28:29]
	v_add_f64 v[36:37], v[32:33], v[34:35]
	scratch_load_dwordx4 v[32:35], off, off offset:400
	v_mul_f64 v[10:11], v[10:11], v[30:31]
	v_fma_f64 v[8:9], v[8:9], v[28:29], -v[10:11]
	s_waitcnt vmcnt(0) lgkmcnt(0)
	v_mul_f64 v[38:39], v[4:5], v[34:35]
	v_fmac_f64_e32 v[38:39], v[6:7], v[32:33]
	v_add_f64 v[44:45], v[36:37], v[38:39]
	ds_read_b128 v[36:39], v2 offset:1024
	v_mul_f64 v[6:7], v[6:7], v[34:35]
	v_fma_f64 v[4:5], v[4:5], v[32:33], -v[6:7]
	s_waitcnt lgkmcnt(0)
	v_mul_f64 v[46:47], v[36:37], v[42:43]
	v_fmac_f64_e32 v[46:47], v[38:39], v[40:41]
	v_add_f64 v[52:53], v[44:45], v[46:47]
	ds_read_b128 v[44:47], v2 offset:1040
	s_waitcnt lgkmcnt(0)
	v_mul_f64 v[54:55], v[44:45], v[50:51]
	v_fmac_f64_e32 v[54:55], v[46:47], v[48:49]
	v_add_f64 v[60:61], v[52:53], v[54:55]
	ds_read_b128 v[52:55], v2 offset:1056
	;; [unrolled: 5-line block ×13, first 2 shown]
	s_waitcnt lgkmcnt(0)
	v_mul_f64 v[2:3], v[142:143], v[148:149]
	v_fmac_f64_e32 v[2:3], v[144:145], v[146:147]
	v_add_f64 v[80:81], v[80:81], v[2:3]
	v_mul_f64 v[2:3], v[18:19], v[22:23]
	v_fma_f64 v[2:3], v[16:17], v[20:21], -v[2:3]
	v_add_f64 v[2:3], v[2:3], 0
	v_add_f64 v[2:3], v[2:3], v[12:13]
	v_add_f64 v[2:3], v[2:3], v[8:9]
	v_add_f64 v[2:3], v[2:3], v[4:5]
	v_mul_f64 v[4:5], v[38:39], v[42:43]
	v_fma_f64 v[4:5], v[36:37], v[40:41], -v[4:5]
	v_add_f64 v[2:3], v[2:3], v[4:5]
	v_mul_f64 v[4:5], v[46:47], v[50:51]
	v_fma_f64 v[4:5], v[44:45], v[48:49], -v[4:5]
	v_add_f64 v[2:3], v[2:3], v[4:5]
	;; [unrolled: 3-line block ×14, first 2 shown]
	scratch_load_dwordx4 v[2:5], off, off offset:336
	s_waitcnt vmcnt(0)
	v_add_f64 v[2:3], v[2:3], -v[6:7]
	v_add_f64 v[4:5], v[4:5], -v[80:81]
	scratch_store_dwordx4 off, v[2:5], off offset:336
	s_and_saveexec_b64 s[0:1], vcc
	s_cbranch_execz .LBB38_209
; %bb.208:
	scratch_load_dwordx4 v[2:5], off, s31
	v_mov_b32_e32 v6, 0
	v_mov_b32_e32 v7, v6
	;; [unrolled: 1-line block ×4, first 2 shown]
	scratch_store_dwordx4 off, v[6:9], off offset:320
	s_waitcnt vmcnt(1)
	ds_write_b128 v1, v[2:5]
.LBB38_209:
	s_or_b64 exec, exec, s[0:1]
	v_mov_b32_e32 v2, 0
	s_waitcnt lgkmcnt(0)
	; wave barrier
	ds_read_b128 v[16:19], v2 offset:944
	ds_read_b128 v[12:15], v2 offset:960
	;; [unrolled: 1-line block ×4, first 2 shown]
	scratch_load_dwordx4 v[20:23], off, off offset:336
	scratch_load_dwordx4 v[40:43], off, off offset:400
	;; [unrolled: 1-line block ×13, first 2 shown]
	v_cmp_lt_u32_e32 vcc, 18, v0
	scratch_load_dwordx4 v[48:51], off, off offset:416
	scratch_load_dwordx4 v[56:59], off, off offset:432
	;; [unrolled: 1-line block ×3, first 2 shown]
	s_waitcnt vmcnt(15) lgkmcnt(3)
	v_mul_f64 v[24:25], v[16:17], v[22:23]
	v_fmac_f64_e32 v[24:25], v[18:19], v[20:21]
	v_add_f64 v[28:29], v[24:25], 0
	scratch_load_dwordx4 v[24:27], off, off offset:352
	v_mul_f64 v[18:19], v[18:19], v[22:23]
	v_fma_f64 v[16:17], v[16:17], v[20:21], -v[18:19]
	v_add_f64 v[16:17], v[16:17], 0
	s_waitcnt vmcnt(0) lgkmcnt(2)
	v_mul_f64 v[30:31], v[12:13], v[26:27]
	v_fmac_f64_e32 v[30:31], v[14:15], v[24:25]
	v_add_f64 v[32:33], v[28:29], v[30:31]
	scratch_load_dwordx4 v[28:31], off, off offset:368
	v_mul_f64 v[14:15], v[14:15], v[26:27]
	v_fma_f64 v[12:13], v[12:13], v[24:25], -v[14:15]
	v_add_f64 v[12:13], v[16:17], v[12:13]
	;; [unrolled: 8-line block ×3, first 2 shown]
	s_waitcnt vmcnt(0) lgkmcnt(0)
	v_mul_f64 v[38:39], v[4:5], v[34:35]
	v_fmac_f64_e32 v[38:39], v[6:7], v[32:33]
	v_add_f64 v[44:45], v[36:37], v[38:39]
	ds_read_b128 v[36:39], v2 offset:1008
	v_mul_f64 v[6:7], v[6:7], v[34:35]
	v_fma_f64 v[4:5], v[4:5], v[32:33], -v[6:7]
	v_add_f64 v[4:5], v[8:9], v[4:5]
	s_waitcnt lgkmcnt(0)
	v_mul_f64 v[46:47], v[36:37], v[42:43]
	v_fmac_f64_e32 v[46:47], v[38:39], v[40:41]
	v_add_f64 v[52:53], v[44:45], v[46:47]
	ds_read_b128 v[44:47], v2 offset:1024
	v_mul_f64 v[6:7], v[38:39], v[42:43]
	v_fma_f64 v[6:7], v[36:37], v[40:41], -v[6:7]
	v_add_f64 v[4:5], v[4:5], v[6:7]
	s_waitcnt lgkmcnt(0)
	;; [unrolled: 8-line block ×15, first 2 shown]
	v_mul_f64 v[6:7], v[152:153], v[156:157]
	v_fma_f64 v[6:7], v[150:151], v[154:155], -v[6:7]
	v_add_f64 v[8:9], v[4:5], v[6:7]
	scratch_load_dwordx4 v[4:7], off, off offset:320
	v_mul_f64 v[158:159], v[150:151], v[156:157]
	v_fmac_f64_e32 v[158:159], v[152:153], v[154:155]
	v_add_f64 v[88:89], v[88:89], v[158:159]
	s_waitcnt vmcnt(0)
	v_add_f64 v[4:5], v[4:5], -v[8:9]
	v_add_f64 v[6:7], v[6:7], -v[88:89]
	scratch_store_dwordx4 off, v[4:7], off offset:320
	s_and_saveexec_b64 s[0:1], vcc
	s_cbranch_execz .LBB38_211
; %bb.210:
	scratch_load_dwordx4 v[6:9], off, s30
	v_mov_b32_e32 v3, v2
	v_mov_b32_e32 v4, v2
	;; [unrolled: 1-line block ×3, first 2 shown]
	scratch_store_dwordx4 off, v[2:5], off offset:304
	s_waitcnt vmcnt(1)
	ds_write_b128 v1, v[6:9]
.LBB38_211:
	s_or_b64 exec, exec, s[0:1]
	s_waitcnt lgkmcnt(0)
	; wave barrier
	ds_read_b128 v[16:19], v2 offset:928
	ds_read_b128 v[12:15], v2 offset:944
	;; [unrolled: 1-line block ×4, first 2 shown]
	scratch_load_dwordx4 v[20:23], off, off offset:320
	scratch_load_dwordx4 v[40:43], off, off offset:384
	;; [unrolled: 1-line block ×14, first 2 shown]
	v_cmp_lt_u32_e32 vcc, 17, v0
	scratch_load_dwordx4 v[48:51], off, off offset:400
	scratch_load_dwordx4 v[56:59], off, off offset:416
	;; [unrolled: 1-line block ×3, first 2 shown]
	s_waitcnt vmcnt(16) lgkmcnt(3)
	v_mul_f64 v[24:25], v[16:17], v[22:23]
	v_fmac_f64_e32 v[24:25], v[18:19], v[20:21]
	v_add_f64 v[28:29], v[24:25], 0
	scratch_load_dwordx4 v[24:27], off, off offset:336
	s_waitcnt vmcnt(0) lgkmcnt(2)
	v_mul_f64 v[30:31], v[12:13], v[26:27]
	v_fmac_f64_e32 v[30:31], v[14:15], v[24:25]
	v_add_f64 v[32:33], v[28:29], v[30:31]
	scratch_load_dwordx4 v[28:31], off, off offset:352
	v_mul_f64 v[14:15], v[14:15], v[26:27]
	v_fma_f64 v[12:13], v[12:13], v[24:25], -v[14:15]
	s_waitcnt vmcnt(0) lgkmcnt(1)
	v_mul_f64 v[34:35], v[8:9], v[30:31]
	v_fmac_f64_e32 v[34:35], v[10:11], v[28:29]
	v_add_f64 v[36:37], v[32:33], v[34:35]
	scratch_load_dwordx4 v[32:35], off, off offset:368
	v_mul_f64 v[10:11], v[10:11], v[30:31]
	v_fma_f64 v[8:9], v[8:9], v[28:29], -v[10:11]
	s_waitcnt vmcnt(0) lgkmcnt(0)
	v_mul_f64 v[38:39], v[4:5], v[34:35]
	v_fmac_f64_e32 v[38:39], v[6:7], v[32:33]
	v_add_f64 v[44:45], v[36:37], v[38:39]
	ds_read_b128 v[36:39], v2 offset:992
	v_mul_f64 v[6:7], v[6:7], v[34:35]
	v_fma_f64 v[4:5], v[4:5], v[32:33], -v[6:7]
	s_waitcnt lgkmcnt(0)
	v_mul_f64 v[46:47], v[36:37], v[42:43]
	v_fmac_f64_e32 v[46:47], v[38:39], v[40:41]
	v_add_f64 v[52:53], v[44:45], v[46:47]
	ds_read_b128 v[44:47], v2 offset:1008
	s_waitcnt lgkmcnt(0)
	v_mul_f64 v[54:55], v[44:45], v[50:51]
	v_fmac_f64_e32 v[54:55], v[46:47], v[48:49]
	v_add_f64 v[60:61], v[52:53], v[54:55]
	ds_read_b128 v[52:55], v2 offset:1024
	;; [unrolled: 5-line block ×15, first 2 shown]
	s_waitcnt lgkmcnt(0)
	v_mul_f64 v[2:3], v[158:159], v[164:165]
	v_fmac_f64_e32 v[2:3], v[160:161], v[162:163]
	v_add_f64 v[96:97], v[96:97], v[2:3]
	v_mul_f64 v[2:3], v[18:19], v[22:23]
	v_fma_f64 v[2:3], v[16:17], v[20:21], -v[2:3]
	v_add_f64 v[2:3], v[2:3], 0
	v_add_f64 v[2:3], v[2:3], v[12:13]
	;; [unrolled: 1-line block ×4, first 2 shown]
	v_mul_f64 v[4:5], v[38:39], v[42:43]
	v_fma_f64 v[4:5], v[36:37], v[40:41], -v[4:5]
	v_add_f64 v[2:3], v[2:3], v[4:5]
	v_mul_f64 v[4:5], v[46:47], v[50:51]
	v_fma_f64 v[4:5], v[44:45], v[48:49], -v[4:5]
	v_add_f64 v[2:3], v[2:3], v[4:5]
	;; [unrolled: 3-line block ×16, first 2 shown]
	scratch_load_dwordx4 v[2:5], off, off offset:304
	s_waitcnt vmcnt(0)
	v_add_f64 v[2:3], v[2:3], -v[6:7]
	v_add_f64 v[4:5], v[4:5], -v[96:97]
	scratch_store_dwordx4 off, v[2:5], off offset:304
	s_and_saveexec_b64 s[0:1], vcc
	s_cbranch_execz .LBB38_213
; %bb.212:
	scratch_load_dwordx4 v[2:5], off, s29
	v_mov_b32_e32 v6, 0
	v_mov_b32_e32 v7, v6
	v_mov_b32_e32 v8, v6
	v_mov_b32_e32 v9, v6
	scratch_store_dwordx4 off, v[6:9], off offset:288
	s_waitcnt vmcnt(1)
	ds_write_b128 v1, v[2:5]
.LBB38_213:
	s_or_b64 exec, exec, s[0:1]
	v_mov_b32_e32 v2, 0
	s_waitcnt lgkmcnt(0)
	; wave barrier
	ds_read_b128 v[16:19], v2 offset:912
	ds_read_b128 v[12:15], v2 offset:928
	;; [unrolled: 1-line block ×4, first 2 shown]
	scratch_load_dwordx4 v[20:23], off, off offset:304
	scratch_load_dwordx4 v[40:43], off, off offset:368
	;; [unrolled: 1-line block ×15, first 2 shown]
	v_cmp_lt_u32_e32 vcc, 16, v0
	scratch_load_dwordx4 v[48:51], off, off offset:384
	scratch_load_dwordx4 v[56:59], off, off offset:400
	;; [unrolled: 1-line block ×3, first 2 shown]
	s_waitcnt vmcnt(17) lgkmcnt(3)
	v_mul_f64 v[24:25], v[16:17], v[22:23]
	v_fmac_f64_e32 v[24:25], v[18:19], v[20:21]
	v_add_f64 v[28:29], v[24:25], 0
	scratch_load_dwordx4 v[24:27], off, off offset:320
	v_mul_f64 v[18:19], v[18:19], v[22:23]
	v_fma_f64 v[16:17], v[16:17], v[20:21], -v[18:19]
	v_add_f64 v[16:17], v[16:17], 0
	s_waitcnt vmcnt(0) lgkmcnt(2)
	v_mul_f64 v[30:31], v[12:13], v[26:27]
	v_fmac_f64_e32 v[30:31], v[14:15], v[24:25]
	v_add_f64 v[32:33], v[28:29], v[30:31]
	scratch_load_dwordx4 v[28:31], off, off offset:336
	v_mul_f64 v[14:15], v[14:15], v[26:27]
	v_fma_f64 v[12:13], v[12:13], v[24:25], -v[14:15]
	v_add_f64 v[12:13], v[16:17], v[12:13]
	;; [unrolled: 8-line block ×3, first 2 shown]
	s_waitcnt vmcnt(0) lgkmcnt(0)
	v_mul_f64 v[38:39], v[4:5], v[34:35]
	v_fmac_f64_e32 v[38:39], v[6:7], v[32:33]
	v_add_f64 v[44:45], v[36:37], v[38:39]
	ds_read_b128 v[36:39], v2 offset:976
	v_mul_f64 v[6:7], v[6:7], v[34:35]
	v_fma_f64 v[4:5], v[4:5], v[32:33], -v[6:7]
	v_add_f64 v[4:5], v[8:9], v[4:5]
	s_waitcnt lgkmcnt(0)
	v_mul_f64 v[46:47], v[36:37], v[42:43]
	v_fmac_f64_e32 v[46:47], v[38:39], v[40:41]
	v_add_f64 v[52:53], v[44:45], v[46:47]
	ds_read_b128 v[44:47], v2 offset:992
	v_mul_f64 v[6:7], v[38:39], v[42:43]
	v_fma_f64 v[6:7], v[36:37], v[40:41], -v[6:7]
	v_add_f64 v[4:5], v[4:5], v[6:7]
	s_waitcnt lgkmcnt(0)
	;; [unrolled: 8-line block ×17, first 2 shown]
	v_mul_f64 v[6:7], v[168:169], v[172:173]
	v_fma_f64 v[6:7], v[166:167], v[170:171], -v[6:7]
	v_add_f64 v[8:9], v[4:5], v[6:7]
	scratch_load_dwordx4 v[4:7], off, off offset:288
	v_mul_f64 v[174:175], v[166:167], v[172:173]
	v_fmac_f64_e32 v[174:175], v[168:169], v[170:171]
	v_add_f64 v[104:105], v[104:105], v[174:175]
	s_waitcnt vmcnt(0)
	v_add_f64 v[4:5], v[4:5], -v[8:9]
	v_add_f64 v[6:7], v[6:7], -v[104:105]
	scratch_store_dwordx4 off, v[4:7], off offset:288
	s_and_saveexec_b64 s[0:1], vcc
	s_cbranch_execz .LBB38_215
; %bb.214:
	scratch_load_dwordx4 v[6:9], off, s28
	v_mov_b32_e32 v3, v2
	v_mov_b32_e32 v4, v2
	;; [unrolled: 1-line block ×3, first 2 shown]
	scratch_store_dwordx4 off, v[2:5], off offset:272
	s_waitcnt vmcnt(1)
	ds_write_b128 v1, v[6:9]
.LBB38_215:
	s_or_b64 exec, exec, s[0:1]
	s_waitcnt lgkmcnt(0)
	; wave barrier
	ds_read_b128 v[16:19], v2 offset:896
	ds_read_b128 v[12:15], v2 offset:912
	;; [unrolled: 1-line block ×4, first 2 shown]
	scratch_load_dwordx4 v[20:23], off, off offset:288
	scratch_load_dwordx4 v[40:43], off, off offset:352
	;; [unrolled: 1-line block ×16, first 2 shown]
	v_cmp_lt_u32_e32 vcc, 15, v0
	scratch_load_dwordx4 v[48:51], off, off offset:368
	scratch_load_dwordx4 v[56:59], off, off offset:384
	scratch_load_dwordx4 v[64:67], off, off offset:400
	s_waitcnt vmcnt(18) lgkmcnt(3)
	v_mul_f64 v[24:25], v[16:17], v[22:23]
	v_fmac_f64_e32 v[24:25], v[18:19], v[20:21]
	v_add_f64 v[28:29], v[24:25], 0
	scratch_load_dwordx4 v[24:27], off, off offset:304
	s_waitcnt vmcnt(0) lgkmcnt(2)
	v_mul_f64 v[30:31], v[12:13], v[26:27]
	v_fmac_f64_e32 v[30:31], v[14:15], v[24:25]
	v_add_f64 v[32:33], v[28:29], v[30:31]
	scratch_load_dwordx4 v[28:31], off, off offset:320
	v_mul_f64 v[14:15], v[14:15], v[26:27]
	v_fma_f64 v[12:13], v[12:13], v[24:25], -v[14:15]
	s_waitcnt vmcnt(0) lgkmcnt(1)
	v_mul_f64 v[34:35], v[8:9], v[30:31]
	v_fmac_f64_e32 v[34:35], v[10:11], v[28:29]
	v_add_f64 v[36:37], v[32:33], v[34:35]
	scratch_load_dwordx4 v[32:35], off, off offset:336
	v_mul_f64 v[10:11], v[10:11], v[30:31]
	v_fma_f64 v[8:9], v[8:9], v[28:29], -v[10:11]
	s_waitcnt vmcnt(0) lgkmcnt(0)
	v_mul_f64 v[38:39], v[4:5], v[34:35]
	v_fmac_f64_e32 v[38:39], v[6:7], v[32:33]
	v_add_f64 v[44:45], v[36:37], v[38:39]
	ds_read_b128 v[36:39], v2 offset:960
	v_mul_f64 v[6:7], v[6:7], v[34:35]
	v_fma_f64 v[4:5], v[4:5], v[32:33], -v[6:7]
	s_waitcnt lgkmcnt(0)
	v_mul_f64 v[46:47], v[36:37], v[42:43]
	v_fmac_f64_e32 v[46:47], v[38:39], v[40:41]
	v_add_f64 v[52:53], v[44:45], v[46:47]
	ds_read_b128 v[44:47], v2 offset:976
	s_waitcnt lgkmcnt(0)
	v_mul_f64 v[54:55], v[44:45], v[50:51]
	v_fmac_f64_e32 v[54:55], v[46:47], v[48:49]
	v_add_f64 v[60:61], v[52:53], v[54:55]
	ds_read_b128 v[52:55], v2 offset:992
	s_waitcnt lgkmcnt(0)
	v_mul_f64 v[62:63], v[52:53], v[58:59]
	v_fmac_f64_e32 v[62:63], v[54:55], v[56:57]
	v_add_f64 v[68:69], v[60:61], v[62:63]
	ds_read_b128 v[60:63], v2 offset:1008
	s_waitcnt lgkmcnt(0)
	v_mul_f64 v[70:71], v[60:61], v[66:67]
	v_fmac_f64_e32 v[70:71], v[62:63], v[64:65]
	v_add_f64 v[76:77], v[68:69], v[70:71]
	ds_read_b128 v[68:71], v2 offset:1024
	s_waitcnt lgkmcnt(0)
	v_mul_f64 v[78:79], v[68:69], v[74:75]
	v_fmac_f64_e32 v[78:79], v[70:71], v[72:73]
	v_add_f64 v[84:85], v[76:77], v[78:79]
	ds_read_b128 v[76:79], v2 offset:1040
	s_waitcnt lgkmcnt(0)
	v_mul_f64 v[86:87], v[76:77], v[82:83]
	v_fmac_f64_e32 v[86:87], v[78:79], v[80:81]
	v_add_f64 v[92:93], v[84:85], v[86:87]
	ds_read_b128 v[84:87], v2 offset:1056
	s_waitcnt lgkmcnt(0)
	v_mul_f64 v[94:95], v[84:85], v[90:91]
	v_fmac_f64_e32 v[94:95], v[86:87], v[88:89]
	v_add_f64 v[100:101], v[92:93], v[94:95]
	ds_read_b128 v[92:95], v2 offset:1072
	s_waitcnt lgkmcnt(0)
	v_mul_f64 v[102:103], v[92:93], v[98:99]
	v_fmac_f64_e32 v[102:103], v[94:95], v[96:97]
	v_add_f64 v[108:109], v[100:101], v[102:103]
	ds_read_b128 v[100:103], v2 offset:1088
	s_waitcnt lgkmcnt(0)
	v_mul_f64 v[110:111], v[100:101], v[106:107]
	v_fmac_f64_e32 v[110:111], v[102:103], v[104:105]
	v_add_f64 v[116:117], v[108:109], v[110:111]
	ds_read_b128 v[108:111], v2 offset:1104
	s_waitcnt lgkmcnt(0)
	v_mul_f64 v[118:119], v[108:109], v[114:115]
	v_fmac_f64_e32 v[118:119], v[110:111], v[112:113]
	v_add_f64 v[120:121], v[116:117], v[118:119]
	ds_read_b128 v[116:119], v2 offset:1120
	s_waitcnt lgkmcnt(0)
	v_mul_f64 v[126:127], v[116:117], v[124:125]
	v_fmac_f64_e32 v[126:127], v[118:119], v[122:123]
	v_add_f64 v[120:121], v[120:121], v[126:127]
	ds_read_b128 v[126:129], v2 offset:1136
	s_waitcnt lgkmcnt(0)
	v_mul_f64 v[134:135], v[126:127], v[132:133]
	v_fmac_f64_e32 v[134:135], v[128:129], v[130:131]
	v_add_f64 v[120:121], v[120:121], v[134:135]
	ds_read_b128 v[134:137], v2 offset:1152
	s_waitcnt lgkmcnt(0)
	v_mul_f64 v[142:143], v[134:135], v[140:141]
	v_fmac_f64_e32 v[142:143], v[136:137], v[138:139]
	v_add_f64 v[120:121], v[120:121], v[142:143]
	ds_read_b128 v[142:145], v2 offset:1168
	s_waitcnt lgkmcnt(0)
	v_mul_f64 v[150:151], v[142:143], v[148:149]
	v_fmac_f64_e32 v[150:151], v[144:145], v[146:147]
	v_add_f64 v[120:121], v[120:121], v[150:151]
	ds_read_b128 v[150:153], v2 offset:1184
	s_waitcnt lgkmcnt(0)
	v_mul_f64 v[158:159], v[150:151], v[156:157]
	v_fmac_f64_e32 v[158:159], v[152:153], v[154:155]
	v_add_f64 v[120:121], v[120:121], v[158:159]
	ds_read_b128 v[158:161], v2 offset:1200
	s_waitcnt lgkmcnt(0)
	v_mul_f64 v[166:167], v[158:159], v[164:165]
	v_fmac_f64_e32 v[166:167], v[160:161], v[162:163]
	v_add_f64 v[120:121], v[120:121], v[166:167]
	ds_read_b128 v[166:169], v2 offset:1216
	s_waitcnt lgkmcnt(0)
	v_mul_f64 v[174:175], v[166:167], v[172:173]
	v_fmac_f64_e32 v[174:175], v[168:169], v[170:171]
	v_add_f64 v[120:121], v[120:121], v[174:175]
	ds_read_b128 v[174:177], v2 offset:1232
	s_waitcnt lgkmcnt(0)
	v_mul_f64 v[2:3], v[174:175], v[180:181]
	v_fmac_f64_e32 v[2:3], v[176:177], v[178:179]
	v_add_f64 v[120:121], v[120:121], v[2:3]
	v_mul_f64 v[2:3], v[18:19], v[22:23]
	v_fma_f64 v[2:3], v[16:17], v[20:21], -v[2:3]
	v_add_f64 v[2:3], v[2:3], 0
	v_add_f64 v[2:3], v[2:3], v[12:13]
	;; [unrolled: 1-line block ×4, first 2 shown]
	v_mul_f64 v[4:5], v[38:39], v[42:43]
	v_fma_f64 v[4:5], v[36:37], v[40:41], -v[4:5]
	v_add_f64 v[2:3], v[2:3], v[4:5]
	v_mul_f64 v[4:5], v[46:47], v[50:51]
	v_fma_f64 v[4:5], v[44:45], v[48:49], -v[4:5]
	v_add_f64 v[2:3], v[2:3], v[4:5]
	;; [unrolled: 3-line block ×18, first 2 shown]
	scratch_load_dwordx4 v[2:5], off, off offset:272
	s_waitcnt vmcnt(0)
	v_add_f64 v[2:3], v[2:3], -v[6:7]
	v_add_f64 v[4:5], v[4:5], -v[120:121]
	scratch_store_dwordx4 off, v[2:5], off offset:272
	s_and_saveexec_b64 s[0:1], vcc
	s_cbranch_execz .LBB38_217
; %bb.216:
	scratch_load_dwordx4 v[2:5], off, s27
	v_mov_b32_e32 v6, 0
	v_mov_b32_e32 v7, v6
	;; [unrolled: 1-line block ×4, first 2 shown]
	scratch_store_dwordx4 off, v[6:9], off offset:256
	s_waitcnt vmcnt(1)
	ds_write_b128 v1, v[2:5]
.LBB38_217:
	s_or_b64 exec, exec, s[0:1]
	v_mov_b32_e32 v2, 0
	s_waitcnt lgkmcnt(0)
	; wave barrier
	ds_read_b128 v[16:19], v2 offset:880
	ds_read_b128 v[12:15], v2 offset:896
	;; [unrolled: 1-line block ×4, first 2 shown]
	scratch_load_dwordx4 v[20:23], off, off offset:272
	scratch_load_dwordx4 v[40:43], off, off offset:336
	;; [unrolled: 1-line block ×17, first 2 shown]
	v_cmp_lt_u32_e32 vcc, 14, v0
	scratch_load_dwordx4 v[48:51], off, off offset:352
	scratch_load_dwordx4 v[56:59], off, off offset:368
	;; [unrolled: 1-line block ×3, first 2 shown]
	s_waitcnt vmcnt(19) lgkmcnt(3)
	v_mul_f64 v[24:25], v[16:17], v[22:23]
	v_fmac_f64_e32 v[24:25], v[18:19], v[20:21]
	v_add_f64 v[28:29], v[24:25], 0
	scratch_load_dwordx4 v[24:27], off, off offset:288
	v_mul_f64 v[18:19], v[18:19], v[22:23]
	v_fma_f64 v[16:17], v[16:17], v[20:21], -v[18:19]
	v_add_f64 v[16:17], v[16:17], 0
	s_waitcnt vmcnt(0) lgkmcnt(2)
	v_mul_f64 v[30:31], v[12:13], v[26:27]
	v_fmac_f64_e32 v[30:31], v[14:15], v[24:25]
	v_add_f64 v[32:33], v[28:29], v[30:31]
	scratch_load_dwordx4 v[28:31], off, off offset:304
	v_mul_f64 v[14:15], v[14:15], v[26:27]
	v_fma_f64 v[12:13], v[12:13], v[24:25], -v[14:15]
	v_add_f64 v[12:13], v[16:17], v[12:13]
	;; [unrolled: 8-line block ×3, first 2 shown]
	s_waitcnt vmcnt(0) lgkmcnt(0)
	v_mul_f64 v[38:39], v[4:5], v[34:35]
	v_fmac_f64_e32 v[38:39], v[6:7], v[32:33]
	v_add_f64 v[44:45], v[36:37], v[38:39]
	ds_read_b128 v[36:39], v2 offset:944
	v_mul_f64 v[6:7], v[6:7], v[34:35]
	v_fma_f64 v[4:5], v[4:5], v[32:33], -v[6:7]
	v_add_f64 v[4:5], v[8:9], v[4:5]
	s_waitcnt lgkmcnt(0)
	v_mul_f64 v[46:47], v[36:37], v[42:43]
	v_fmac_f64_e32 v[46:47], v[38:39], v[40:41]
	v_add_f64 v[52:53], v[44:45], v[46:47]
	ds_read_b128 v[44:47], v2 offset:960
	v_mul_f64 v[6:7], v[38:39], v[42:43]
	v_fma_f64 v[6:7], v[36:37], v[40:41], -v[6:7]
	v_add_f64 v[4:5], v[4:5], v[6:7]
	s_waitcnt lgkmcnt(0)
	;; [unrolled: 8-line block ×19, first 2 shown]
	v_mul_f64 v[6:7], v[184:185], v[188:189]
	v_fma_f64 v[6:7], v[182:183], v[186:187], -v[6:7]
	v_add_f64 v[8:9], v[4:5], v[6:7]
	scratch_load_dwordx4 v[4:7], off, off offset:256
	v_mul_f64 v[190:191], v[182:183], v[188:189]
	v_fmac_f64_e32 v[190:191], v[184:185], v[186:187]
	v_add_f64 v[128:129], v[128:129], v[190:191]
	s_waitcnt vmcnt(0)
	v_add_f64 v[4:5], v[4:5], -v[8:9]
	v_add_f64 v[6:7], v[6:7], -v[128:129]
	scratch_store_dwordx4 off, v[4:7], off offset:256
	s_and_saveexec_b64 s[0:1], vcc
	s_cbranch_execz .LBB38_219
; %bb.218:
	scratch_load_dwordx4 v[6:9], off, s26
	v_mov_b32_e32 v3, v2
	v_mov_b32_e32 v4, v2
	;; [unrolled: 1-line block ×3, first 2 shown]
	scratch_store_dwordx4 off, v[2:5], off offset:240
	s_waitcnt vmcnt(1)
	ds_write_b128 v1, v[6:9]
.LBB38_219:
	s_or_b64 exec, exec, s[0:1]
	s_waitcnt lgkmcnt(0)
	; wave barrier
	ds_read_b128 v[16:19], v2 offset:864
	ds_read_b128 v[12:15], v2 offset:880
	;; [unrolled: 1-line block ×4, first 2 shown]
	scratch_load_dwordx4 v[20:23], off, off offset:256
	scratch_load_dwordx4 v[40:43], off, off offset:320
	;; [unrolled: 1-line block ×18, first 2 shown]
	v_cmp_lt_u32_e32 vcc, 13, v0
	scratch_load_dwordx4 v[48:51], off, off offset:336
	scratch_load_dwordx4 v[56:59], off, off offset:352
	;; [unrolled: 1-line block ×3, first 2 shown]
	s_waitcnt vmcnt(20) lgkmcnt(3)
	v_mul_f64 v[24:25], v[16:17], v[22:23]
	v_fmac_f64_e32 v[24:25], v[18:19], v[20:21]
	v_add_f64 v[28:29], v[24:25], 0
	scratch_load_dwordx4 v[24:27], off, off offset:272
	s_waitcnt vmcnt(0) lgkmcnt(2)
	v_mul_f64 v[30:31], v[12:13], v[26:27]
	v_fmac_f64_e32 v[30:31], v[14:15], v[24:25]
	v_add_f64 v[32:33], v[28:29], v[30:31]
	scratch_load_dwordx4 v[28:31], off, off offset:288
	v_mul_f64 v[14:15], v[14:15], v[26:27]
	v_fma_f64 v[12:13], v[12:13], v[24:25], -v[14:15]
	s_waitcnt vmcnt(0) lgkmcnt(1)
	v_mul_f64 v[34:35], v[8:9], v[30:31]
	v_fmac_f64_e32 v[34:35], v[10:11], v[28:29]
	v_add_f64 v[36:37], v[32:33], v[34:35]
	scratch_load_dwordx4 v[32:35], off, off offset:304
	v_mul_f64 v[10:11], v[10:11], v[30:31]
	v_fma_f64 v[8:9], v[8:9], v[28:29], -v[10:11]
	s_waitcnt vmcnt(0) lgkmcnt(0)
	v_mul_f64 v[38:39], v[4:5], v[34:35]
	v_fmac_f64_e32 v[38:39], v[6:7], v[32:33]
	v_add_f64 v[44:45], v[36:37], v[38:39]
	ds_read_b128 v[36:39], v2 offset:928
	v_mul_f64 v[6:7], v[6:7], v[34:35]
	v_fma_f64 v[4:5], v[4:5], v[32:33], -v[6:7]
	s_waitcnt lgkmcnt(0)
	v_mul_f64 v[46:47], v[36:37], v[42:43]
	v_fmac_f64_e32 v[46:47], v[38:39], v[40:41]
	v_add_f64 v[52:53], v[44:45], v[46:47]
	ds_read_b128 v[44:47], v2 offset:944
	s_waitcnt lgkmcnt(0)
	v_mul_f64 v[54:55], v[44:45], v[50:51]
	v_fmac_f64_e32 v[54:55], v[46:47], v[48:49]
	v_add_f64 v[60:61], v[52:53], v[54:55]
	ds_read_b128 v[52:55], v2 offset:960
	;; [unrolled: 5-line block ×19, first 2 shown]
	s_waitcnt lgkmcnt(0)
	v_mul_f64 v[2:3], v[190:191], v[196:197]
	v_fmac_f64_e32 v[2:3], v[192:193], v[194:195]
	v_add_f64 v[148:149], v[148:149], v[2:3]
	v_mul_f64 v[2:3], v[18:19], v[22:23]
	v_fma_f64 v[2:3], v[16:17], v[20:21], -v[2:3]
	v_add_f64 v[2:3], v[2:3], 0
	v_add_f64 v[2:3], v[2:3], v[12:13]
	;; [unrolled: 1-line block ×4, first 2 shown]
	v_mul_f64 v[4:5], v[38:39], v[42:43]
	v_fma_f64 v[4:5], v[36:37], v[40:41], -v[4:5]
	v_add_f64 v[2:3], v[2:3], v[4:5]
	v_mul_f64 v[4:5], v[46:47], v[50:51]
	v_fma_f64 v[4:5], v[44:45], v[48:49], -v[4:5]
	v_add_f64 v[2:3], v[2:3], v[4:5]
	;; [unrolled: 3-line block ×20, first 2 shown]
	scratch_load_dwordx4 v[2:5], off, off offset:240
	s_waitcnt vmcnt(0)
	v_add_f64 v[2:3], v[2:3], -v[6:7]
	v_add_f64 v[4:5], v[4:5], -v[148:149]
	scratch_store_dwordx4 off, v[2:5], off offset:240
	s_and_saveexec_b64 s[0:1], vcc
	s_cbranch_execz .LBB38_221
; %bb.220:
	scratch_load_dwordx4 v[2:5], off, s25
	v_mov_b32_e32 v6, 0
	v_mov_b32_e32 v7, v6
	;; [unrolled: 1-line block ×4, first 2 shown]
	scratch_store_dwordx4 off, v[6:9], off offset:224
	s_waitcnt vmcnt(1)
	ds_write_b128 v1, v[2:5]
.LBB38_221:
	s_or_b64 exec, exec, s[0:1]
	v_mov_b32_e32 v2, 0
	s_waitcnt lgkmcnt(0)
	; wave barrier
	ds_read_b128 v[16:19], v2 offset:848
	ds_read_b128 v[12:15], v2 offset:864
	ds_read_b128 v[8:11], v2 offset:880
	ds_read_b128 v[4:7], v2 offset:896
	scratch_load_dwordx4 v[20:23], off, off offset:240
	scratch_load_dwordx4 v[40:43], off, off offset:304
	;; [unrolled: 1-line block ×19, first 2 shown]
	v_cmp_lt_u32_e32 vcc, 12, v0
	scratch_load_dwordx4 v[48:51], off, off offset:320
	scratch_load_dwordx4 v[56:59], off, off offset:336
	scratch_load_dwordx4 v[64:67], off, off offset:352
	s_waitcnt vmcnt(21) lgkmcnt(3)
	v_mul_f64 v[24:25], v[16:17], v[22:23]
	v_fmac_f64_e32 v[24:25], v[18:19], v[20:21]
	v_add_f64 v[28:29], v[24:25], 0
	scratch_load_dwordx4 v[24:27], off, off offset:256
	v_mul_f64 v[18:19], v[18:19], v[22:23]
	v_fma_f64 v[16:17], v[16:17], v[20:21], -v[18:19]
	v_add_f64 v[16:17], v[16:17], 0
	s_waitcnt vmcnt(0) lgkmcnt(2)
	v_mul_f64 v[30:31], v[12:13], v[26:27]
	v_fmac_f64_e32 v[30:31], v[14:15], v[24:25]
	v_add_f64 v[32:33], v[28:29], v[30:31]
	scratch_load_dwordx4 v[28:31], off, off offset:272
	v_mul_f64 v[14:15], v[14:15], v[26:27]
	v_fma_f64 v[12:13], v[12:13], v[24:25], -v[14:15]
	v_add_f64 v[12:13], v[16:17], v[12:13]
	s_waitcnt vmcnt(0) lgkmcnt(1)
	v_mul_f64 v[34:35], v[8:9], v[30:31]
	v_fmac_f64_e32 v[34:35], v[10:11], v[28:29]
	v_add_f64 v[36:37], v[32:33], v[34:35]
	scratch_load_dwordx4 v[32:35], off, off offset:288
	v_mul_f64 v[10:11], v[10:11], v[30:31]
	v_fma_f64 v[8:9], v[8:9], v[28:29], -v[10:11]
	v_add_f64 v[8:9], v[12:13], v[8:9]
	s_waitcnt vmcnt(0) lgkmcnt(0)
	v_mul_f64 v[38:39], v[4:5], v[34:35]
	v_fmac_f64_e32 v[38:39], v[6:7], v[32:33]
	v_add_f64 v[44:45], v[36:37], v[38:39]
	ds_read_b128 v[36:39], v2 offset:912
	v_mul_f64 v[6:7], v[6:7], v[34:35]
	v_fma_f64 v[4:5], v[4:5], v[32:33], -v[6:7]
	v_add_f64 v[4:5], v[8:9], v[4:5]
	s_waitcnt lgkmcnt(0)
	v_mul_f64 v[46:47], v[36:37], v[42:43]
	v_fmac_f64_e32 v[46:47], v[38:39], v[40:41]
	v_add_f64 v[52:53], v[44:45], v[46:47]
	ds_read_b128 v[44:47], v2 offset:928
	v_mul_f64 v[6:7], v[38:39], v[42:43]
	v_fma_f64 v[6:7], v[36:37], v[40:41], -v[6:7]
	v_add_f64 v[4:5], v[4:5], v[6:7]
	s_waitcnt lgkmcnt(0)
	;; [unrolled: 8-line block ×21, first 2 shown]
	v_mul_f64 v[6:7], v[200:201], v[204:205]
	v_fma_f64 v[6:7], v[198:199], v[202:203], -v[6:7]
	v_add_f64 v[8:9], v[4:5], v[6:7]
	scratch_load_dwordx4 v[4:7], off, off offset:224
	v_mul_f64 v[206:207], v[198:199], v[204:205]
	v_fmac_f64_e32 v[206:207], v[200:201], v[202:203]
	v_add_f64 v[144:145], v[144:145], v[206:207]
	s_waitcnt vmcnt(0)
	v_add_f64 v[4:5], v[4:5], -v[8:9]
	v_add_f64 v[6:7], v[6:7], -v[144:145]
	scratch_store_dwordx4 off, v[4:7], off offset:224
	s_and_saveexec_b64 s[0:1], vcc
	s_cbranch_execz .LBB38_223
; %bb.222:
	scratch_load_dwordx4 v[6:9], off, s24
	v_mov_b32_e32 v3, v2
	v_mov_b32_e32 v4, v2
	;; [unrolled: 1-line block ×3, first 2 shown]
	scratch_store_dwordx4 off, v[2:5], off offset:208
	s_waitcnt vmcnt(1)
	ds_write_b128 v1, v[6:9]
.LBB38_223:
	s_or_b64 exec, exec, s[0:1]
	s_waitcnt lgkmcnt(0)
	; wave barrier
	ds_read_b128 v[16:19], v2 offset:832
	ds_read_b128 v[12:15], v2 offset:848
	;; [unrolled: 1-line block ×4, first 2 shown]
	scratch_load_dwordx4 v[20:23], off, off offset:224
	scratch_load_dwordx4 v[40:43], off, off offset:288
	;; [unrolled: 1-line block ×20, first 2 shown]
	v_cmp_lt_u32_e32 vcc, 11, v0
	scratch_load_dwordx4 v[48:51], off, off offset:304
	scratch_load_dwordx4 v[56:59], off, off offset:320
	;; [unrolled: 1-line block ×3, first 2 shown]
	s_waitcnt vmcnt(22) lgkmcnt(3)
	v_mul_f64 v[24:25], v[16:17], v[22:23]
	v_fmac_f64_e32 v[24:25], v[18:19], v[20:21]
	v_add_f64 v[28:29], v[24:25], 0
	scratch_load_dwordx4 v[24:27], off, off offset:240
	s_waitcnt vmcnt(0) lgkmcnt(2)
	v_mul_f64 v[30:31], v[12:13], v[26:27]
	v_fmac_f64_e32 v[30:31], v[14:15], v[24:25]
	v_add_f64 v[32:33], v[28:29], v[30:31]
	scratch_load_dwordx4 v[28:31], off, off offset:256
	v_mul_f64 v[14:15], v[14:15], v[26:27]
	v_fma_f64 v[12:13], v[12:13], v[24:25], -v[14:15]
	s_waitcnt vmcnt(0) lgkmcnt(1)
	v_mul_f64 v[34:35], v[8:9], v[30:31]
	v_fmac_f64_e32 v[34:35], v[10:11], v[28:29]
	v_add_f64 v[36:37], v[32:33], v[34:35]
	scratch_load_dwordx4 v[32:35], off, off offset:272
	v_mul_f64 v[10:11], v[10:11], v[30:31]
	v_fma_f64 v[8:9], v[8:9], v[28:29], -v[10:11]
	s_waitcnt vmcnt(0) lgkmcnt(0)
	v_mul_f64 v[38:39], v[4:5], v[34:35]
	v_fmac_f64_e32 v[38:39], v[6:7], v[32:33]
	v_add_f64 v[44:45], v[36:37], v[38:39]
	ds_read_b128 v[36:39], v2 offset:896
	v_mul_f64 v[6:7], v[6:7], v[34:35]
	v_fma_f64 v[4:5], v[4:5], v[32:33], -v[6:7]
	s_waitcnt lgkmcnt(0)
	v_mul_f64 v[46:47], v[36:37], v[42:43]
	v_fmac_f64_e32 v[46:47], v[38:39], v[40:41]
	v_add_f64 v[52:53], v[44:45], v[46:47]
	ds_read_b128 v[44:47], v2 offset:912
	s_waitcnt lgkmcnt(0)
	v_mul_f64 v[54:55], v[44:45], v[50:51]
	v_fmac_f64_e32 v[54:55], v[46:47], v[48:49]
	v_add_f64 v[60:61], v[52:53], v[54:55]
	ds_read_b128 v[52:55], v2 offset:928
	;; [unrolled: 5-line block ×21, first 2 shown]
	s_waitcnt lgkmcnt(0)
	v_mul_f64 v[2:3], v[206:207], v[212:213]
	v_fmac_f64_e32 v[2:3], v[208:209], v[210:211]
	v_add_f64 v[168:169], v[168:169], v[2:3]
	v_mul_f64 v[2:3], v[18:19], v[22:23]
	v_fma_f64 v[2:3], v[16:17], v[20:21], -v[2:3]
	v_add_f64 v[2:3], v[2:3], 0
	v_add_f64 v[2:3], v[2:3], v[12:13]
	;; [unrolled: 1-line block ×4, first 2 shown]
	v_mul_f64 v[4:5], v[38:39], v[42:43]
	v_fma_f64 v[4:5], v[36:37], v[40:41], -v[4:5]
	v_add_f64 v[2:3], v[2:3], v[4:5]
	v_mul_f64 v[4:5], v[46:47], v[50:51]
	v_fma_f64 v[4:5], v[44:45], v[48:49], -v[4:5]
	v_add_f64 v[2:3], v[2:3], v[4:5]
	;; [unrolled: 3-line block ×22, first 2 shown]
	scratch_load_dwordx4 v[2:5], off, off offset:208
	s_waitcnt vmcnt(0)
	v_add_f64 v[2:3], v[2:3], -v[6:7]
	v_add_f64 v[4:5], v[4:5], -v[168:169]
	scratch_store_dwordx4 off, v[2:5], off offset:208
	s_and_saveexec_b64 s[0:1], vcc
	s_cbranch_execz .LBB38_225
; %bb.224:
	scratch_load_dwordx4 v[2:5], off, s54
	v_mov_b32_e32 v6, 0
	v_mov_b32_e32 v7, v6
	;; [unrolled: 1-line block ×4, first 2 shown]
	scratch_store_dwordx4 off, v[6:9], off offset:192
	s_waitcnt vmcnt(1)
	ds_write_b128 v1, v[2:5]
.LBB38_225:
	s_or_b64 exec, exec, s[0:1]
	v_mov_b32_e32 v2, 0
	s_waitcnt lgkmcnt(0)
	; wave barrier
	ds_read_b128 v[16:19], v2 offset:816
	ds_read_b128 v[12:15], v2 offset:832
	;; [unrolled: 1-line block ×4, first 2 shown]
	scratch_load_dwordx4 v[20:23], off, off offset:208
	scratch_load_dwordx4 v[40:43], off, off offset:272
	;; [unrolled: 1-line block ×21, first 2 shown]
	v_cmp_lt_u32_e32 vcc, 10, v0
	scratch_load_dwordx4 v[48:51], off, off offset:288
	scratch_load_dwordx4 v[56:59], off, off offset:304
	;; [unrolled: 1-line block ×3, first 2 shown]
	s_waitcnt vmcnt(23) lgkmcnt(3)
	v_mul_f64 v[24:25], v[16:17], v[22:23]
	v_fmac_f64_e32 v[24:25], v[18:19], v[20:21]
	v_add_f64 v[28:29], v[24:25], 0
	scratch_load_dwordx4 v[24:27], off, off offset:224
	v_mul_f64 v[18:19], v[18:19], v[22:23]
	v_fma_f64 v[16:17], v[16:17], v[20:21], -v[18:19]
	v_add_f64 v[16:17], v[16:17], 0
	s_waitcnt vmcnt(0) lgkmcnt(2)
	v_mul_f64 v[30:31], v[12:13], v[26:27]
	v_fmac_f64_e32 v[30:31], v[14:15], v[24:25]
	v_add_f64 v[32:33], v[28:29], v[30:31]
	scratch_load_dwordx4 v[28:31], off, off offset:240
	v_mul_f64 v[14:15], v[14:15], v[26:27]
	v_fma_f64 v[12:13], v[12:13], v[24:25], -v[14:15]
	v_add_f64 v[12:13], v[16:17], v[12:13]
	;; [unrolled: 8-line block ×3, first 2 shown]
	s_waitcnt vmcnt(0) lgkmcnt(0)
	v_mul_f64 v[38:39], v[4:5], v[34:35]
	v_fmac_f64_e32 v[38:39], v[6:7], v[32:33]
	v_add_f64 v[44:45], v[36:37], v[38:39]
	ds_read_b128 v[36:39], v2 offset:880
	v_mul_f64 v[6:7], v[6:7], v[34:35]
	v_fma_f64 v[4:5], v[4:5], v[32:33], -v[6:7]
	v_add_f64 v[4:5], v[8:9], v[4:5]
	s_waitcnt lgkmcnt(0)
	v_mul_f64 v[46:47], v[36:37], v[42:43]
	v_fmac_f64_e32 v[46:47], v[38:39], v[40:41]
	v_add_f64 v[52:53], v[44:45], v[46:47]
	ds_read_b128 v[44:47], v2 offset:896
	v_mul_f64 v[6:7], v[38:39], v[42:43]
	v_fma_f64 v[6:7], v[36:37], v[40:41], -v[6:7]
	v_add_f64 v[4:5], v[4:5], v[6:7]
	s_waitcnt lgkmcnt(0)
	;; [unrolled: 8-line block ×23, first 2 shown]
	v_mul_f64 v[6:7], v[216:217], v[220:221]
	v_fma_f64 v[6:7], v[214:215], v[218:219], -v[6:7]
	v_add_f64 v[8:9], v[4:5], v[6:7]
	scratch_load_dwordx4 v[4:7], off, off offset:192
	v_mul_f64 v[222:223], v[214:215], v[220:221]
	v_fmac_f64_e32 v[222:223], v[216:217], v[218:219]
	v_add_f64 v[160:161], v[160:161], v[222:223]
	s_waitcnt vmcnt(0)
	v_add_f64 v[4:5], v[4:5], -v[8:9]
	v_add_f64 v[6:7], v[6:7], -v[160:161]
	scratch_store_dwordx4 off, v[4:7], off offset:192
	s_and_saveexec_b64 s[0:1], vcc
	s_cbranch_execz .LBB38_227
; %bb.226:
	scratch_load_dwordx4 v[6:9], off, s53
	v_mov_b32_e32 v3, v2
	v_mov_b32_e32 v4, v2
	;; [unrolled: 1-line block ×3, first 2 shown]
	scratch_store_dwordx4 off, v[2:5], off offset:176
	s_waitcnt vmcnt(1)
	ds_write_b128 v1, v[6:9]
.LBB38_227:
	s_or_b64 exec, exec, s[0:1]
	s_waitcnt lgkmcnt(0)
	; wave barrier
	ds_read_b128 v[16:19], v2 offset:800
	ds_read_b128 v[12:15], v2 offset:816
	;; [unrolled: 1-line block ×4, first 2 shown]
	scratch_load_dwordx4 v[20:23], off, off offset:192
	scratch_load_dwordx4 v[40:43], off, off offset:256
	;; [unrolled: 1-line block ×22, first 2 shown]
	v_cmp_lt_u32_e32 vcc, 9, v0
	scratch_load_dwordx4 v[48:51], off, off offset:272
	scratch_load_dwordx4 v[56:59], off, off offset:288
	;; [unrolled: 1-line block ×3, first 2 shown]
	s_waitcnt vmcnt(24) lgkmcnt(3)
	v_mul_f64 v[24:25], v[16:17], v[22:23]
	v_fmac_f64_e32 v[24:25], v[18:19], v[20:21]
	v_add_f64 v[28:29], v[24:25], 0
	scratch_load_dwordx4 v[24:27], off, off offset:208
	s_waitcnt vmcnt(0) lgkmcnt(2)
	v_mul_f64 v[30:31], v[12:13], v[26:27]
	v_fmac_f64_e32 v[30:31], v[14:15], v[24:25]
	v_add_f64 v[32:33], v[28:29], v[30:31]
	scratch_load_dwordx4 v[28:31], off, off offset:224
	v_mul_f64 v[14:15], v[14:15], v[26:27]
	v_fma_f64 v[12:13], v[12:13], v[24:25], -v[14:15]
	s_waitcnt vmcnt(0) lgkmcnt(1)
	v_mul_f64 v[34:35], v[8:9], v[30:31]
	v_fmac_f64_e32 v[34:35], v[10:11], v[28:29]
	v_add_f64 v[36:37], v[32:33], v[34:35]
	scratch_load_dwordx4 v[32:35], off, off offset:240
	v_mul_f64 v[10:11], v[10:11], v[30:31]
	v_fma_f64 v[8:9], v[8:9], v[28:29], -v[10:11]
	s_waitcnt vmcnt(0) lgkmcnt(0)
	v_mul_f64 v[38:39], v[4:5], v[34:35]
	v_fmac_f64_e32 v[38:39], v[6:7], v[32:33]
	v_add_f64 v[44:45], v[36:37], v[38:39]
	ds_read_b128 v[36:39], v2 offset:864
	v_mul_f64 v[6:7], v[6:7], v[34:35]
	v_fma_f64 v[4:5], v[4:5], v[32:33], -v[6:7]
	s_waitcnt lgkmcnt(0)
	v_mul_f64 v[46:47], v[36:37], v[42:43]
	v_fmac_f64_e32 v[46:47], v[38:39], v[40:41]
	v_add_f64 v[52:53], v[44:45], v[46:47]
	ds_read_b128 v[44:47], v2 offset:880
	s_waitcnt lgkmcnt(0)
	v_mul_f64 v[54:55], v[44:45], v[50:51]
	v_fmac_f64_e32 v[54:55], v[46:47], v[48:49]
	v_add_f64 v[60:61], v[52:53], v[54:55]
	ds_read_b128 v[52:55], v2 offset:896
	;; [unrolled: 5-line block ×23, first 2 shown]
	s_waitcnt lgkmcnt(0)
	v_mul_f64 v[2:3], v[222:223], v[228:229]
	v_fmac_f64_e32 v[2:3], v[224:225], v[226:227]
	v_add_f64 v[176:177], v[176:177], v[2:3]
	v_mul_f64 v[2:3], v[18:19], v[22:23]
	v_fma_f64 v[2:3], v[16:17], v[20:21], -v[2:3]
	v_add_f64 v[2:3], v[2:3], 0
	v_add_f64 v[2:3], v[2:3], v[12:13]
	v_add_f64 v[2:3], v[2:3], v[8:9]
	v_add_f64 v[2:3], v[2:3], v[4:5]
	v_mul_f64 v[4:5], v[38:39], v[42:43]
	v_fma_f64 v[4:5], v[36:37], v[40:41], -v[4:5]
	v_add_f64 v[2:3], v[2:3], v[4:5]
	v_mul_f64 v[4:5], v[46:47], v[50:51]
	v_fma_f64 v[4:5], v[44:45], v[48:49], -v[4:5]
	v_add_f64 v[2:3], v[2:3], v[4:5]
	;; [unrolled: 3-line block ×24, first 2 shown]
	scratch_load_dwordx4 v[2:5], off, off offset:176
	s_waitcnt vmcnt(0)
	v_add_f64 v[2:3], v[2:3], -v[6:7]
	v_add_f64 v[4:5], v[4:5], -v[176:177]
	scratch_store_dwordx4 off, v[2:5], off offset:176
	s_and_saveexec_b64 s[0:1], vcc
	s_cbranch_execz .LBB38_229
; %bb.228:
	scratch_load_dwordx4 v[2:5], off, s23
	v_mov_b32_e32 v6, 0
	v_mov_b32_e32 v7, v6
	;; [unrolled: 1-line block ×4, first 2 shown]
	scratch_store_dwordx4 off, v[6:9], off offset:160
	s_waitcnt vmcnt(1)
	ds_write_b128 v1, v[2:5]
.LBB38_229:
	s_or_b64 exec, exec, s[0:1]
	v_mov_b32_e32 v2, 0
	s_waitcnt lgkmcnt(0)
	; wave barrier
	ds_read_b128 v[16:19], v2 offset:784
	ds_read_b128 v[12:15], v2 offset:800
	;; [unrolled: 1-line block ×4, first 2 shown]
	scratch_load_dwordx4 v[20:23], off, off offset:176
	scratch_load_dwordx4 v[40:43], off, off offset:240
	;; [unrolled: 1-line block ×23, first 2 shown]
	v_cmp_lt_u32_e32 vcc, 8, v0
	scratch_load_dwordx4 v[48:51], off, off offset:256
	scratch_load_dwordx4 v[56:59], off, off offset:272
	;; [unrolled: 1-line block ×3, first 2 shown]
	s_waitcnt vmcnt(25) lgkmcnt(3)
	v_mul_f64 v[24:25], v[16:17], v[22:23]
	v_fmac_f64_e32 v[24:25], v[18:19], v[20:21]
	v_add_f64 v[28:29], v[24:25], 0
	scratch_load_dwordx4 v[24:27], off, off offset:192
	v_mul_f64 v[18:19], v[18:19], v[22:23]
	v_fma_f64 v[16:17], v[16:17], v[20:21], -v[18:19]
	v_add_f64 v[16:17], v[16:17], 0
	s_waitcnt vmcnt(0) lgkmcnt(2)
	v_mul_f64 v[30:31], v[12:13], v[26:27]
	v_fmac_f64_e32 v[30:31], v[14:15], v[24:25]
	v_add_f64 v[32:33], v[28:29], v[30:31]
	scratch_load_dwordx4 v[28:31], off, off offset:208
	v_mul_f64 v[14:15], v[14:15], v[26:27]
	v_fma_f64 v[12:13], v[12:13], v[24:25], -v[14:15]
	v_add_f64 v[12:13], v[16:17], v[12:13]
	;; [unrolled: 8-line block ×3, first 2 shown]
	s_waitcnt vmcnt(0) lgkmcnt(0)
	v_mul_f64 v[38:39], v[4:5], v[34:35]
	v_fmac_f64_e32 v[38:39], v[6:7], v[32:33]
	v_add_f64 v[44:45], v[36:37], v[38:39]
	ds_read_b128 v[36:39], v2 offset:848
	v_mul_f64 v[6:7], v[6:7], v[34:35]
	v_fma_f64 v[4:5], v[4:5], v[32:33], -v[6:7]
	v_add_f64 v[4:5], v[8:9], v[4:5]
	s_waitcnt lgkmcnt(0)
	v_mul_f64 v[46:47], v[36:37], v[42:43]
	v_fmac_f64_e32 v[46:47], v[38:39], v[40:41]
	v_add_f64 v[52:53], v[44:45], v[46:47]
	ds_read_b128 v[44:47], v2 offset:864
	v_mul_f64 v[6:7], v[38:39], v[42:43]
	v_fma_f64 v[6:7], v[36:37], v[40:41], -v[6:7]
	v_add_f64 v[4:5], v[4:5], v[6:7]
	s_waitcnt lgkmcnt(0)
	;; [unrolled: 8-line block ×25, first 2 shown]
	v_mul_f64 v[6:7], v[232:233], v[236:237]
	v_fma_f64 v[6:7], v[230:231], v[234:235], -v[6:7]
	v_add_f64 v[8:9], v[4:5], v[6:7]
	scratch_load_dwordx4 v[4:7], off, off offset:160
	v_mul_f64 v[238:239], v[230:231], v[236:237]
	v_fmac_f64_e32 v[238:239], v[232:233], v[234:235]
	v_add_f64 v[176:177], v[176:177], v[238:239]
	s_waitcnt vmcnt(0)
	v_add_f64 v[4:5], v[4:5], -v[8:9]
	v_add_f64 v[6:7], v[6:7], -v[176:177]
	scratch_store_dwordx4 off, v[4:7], off offset:160
	s_and_saveexec_b64 s[0:1], vcc
	s_cbranch_execz .LBB38_231
; %bb.230:
	scratch_load_dwordx4 v[6:9], off, s20
	v_mov_b32_e32 v3, v2
	v_mov_b32_e32 v4, v2
	;; [unrolled: 1-line block ×3, first 2 shown]
	scratch_store_dwordx4 off, v[2:5], off offset:144
	s_waitcnt vmcnt(1)
	ds_write_b128 v1, v[6:9]
.LBB38_231:
	s_or_b64 exec, exec, s[0:1]
	s_waitcnt lgkmcnt(0)
	; wave barrier
	ds_read_b128 v[16:19], v2 offset:768
	ds_read_b128 v[12:15], v2 offset:784
	;; [unrolled: 1-line block ×4, first 2 shown]
	scratch_load_dwordx4 v[20:23], off, off offset:160
	scratch_load_dwordx4 v[40:43], off, off offset:224
	;; [unrolled: 1-line block ×24, first 2 shown]
	v_cmp_lt_u32_e32 vcc, 7, v0
	scratch_load_dwordx4 v[48:51], off, off offset:240
	scratch_load_dwordx4 v[56:59], off, off offset:256
	;; [unrolled: 1-line block ×3, first 2 shown]
	s_waitcnt vmcnt(26) lgkmcnt(3)
	v_mul_f64 v[24:25], v[16:17], v[22:23]
	v_fmac_f64_e32 v[24:25], v[18:19], v[20:21]
	v_add_f64 v[28:29], v[24:25], 0
	scratch_load_dwordx4 v[24:27], off, off offset:176
	s_waitcnt vmcnt(0) lgkmcnt(2)
	v_mul_f64 v[30:31], v[12:13], v[26:27]
	v_fmac_f64_e32 v[30:31], v[14:15], v[24:25]
	v_add_f64 v[32:33], v[28:29], v[30:31]
	scratch_load_dwordx4 v[28:31], off, off offset:192
	v_mul_f64 v[14:15], v[14:15], v[26:27]
	v_fma_f64 v[12:13], v[12:13], v[24:25], -v[14:15]
	s_waitcnt vmcnt(0) lgkmcnt(1)
	v_mul_f64 v[34:35], v[8:9], v[30:31]
	v_fmac_f64_e32 v[34:35], v[10:11], v[28:29]
	v_add_f64 v[36:37], v[32:33], v[34:35]
	scratch_load_dwordx4 v[32:35], off, off offset:208
	v_mul_f64 v[10:11], v[10:11], v[30:31]
	v_fma_f64 v[8:9], v[8:9], v[28:29], -v[10:11]
	s_waitcnt vmcnt(0) lgkmcnt(0)
	v_mul_f64 v[38:39], v[4:5], v[34:35]
	v_fmac_f64_e32 v[38:39], v[6:7], v[32:33]
	v_add_f64 v[44:45], v[36:37], v[38:39]
	ds_read_b128 v[36:39], v2 offset:832
	v_mul_f64 v[6:7], v[6:7], v[34:35]
	v_fma_f64 v[4:5], v[4:5], v[32:33], -v[6:7]
	s_waitcnt lgkmcnt(0)
	v_mul_f64 v[46:47], v[36:37], v[42:43]
	v_fmac_f64_e32 v[46:47], v[38:39], v[40:41]
	v_add_f64 v[52:53], v[44:45], v[46:47]
	ds_read_b128 v[44:47], v2 offset:848
	s_waitcnt lgkmcnt(0)
	v_mul_f64 v[54:55], v[44:45], v[50:51]
	v_fmac_f64_e32 v[54:55], v[46:47], v[48:49]
	v_add_f64 v[60:61], v[52:53], v[54:55]
	ds_read_b128 v[52:55], v2 offset:864
	;; [unrolled: 5-line block ×25, first 2 shown]
	s_waitcnt lgkmcnt(0)
	v_mul_f64 v[2:3], v[238:239], v[244:245]
	v_fmac_f64_e32 v[2:3], v[240:241], v[242:243]
	v_add_f64 v[184:185], v[184:185], v[2:3]
	v_mul_f64 v[2:3], v[18:19], v[22:23]
	v_fma_f64 v[2:3], v[16:17], v[20:21], -v[2:3]
	v_add_f64 v[2:3], v[2:3], 0
	v_add_f64 v[2:3], v[2:3], v[12:13]
	v_add_f64 v[2:3], v[2:3], v[8:9]
	v_add_f64 v[2:3], v[2:3], v[4:5]
	v_mul_f64 v[4:5], v[38:39], v[42:43]
	v_fma_f64 v[4:5], v[36:37], v[40:41], -v[4:5]
	v_add_f64 v[2:3], v[2:3], v[4:5]
	v_mul_f64 v[4:5], v[46:47], v[50:51]
	v_fma_f64 v[4:5], v[44:45], v[48:49], -v[4:5]
	v_add_f64 v[2:3], v[2:3], v[4:5]
	;; [unrolled: 3-line block ×26, first 2 shown]
	scratch_load_dwordx4 v[2:5], off, off offset:144
	s_waitcnt vmcnt(0)
	v_add_f64 v[2:3], v[2:3], -v[6:7]
	v_add_f64 v[4:5], v[4:5], -v[184:185]
	scratch_store_dwordx4 off, v[2:5], off offset:144
	s_and_saveexec_b64 s[0:1], vcc
	s_cbranch_execz .LBB38_233
; %bb.232:
	scratch_load_dwordx4 v[2:5], off, s52
	v_mov_b32_e32 v6, 0
	v_mov_b32_e32 v7, v6
	;; [unrolled: 1-line block ×4, first 2 shown]
	scratch_store_dwordx4 off, v[6:9], off offset:128
	s_waitcnt vmcnt(1)
	ds_write_b128 v1, v[2:5]
.LBB38_233:
	s_or_b64 exec, exec, s[0:1]
	s_waitcnt lgkmcnt(0)
	; wave barrier
	scratch_load_dwordx4 v[16:19], off, off offset:144
	scratch_load_dwordx4 v[12:15], off, off offset:160
	;; [unrolled: 1-line block ×32, first 2 shown]
	v_mov_b32_e32 v2, 0
	ds_read_b128 v[132:135], v2 offset:752
	ds_read_b128 v[136:139], v2 offset:768
	;; [unrolled: 1-line block ×17, first 2 shown]
	v_cmp_lt_u32_e32 vcc, 6, v0
	s_waitcnt vmcnt(31) lgkmcnt(14)
	v_mul_f64 v[200:201], v[132:133], v[18:19]
	s_waitcnt vmcnt(30)
	v_mul_f64 v[202:203], v[136:137], v[14:15]
	v_fmac_f64_e32 v[200:201], v[134:135], v[16:17]
	s_waitcnt vmcnt(29)
	v_mul_f64 v[204:205], v[140:141], v[10:11]
	v_fmac_f64_e32 v[202:203], v[138:139], v[12:13]
	v_add_f64 v[200:201], v[200:201], 0
	s_waitcnt vmcnt(28) lgkmcnt(13)
	v_mul_f64 v[206:207], v[144:145], v[6:7]
	v_fmac_f64_e32 v[204:205], v[142:143], v[8:9]
	v_add_f64 v[200:201], v[200:201], v[202:203]
	s_waitcnt vmcnt(27) lgkmcnt(12)
	;; [unrolled: 4-line block ×12, first 2 shown]
	v_mul_f64 v[228:229], v[188:189], v[62:63]
	v_fmac_f64_e32 v[226:227], v[186:187], v[56:57]
	v_add_f64 v[200:201], v[200:201], v[224:225]
	v_fmac_f64_e32 v[228:229], v[190:191], v[60:61]
	v_add_f64 v[200:201], v[200:201], v[226:227]
	s_waitcnt vmcnt(16) lgkmcnt(1)
	v_mul_f64 v[202:203], v[192:193], v[66:67]
	v_add_f64 v[200:201], v[200:201], v[228:229]
	v_fmac_f64_e32 v[202:203], v[194:195], v[64:65]
	s_waitcnt vmcnt(15) lgkmcnt(0)
	v_mul_f64 v[206:207], v[196:197], v[70:71]
	v_add_f64 v[204:205], v[200:201], v[202:203]
	ds_read_b128 v[200:203], v2 offset:1024
	v_fmac_f64_e32 v[206:207], v[198:199], v[68:69]
	v_add_f64 v[208:209], v[204:205], v[206:207]
	ds_read_b128 v[204:207], v2 offset:1040
	v_mul_f64 v[18:19], v[134:135], v[18:19]
	s_waitcnt vmcnt(14) lgkmcnt(1)
	v_mul_f64 v[210:211], v[200:201], v[74:75]
	v_fmac_f64_e32 v[210:211], v[202:203], v[72:73]
	v_add_f64 v[212:213], v[208:209], v[210:211]
	s_waitcnt vmcnt(13) lgkmcnt(0)
	v_mul_f64 v[214:215], v[204:205], v[78:79]
	ds_read_b128 v[208:211], v2 offset:1056
	v_fmac_f64_e32 v[214:215], v[206:207], v[76:77]
	v_add_f64 v[216:217], v[212:213], v[214:215]
	ds_read_b128 v[212:215], v2 offset:1072
	v_fma_f64 v[242:243], v[132:133], v[16:17], -v[18:19]
	s_waitcnt vmcnt(12) lgkmcnt(1)
	v_mul_f64 v[218:219], v[208:209], v[82:83]
	v_fmac_f64_e32 v[218:219], v[210:211], v[80:81]
	v_add_f64 v[220:221], v[216:217], v[218:219]
	s_waitcnt vmcnt(11) lgkmcnt(0)
	v_mul_f64 v[222:223], v[212:213], v[86:87]
	ds_read_b128 v[216:219], v2 offset:1088
	v_fmac_f64_e32 v[222:223], v[214:215], v[84:85]
	v_add_f64 v[224:225], v[220:221], v[222:223]
	ds_read_b128 v[220:223], v2 offset:1104
	ds_read_b128 v[16:19], v2 offset:1184
	s_waitcnt vmcnt(10) lgkmcnt(2)
	v_mul_f64 v[226:227], v[216:217], v[90:91]
	v_fmac_f64_e32 v[226:227], v[218:219], v[88:89]
	v_add_f64 v[228:229], v[224:225], v[226:227]
	s_waitcnt vmcnt(9) lgkmcnt(1)
	v_mul_f64 v[230:231], v[220:221], v[94:95]
	ds_read_b128 v[224:227], v2 offset:1120
	v_fmac_f64_e32 v[230:231], v[222:223], v[92:93]
	v_add_f64 v[232:233], v[228:229], v[230:231]
	ds_read_b128 v[228:231], v2 offset:1136
	v_mul_f64 v[14:15], v[138:139], v[14:15]
	s_waitcnt vmcnt(8) lgkmcnt(1)
	v_mul_f64 v[234:235], v[224:225], v[98:99]
	v_fmac_f64_e32 v[234:235], v[226:227], v[96:97]
	v_add_f64 v[236:237], v[232:233], v[234:235]
	s_waitcnt vmcnt(7) lgkmcnt(0)
	v_mul_f64 v[238:239], v[228:229], v[102:103]
	ds_read_b128 v[232:235], v2 offset:1152
	v_fmac_f64_e32 v[238:239], v[230:231], v[100:101]
	v_add_f64 v[240:241], v[236:237], v[238:239]
	ds_read_b128 v[236:239], v2 offset:1168
	v_fma_f64 v[136:137], v[136:137], v[12:13], -v[14:15]
	s_waitcnt vmcnt(6) lgkmcnt(1)
	v_mul_f64 v[132:133], v[232:233], v[106:107]
	v_fmac_f64_e32 v[132:133], v[234:235], v[104:105]
	v_add_f64 v[132:133], v[240:241], v[132:133]
	s_waitcnt vmcnt(5) lgkmcnt(0)
	v_mul_f64 v[134:135], v[236:237], v[110:111]
	v_fmac_f64_e32 v[134:135], v[238:239], v[108:109]
	v_add_f64 v[132:133], v[132:133], v[134:135]
	ds_read_b128 v[12:15], v2 offset:1200
	s_waitcnt vmcnt(4)
	v_mul_f64 v[134:135], v[16:17], v[114:115]
	v_fmac_f64_e32 v[134:135], v[18:19], v[112:113]
	v_add_f64 v[138:139], v[132:133], v[134:135]
	ds_read_b128 v[132:135], v2 offset:1216
	v_mul_f64 v[10:11], v[142:143], v[10:11]
	v_fma_f64 v[140:141], v[140:141], v[8:9], -v[10:11]
	ds_read_b128 v[8:11], v2 offset:1232
	s_waitcnt vmcnt(3) lgkmcnt(2)
	v_mul_f64 v[142:143], v[12:13], v[118:119]
	v_fmac_f64_e32 v[142:143], v[14:15], v[116:117]
	v_add_f64 v[138:139], v[138:139], v[142:143]
	s_waitcnt vmcnt(2) lgkmcnt(1)
	v_mul_f64 v[142:143], v[132:133], v[122:123]
	v_fmac_f64_e32 v[142:143], v[134:135], v[120:121]
	v_add_f64 v[138:139], v[138:139], v[142:143]
	;; [unrolled: 4-line block ×3, first 2 shown]
	v_add_f64 v[142:143], v[242:243], 0
	v_add_f64 v[136:137], v[142:143], v[136:137]
	v_mul_f64 v[6:7], v[146:147], v[6:7]
	v_add_f64 v[136:137], v[136:137], v[140:141]
	v_fma_f64 v[4:5], v[144:145], v[4:5], -v[6:7]
	v_mul_f64 v[6:7], v[150:151], v[22:23]
	v_add_f64 v[4:5], v[136:137], v[4:5]
	v_fma_f64 v[6:7], v[148:149], v[20:21], -v[6:7]
	v_add_f64 v[4:5], v[4:5], v[6:7]
	v_mul_f64 v[6:7], v[154:155], v[26:27]
	v_fma_f64 v[6:7], v[152:153], v[24:25], -v[6:7]
	v_add_f64 v[4:5], v[4:5], v[6:7]
	v_mul_f64 v[6:7], v[158:159], v[30:31]
	;; [unrolled: 3-line block ×26, first 2 shown]
	v_fma_f64 v[6:7], v[8:9], v[124:125], -v[6:7]
	v_add_f64 v[4:5], v[4:5], v[6:7]
	s_waitcnt vmcnt(0)
	v_add_f64 v[4:5], v[128:129], -v[4:5]
	v_add_f64 v[6:7], v[130:131], -v[138:139]
	scratch_store_dwordx4 off, v[4:7], off offset:128
	s_and_saveexec_b64 s[0:1], vcc
	s_cbranch_execz .LBB38_235
; %bb.234:
	scratch_load_dwordx4 v[6:9], off, s22
	v_mov_b32_e32 v3, v2
	v_mov_b32_e32 v4, v2
	;; [unrolled: 1-line block ×3, first 2 shown]
	scratch_store_dwordx4 off, v[2:5], off offset:112
	s_waitcnt vmcnt(1)
	ds_write_b128 v1, v[6:9]
.LBB38_235:
	s_or_b64 exec, exec, s[0:1]
	s_waitcnt lgkmcnt(0)
	; wave barrier
	scratch_load_dwordx4 v[140:143], off, off offset:128
	scratch_load_dwordx4 v[148:151], off, off offset:144
	;; [unrolled: 1-line block ×16, first 2 shown]
	ds_read_b128 v[188:191], v2 offset:736
	ds_read_b128 v[184:187], v2 offset:752
	scratch_load_dwordx4 v[56:59], off, off offset:384
	ds_read_b128 v[192:195], v2 offset:768
	ds_read_b128 v[68:71], v2 offset:784
	scratch_load_dwordx4 v[60:63], off, off offset:400
	ds_read_b128 v[88:91], v2 offset:800
	ds_read_b128 v[84:87], v2 offset:816
	;; [unrolled: 1-line block ×4, first 2 shown]
	scratch_load_dwordx4 v[64:67], off, off offset:416
	ds_read_b128 v[100:103], v2 offset:864
	ds_read_b128 v[96:99], v2 offset:880
	scratch_load_dwordx4 v[72:75], off, off offset:432
	ds_read_b128 v[116:119], v2 offset:896
	ds_read_b128 v[112:115], v2 offset:912
	;; [unrolled: 1-line block ×4, first 2 shown]
	scratch_load_dwordx4 v[92:95], off, off offset:448
	ds_read_b128 v[132:135], v2 offset:960
	ds_read_b128 v[128:131], v2 offset:976
	;; [unrolled: 1-line block ×3, first 2 shown]
	scratch_load_dwordx4 v[120:123], off, off offset:464
	scratch_load_dwordx4 v[136:139], off, off offset:480
	;; [unrolled: 1-line block ×11, first 2 shown]
	v_cmp_lt_u32_e32 vcc, 5, v0
	s_waitcnt vmcnt(31) lgkmcnt(14)
	v_mul_f64 v[200:201], v[188:189], v[142:143]
	s_waitcnt vmcnt(30)
	v_mul_f64 v[202:203], v[184:185], v[150:151]
	v_fmac_f64_e32 v[200:201], v[190:191], v[140:141]
	s_waitcnt vmcnt(29)
	v_mul_f64 v[204:205], v[192:193], v[154:155]
	v_fmac_f64_e32 v[202:203], v[186:187], v[148:149]
	v_add_f64 v[200:201], v[200:201], 0
	s_waitcnt vmcnt(28) lgkmcnt(13)
	v_mul_f64 v[206:207], v[68:69], v[6:7]
	v_fmac_f64_e32 v[204:205], v[194:195], v[152:153]
	v_add_f64 v[200:201], v[200:201], v[202:203]
	s_waitcnt vmcnt(27) lgkmcnt(12)
	;; [unrolled: 4-line block ×13, first 2 shown]
	v_mul_f64 v[230:231], v[128:129], v[54:55]
	v_fmac_f64_e32 v[228:229], v[134:135], v[48:49]
	v_add_f64 v[200:201], v[200:201], v[226:227]
	v_add_f64 v[200:201], v[200:201], v[228:229]
	v_fmac_f64_e32 v[230:231], v[130:131], v[52:53]
	v_add_f64 v[204:205], v[200:201], v[230:231]
	ds_read_b128 v[200:203], v2 offset:1008
	s_waitcnt vmcnt(15) lgkmcnt(1)
	v_mul_f64 v[206:207], v[124:125], v[58:59]
	v_fmac_f64_e32 v[206:207], v[126:127], v[56:57]
	v_add_f64 v[208:209], v[204:205], v[206:207]
	ds_read_b128 v[204:207], v2 offset:1024
	s_waitcnt vmcnt(14) lgkmcnt(1)
	v_mul_f64 v[210:211], v[200:201], v[62:63]
	;; [unrolled: 5-line block ×10, first 2 shown]
	v_fmac_f64_e32 v[242:243], v[234:235], v[160:161]
	v_mul_f64 v[142:143], v[190:191], v[142:143]
	v_add_f64 v[242:243], v[240:241], v[242:243]
	v_fma_f64 v[240:241], v[188:189], v[140:141], -v[142:143]
	ds_read_b128 v[140:143], v2 offset:1168
	v_mul_f64 v[150:151], v[186:187], v[150:151]
	s_waitcnt vmcnt(5) lgkmcnt(1)
	v_mul_f64 v[188:189], v[236:237], v[166:167]
	v_fma_f64 v[254:255], v[184:185], v[148:149], -v[150:151]
	ds_read_b128 v[148:151], v2 offset:1184
	v_fmac_f64_e32 v[188:189], v[238:239], v[164:165]
	s_waitcnt vmcnt(4) lgkmcnt(1)
	v_mul_f64 v[184:185], v[140:141], v[170:171]
	v_add_f64 v[188:189], v[242:243], v[188:189]
	v_fmac_f64_e32 v[184:185], v[142:143], v[168:169]
	v_add_f64 v[188:189], v[188:189], v[184:185]
	ds_read_b128 v[184:187], v2 offset:1200
	v_mul_f64 v[154:155], v[194:195], v[154:155]
	s_waitcnt vmcnt(3) lgkmcnt(1)
	v_mul_f64 v[190:191], v[148:149], v[174:175]
	v_fma_f64 v[244:245], v[192:193], v[152:153], -v[154:155]
	ds_read_b128 v[152:155], v2 offset:1216
	v_fmac_f64_e32 v[190:191], v[150:151], v[172:173]
	v_add_f64 v[242:243], v[188:189], v[190:191]
	ds_read_b128 v[188:191], v2 offset:1232
	s_waitcnt vmcnt(2) lgkmcnt(2)
	v_mul_f64 v[192:193], v[184:185], v[178:179]
	v_fmac_f64_e32 v[192:193], v[186:187], v[176:177]
	v_add_f64 v[2:3], v[242:243], v[192:193]
	s_waitcnt vmcnt(1) lgkmcnt(1)
	v_mul_f64 v[192:193], v[152:153], v[182:183]
	v_fmac_f64_e32 v[192:193], v[154:155], v[180:181]
	v_add_f64 v[2:3], v[2:3], v[192:193]
	;; [unrolled: 4-line block ×3, first 2 shown]
	scratch_load_dwordx4 v[192:195], off, off offset:112
	v_add_f64 v[240:241], v[240:241], 0
	v_add_f64 v[240:241], v[240:241], v[254:255]
	v_mul_f64 v[6:7], v[70:71], v[6:7]
	v_add_f64 v[240:241], v[240:241], v[244:245]
	v_fma_f64 v[4:5], v[68:69], v[4:5], -v[6:7]
	v_mul_f64 v[6:7], v[90:91], v[10:11]
	v_add_f64 v[4:5], v[240:241], v[4:5]
	v_fma_f64 v[6:7], v[88:89], v[8:9], -v[6:7]
	v_add_f64 v[4:5], v[4:5], v[6:7]
	v_mul_f64 v[6:7], v[86:87], v[14:15]
	v_fma_f64 v[6:7], v[84:85], v[12:13], -v[6:7]
	v_add_f64 v[4:5], v[4:5], v[6:7]
	v_mul_f64 v[6:7], v[82:83], v[18:19]
	;; [unrolled: 3-line block ×27, first 2 shown]
	v_fma_f64 v[6:7], v[188:189], v[196:197], -v[6:7]
	v_add_f64 v[4:5], v[4:5], v[6:7]
	s_waitcnt vmcnt(0)
	v_add_f64 v[4:5], v[192:193], -v[4:5]
	v_add_f64 v[6:7], v[194:195], -v[2:3]
	scratch_store_dwordx4 off, v[4:7], off offset:112
	s_and_saveexec_b64 s[0:1], vcc
	s_cbranch_execz .LBB38_237
; %bb.236:
	scratch_load_dwordx4 v[2:5], off, s21
	v_mov_b32_e32 v6, 0
	v_mov_b32_e32 v7, v6
	;; [unrolled: 1-line block ×4, first 2 shown]
	scratch_store_dwordx4 off, v[6:9], off offset:96
	s_waitcnt vmcnt(1)
	ds_write_b128 v1, v[2:5]
.LBB38_237:
	s_or_b64 exec, exec, s[0:1]
	s_waitcnt lgkmcnt(0)
	; wave barrier
	scratch_load_dwordx4 v[108:111], off, off offset:112
	scratch_load_dwordx4 v[116:119], off, off offset:128
	;; [unrolled: 1-line block ×33, first 2 shown]
	v_mov_b32_e32 v2, 0
	ds_read_b128 v[220:223], v2 offset:720
	ds_read_b128 v[224:227], v2 offset:736
	;; [unrolled: 1-line block ×16, first 2 shown]
	v_cmp_lt_u32_e32 vcc, 4, v0
	s_waitcnt vmcnt(32) lgkmcnt(14)
	v_mul_f64 v[180:181], v[220:221], v[110:111]
	s_waitcnt vmcnt(31)
	v_mul_f64 v[182:183], v[224:225], v[118:119]
	v_fmac_f64_e32 v[180:181], v[222:223], v[108:109]
	s_waitcnt vmcnt(30) lgkmcnt(13)
	v_mul_f64 v[184:185], v[234:235], v[122:123]
	v_fmac_f64_e32 v[182:183], v[226:227], v[116:117]
	v_add_f64 v[180:181], v[180:181], 0
	s_waitcnt vmcnt(29) lgkmcnt(12)
	v_mul_f64 v[186:187], v[238:239], v[126:127]
	v_fmac_f64_e32 v[184:185], v[236:237], v[120:121]
	v_add_f64 v[180:181], v[180:181], v[182:183]
	;; [unrolled: 4-line block ×13, first 2 shown]
	v_fmac_f64_e32 v[208:209], v[142:143], v[40:41]
	v_add_f64 v[180:181], v[180:181], v[206:207]
	v_add_f64 v[184:185], v[180:181], v[208:209]
	ds_read_b128 v[180:183], v2 offset:976
	s_waitcnt vmcnt(17) lgkmcnt(1)
	v_mul_f64 v[186:187], v[136:137], v[46:47]
	v_fmac_f64_e32 v[186:187], v[138:139], v[44:45]
	v_add_f64 v[188:189], v[184:185], v[186:187]
	ds_read_b128 v[184:187], v2 offset:992
	s_waitcnt vmcnt(16) lgkmcnt(1)
	v_mul_f64 v[190:191], v[180:181], v[50:51]
	v_fmac_f64_e32 v[190:191], v[182:183], v[48:49]
	v_add_f64 v[192:193], v[188:189], v[190:191]
	ds_read_b128 v[188:191], v2 offset:1008
	s_waitcnt vmcnt(15) lgkmcnt(1)
	v_mul_f64 v[194:195], v[184:185], v[54:55]
	v_fmac_f64_e32 v[194:195], v[186:187], v[52:53]
	v_add_f64 v[196:197], v[192:193], v[194:195]
	ds_read_b128 v[192:195], v2 offset:1024
	s_waitcnt vmcnt(14) lgkmcnt(1)
	v_mul_f64 v[198:199], v[188:189], v[58:59]
	v_fmac_f64_e32 v[198:199], v[190:191], v[56:57]
	v_add_f64 v[200:201], v[196:197], v[198:199]
	ds_read_b128 v[196:199], v2 offset:1040
	s_waitcnt vmcnt(13) lgkmcnt(1)
	v_mul_f64 v[202:203], v[192:193], v[62:63]
	v_fmac_f64_e32 v[202:203], v[194:195], v[60:61]
	v_add_f64 v[204:205], v[200:201], v[202:203]
	ds_read_b128 v[200:203], v2 offset:1056
	s_waitcnt vmcnt(12) lgkmcnt(1)
	v_mul_f64 v[206:207], v[196:197], v[66:67]
	v_fmac_f64_e32 v[206:207], v[198:199], v[64:65]
	v_add_f64 v[208:209], v[204:205], v[206:207]
	ds_read_b128 v[204:207], v2 offset:1072
	s_waitcnt vmcnt(11) lgkmcnt(1)
	v_mul_f64 v[210:211], v[200:201], v[70:71]
	v_fmac_f64_e32 v[210:211], v[202:203], v[68:69]
	v_add_f64 v[212:213], v[208:209], v[210:211]
	ds_read_b128 v[208:211], v2 offset:1088
	s_waitcnt vmcnt(10) lgkmcnt(1)
	v_mul_f64 v[214:215], v[204:205], v[74:75]
	v_fmac_f64_e32 v[214:215], v[206:207], v[72:73]
	v_add_f64 v[216:217], v[212:213], v[214:215]
	ds_read_b128 v[212:215], v2 offset:1104
	s_waitcnt vmcnt(9) lgkmcnt(1)
	v_mul_f64 v[218:219], v[208:209], v[78:79]
	v_fmac_f64_e32 v[218:219], v[210:211], v[76:77]
	v_add_f64 v[228:229], v[216:217], v[218:219]
	ds_read_b128 v[216:219], v2 offset:1120
	s_waitcnt vmcnt(8) lgkmcnt(1)
	v_mul_f64 v[230:231], v[212:213], v[82:83]
	v_fmac_f64_e32 v[230:231], v[214:215], v[80:81]
	v_mul_f64 v[110:111], v[222:223], v[110:111]
	v_add_f64 v[228:229], v[228:229], v[230:231]
	v_fma_f64 v[230:231], v[220:221], v[108:109], -v[110:111]
	ds_read_b128 v[108:111], v2 offset:1136
	s_waitcnt vmcnt(7) lgkmcnt(1)
	v_mul_f64 v[220:221], v[216:217], v[86:87]
	v_mul_f64 v[118:119], v[226:227], v[118:119]
	v_fmac_f64_e32 v[220:221], v[218:219], v[84:85]
	v_fma_f64 v[232:233], v[224:225], v[116:117], -v[118:119]
	ds_read_b128 v[116:119], v2 offset:1152
	s_waitcnt vmcnt(6) lgkmcnt(1)
	v_mul_f64 v[222:223], v[108:109], v[90:91]
	v_add_f64 v[220:221], v[228:229], v[220:221]
	v_fmac_f64_e32 v[222:223], v[110:111], v[88:89]
	v_add_f64 v[224:225], v[220:221], v[222:223]
	ds_read_b128 v[220:223], v2 offset:1168
	v_mul_f64 v[122:123], v[236:237], v[122:123]
	v_fma_f64 v[234:235], v[234:235], v[120:121], -v[122:123]
	ds_read_b128 v[120:123], v2 offset:1184
	s_waitcnt vmcnt(5) lgkmcnt(2)
	v_mul_f64 v[226:227], v[116:117], v[94:95]
	v_fmac_f64_e32 v[226:227], v[118:119], v[92:93]
	v_mul_f64 v[126:127], v[240:241], v[126:127]
	v_add_f64 v[224:225], v[224:225], v[226:227]
	s_waitcnt vmcnt(4) lgkmcnt(1)
	v_mul_f64 v[226:227], v[220:221], v[98:99]
	v_fma_f64 v[236:237], v[238:239], v[124:125], -v[126:127]
	ds_read_b128 v[124:127], v2 offset:1200
	v_fmac_f64_e32 v[226:227], v[222:223], v[96:97]
	v_add_f64 v[228:229], v[224:225], v[226:227]
	s_waitcnt vmcnt(3) lgkmcnt(1)
	v_mul_f64 v[238:239], v[120:121], v[102:103]
	ds_read_b128 v[224:227], v2 offset:1216
	v_fmac_f64_e32 v[238:239], v[122:123], v[100:101]
	v_mul_f64 v[130:131], v[244:245], v[130:131]
	v_add_f64 v[228:229], v[228:229], v[238:239]
	v_fma_f64 v[238:239], v[242:243], v[128:129], -v[130:131]
	ds_read_b128 v[128:131], v2 offset:1232
	s_waitcnt vmcnt(2) lgkmcnt(2)
	v_mul_f64 v[240:241], v[124:125], v[106:107]
	v_fmac_f64_e32 v[240:241], v[126:127], v[104:105]
	v_add_f64 v[228:229], v[228:229], v[240:241]
	s_waitcnt vmcnt(1) lgkmcnt(1)
	v_mul_f64 v[240:241], v[224:225], v[114:115]
	v_fmac_f64_e32 v[240:241], v[226:227], v[112:113]
	v_add_f64 v[228:229], v[228:229], v[240:241]
	;; [unrolled: 4-line block ×3, first 2 shown]
	scratch_load_dwordx4 v[240:243], off, off offset:96
	v_add_f64 v[230:231], v[230:231], 0
	v_add_f64 v[230:231], v[230:231], v[232:233]
	;; [unrolled: 1-line block ×4, first 2 shown]
	v_mul_f64 v[6:7], v[178:179], v[6:7]
	v_add_f64 v[230:231], v[230:231], v[238:239]
	v_fma_f64 v[4:5], v[176:177], v[4:5], -v[6:7]
	v_mul_f64 v[6:7], v[174:175], v[10:11]
	v_add_f64 v[4:5], v[230:231], v[4:5]
	v_fma_f64 v[6:7], v[172:173], v[8:9], -v[6:7]
	v_add_f64 v[4:5], v[4:5], v[6:7]
	v_mul_f64 v[6:7], v[170:171], v[14:15]
	v_fma_f64 v[6:7], v[168:169], v[12:13], -v[6:7]
	v_add_f64 v[4:5], v[4:5], v[6:7]
	v_mul_f64 v[6:7], v[166:167], v[18:19]
	;; [unrolled: 3-line block ×26, first 2 shown]
	v_fma_f64 v[6:7], v[128:129], v[132:133], -v[6:7]
	v_add_f64 v[4:5], v[4:5], v[6:7]
	s_waitcnt vmcnt(0)
	v_add_f64 v[4:5], v[240:241], -v[4:5]
	v_add_f64 v[6:7], v[242:243], -v[228:229]
	scratch_store_dwordx4 off, v[4:7], off offset:96
	s_and_saveexec_b64 s[0:1], vcc
	s_cbranch_execz .LBB38_239
; %bb.238:
	scratch_load_dwordx4 v[6:9], off, s14
	v_mov_b32_e32 v3, v2
	v_mov_b32_e32 v4, v2
	v_mov_b32_e32 v5, v2
	scratch_store_dwordx4 off, v[2:5], off offset:80
	s_waitcnt vmcnt(1)
	ds_write_b128 v1, v[6:9]
.LBB38_239:
	s_or_b64 exec, exec, s[0:1]
	s_waitcnt lgkmcnt(0)
	; wave barrier
	scratch_load_dwordx4 v[144:147], off, off offset:96
	scratch_load_dwordx4 v[152:155], off, off offset:112
	scratch_load_dwordx4 v[156:159], off, off offset:128
	scratch_load_dwordx4 v[160:163], off, off offset:144
	scratch_load_dwordx4 v[168:171], off, off offset:160
	scratch_load_dwordx4 v[4:7], off, off offset:176
	scratch_load_dwordx4 v[8:11], off, off offset:192
	scratch_load_dwordx4 v[12:15], off, off offset:208
	scratch_load_dwordx4 v[16:19], off, off offset:224
	scratch_load_dwordx4 v[20:23], off, off offset:240
	scratch_load_dwordx4 v[24:27], off, off offset:256
	scratch_load_dwordx4 v[28:31], off, off offset:272
	scratch_load_dwordx4 v[32:35], off, off offset:288
	scratch_load_dwordx4 v[36:39], off, off offset:304
	scratch_load_dwordx4 v[40:43], off, off offset:320
	scratch_load_dwordx4 v[44:47], off, off offset:336
	ds_read_b128 v[196:199], v2 offset:704
	ds_read_b128 v[188:191], v2 offset:720
	ds_read_b128 v[180:183], v2 offset:736
	scratch_load_dwordx4 v[48:51], off, off offset:352
	ds_read_b128 v[192:195], v2 offset:752
	ds_read_b128 v[184:187], v2 offset:768
	ds_read_b128 v[64:67], v2 offset:784
	scratch_load_dwordx4 v[52:55], off, off offset:368
	;; [unrolled: 4-line block ×5, first 2 shown]
	ds_read_b128 v[116:119], v2 offset:944
	ds_read_b128 v[112:115], v2 offset:960
	scratch_load_dwordx4 v[108:111], off, off offset:432
	scratch_load_dwordx4 v[120:123], off, off offset:448
	scratch_load_dwordx4 v[124:127], off, off offset:464
	scratch_load_dwordx4 v[128:131], off, off offset:480
	scratch_load_dwordx4 v[132:135], off, off offset:496
	scratch_load_dwordx4 v[136:139], off, off offset:512
	scratch_load_dwordx4 v[140:143], off, off offset:528
	scratch_load_dwordx4 v[148:151], off, off offset:544
	scratch_load_dwordx4 v[164:167], off, off offset:560
	scratch_load_dwordx4 v[172:175], off, off offset:576
	scratch_load_dwordx4 v[176:179], off, off offset:592
	scratch_load_dwordx4 v[200:203], off, off offset:608
	v_cmp_lt_u32_e32 vcc, 3, v0
	s_waitcnt vmcnt(32) lgkmcnt(14)
	v_mul_f64 v[204:205], v[196:197], v[146:147]
	s_waitcnt vmcnt(31)
	v_mul_f64 v[206:207], v[188:189], v[154:155]
	v_fmac_f64_e32 v[204:205], v[198:199], v[144:145]
	s_waitcnt vmcnt(30)
	v_mul_f64 v[208:209], v[180:181], v[158:159]
	v_fmac_f64_e32 v[206:207], v[190:191], v[152:153]
	v_add_f64 v[204:205], v[204:205], 0
	s_waitcnt vmcnt(29) lgkmcnt(13)
	v_mul_f64 v[210:211], v[192:193], v[162:163]
	v_fmac_f64_e32 v[208:209], v[182:183], v[156:157]
	v_add_f64 v[204:205], v[204:205], v[206:207]
	s_waitcnt vmcnt(28) lgkmcnt(12)
	;; [unrolled: 4-line block ×12, first 2 shown]
	v_mul_f64 v[232:233], v[96:97], v[42:43]
	v_fmac_f64_e32 v[230:231], v[102:103], v[36:37]
	v_add_f64 v[204:205], v[204:205], v[228:229]
	v_fmac_f64_e32 v[232:233], v[98:99], v[40:41]
	v_add_f64 v[204:205], v[204:205], v[230:231]
	s_waitcnt vmcnt(17) lgkmcnt(1)
	v_mul_f64 v[206:207], v[116:117], v[46:47]
	v_add_f64 v[204:205], v[204:205], v[232:233]
	v_fmac_f64_e32 v[206:207], v[118:119], v[44:45]
	s_waitcnt vmcnt(16) lgkmcnt(0)
	v_mul_f64 v[210:211], v[112:113], v[50:51]
	v_add_f64 v[208:209], v[204:205], v[206:207]
	ds_read_b128 v[204:207], v2 offset:976
	v_fmac_f64_e32 v[210:211], v[114:115], v[48:49]
	v_add_f64 v[212:213], v[208:209], v[210:211]
	ds_read_b128 v[208:211], v2 offset:992
	v_mul_f64 v[146:147], v[198:199], v[146:147]
	s_waitcnt vmcnt(15) lgkmcnt(1)
	v_mul_f64 v[214:215], v[204:205], v[54:55]
	v_fmac_f64_e32 v[214:215], v[206:207], v[52:53]
	v_add_f64 v[216:217], v[212:213], v[214:215]
	s_waitcnt vmcnt(14) lgkmcnt(0)
	v_mul_f64 v[218:219], v[208:209], v[58:59]
	ds_read_b128 v[212:215], v2 offset:1008
	v_fmac_f64_e32 v[218:219], v[210:211], v[56:57]
	v_add_f64 v[220:221], v[216:217], v[218:219]
	ds_read_b128 v[216:219], v2 offset:1024
	v_mul_f64 v[154:155], v[190:191], v[154:155]
	s_waitcnt vmcnt(13) lgkmcnt(1)
	v_mul_f64 v[222:223], v[212:213], v[62:63]
	v_fmac_f64_e32 v[222:223], v[214:215], v[60:61]
	v_add_f64 v[224:225], v[220:221], v[222:223]
	s_waitcnt vmcnt(12) lgkmcnt(0)
	v_mul_f64 v[226:227], v[216:217], v[94:95]
	ds_read_b128 v[220:223], v2 offset:1040
	v_fmac_f64_e32 v[226:227], v[218:219], v[92:93]
	v_add_f64 v[228:229], v[224:225], v[226:227]
	ds_read_b128 v[224:227], v2 offset:1056
	v_fma_f64 v[244:245], v[188:189], v[152:153], -v[154:155]
	s_waitcnt vmcnt(11) lgkmcnt(1)
	v_mul_f64 v[230:231], v[220:221], v[110:111]
	v_fmac_f64_e32 v[230:231], v[222:223], v[108:109]
	v_add_f64 v[232:233], v[228:229], v[230:231]
	s_waitcnt vmcnt(10) lgkmcnt(0)
	v_mul_f64 v[234:235], v[224:225], v[122:123]
	ds_read_b128 v[228:231], v2 offset:1072
	v_fmac_f64_e32 v[234:235], v[226:227], v[120:121]
	v_add_f64 v[236:237], v[232:233], v[234:235]
	ds_read_b128 v[232:235], v2 offset:1088
	ds_read_b128 v[152:155], v2 offset:1136
	s_waitcnt vmcnt(9) lgkmcnt(2)
	v_mul_f64 v[238:239], v[228:229], v[126:127]
	v_fmac_f64_e32 v[238:239], v[230:231], v[124:125]
	v_add_f64 v[240:241], v[236:237], v[238:239]
	s_waitcnt vmcnt(8) lgkmcnt(1)
	v_mul_f64 v[242:243], v[232:233], v[130:131]
	ds_read_b128 v[236:239], v2 offset:1104
	v_fmac_f64_e32 v[242:243], v[234:235], v[128:129]
	v_add_f64 v[240:241], v[240:241], v[242:243]
	v_fma_f64 v[242:243], v[196:197], v[144:145], -v[146:147]
	ds_read_b128 v[144:147], v2 offset:1120
	s_waitcnt vmcnt(7) lgkmcnt(1)
	v_mul_f64 v[196:197], v[236:237], v[134:135]
	v_fmac_f64_e32 v[196:197], v[238:239], v[132:133]
	v_add_f64 v[188:189], v[240:241], v[196:197]
	v_mul_f64 v[158:159], v[182:183], v[158:159]
	s_waitcnt vmcnt(6) lgkmcnt(0)
	v_mul_f64 v[190:191], v[144:145], v[138:139]
	v_fmac_f64_e32 v[190:191], v[146:147], v[136:137]
	v_add_f64 v[196:197], v[188:189], v[190:191]
	ds_read_b128 v[188:191], v2 offset:1152
	v_fma_f64 v[240:241], v[180:181], v[156:157], -v[158:159]
	ds_read_b128 v[156:159], v2 offset:1168
	s_waitcnt vmcnt(5)
	v_mul_f64 v[198:199], v[152:153], v[142:143]
	v_fmac_f64_e32 v[198:199], v[154:155], v[140:141]
	s_waitcnt vmcnt(4) lgkmcnt(1)
	v_mul_f64 v[180:181], v[188:189], v[150:151]
	v_add_f64 v[196:197], v[196:197], v[198:199]
	v_fmac_f64_e32 v[180:181], v[190:191], v[148:149]
	v_mul_f64 v[162:163], v[194:195], v[162:163]
	v_add_f64 v[198:199], v[196:197], v[180:181]
	v_fma_f64 v[196:197], v[192:193], v[160:161], -v[162:163]
	ds_read_b128 v[160:163], v2 offset:1184
	s_waitcnt vmcnt(3) lgkmcnt(1)
	v_mul_f64 v[192:193], v[156:157], v[166:167]
	ds_read_b128 v[180:183], v2 offset:1200
	v_fmac_f64_e32 v[192:193], v[158:159], v[164:165]
	v_mul_f64 v[170:171], v[186:187], v[170:171]
	v_add_f64 v[192:193], v[198:199], v[192:193]
	v_fma_f64 v[198:199], v[184:185], v[168:169], -v[170:171]
	ds_read_b128 v[168:171], v2 offset:1216
	s_waitcnt vmcnt(2) lgkmcnt(2)
	v_mul_f64 v[184:185], v[160:161], v[174:175]
	v_fmac_f64_e32 v[184:185], v[162:163], v[172:173]
	s_waitcnt vmcnt(1) lgkmcnt(1)
	v_mul_f64 v[186:187], v[180:181], v[178:179]
	v_add_f64 v[184:185], v[192:193], v[184:185]
	v_fmac_f64_e32 v[186:187], v[182:183], v[176:177]
	v_add_f64 v[184:185], v[184:185], v[186:187]
	s_waitcnt vmcnt(0) lgkmcnt(0)
	v_mul_f64 v[186:187], v[168:169], v[202:203]
	v_fmac_f64_e32 v[186:187], v[170:171], v[200:201]
	v_add_f64 v[254:255], v[184:185], v[186:187]
	scratch_load_dwordx4 v[184:187], off, off offset:624
	v_add_f64 v[242:243], v[242:243], 0
	v_add_f64 v[242:243], v[242:243], v[244:245]
	;; [unrolled: 1-line block ×3, first 2 shown]
	scratch_load_dwordx4 v[242:245], off, off offset:80
	v_add_f64 v[196:197], v[240:241], v[196:197]
	v_mul_f64 v[6:7], v[66:67], v[6:7]
	v_add_f64 v[196:197], v[196:197], v[198:199]
	v_fma_f64 v[4:5], v[64:65], v[4:5], -v[6:7]
	v_mul_f64 v[6:7], v[78:79], v[10:11]
	v_add_f64 v[4:5], v[196:197], v[4:5]
	v_fma_f64 v[6:7], v[76:77], v[8:9], -v[6:7]
	v_add_f64 v[4:5], v[4:5], v[6:7]
	v_mul_f64 v[6:7], v[74:75], v[14:15]
	v_fma_f64 v[6:7], v[72:73], v[12:13], -v[6:7]
	v_add_f64 v[4:5], v[4:5], v[6:7]
	v_mul_f64 v[6:7], v[70:71], v[18:19]
	;; [unrolled: 3-line block ×24, first 2 shown]
	ds_read_b128 v[192:195], v2 offset:1232
	v_fma_f64 v[6:7], v[160:161], v[172:173], -v[6:7]
	v_add_f64 v[4:5], v[4:5], v[6:7]
	v_mul_f64 v[6:7], v[182:183], v[178:179]
	v_fma_f64 v[6:7], v[180:181], v[176:177], -v[6:7]
	v_add_f64 v[4:5], v[4:5], v[6:7]
	v_mul_f64 v[6:7], v[170:171], v[202:203]
	v_fma_f64 v[6:7], v[168:169], v[200:201], -v[6:7]
	s_waitcnt vmcnt(1) lgkmcnt(0)
	v_mul_f64 v[2:3], v[192:193], v[186:187]
	v_add_f64 v[4:5], v[4:5], v[6:7]
	v_mul_f64 v[6:7], v[194:195], v[186:187]
	v_fmac_f64_e32 v[2:3], v[194:195], v[184:185]
	v_fma_f64 v[6:7], v[192:193], v[184:185], -v[6:7]
	v_add_f64 v[2:3], v[254:255], v[2:3]
	v_add_f64 v[4:5], v[4:5], v[6:7]
	s_waitcnt vmcnt(0)
	v_add_f64 v[4:5], v[242:243], -v[4:5]
	v_add_f64 v[6:7], v[244:245], -v[2:3]
	scratch_store_dwordx4 off, v[4:7], off offset:80
	s_and_saveexec_b64 s[0:1], vcc
	s_cbranch_execz .LBB38_241
; %bb.240:
	scratch_load_dwordx4 v[2:5], off, s13
	v_mov_b32_e32 v6, 0
	v_mov_b32_e32 v7, v6
	;; [unrolled: 1-line block ×4, first 2 shown]
	scratch_store_dwordx4 off, v[6:9], off offset:64
	s_waitcnt vmcnt(1)
	ds_write_b128 v1, v[2:5]
.LBB38_241:
	s_or_b64 exec, exec, s[0:1]
	s_waitcnt lgkmcnt(0)
	; wave barrier
	scratch_load_dwordx4 v[184:187], off, off offset:80
	scratch_load_dwordx4 v[188:191], off, off offset:96
	;; [unrolled: 1-line block ×32, first 2 shown]
	v_mov_b32_e32 v2, 0
	ds_read_b128 v[192:195], v2 offset:688
	ds_read_b128 v[204:207], v2 offset:704
	;; [unrolled: 1-line block ×16, first 2 shown]
	v_cmp_lt_u32_e32 vcc, 2, v0
	s_waitcnt vmcnt(31) lgkmcnt(14)
	v_mul_f64 v[104:105], v[192:193], v[186:187]
	s_waitcnt vmcnt(30)
	v_mul_f64 v[106:107], v[204:205], v[190:191]
	v_fmac_f64_e32 v[104:105], v[194:195], v[184:185]
	s_waitcnt vmcnt(29) lgkmcnt(13)
	v_mul_f64 v[112:113], v[216:217], v[198:199]
	v_fmac_f64_e32 v[106:107], v[206:207], v[188:189]
	v_add_f64 v[104:105], v[104:105], 0
	s_waitcnt vmcnt(28) lgkmcnt(12)
	v_mul_f64 v[114:115], v[224:225], v[202:203]
	v_fmac_f64_e32 v[112:113], v[218:219], v[196:197]
	v_add_f64 v[104:105], v[104:105], v[106:107]
	;; [unrolled: 4-line block ×10, first 2 shown]
	ds_read_b128 v[152:155], v2 offset:944
	ds_read_b128 v[156:159], v2 offset:960
	s_waitcnt vmcnt(19) lgkmcnt(5)
	v_mul_f64 v[164:165], v[124:125], v[26:27]
	v_fmac_f64_e32 v[162:163], v[134:135], v[20:21]
	v_add_f64 v[104:105], v[104:105], v[160:161]
	s_waitcnt vmcnt(18) lgkmcnt(4)
	v_mul_f64 v[166:167], v[120:121], v[30:31]
	v_fmac_f64_e32 v[164:165], v[126:127], v[24:25]
	v_add_f64 v[104:105], v[104:105], v[162:163]
	;; [unrolled: 4-line block ×4, first 2 shown]
	v_add_f64 v[112:113], v[104:105], v[168:169]
	v_fmac_f64_e32 v[170:171], v[110:111], v[36:37]
	scratch_load_dwordx4 v[104:107], off, off offset:592
	s_waitcnt vmcnt(16) lgkmcnt(1)
	v_mul_f64 v[114:115], v[152:153], v[42:43]
	v_add_f64 v[112:113], v[112:113], v[170:171]
	v_fmac_f64_e32 v[114:115], v[154:155], v[40:41]
	v_add_f64 v[128:129], v[112:113], v[114:115]
	scratch_load_dwordx4 v[112:115], off, off offset:608
	s_waitcnt vmcnt(16) lgkmcnt(0)
	v_mul_f64 v[130:131], v[156:157], v[46:47]
	v_fmac_f64_e32 v[130:131], v[158:159], v[44:45]
	v_add_f64 v[168:169], v[128:129], v[130:131]
	scratch_load_dwordx4 v[128:131], off, off offset:624
	ds_read_b128 v[160:163], v2 offset:976
	ds_read_b128 v[164:167], v2 offset:992
	v_mul_f64 v[186:187], v[194:195], v[186:187]
	v_fma_f64 v[254:255], v[192:193], v[184:185], -v[186:187]
	ds_read_b128 v[184:187], v2 offset:1072
	s_waitcnt vmcnt(16) lgkmcnt(2)
	v_mul_f64 v[170:171], v[160:161], v[50:51]
	v_fmac_f64_e32 v[170:171], v[162:163], v[48:49]
	s_waitcnt vmcnt(15) lgkmcnt(1)
	v_mul_f64 v[174:175], v[164:165], v[54:55]
	v_add_f64 v[172:173], v[168:169], v[170:171]
	ds_read_b128 v[168:171], v2 offset:1008
	v_fmac_f64_e32 v[174:175], v[166:167], v[52:53]
	v_add_f64 v[176:177], v[172:173], v[174:175]
	ds_read_b128 v[172:175], v2 offset:1024
	v_mul_f64 v[190:191], v[206:207], v[190:191]
	s_waitcnt vmcnt(14) lgkmcnt(1)
	v_mul_f64 v[178:179], v[168:169], v[58:59]
	v_fmac_f64_e32 v[178:179], v[170:171], v[56:57]
	v_add_f64 v[180:181], v[176:177], v[178:179]
	s_waitcnt vmcnt(13) lgkmcnt(0)
	v_mul_f64 v[182:183], v[172:173], v[62:63]
	ds_read_b128 v[176:179], v2 offset:1040
	v_fmac_f64_e32 v[182:183], v[174:175], v[60:61]
	v_add_f64 v[232:233], v[180:181], v[182:183]
	ds_read_b128 v[180:183], v2 offset:1056
	v_fma_f64 v[246:247], v[204:205], v[188:189], -v[190:191]
	s_waitcnt vmcnt(12) lgkmcnt(1)
	v_mul_f64 v[234:235], v[176:177], v[66:67]
	v_fmac_f64_e32 v[234:235], v[178:179], v[64:65]
	v_add_f64 v[232:233], v[232:233], v[234:235]
	s_waitcnt vmcnt(11) lgkmcnt(0)
	v_mul_f64 v[192:193], v[180:181], v[70:71]
	v_fmac_f64_e32 v[192:193], v[182:183], v[68:69]
	ds_read_b128 v[188:191], v2 offset:1088
	s_waitcnt vmcnt(10)
	v_mul_f64 v[194:195], v[184:185], v[74:75]
	v_add_f64 v[192:193], v[232:233], v[192:193]
	v_fmac_f64_e32 v[194:195], v[186:187], v[72:73]
	v_add_f64 v[204:205], v[192:193], v[194:195]
	ds_read_b128 v[192:195], v2 offset:1104
	v_mul_f64 v[198:199], v[218:219], v[198:199]
	v_fma_f64 v[248:249], v[216:217], v[196:197], -v[198:199]
	ds_read_b128 v[196:199], v2 offset:1120
	s_waitcnt vmcnt(9) lgkmcnt(2)
	v_mul_f64 v[206:207], v[188:189], v[78:79]
	v_fmac_f64_e32 v[206:207], v[190:191], v[76:77]
	v_add_f64 v[204:205], v[204:205], v[206:207]
	s_waitcnt vmcnt(8) lgkmcnt(1)
	v_mul_f64 v[206:207], v[192:193], v[82:83]
	v_fmac_f64_e32 v[206:207], v[194:195], v[80:81]
	v_mul_f64 v[202:203], v[226:227], v[202:203]
	v_add_f64 v[204:205], v[204:205], v[206:207]
	v_fma_f64 v[234:235], v[224:225], v[200:201], -v[202:203]
	ds_read_b128 v[200:203], v2 offset:1136
	s_waitcnt vmcnt(7) lgkmcnt(1)
	v_mul_f64 v[206:207], v[196:197], v[86:87]
	v_fmac_f64_e32 v[206:207], v[198:199], v[84:85]
	v_add_f64 v[216:217], v[204:205], v[206:207]
	ds_read_b128 v[204:207], v2 offset:1152
	v_mul_f64 v[210:211], v[230:231], v[210:211]
	v_fma_f64 v[236:237], v[228:229], v[208:209], -v[210:211]
	ds_read_b128 v[208:211], v2 offset:1168
	s_waitcnt vmcnt(6) lgkmcnt(2)
	v_mul_f64 v[218:219], v[200:201], v[90:91]
	v_fmac_f64_e32 v[218:219], v[202:203], v[88:89]
	v_add_f64 v[216:217], v[216:217], v[218:219]
	s_waitcnt vmcnt(5) lgkmcnt(1)
	v_mul_f64 v[218:219], v[204:205], v[94:95]
	v_fmac_f64_e32 v[218:219], v[206:207], v[92:93]
	v_mul_f64 v[214:215], v[240:241], v[214:215]
	v_fma_f64 v[238:239], v[238:239], v[212:213], -v[214:215]
	ds_read_b128 v[212:215], v2 offset:1184
	v_add_f64 v[216:217], v[216:217], v[218:219]
	s_waitcnt vmcnt(4) lgkmcnt(1)
	v_mul_f64 v[218:219], v[208:209], v[102:103]
	v_fmac_f64_e32 v[218:219], v[210:211], v[100:101]
	v_add_f64 v[224:225], v[216:217], v[218:219]
	ds_read_b128 v[216:219], v2 offset:1200
	v_mul_f64 v[222:223], v[244:245], v[222:223]
	v_fma_f64 v[240:241], v[242:243], v[220:221], -v[222:223]
	ds_read_b128 v[220:223], v2 offset:1216
	s_waitcnt vmcnt(3) lgkmcnt(2)
	v_mul_f64 v[226:227], v[212:213], v[98:99]
	v_fmac_f64_e32 v[226:227], v[214:215], v[96:97]
	v_add_f64 v[224:225], v[224:225], v[226:227]
	s_waitcnt vmcnt(2) lgkmcnt(1)
	v_mul_f64 v[226:227], v[216:217], v[106:107]
	v_fmac_f64_e32 v[226:227], v[218:219], v[104:105]
	v_add_f64 v[224:225], v[224:225], v[226:227]
	;; [unrolled: 4-line block ×3, first 2 shown]
	ds_read_b128 v[224:227], v2 offset:1232
	v_mul_f64 v[6:7], v[150:151], v[6:7]
	v_fma_f64 v[4:5], v[148:149], v[4:5], -v[6:7]
	v_mul_f64 v[6:7], v[146:147], v[10:11]
	v_fma_f64 v[6:7], v[144:145], v[8:9], -v[6:7]
	s_waitcnt vmcnt(0) lgkmcnt(0)
	v_mul_f64 v[230:231], v[224:225], v[130:131]
	v_fmac_f64_e32 v[230:231], v[226:227], v[128:129]
	v_add_f64 v[232:233], v[228:229], v[230:231]
	v_add_f64 v[228:229], v[254:255], 0
	v_add_f64 v[228:229], v[228:229], v[246:247]
	v_add_f64 v[254:255], v[228:229], v[248:249]
	scratch_load_dwordx4 v[228:231], off, off offset:64
	v_add_f64 v[234:235], v[254:255], v[234:235]
	v_add_f64 v[234:235], v[234:235], v[236:237]
	;; [unrolled: 1-line block ×6, first 2 shown]
	v_mul_f64 v[6:7], v[142:143], v[14:15]
	v_fma_f64 v[6:7], v[140:141], v[12:13], -v[6:7]
	v_add_f64 v[4:5], v[4:5], v[6:7]
	v_mul_f64 v[6:7], v[138:139], v[18:19]
	v_fma_f64 v[6:7], v[136:137], v[16:17], -v[6:7]
	v_add_f64 v[4:5], v[4:5], v[6:7]
	;; [unrolled: 3-line block ×26, first 2 shown]
	s_waitcnt vmcnt(0)
	v_add_f64 v[4:5], v[228:229], -v[4:5]
	v_add_f64 v[6:7], v[230:231], -v[232:233]
	scratch_store_dwordx4 off, v[4:7], off offset:64
	s_and_saveexec_b64 s[0:1], vcc
	s_cbranch_execz .LBB38_243
; %bb.242:
	scratch_load_dwordx4 v[6:9], off, s12
	v_mov_b32_e32 v3, v2
	v_mov_b32_e32 v4, v2
	;; [unrolled: 1-line block ×3, first 2 shown]
	scratch_store_dwordx4 off, v[2:5], off offset:48
	s_waitcnt vmcnt(1)
	ds_write_b128 v1, v[6:9]
.LBB38_243:
	s_or_b64 exec, exec, s[0:1]
	s_waitcnt lgkmcnt(0)
	; wave barrier
	scratch_load_dwordx4 v[140:143], off, off offset:64
	scratch_load_dwordx4 v[144:147], off, off offset:80
	;; [unrolled: 1-line block ×16, first 2 shown]
	ds_read_b128 v[208:211], v2 offset:672
	ds_read_b128 v[200:203], v2 offset:688
	ds_read_b128 v[188:191], v2 offset:704
	scratch_load_dwordx4 v[40:43], off, off offset:320
	ds_read_b128 v[204:207], v2 offset:720
	ds_read_b128 v[192:195], v2 offset:736
	;; [unrolled: 1-line block ×3, first 2 shown]
	scratch_load_dwordx4 v[44:47], off, off offset:336
	ds_read_b128 v[196:199], v2 offset:768
	ds_read_b128 v[64:67], v2 offset:784
	;; [unrolled: 1-line block ×4, first 2 shown]
	scratch_load_dwordx4 v[48:51], off, off offset:352
	ds_read_b128 v[72:75], v2 offset:832
	ds_read_b128 v[68:71], v2 offset:848
	scratch_load_dwordx4 v[56:59], off, off offset:368
	ds_read_b128 v[92:95], v2 offset:864
	ds_read_b128 v[88:91], v2 offset:880
	;; [unrolled: 1-line block ×4, first 2 shown]
	scratch_load_dwordx4 v[76:79], off, off offset:384
	scratch_load_dwordx4 v[96:99], off, off offset:400
	scratch_load_dwordx4 v[100:103], off, off offset:416
	scratch_load_dwordx4 v[104:107], off, off offset:432
	scratch_load_dwordx4 v[108:111], off, off offset:448
	scratch_load_dwordx4 v[112:115], off, off offset:464
	scratch_load_dwordx4 v[116:119], off, off offset:480
	scratch_load_dwordx4 v[120:123], off, off offset:496
	scratch_load_dwordx4 v[124:127], off, off offset:512
	scratch_load_dwordx4 v[128:131], off, off offset:528
	scratch_load_dwordx4 v[136:139], off, off offset:544
	scratch_load_dwordx4 v[132:135], off, off offset:560
	ds_read_b128 v[168:171], v2 offset:928
	v_cmp_lt_u32_e32 vcc, 1, v0
	s_waitcnt vmcnt(31) lgkmcnt(14)
	v_mul_f64 v[172:173], v[208:209], v[142:143]
	s_waitcnt vmcnt(30)
	v_mul_f64 v[174:175], v[200:201], v[146:147]
	v_fmac_f64_e32 v[172:173], v[210:211], v[140:141]
	s_waitcnt vmcnt(29)
	v_mul_f64 v[176:177], v[188:189], v[150:151]
	v_fmac_f64_e32 v[174:175], v[202:203], v[144:145]
	v_add_f64 v[172:173], v[172:173], 0
	s_waitcnt vmcnt(28) lgkmcnt(13)
	v_mul_f64 v[178:179], v[204:205], v[154:155]
	v_fmac_f64_e32 v[176:177], v[190:191], v[148:149]
	v_add_f64 v[172:173], v[172:173], v[174:175]
	s_waitcnt vmcnt(27) lgkmcnt(12)
	;; [unrolled: 4-line block ×10, first 2 shown]
	v_mul_f64 v[224:225], v[92:93], v[26:27]
	v_fmac_f64_e32 v[222:223], v[70:71], v[20:21]
	v_add_f64 v[172:173], v[172:173], v[220:221]
	ds_read_b128 v[212:215], v2 offset:944
	s_waitcnt vmcnt(18) lgkmcnt(4)
	v_mul_f64 v[226:227], v[88:89], v[30:31]
	v_fmac_f64_e32 v[224:225], v[94:95], v[24:25]
	v_add_f64 v[172:173], v[172:173], v[222:223]
	ds_read_b128 v[216:219], v2 offset:960
	ds_read_b128 v[220:223], v2 offset:976
	s_waitcnt vmcnt(17) lgkmcnt(5)
	v_mul_f64 v[228:229], v[84:85], v[34:35]
	v_fmac_f64_e32 v[226:227], v[90:91], v[28:29]
	v_add_f64 v[172:173], v[172:173], v[224:225]
	s_waitcnt vmcnt(16) lgkmcnt(4)
	v_mul_f64 v[230:231], v[80:81], v[38:39]
	v_fmac_f64_e32 v[228:229], v[86:87], v[32:33]
	v_add_f64 v[172:173], v[172:173], v[226:227]
	v_add_f64 v[176:177], v[172:173], v[228:229]
	v_fmac_f64_e32 v[230:231], v[82:83], v[36:37]
	s_waitcnt vmcnt(15) lgkmcnt(3)
	v_mul_f64 v[178:179], v[168:169], v[42:43]
	v_add_f64 v[176:177], v[176:177], v[230:231]
	v_fmac_f64_e32 v[178:179], v[170:171], v[40:41]
	s_waitcnt vmcnt(14) lgkmcnt(2)
	v_mul_f64 v[182:183], v[212:213], v[46:47]
	;; [unrolled: 4-line block ×3, first 2 shown]
	v_add_f64 v[224:225], v[180:181], v[182:183]
	v_fmac_f64_e32 v[226:227], v[218:219], v[48:49]
	v_add_f64 v[228:229], v[224:225], v[226:227]
	ds_read_b128 v[224:227], v2 offset:992
	s_waitcnt vmcnt(12) lgkmcnt(1)
	v_mul_f64 v[230:231], v[220:221], v[58:59]
	v_fmac_f64_e32 v[230:231], v[222:223], v[56:57]
	v_add_f64 v[232:233], v[228:229], v[230:231]
	ds_read_b128 v[228:231], v2 offset:1008
	s_waitcnt vmcnt(11) lgkmcnt(1)
	v_mul_f64 v[234:235], v[224:225], v[78:79]
	;; [unrolled: 5-line block ×4, first 2 shown]
	v_fmac_f64_e32 v[242:243], v[234:235], v[100:101]
	v_mul_f64 v[142:143], v[210:211], v[142:143]
	v_add_f64 v[240:241], v[240:241], v[242:243]
	v_fma_f64 v[242:243], v[208:209], v[140:141], -v[142:143]
	ds_read_b128 v[140:143], v2 offset:1056
	s_waitcnt vmcnt(8) lgkmcnt(1)
	v_mul_f64 v[208:209], v[236:237], v[106:107]
	v_fmac_f64_e32 v[208:209], v[238:239], v[104:105]
	v_mul_f64 v[146:147], v[202:203], v[146:147]
	v_add_f64 v[208:209], v[240:241], v[208:209]
	v_fma_f64 v[240:241], v[200:201], v[144:145], -v[146:147]
	ds_read_b128 v[144:147], v2 offset:1072
	s_waitcnt vmcnt(7) lgkmcnt(1)
	v_mul_f64 v[200:201], v[140:141], v[110:111]
	scratch_load_dwordx4 v[172:175], off, off offset:576
	v_fmac_f64_e32 v[200:201], v[142:143], v[108:109]
	v_add_f64 v[208:209], v[208:209], v[200:201]
	ds_read_b128 v[200:203], v2 offset:1088
	v_mul_f64 v[150:151], v[190:191], v[150:151]
	scratch_load_dwordx4 v[176:179], off, off offset:592
	scratch_load_dwordx4 v[180:183], off, off offset:608
	v_fma_f64 v[244:245], v[188:189], v[148:149], -v[150:151]
	ds_read_b128 v[148:151], v2 offset:1104
	s_waitcnt vmcnt(9) lgkmcnt(2)
	v_mul_f64 v[210:211], v[144:145], v[114:115]
	v_fmac_f64_e32 v[210:211], v[146:147], v[112:113]
	s_waitcnt vmcnt(8) lgkmcnt(1)
	v_mul_f64 v[188:189], v[200:201], v[118:119]
	v_add_f64 v[208:209], v[208:209], v[210:211]
	v_fmac_f64_e32 v[188:189], v[202:203], v[116:117]
	v_mul_f64 v[154:155], v[206:207], v[154:155]
	s_waitcnt vmcnt(7) lgkmcnt(0)
	v_mul_f64 v[190:191], v[148:149], v[122:123]
	v_add_f64 v[188:189], v[208:209], v[188:189]
	v_fma_f64 v[246:247], v[204:205], v[152:153], -v[154:155]
	ds_read_b128 v[152:155], v2 offset:1120
	v_fmac_f64_e32 v[190:191], v[150:151], v[120:121]
	v_add_f64 v[204:205], v[188:189], v[190:191]
	ds_read_b128 v[188:191], v2 offset:1136
	v_mul_f64 v[158:159], v[194:195], v[158:159]
	s_waitcnt vmcnt(6) lgkmcnt(1)
	v_mul_f64 v[206:207], v[152:153], v[126:127]
	v_fmac_f64_e32 v[206:207], v[154:155], v[124:125]
	v_fma_f64 v[248:249], v[192:193], v[156:157], -v[158:159]
	s_waitcnt vmcnt(5) lgkmcnt(0)
	v_mul_f64 v[192:193], v[188:189], v[130:131]
	v_add_f64 v[204:205], v[204:205], v[206:207]
	v_fmac_f64_e32 v[192:193], v[190:191], v[128:129]
	v_mul_f64 v[162:163], v[186:187], v[162:163]
	v_fma_f64 v[208:209], v[184:185], v[160:161], -v[162:163]
	v_add_f64 v[184:185], v[204:205], v[192:193]
	scratch_load_dwordx4 v[204:207], off, off offset:624
	v_add_f64 v[242:243], v[242:243], 0
	v_add_f64 v[240:241], v[242:243], v[240:241]
	;; [unrolled: 1-line block ×3, first 2 shown]
	scratch_load_dwordx4 v[242:245], off, off offset:48
	v_add_f64 v[240:241], v[240:241], v[246:247]
	v_mul_f64 v[166:167], v[198:199], v[166:167]
	v_add_f64 v[240:241], v[240:241], v[248:249]
	v_fma_f64 v[210:211], v[196:197], v[164:165], -v[166:167]
	v_add_f64 v[208:209], v[240:241], v[208:209]
	v_mul_f64 v[6:7], v[66:67], v[6:7]
	v_add_f64 v[208:209], v[208:209], v[210:211]
	v_fma_f64 v[4:5], v[64:65], v[4:5], -v[6:7]
	v_mul_f64 v[6:7], v[62:63], v[10:11]
	v_add_f64 v[4:5], v[208:209], v[4:5]
	v_fma_f64 v[6:7], v[60:61], v[8:9], -v[6:7]
	v_add_f64 v[4:5], v[4:5], v[6:7]
	v_mul_f64 v[6:7], v[54:55], v[14:15]
	v_fma_f64 v[6:7], v[52:53], v[12:13], -v[6:7]
	v_add_f64 v[4:5], v[4:5], v[6:7]
	v_mul_f64 v[6:7], v[74:75], v[18:19]
	;; [unrolled: 3-line block ×12, first 2 shown]
	v_fma_f64 v[6:7], v[224:225], v[76:77], -v[6:7]
	ds_read_b128 v[156:159], v2 offset:1152
	ds_read_b128 v[160:163], v2 offset:1168
	v_add_f64 v[4:5], v[4:5], v[6:7]
	v_mul_f64 v[6:7], v[230:231], v[98:99]
	v_fma_f64 v[6:7], v[228:229], v[96:97], -v[6:7]
	v_add_f64 v[4:5], v[4:5], v[6:7]
	v_mul_f64 v[6:7], v[234:235], v[102:103]
	v_fma_f64 v[6:7], v[232:233], v[100:101], -v[6:7]
	v_add_f64 v[4:5], v[4:5], v[6:7]
	v_mul_f64 v[6:7], v[238:239], v[106:107]
	s_waitcnt vmcnt(6) lgkmcnt(1)
	v_mul_f64 v[186:187], v[156:157], v[138:139]
	v_fma_f64 v[6:7], v[236:237], v[104:105], -v[6:7]
	v_fmac_f64_e32 v[186:187], v[158:159], v[136:137]
	v_add_f64 v[4:5], v[4:5], v[6:7]
	v_mul_f64 v[6:7], v[142:143], v[110:111]
	v_add_f64 v[192:193], v[184:185], v[186:187]
	ds_read_b128 v[184:187], v2 offset:1184
	ds_read_b128 v[164:167], v2 offset:1200
	v_fma_f64 v[6:7], v[140:141], v[108:109], -v[6:7]
	v_add_f64 v[4:5], v[4:5], v[6:7]
	v_mul_f64 v[6:7], v[146:147], v[114:115]
	v_fma_f64 v[6:7], v[144:145], v[112:113], -v[6:7]
	s_waitcnt vmcnt(5) lgkmcnt(2)
	v_mul_f64 v[194:195], v[160:161], v[134:135]
	v_add_f64 v[4:5], v[4:5], v[6:7]
	v_mul_f64 v[6:7], v[202:203], v[118:119]
	v_fmac_f64_e32 v[194:195], v[162:163], v[132:133]
	v_fma_f64 v[6:7], v[200:201], v[116:117], -v[6:7]
	v_add_f64 v[192:193], v[192:193], v[194:195]
	s_waitcnt vmcnt(4) lgkmcnt(1)
	v_mul_f64 v[194:195], v[184:185], v[174:175]
	v_add_f64 v[4:5], v[4:5], v[6:7]
	v_mul_f64 v[6:7], v[150:151], v[122:123]
	v_fmac_f64_e32 v[194:195], v[186:187], v[172:173]
	v_fma_f64 v[6:7], v[148:149], v[120:121], -v[6:7]
	v_add_f64 v[192:193], v[192:193], v[194:195]
	;; [unrolled: 7-line block ×3, first 2 shown]
	ds_read_b128 v[192:195], v2 offset:1216
	v_add_f64 v[4:5], v[4:5], v[6:7]
	v_mul_f64 v[6:7], v[190:191], v[130:131]
	v_fma_f64 v[6:7], v[188:189], v[128:129], -v[6:7]
	v_add_f64 v[4:5], v[4:5], v[6:7]
	v_mul_f64 v[6:7], v[158:159], v[138:139]
	v_fma_f64 v[6:7], v[156:157], v[136:137], -v[6:7]
	v_add_f64 v[4:5], v[4:5], v[6:7]
	v_mul_f64 v[6:7], v[162:163], v[134:135]
	s_waitcnt vmcnt(2) lgkmcnt(0)
	v_mul_f64 v[198:199], v[192:193], v[182:183]
	v_fma_f64 v[6:7], v[160:161], v[132:133], -v[6:7]
	v_fmac_f64_e32 v[198:199], v[194:195], v[180:181]
	v_add_f64 v[4:5], v[4:5], v[6:7]
	v_mul_f64 v[6:7], v[186:187], v[174:175]
	v_add_f64 v[254:255], v[196:197], v[198:199]
	ds_read_b128 v[196:199], v2 offset:1232
	v_fma_f64 v[6:7], v[184:185], v[172:173], -v[6:7]
	v_add_f64 v[4:5], v[4:5], v[6:7]
	v_mul_f64 v[6:7], v[166:167], v[178:179]
	v_fma_f64 v[6:7], v[164:165], v[176:177], -v[6:7]
	v_add_f64 v[4:5], v[4:5], v[6:7]
	v_mul_f64 v[6:7], v[194:195], v[182:183]
	v_fma_f64 v[6:7], v[192:193], v[180:181], -v[6:7]
	s_waitcnt vmcnt(1) lgkmcnt(0)
	v_mul_f64 v[2:3], v[196:197], v[206:207]
	v_add_f64 v[4:5], v[4:5], v[6:7]
	v_mul_f64 v[6:7], v[198:199], v[206:207]
	v_fmac_f64_e32 v[2:3], v[198:199], v[204:205]
	v_fma_f64 v[6:7], v[196:197], v[204:205], -v[6:7]
	v_add_f64 v[2:3], v[254:255], v[2:3]
	v_add_f64 v[4:5], v[4:5], v[6:7]
	s_waitcnt vmcnt(0)
	v_add_f64 v[4:5], v[242:243], -v[4:5]
	v_add_f64 v[6:7], v[244:245], -v[2:3]
	scratch_store_dwordx4 off, v[4:7], off offset:48
	s_and_saveexec_b64 s[0:1], vcc
	s_cbranch_execz .LBB38_245
; %bb.244:
	scratch_load_dwordx4 v[2:5], off, s15
	v_mov_b32_e32 v6, 0
	v_mov_b32_e32 v7, v6
	;; [unrolled: 1-line block ×4, first 2 shown]
	scratch_store_dwordx4 off, v[6:9], off offset:32
	s_waitcnt vmcnt(1)
	ds_write_b128 v1, v[2:5]
.LBB38_245:
	s_or_b64 exec, exec, s[0:1]
	s_waitcnt lgkmcnt(0)
	; wave barrier
	scratch_load_dwordx4 v[168:171], off, off offset:48
	scratch_load_dwordx4 v[172:175], off, off offset:64
	;; [unrolled: 1-line block ×32, first 2 shown]
	v_mov_b32_e32 v2, 0
	ds_read_b128 v[176:179], v2 offset:656
	ds_read_b128 v[188:191], v2 offset:672
	;; [unrolled: 1-line block ×17, first 2 shown]
	v_cmp_ne_u32_e32 vcc, 0, v0
	s_waitcnt vmcnt(31) lgkmcnt(14)
	v_mul_f64 v[104:105], v[176:177], v[170:171]
	s_waitcnt vmcnt(30)
	v_mul_f64 v[106:107], v[188:189], v[174:175]
	v_fmac_f64_e32 v[104:105], v[178:179], v[168:169]
	s_waitcnt vmcnt(29)
	v_mul_f64 v[108:109], v[200:201], v[182:183]
	v_fmac_f64_e32 v[106:107], v[190:191], v[172:173]
	v_add_f64 v[104:105], v[104:105], 0
	s_waitcnt vmcnt(28) lgkmcnt(13)
	v_mul_f64 v[110:111], v[212:213], v[186:187]
	v_fmac_f64_e32 v[108:109], v[202:203], v[180:181]
	v_add_f64 v[104:105], v[104:105], v[106:107]
	s_waitcnt vmcnt(27) lgkmcnt(12)
	;; [unrolled: 4-line block ×12, first 2 shown]
	v_mul_f64 v[156:157], v[112:113], v[26:27]
	v_fmac_f64_e32 v[154:155], v[118:119], v[20:21]
	v_add_f64 v[104:105], v[104:105], v[152:153]
	v_fmac_f64_e32 v[156:157], v[114:115], v[24:25]
	v_add_f64 v[104:105], v[104:105], v[154:155]
	s_waitcnt vmcnt(16) lgkmcnt(1)
	v_mul_f64 v[106:107], v[100:101], v[30:31]
	v_add_f64 v[104:105], v[104:105], v[156:157]
	v_fmac_f64_e32 v[106:107], v[102:103], v[28:29]
	v_add_f64 v[108:109], v[104:105], v[106:107]
	ds_read_b128 v[144:147], v2 offset:928
	ds_read_b128 v[148:151], v2 offset:944
	scratch_load_dwordx4 v[104:107], off, off offset:560
	s_waitcnt vmcnt(16) lgkmcnt(2)
	v_mul_f64 v[110:111], v[96:97], v[34:35]
	v_fmac_f64_e32 v[110:111], v[98:99], v[32:33]
	v_add_f64 v[120:121], v[108:109], v[110:111]
	scratch_load_dwordx4 v[108:111], off, off offset:576
	s_waitcnt vmcnt(16) lgkmcnt(1)
	v_mul_f64 v[122:123], v[144:145], v[38:39]
	v_fmac_f64_e32 v[122:123], v[146:147], v[36:37]
	v_add_f64 v[132:133], v[120:121], v[122:123]
	s_waitcnt vmcnt(15) lgkmcnt(0)
	v_mul_f64 v[134:135], v[148:149], v[42:43]
	scratch_load_dwordx4 v[120:123], off, off offset:592
	v_fmac_f64_e32 v[134:135], v[150:151], v[40:41]
	v_add_f64 v[160:161], v[132:133], v[134:135]
	scratch_load_dwordx4 v[132:135], off, off offset:608
	ds_read_b128 v[152:155], v2 offset:960
	ds_read_b128 v[156:159], v2 offset:976
	v_mul_f64 v[170:171], v[178:179], v[170:171]
	v_fma_f64 v[246:247], v[176:177], v[168:169], -v[170:171]
	ds_read_b128 v[168:171], v2 offset:1024
	s_waitcnt vmcnt(16) lgkmcnt(2)
	v_mul_f64 v[162:163], v[152:153], v[46:47]
	v_fmac_f64_e32 v[162:163], v[154:155], v[44:45]
	s_waitcnt vmcnt(15) lgkmcnt(1)
	v_mul_f64 v[166:167], v[156:157], v[50:51]
	v_add_f64 v[164:165], v[160:161], v[162:163]
	ds_read_b128 v[160:163], v2 offset:992
	v_fmac_f64_e32 v[166:167], v[158:159], v[48:49]
	v_add_f64 v[232:233], v[164:165], v[166:167]
	ds_read_b128 v[164:167], v2 offset:1008
	v_mul_f64 v[174:175], v[190:191], v[174:175]
	s_waitcnt vmcnt(14) lgkmcnt(1)
	v_mul_f64 v[234:235], v[160:161], v[54:55]
	v_fmac_f64_e32 v[234:235], v[162:163], v[52:53]
	v_add_f64 v[232:233], v[232:233], v[234:235]
	s_waitcnt vmcnt(13) lgkmcnt(0)
	v_mul_f64 v[176:177], v[164:165], v[58:59]
	v_fmac_f64_e32 v[176:177], v[166:167], v[56:57]
	v_fma_f64 v[248:249], v[188:189], v[172:173], -v[174:175]
	ds_read_b128 v[172:175], v2 offset:1040
	s_waitcnt vmcnt(12)
	v_mul_f64 v[178:179], v[168:169], v[62:63]
	v_add_f64 v[176:177], v[232:233], v[176:177]
	v_fmac_f64_e32 v[178:179], v[170:171], v[60:61]
	v_add_f64 v[188:189], v[176:177], v[178:179]
	ds_read_b128 v[176:179], v2 offset:1056
	v_mul_f64 v[182:183], v[202:203], v[182:183]
	v_fma_f64 v[250:251], v[200:201], v[180:181], -v[182:183]
	ds_read_b128 v[180:183], v2 offset:1072
	s_waitcnt vmcnt(11) lgkmcnt(2)
	v_mul_f64 v[190:191], v[172:173], v[66:67]
	v_fmac_f64_e32 v[190:191], v[174:175], v[64:65]
	v_add_f64 v[188:189], v[188:189], v[190:191]
	s_waitcnt vmcnt(10) lgkmcnt(1)
	v_mul_f64 v[190:191], v[176:177], v[70:71]
	v_fmac_f64_e32 v[190:191], v[178:179], v[68:69]
	v_mul_f64 v[186:187], v[214:215], v[186:187]
	v_fma_f64 v[252:253], v[212:213], v[184:185], -v[186:187]
	ds_read_b128 v[184:187], v2 offset:1088
	v_add_f64 v[188:189], v[188:189], v[190:191]
	s_waitcnt vmcnt(9) lgkmcnt(1)
	v_mul_f64 v[190:191], v[180:181], v[74:75]
	v_fmac_f64_e32 v[190:191], v[182:183], v[72:73]
	v_add_f64 v[200:201], v[188:189], v[190:191]
	ds_read_b128 v[188:191], v2 offset:1104
	v_mul_f64 v[194:195], v[222:223], v[194:195]
	v_fma_f64 v[232:233], v[220:221], v[192:193], -v[194:195]
	ds_read_b128 v[192:195], v2 offset:1120
	s_waitcnt vmcnt(8) lgkmcnt(2)
	v_mul_f64 v[202:203], v[184:185], v[78:79]
	v_fmac_f64_e32 v[202:203], v[186:187], v[76:77]
	v_add_f64 v[200:201], v[200:201], v[202:203]
	s_waitcnt vmcnt(7) lgkmcnt(1)
	v_mul_f64 v[202:203], v[188:189], v[82:83]
	v_fmac_f64_e32 v[202:203], v[190:191], v[80:81]
	v_mul_f64 v[198:199], v[226:227], v[198:199]
	v_add_f64 v[200:201], v[200:201], v[202:203]
	v_fma_f64 v[234:235], v[224:225], v[196:197], -v[198:199]
	ds_read_b128 v[196:199], v2 offset:1136
	s_waitcnt vmcnt(6) lgkmcnt(1)
	v_mul_f64 v[202:203], v[192:193], v[86:87]
	v_fmac_f64_e32 v[202:203], v[194:195], v[84:85]
	v_add_f64 v[212:213], v[200:201], v[202:203]
	ds_read_b128 v[200:203], v2 offset:1152
	v_mul_f64 v[206:207], v[230:231], v[206:207]
	v_fma_f64 v[236:237], v[228:229], v[204:205], -v[206:207]
	ds_read_b128 v[204:207], v2 offset:1168
	s_waitcnt vmcnt(5) lgkmcnt(2)
	v_mul_f64 v[214:215], v[196:197], v[94:95]
	v_fmac_f64_e32 v[214:215], v[198:199], v[92:93]
	v_add_f64 v[212:213], v[212:213], v[214:215]
	s_waitcnt vmcnt(4) lgkmcnt(1)
	v_mul_f64 v[214:215], v[200:201], v[90:91]
	v_fmac_f64_e32 v[214:215], v[202:203], v[88:89]
	v_mul_f64 v[210:211], v[240:241], v[210:211]
	v_fma_f64 v[238:239], v[238:239], v[208:209], -v[210:211]
	ds_read_b128 v[208:211], v2 offset:1184
	v_add_f64 v[212:213], v[212:213], v[214:215]
	s_waitcnt vmcnt(3) lgkmcnt(1)
	v_mul_f64 v[214:215], v[204:205], v[106:107]
	v_fmac_f64_e32 v[214:215], v[206:207], v[104:105]
	v_add_f64 v[220:221], v[212:213], v[214:215]
	ds_read_b128 v[212:215], v2 offset:1200
	v_mul_f64 v[218:219], v[244:245], v[218:219]
	v_fma_f64 v[254:255], v[242:243], v[216:217], -v[218:219]
	ds_read_b128 v[216:219], v2 offset:1216
	ds_read_b128 v[224:227], v2 offset:1232
	s_waitcnt vmcnt(2) lgkmcnt(3)
	v_mul_f64 v[222:223], v[208:209], v[110:111]
	v_fmac_f64_e32 v[222:223], v[210:211], v[108:109]
	v_add_f64 v[220:221], v[220:221], v[222:223]
	s_waitcnt vmcnt(1) lgkmcnt(2)
	v_mul_f64 v[222:223], v[212:213], v[122:123]
	v_fmac_f64_e32 v[222:223], v[214:215], v[120:121]
	v_add_f64 v[220:221], v[220:221], v[222:223]
	;; [unrolled: 4-line block ×3, first 2 shown]
	scratch_load_dwordx4 v[220:223], off, off offset:624
	v_mul_f64 v[6:7], v[142:143], v[6:7]
	v_fma_f64 v[4:5], v[140:141], v[4:5], -v[6:7]
	v_mul_f64 v[6:7], v[138:139], v[10:11]
	v_fma_f64 v[6:7], v[136:137], v[8:9], -v[6:7]
	s_waitcnt vmcnt(0) lgkmcnt(0)
	v_mul_f64 v[230:231], v[224:225], v[222:223]
	v_fmac_f64_e32 v[230:231], v[226:227], v[220:221]
	v_add_f64 v[242:243], v[228:229], v[230:231]
	v_add_f64 v[228:229], v[246:247], 0
	;; [unrolled: 1-line block ×6, first 2 shown]
	scratch_load_dwordx4 v[228:231], off, off offset:32
	v_add_f64 v[232:233], v[240:241], v[234:235]
	v_add_f64 v[232:233], v[232:233], v[236:237]
	;; [unrolled: 1-line block ×6, first 2 shown]
	v_mul_f64 v[6:7], v[130:131], v[14:15]
	v_fma_f64 v[6:7], v[128:129], v[12:13], -v[6:7]
	v_add_f64 v[4:5], v[4:5], v[6:7]
	v_mul_f64 v[6:7], v[126:127], v[18:19]
	v_fma_f64 v[6:7], v[124:125], v[16:17], -v[6:7]
	v_add_f64 v[4:5], v[4:5], v[6:7]
	v_mul_f64 v[6:7], v[118:119], v[22:23]
	v_fma_f64 v[6:7], v[116:117], v[20:21], -v[6:7]
	v_add_f64 v[4:5], v[4:5], v[6:7]
	v_mul_f64 v[6:7], v[114:115], v[26:27]
	v_fma_f64 v[6:7], v[112:113], v[24:25], -v[6:7]
	v_add_f64 v[4:5], v[4:5], v[6:7]
	v_mul_f64 v[6:7], v[102:103], v[30:31]
	v_fma_f64 v[6:7], v[100:101], v[28:29], -v[6:7]
	v_add_f64 v[4:5], v[4:5], v[6:7]
	v_mul_f64 v[6:7], v[98:99], v[34:35]
	v_fma_f64 v[6:7], v[96:97], v[32:33], -v[6:7]
	v_add_f64 v[4:5], v[4:5], v[6:7]
	v_mul_f64 v[6:7], v[146:147], v[38:39]
	v_fma_f64 v[6:7], v[144:145], v[36:37], -v[6:7]
	v_add_f64 v[4:5], v[4:5], v[6:7]
	v_mul_f64 v[6:7], v[150:151], v[42:43]
	v_fma_f64 v[6:7], v[148:149], v[40:41], -v[6:7]
	v_add_f64 v[4:5], v[4:5], v[6:7]
	v_mul_f64 v[6:7], v[154:155], v[46:47]
	v_fma_f64 v[6:7], v[152:153], v[44:45], -v[6:7]
	v_add_f64 v[4:5], v[4:5], v[6:7]
	v_mul_f64 v[6:7], v[158:159], v[50:51]
	v_fma_f64 v[6:7], v[156:157], v[48:49], -v[6:7]
	v_add_f64 v[4:5], v[4:5], v[6:7]
	v_mul_f64 v[6:7], v[162:163], v[54:55]
	v_fma_f64 v[6:7], v[160:161], v[52:53], -v[6:7]
	v_add_f64 v[4:5], v[4:5], v[6:7]
	v_mul_f64 v[6:7], v[166:167], v[58:59]
	v_fma_f64 v[6:7], v[164:165], v[56:57], -v[6:7]
	v_add_f64 v[4:5], v[4:5], v[6:7]
	v_mul_f64 v[6:7], v[170:171], v[62:63]
	v_fma_f64 v[6:7], v[168:169], v[60:61], -v[6:7]
	v_add_f64 v[4:5], v[4:5], v[6:7]
	v_mul_f64 v[6:7], v[174:175], v[66:67]
	v_fma_f64 v[6:7], v[172:173], v[64:65], -v[6:7]
	v_add_f64 v[4:5], v[4:5], v[6:7]
	v_mul_f64 v[6:7], v[178:179], v[70:71]
	v_fma_f64 v[6:7], v[176:177], v[68:69], -v[6:7]
	v_add_f64 v[4:5], v[4:5], v[6:7]
	v_mul_f64 v[6:7], v[182:183], v[74:75]
	v_fma_f64 v[6:7], v[180:181], v[72:73], -v[6:7]
	v_add_f64 v[4:5], v[4:5], v[6:7]
	v_mul_f64 v[6:7], v[186:187], v[78:79]
	v_fma_f64 v[6:7], v[184:185], v[76:77], -v[6:7]
	v_add_f64 v[4:5], v[4:5], v[6:7]
	v_mul_f64 v[6:7], v[190:191], v[82:83]
	v_fma_f64 v[6:7], v[188:189], v[80:81], -v[6:7]
	v_add_f64 v[4:5], v[4:5], v[6:7]
	v_mul_f64 v[6:7], v[194:195], v[86:87]
	v_fma_f64 v[6:7], v[192:193], v[84:85], -v[6:7]
	v_add_f64 v[4:5], v[4:5], v[6:7]
	v_mul_f64 v[6:7], v[198:199], v[94:95]
	v_fma_f64 v[6:7], v[196:197], v[92:93], -v[6:7]
	v_add_f64 v[4:5], v[4:5], v[6:7]
	v_mul_f64 v[6:7], v[202:203], v[90:91]
	v_fma_f64 v[6:7], v[200:201], v[88:89], -v[6:7]
	v_add_f64 v[4:5], v[4:5], v[6:7]
	v_mul_f64 v[6:7], v[206:207], v[106:107]
	v_fma_f64 v[6:7], v[204:205], v[104:105], -v[6:7]
	v_add_f64 v[4:5], v[4:5], v[6:7]
	v_mul_f64 v[6:7], v[210:211], v[110:111]
	v_fma_f64 v[6:7], v[208:209], v[108:109], -v[6:7]
	v_add_f64 v[4:5], v[4:5], v[6:7]
	v_mul_f64 v[6:7], v[214:215], v[122:123]
	v_fma_f64 v[6:7], v[212:213], v[120:121], -v[6:7]
	v_add_f64 v[4:5], v[4:5], v[6:7]
	v_mul_f64 v[6:7], v[218:219], v[134:135]
	v_fma_f64 v[6:7], v[216:217], v[132:133], -v[6:7]
	v_add_f64 v[4:5], v[4:5], v[6:7]
	v_mul_f64 v[6:7], v[226:227], v[222:223]
	v_fma_f64 v[6:7], v[224:225], v[220:221], -v[6:7]
	v_add_f64 v[4:5], v[4:5], v[6:7]
	s_waitcnt vmcnt(0)
	v_add_f64 v[4:5], v[228:229], -v[4:5]
	v_add_f64 v[6:7], v[230:231], -v[242:243]
	scratch_store_dwordx4 off, v[4:7], off offset:32
	s_and_saveexec_b64 s[0:1], vcc
	s_cbranch_execz .LBB38_247
; %bb.246:
	scratch_load_dwordx4 v[6:9], off, off offset:16
	v_mov_b32_e32 v3, v2
	v_mov_b32_e32 v4, v2
	;; [unrolled: 1-line block ×3, first 2 shown]
	scratch_store_dwordx4 off, v[2:5], off offset:16
	s_waitcnt vmcnt(1)
	ds_write_b128 v1, v[6:9]
.LBB38_247:
	s_or_b64 exec, exec, s[0:1]
	s_waitcnt lgkmcnt(0)
	; wave barrier
	scratch_load_dwordx4 v[168:171], off, off offset:32
	scratch_load_dwordx4 v[172:175], off, off offset:48
	;; [unrolled: 1-line block ×16, first 2 shown]
	ds_read_b128 v[236:239], v2 offset:640
	ds_read_b128 v[176:179], v2 offset:656
	;; [unrolled: 1-line block ×3, first 2 shown]
	scratch_load_dwordx4 v[32:35], off, off offset:288
	ds_read_b128 v[228:231], v2 offset:688
	ds_read_b128 v[200:203], v2 offset:704
	scratch_load_dwordx4 v[36:39], off, off offset:304
	ds_read_b128 v[232:235], v2 offset:720
	ds_read_b128 v[224:227], v2 offset:736
	;; [unrolled: 1-line block ×5, first 2 shown]
	scratch_load_dwordx4 v[40:43], off, off offset:320
	ds_read_b128 v[64:67], v2 offset:800
	ds_read_b128 v[60:63], v2 offset:816
	;; [unrolled: 1-line block ×4, first 2 shown]
	scratch_load_dwordx4 v[48:51], off, off offset:336
	ds_read_b128 v[76:79], v2 offset:864
	ds_read_b128 v[72:75], v2 offset:880
	scratch_load_dwordx4 v[68:71], off, off offset:352
	scratch_load_dwordx4 v[80:83], off, off offset:368
	;; [unrolled: 1-line block ×12, first 2 shown]
	ds_read_b128 v[124:127], v2 offset:896
	s_and_b64 vcc, exec, s[18:19]
	s_waitcnt vmcnt(31) lgkmcnt(14)
	v_mul_f64 v[0:1], v[236:237], v[170:171]
	s_waitcnt vmcnt(30)
	v_mul_f64 v[128:129], v[176:177], v[174:175]
	v_fmac_f64_e32 v[0:1], v[238:239], v[168:169]
	s_waitcnt vmcnt(29)
	v_mul_f64 v[130:131], v[188:189], v[182:183]
	v_fmac_f64_e32 v[128:129], v[178:179], v[172:173]
	v_add_f64 v[0:1], v[0:1], 0
	s_waitcnt vmcnt(28) lgkmcnt(13)
	v_mul_f64 v[132:133], v[228:229], v[186:187]
	v_fmac_f64_e32 v[130:131], v[190:191], v[180:181]
	v_add_f64 v[0:1], v[0:1], v[128:129]
	s_waitcnt vmcnt(27) lgkmcnt(12)
	;; [unrolled: 4-line block ×11, first 2 shown]
	v_mul_f64 v[152:153], v[52:53], v[22:23]
	v_fmac_f64_e32 v[150:151], v[58:59], v[16:17]
	v_add_f64 v[0:1], v[0:1], v[148:149]
	ds_read_b128 v[144:147], v2 offset:912
	s_waitcnt vmcnt(17) lgkmcnt(3)
	v_mul_f64 v[154:155], v[76:77], v[26:27]
	v_fmac_f64_e32 v[152:153], v[54:55], v[20:21]
	v_add_f64 v[0:1], v[0:1], v[150:151]
	s_waitcnt vmcnt(16) lgkmcnt(2)
	v_mul_f64 v[156:157], v[72:73], v[30:31]
	v_fmac_f64_e32 v[154:155], v[78:79], v[24:25]
	v_add_f64 v[0:1], v[0:1], v[152:153]
	scratch_load_dwordx4 v[128:131], off, off offset:544
	v_add_f64 v[0:1], v[0:1], v[154:155]
	v_fmac_f64_e32 v[156:157], v[74:75], v[28:29]
	s_waitcnt vmcnt(16) lgkmcnt(1)
	v_mul_f64 v[132:133], v[124:125], v[34:35]
	v_add_f64 v[0:1], v[0:1], v[156:157]
	v_fmac_f64_e32 v[132:133], v[126:127], v[32:33]
	ds_read_b128 v[148:151], v2 offset:928
	ds_read_b128 v[152:155], v2 offset:944
	v_add_f64 v[0:1], v[0:1], v[132:133]
	s_waitcnt vmcnt(15) lgkmcnt(2)
	v_mul_f64 v[132:133], v[144:145], v[38:39]
	v_fmac_f64_e32 v[132:133], v[146:147], v[36:37]
	v_add_f64 v[0:1], v[0:1], v[132:133]
	scratch_load_dwordx4 v[132:135], off, off offset:560
	scratch_load_dwordx4 v[136:139], off, off offset:576
	s_waitcnt vmcnt(16) lgkmcnt(1)
	v_mul_f64 v[140:141], v[148:149], v[42:43]
	v_fmac_f64_e32 v[140:141], v[150:151], v[40:41]
	v_add_f64 v[0:1], v[0:1], v[140:141]
	scratch_load_dwordx4 v[140:143], off, off offset:592
	ds_read_b128 v[156:159], v2 offset:960
	s_waitcnt vmcnt(16) lgkmcnt(1)
	v_mul_f64 v[160:161], v[152:153], v[50:51]
	v_fmac_f64_e32 v[160:161], v[154:155], v[48:49]
	v_add_f64 v[0:1], v[0:1], v[160:161]
	ds_read_b128 v[160:163], v2 offset:976
	s_waitcnt vmcnt(15) lgkmcnt(1)
	v_mul_f64 v[164:165], v[156:157], v[70:71]
	v_fmac_f64_e32 v[164:165], v[158:159], v[68:69]
	v_add_f64 v[0:1], v[0:1], v[164:165]
	ds_read_b128 v[164:167], v2 offset:992
	v_mul_f64 v[170:171], v[238:239], v[170:171]
	v_fma_f64 v[240:241], v[236:237], v[168:169], -v[170:171]
	ds_read_b128 v[168:171], v2 offset:1008
	s_waitcnt vmcnt(14) lgkmcnt(2)
	v_mul_f64 v[236:237], v[160:161], v[82:83]
	v_fmac_f64_e32 v[236:237], v[162:163], v[80:81]
	v_add_f64 v[0:1], v[0:1], v[236:237]
	s_waitcnt vmcnt(13) lgkmcnt(1)
	v_mul_f64 v[236:237], v[164:165], v[86:87]
	v_mul_f64 v[174:175], v[178:179], v[174:175]
	v_fmac_f64_e32 v[236:237], v[166:167], v[84:85]
	v_fma_f64 v[242:243], v[176:177], v[172:173], -v[174:175]
	s_waitcnt vmcnt(12) lgkmcnt(0)
	v_mul_f64 v[176:177], v[168:169], v[90:91]
	v_add_f64 v[0:1], v[0:1], v[236:237]
	ds_read_b128 v[172:175], v2 offset:1024
	v_fmac_f64_e32 v[176:177], v[170:171], v[88:89]
	v_add_f64 v[0:1], v[0:1], v[176:177]
	ds_read_b128 v[176:179], v2 offset:1040
	v_mul_f64 v[182:183], v[190:191], v[182:183]
	v_fma_f64 v[244:245], v[188:189], v[180:181], -v[182:183]
	ds_read_b128 v[180:183], v2 offset:1056
	s_waitcnt vmcnt(11) lgkmcnt(2)
	v_mul_f64 v[236:237], v[172:173], v[94:95]
	v_fmac_f64_e32 v[236:237], v[174:175], v[92:93]
	s_waitcnt vmcnt(10) lgkmcnt(1)
	v_mul_f64 v[188:189], v[176:177], v[98:99]
	v_add_f64 v[0:1], v[0:1], v[236:237]
	v_fmac_f64_e32 v[188:189], v[178:179], v[96:97]
	v_mul_f64 v[186:187], v[230:231], v[186:187]
	v_add_f64 v[0:1], v[0:1], v[188:189]
	v_fma_f64 v[246:247], v[228:229], v[184:185], -v[186:187]
	ds_read_b128 v[184:187], v2 offset:1072
	s_waitcnt vmcnt(9) lgkmcnt(1)
	v_mul_f64 v[188:189], v[180:181], v[102:103]
	v_fmac_f64_e32 v[188:189], v[182:183], v[100:101]
	v_add_f64 v[0:1], v[0:1], v[188:189]
	ds_read_b128 v[188:191], v2 offset:1088
	v_mul_f64 v[194:195], v[202:203], v[194:195]
	v_fma_f64 v[248:249], v[200:201], v[192:193], -v[194:195]
	ds_read_b128 v[192:195], v2 offset:1104
	s_waitcnt vmcnt(8) lgkmcnt(2)
	v_mul_f64 v[200:201], v[184:185], v[106:107]
	v_fmac_f64_e32 v[200:201], v[186:187], v[104:105]
	v_add_f64 v[0:1], v[0:1], v[200:201]
	s_waitcnt vmcnt(7) lgkmcnt(1)
	v_mul_f64 v[200:201], v[188:189], v[110:111]
	v_fmac_f64_e32 v[200:201], v[190:191], v[108:109]
	v_add_f64 v[0:1], v[0:1], v[200:201]
	v_mul_f64 v[198:199], v[234:235], v[198:199]
	s_waitcnt vmcnt(6) lgkmcnt(0)
	v_mul_f64 v[200:201], v[192:193], v[114:115]
	v_fma_f64 v[232:233], v[232:233], v[196:197], -v[198:199]
	ds_read_b128 v[196:199], v2 offset:1120
	v_fmac_f64_e32 v[200:201], v[194:195], v[112:113]
	v_add_f64 v[0:1], v[0:1], v[200:201]
	ds_read_b128 v[200:203], v2 offset:1136
	v_mul_f64 v[206:207], v[226:227], v[206:207]
	v_add_f64 v[240:241], v[240:241], 0
	v_fma_f64 v[234:235], v[224:225], v[204:205], -v[206:207]
	ds_read_b128 v[204:207], v2 offset:1152
	v_add_f64 v[240:241], v[240:241], v[242:243]
	v_add_f64 v[240:241], v[240:241], v[244:245]
	;; [unrolled: 1-line block ×3, first 2 shown]
	s_waitcnt vmcnt(5) lgkmcnt(2)
	v_mul_f64 v[228:229], v[196:197], v[122:123]
	v_add_f64 v[240:241], v[240:241], v[248:249]
	v_fmac_f64_e32 v[228:229], v[198:199], v[120:121]
	s_waitcnt vmcnt(4) lgkmcnt(1)
	v_mul_f64 v[224:225], v[200:201], v[118:119]
	v_mul_f64 v[210:211], v[214:215], v[210:211]
	v_add_f64 v[232:233], v[240:241], v[232:233]
	v_add_f64 v[0:1], v[0:1], v[228:229]
	v_fmac_f64_e32 v[224:225], v[202:203], v[116:117]
	v_fma_f64 v[238:239], v[212:213], v[208:209], -v[210:211]
	ds_read_b128 v[208:211], v2 offset:1168
	v_add_f64 v[240:241], v[232:233], v[234:235]
	scratch_load_dwordx4 v[232:235], off, off offset:16
	s_waitcnt vmcnt(4) lgkmcnt(1)
	v_mul_f64 v[212:213], v[204:205], v[130:131]
	v_add_f64 v[0:1], v[0:1], v[224:225]
	v_fmac_f64_e32 v[212:213], v[206:207], v[128:129]
	v_add_f64 v[0:1], v[0:1], v[212:213]
	ds_read_b128 v[212:215], v2 offset:1184
	v_mul_f64 v[218:219], v[222:223], v[218:219]
	v_fma_f64 v[254:255], v[220:221], v[216:217], -v[218:219]
	ds_read_b128 v[216:219], v2 offset:1200
	s_waitcnt vmcnt(3) lgkmcnt(2)
	v_mul_f64 v[220:221], v[208:209], v[134:135]
	v_fmac_f64_e32 v[220:221], v[210:211], v[132:133]
	v_add_f64 v[0:1], v[0:1], v[220:221]
	s_waitcnt vmcnt(2) lgkmcnt(1)
	v_mul_f64 v[220:221], v[212:213], v[138:139]
	v_fmac_f64_e32 v[220:221], v[214:215], v[136:137]
	v_add_f64 v[0:1], v[0:1], v[220:221]
	;; [unrolled: 4-line block ×3, first 2 shown]
	scratch_load_dwordx4 v[220:223], off, off offset:608
	ds_read_b128 v[224:227], v2 offset:1216
	v_add_f64 v[238:239], v[240:241], v[238:239]
	v_mul_f64 v[6:7], v[46:47], v[6:7]
	v_add_f64 v[238:239], v[238:239], v[254:255]
	v_fma_f64 v[4:5], v[44:45], v[4:5], -v[6:7]
	v_mul_f64 v[6:7], v[66:67], v[10:11]
	v_add_f64 v[4:5], v[238:239], v[4:5]
	v_fma_f64 v[6:7], v[64:65], v[8:9], -v[6:7]
	v_add_f64 v[4:5], v[4:5], v[6:7]
	v_mul_f64 v[6:7], v[62:63], v[14:15]
	v_fma_f64 v[6:7], v[60:61], v[12:13], -v[6:7]
	v_add_f64 v[4:5], v[4:5], v[6:7]
	v_mul_f64 v[6:7], v[58:59], v[18:19]
	;; [unrolled: 3-line block ×24, first 2 shown]
	s_waitcnt vmcnt(0) lgkmcnt(0)
	v_mul_f64 v[228:229], v[224:225], v[222:223]
	v_fmac_f64_e32 v[228:229], v[226:227], v[220:221]
	v_add_f64 v[236:237], v[0:1], v[228:229]
	scratch_load_dwordx4 v[228:231], off, off offset:624
	ds_read_b128 v[0:3], v2 offset:1232
	v_fma_f64 v[6:7], v[212:213], v[136:137], -v[6:7]
	v_add_f64 v[4:5], v[4:5], v[6:7]
	v_mul_f64 v[6:7], v[218:219], v[142:143]
	v_fma_f64 v[6:7], v[216:217], v[140:141], -v[6:7]
	v_add_f64 v[4:5], v[4:5], v[6:7]
	v_mul_f64 v[6:7], v[226:227], v[222:223]
	v_fma_f64 v[6:7], v[224:225], v[220:221], -v[6:7]
	v_add_f64 v[4:5], v[4:5], v[6:7]
	s_waitcnt vmcnt(0) lgkmcnt(0)
	v_mul_f64 v[250:251], v[0:1], v[230:231]
	v_fmac_f64_e32 v[250:251], v[2:3], v[228:229]
	v_mul_f64 v[2:3], v[2:3], v[230:231]
	v_fma_f64 v[0:1], v[0:1], v[228:229], -v[2:3]
	v_add_f64 v[236:237], v[236:237], v[250:251]
	v_add_f64 v[0:1], v[4:5], v[0:1]
	v_add_f64 v[0:1], v[232:233], -v[0:1]
	v_add_f64 v[2:3], v[234:235], -v[236:237]
	scratch_store_dwordx4 off, v[0:3], off offset:16
	s_cbranch_vccz .LBB38_324
; %bb.248:
	s_nop 0
	v_mov_b32_e32 v0, 0
	global_load_dword v1, v0, s[16:17] offset:148
	s_waitcnt vmcnt(0)
	v_readfirstlane_b32 s0, v1
	s_add_i32 s0, s0, -1
	s_cmp_lg_u32 s0, 37
	s_cbranch_scc0 .LBB38_250
; %bb.249:
	s_lshl_b32 s0, s0, 4
	s_add_i32 s0, s0, 16
	scratch_load_dwordx4 v[2:5], off, s0
	scratch_load_dwordx4 v[6:9], off, s50
	s_waitcnt vmcnt(1)
	scratch_store_dwordx4 off, v[2:5], s50
	s_waitcnt vmcnt(1)
	scratch_store_dwordx4 off, v[6:9], s0
.LBB38_250:
	global_load_dword v0, v0, s[16:17] offset:144
	s_waitcnt vmcnt(0)
	v_readfirstlane_b32 s0, v0
	s_add_i32 s0, s0, -1
	s_cmp_eq_u32 s0, 36
	s_cbranch_scc1 .LBB38_252
; %bb.251:
	s_lshl_b32 s0, s0, 4
	s_add_i32 s0, s0, 16
	scratch_load_dwordx4 v[0:3], off, s0
	scratch_load_dwordx4 v[4:7], off, s49
	s_waitcnt vmcnt(1)
	scratch_store_dwordx4 off, v[0:3], s49
	s_waitcnt vmcnt(1)
	scratch_store_dwordx4 off, v[4:7], s0
.LBB38_252:
	v_mov_b32_e32 v0, 0
	global_load_dword v1, v0, s[16:17] offset:140
	s_waitcnt vmcnt(0)
	v_readfirstlane_b32 s0, v1
	s_add_i32 s0, s0, -1
	s_cmp_eq_u32 s0, 35
	s_cbranch_scc1 .LBB38_254
; %bb.253:
	s_lshl_b32 s0, s0, 4
	s_add_i32 s0, s0, 16
	scratch_load_dwordx4 v[2:5], off, s0
	scratch_load_dwordx4 v[6:9], off, s48
	s_waitcnt vmcnt(1)
	scratch_store_dwordx4 off, v[2:5], s48
	s_waitcnt vmcnt(1)
	scratch_store_dwordx4 off, v[6:9], s0
.LBB38_254:
	global_load_dword v0, v0, s[16:17] offset:136
	s_waitcnt vmcnt(0)
	v_readfirstlane_b32 s0, v0
	s_add_i32 s0, s0, -1
	s_cmp_eq_u32 s0, 34
	s_cbranch_scc1 .LBB38_256
; %bb.255:
	s_lshl_b32 s0, s0, 4
	s_add_i32 s0, s0, 16
	scratch_load_dwordx4 v[0:3], off, s0
	scratch_load_dwordx4 v[4:7], off, s47
	s_waitcnt vmcnt(1)
	scratch_store_dwordx4 off, v[0:3], s47
	s_waitcnt vmcnt(1)
	scratch_store_dwordx4 off, v[4:7], s0
.LBB38_256:
	v_mov_b32_e32 v0, 0
	global_load_dword v1, v0, s[16:17] offset:132
	s_waitcnt vmcnt(0)
	v_readfirstlane_b32 s0, v1
	s_add_i32 s0, s0, -1
	s_cmp_eq_u32 s0, 33
	s_cbranch_scc1 .LBB38_258
; %bb.257:
	s_lshl_b32 s0, s0, 4
	s_add_i32 s0, s0, 16
	scratch_load_dwordx4 v[2:5], off, s0
	scratch_load_dwordx4 v[6:9], off, s46
	s_waitcnt vmcnt(1)
	scratch_store_dwordx4 off, v[2:5], s46
	s_waitcnt vmcnt(1)
	scratch_store_dwordx4 off, v[6:9], s0
.LBB38_258:
	;; [unrolled: 33-line block ×18, first 2 shown]
	global_load_dword v0, v0, s[16:17]
	s_waitcnt vmcnt(0)
	v_readfirstlane_b32 s0, v0
	s_add_i32 s0, s0, -1
	s_cmp_eq_u32 s0, 0
	s_cbranch_scc1 .LBB38_324
; %bb.323:
	s_lshl_b32 s0, s0, 4
	s_add_i32 s0, s0, 16
	scratch_load_dwordx4 v[0:3], off, s0
	scratch_load_dwordx4 v[4:7], off, off offset:16
	s_waitcnt vmcnt(1)
	scratch_store_dwordx4 off, v[0:3], off offset:16
	s_waitcnt vmcnt(1)
	scratch_store_dwordx4 off, v[4:7], s0
.LBB38_324:
	scratch_load_dwordx4 v[0:3], off, off offset:16
	s_nop 0
	scratch_load_dwordx4 v[4:7], off, s15
	scratch_load_dwordx4 v[8:11], off, s12
	;; [unrolled: 1-line block ×11, first 2 shown]
                                        ; kill: killed $sgpr15
                                        ; kill: killed $sgpr52
                                        ; kill: killed $sgpr22
                                        ; kill: killed $sgpr21
                                        ; kill: killed $sgpr54
                                        ; kill: killed $sgpr14
                                        ; kill: killed $sgpr53
                                        ; kill: killed $sgpr13
                                        ; kill: killed $sgpr23
                                        ; kill: killed $sgpr12
                                        ; kill: killed $sgpr20
	scratch_load_dwordx4 v[48:51], off, s24
	scratch_load_dwordx4 v[52:55], off, s25
	;; [unrolled: 1-line block ×27, first 2 shown]
	v_accvgpr_read_b32 v157, a1
	v_accvgpr_read_b32 v156, a0
	s_waitcnt vmcnt(38)
	global_store_dwordx4 v[156:157], v[0:3], off
	s_nop 1
	v_accvgpr_read_b32 v0, a2
	v_accvgpr_read_b32 v1, a3
	s_waitcnt vmcnt(38)
	global_store_dwordx4 v[0:1], v[4:7], off
	v_accvgpr_read_b32 v0, a4
	v_accvgpr_read_b32 v1, a5
	s_waitcnt vmcnt(38)
	global_store_dwordx4 v[0:1], v[8:11], off
	v_accvgpr_read_b32 v0, a6
	v_accvgpr_read_b32 v1, a7
	s_waitcnt vmcnt(38)
	global_store_dwordx4 v[0:1], v[12:15], off
	v_accvgpr_read_b32 v0, a8
	v_accvgpr_read_b32 v1, a9
	s_waitcnt vmcnt(38)
	global_store_dwordx4 v[0:1], v[16:19], off
	v_accvgpr_read_b32 v0, a10
	v_accvgpr_read_b32 v1, a11
	s_waitcnt vmcnt(38)
	global_store_dwordx4 v[0:1], v[20:23], off
	v_accvgpr_read_b32 v0, a12
	v_accvgpr_read_b32 v1, a13
	s_waitcnt vmcnt(38)
	global_store_dwordx4 v[0:1], v[24:27], off
	v_accvgpr_read_b32 v0, a14
	v_accvgpr_read_b32 v1, a15
	s_waitcnt vmcnt(38)
	global_store_dwordx4 v[0:1], v[28:31], off
	v_accvgpr_read_b32 v0, a16
	v_accvgpr_read_b32 v1, a17
	s_waitcnt vmcnt(38)
	global_store_dwordx4 v[0:1], v[32:35], off
	v_accvgpr_read_b32 v0, a18
	v_accvgpr_read_b32 v1, a19
	s_waitcnt vmcnt(38)
	global_store_dwordx4 v[0:1], v[36:39], off
	v_accvgpr_read_b32 v0, a20
	v_accvgpr_read_b32 v1, a21
	s_waitcnt vmcnt(38)
	global_store_dwordx4 v[0:1], v[40:43], off
	v_accvgpr_read_b32 v0, a22
	v_accvgpr_read_b32 v1, a23
	s_waitcnt vmcnt(38)
	global_store_dwordx4 v[0:1], v[44:47], off
	v_accvgpr_read_b32 v0, a24
	v_accvgpr_read_b32 v1, a25
	s_waitcnt vmcnt(38)
	global_store_dwordx4 v[0:1], v[48:51], off
	v_accvgpr_read_b32 v0, a26
	v_accvgpr_read_b32 v1, a27
	s_waitcnt vmcnt(38)
	global_store_dwordx4 v[0:1], v[52:55], off
	v_accvgpr_read_b32 v0, a28
	v_accvgpr_read_b32 v1, a29
	s_waitcnt vmcnt(38)
	global_store_dwordx4 v[0:1], v[56:59], off
	v_accvgpr_read_b32 v0, a30
	v_accvgpr_read_b32 v1, a31
	s_waitcnt vmcnt(38)
	global_store_dwordx4 v[0:1], v[60:63], off
	v_accvgpr_read_b32 v0, a32
	v_accvgpr_read_b32 v1, a33
	s_waitcnt vmcnt(38)
	global_store_dwordx4 v[0:1], v[64:67], off
	v_accvgpr_read_b32 v0, a34
	v_accvgpr_read_b32 v1, a35
	s_waitcnt vmcnt(38)
	global_store_dwordx4 v[0:1], v[68:71], off
	v_accvgpr_read_b32 v0, a36
	v_accvgpr_read_b32 v1, a37
	s_waitcnt vmcnt(38)
	global_store_dwordx4 v[0:1], v[72:75], off
	v_accvgpr_read_b32 v0, a38
	v_accvgpr_read_b32 v1, a39
	s_waitcnt vmcnt(38)
	global_store_dwordx4 v[0:1], v[76:79], off
	v_accvgpr_read_b32 v0, a40
	v_accvgpr_read_b32 v1, a41
	s_waitcnt vmcnt(38)
	global_store_dwordx4 v[0:1], v[80:83], off
	v_accvgpr_read_b32 v0, a42
	v_accvgpr_read_b32 v1, a43
	s_waitcnt vmcnt(38)
	global_store_dwordx4 v[0:1], v[84:87], off
	v_accvgpr_read_b32 v0, a44
	v_accvgpr_read_b32 v1, a45
	s_waitcnt vmcnt(38)
	global_store_dwordx4 v[0:1], v[88:91], off
	v_accvgpr_read_b32 v0, a46
	v_accvgpr_read_b32 v1, a47
	s_waitcnt vmcnt(38)
	global_store_dwordx4 v[0:1], v[92:95], off
	v_accvgpr_read_b32 v0, a48
	v_accvgpr_read_b32 v1, a49
	s_waitcnt vmcnt(38)
	global_store_dwordx4 v[0:1], v[96:99], off
	v_accvgpr_read_b32 v0, a50
	v_accvgpr_read_b32 v1, a51
	s_waitcnt vmcnt(38)
	global_store_dwordx4 v[0:1], v[100:103], off
	v_accvgpr_read_b32 v0, a52
	v_accvgpr_read_b32 v1, a53
	s_waitcnt vmcnt(38)
	global_store_dwordx4 v[0:1], v[104:107], off
	v_accvgpr_read_b32 v0, a54
	v_accvgpr_read_b32 v1, a55
	s_waitcnt vmcnt(38)
	global_store_dwordx4 v[0:1], v[108:111], off
	v_accvgpr_read_b32 v0, a56
	v_accvgpr_read_b32 v1, a57
	s_waitcnt vmcnt(38)
	global_store_dwordx4 v[0:1], v[112:115], off
	v_accvgpr_read_b32 v0, a58
	v_accvgpr_read_b32 v1, a59
	s_waitcnt vmcnt(38)
	global_store_dwordx4 v[0:1], v[116:119], off
	v_accvgpr_read_b32 v0, a60
	v_accvgpr_read_b32 v1, a61
	s_waitcnt vmcnt(38)
	global_store_dwordx4 v[0:1], v[120:123], off
	v_accvgpr_read_b32 v0, a62
	v_accvgpr_read_b32 v1, a63
	s_waitcnt vmcnt(38)
	global_store_dwordx4 v[0:1], v[124:127], off
	v_accvgpr_read_b32 v0, a64
	v_accvgpr_read_b32 v1, a65
	s_waitcnt vmcnt(38)
	global_store_dwordx4 v[0:1], v[128:131], off
	v_accvgpr_read_b32 v0, a66
	v_accvgpr_read_b32 v1, a67
	s_waitcnt vmcnt(38)
	global_store_dwordx4 v[0:1], v[132:135], off
	v_accvgpr_read_b32 v0, a68
	v_accvgpr_read_b32 v1, a69
	s_waitcnt vmcnt(38)
	global_store_dwordx4 v[0:1], v[136:139], off
	v_accvgpr_read_b32 v0, a70
	v_accvgpr_read_b32 v1, a71
	s_waitcnt vmcnt(38)
	global_store_dwordx4 v[0:1], v[140:143], off
	v_accvgpr_read_b32 v0, a72
	v_accvgpr_read_b32 v1, a73
	s_waitcnt vmcnt(38)
	global_store_dwordx4 v[0:1], v[144:147], off
	v_accvgpr_read_b32 v0, a74
	v_accvgpr_read_b32 v1, a75
	s_waitcnt vmcnt(38)
	global_store_dwordx4 v[0:1], v[148:151], off
	v_accvgpr_read_b32 v0, a76
	v_accvgpr_read_b32 v1, a77
	s_waitcnt vmcnt(38)
	global_store_dwordx4 v[0:1], v[152:155], off
	s_endpgm
	.section	.rodata,"a",@progbits
	.p2align	6, 0x0
	.amdhsa_kernel _ZN9rocsolver6v33100L18getri_kernel_smallILi39E19rocblas_complex_numIdEPS3_EEvT1_iilPiilS6_bb
		.amdhsa_group_segment_fixed_size 1256
		.amdhsa_private_segment_fixed_size 656
		.amdhsa_kernarg_size 60
		.amdhsa_user_sgpr_count 2
		.amdhsa_user_sgpr_dispatch_ptr 0
		.amdhsa_user_sgpr_queue_ptr 0
		.amdhsa_user_sgpr_kernarg_segment_ptr 1
		.amdhsa_user_sgpr_dispatch_id 0
		.amdhsa_user_sgpr_kernarg_preload_length 0
		.amdhsa_user_sgpr_kernarg_preload_offset 0
		.amdhsa_user_sgpr_private_segment_size 0
		.amdhsa_uses_dynamic_stack 0
		.amdhsa_enable_private_segment 1
		.amdhsa_system_sgpr_workgroup_id_x 1
		.amdhsa_system_sgpr_workgroup_id_y 0
		.amdhsa_system_sgpr_workgroup_id_z 0
		.amdhsa_system_sgpr_workgroup_info 0
		.amdhsa_system_vgpr_workitem_id 0
		.amdhsa_next_free_vgpr 334
		.amdhsa_next_free_sgpr 55
		.amdhsa_accum_offset 256
		.amdhsa_reserve_vcc 1
		.amdhsa_float_round_mode_32 0
		.amdhsa_float_round_mode_16_64 0
		.amdhsa_float_denorm_mode_32 3
		.amdhsa_float_denorm_mode_16_64 3
		.amdhsa_dx10_clamp 1
		.amdhsa_ieee_mode 1
		.amdhsa_fp16_overflow 0
		.amdhsa_tg_split 0
		.amdhsa_exception_fp_ieee_invalid_op 0
		.amdhsa_exception_fp_denorm_src 0
		.amdhsa_exception_fp_ieee_div_zero 0
		.amdhsa_exception_fp_ieee_overflow 0
		.amdhsa_exception_fp_ieee_underflow 0
		.amdhsa_exception_fp_ieee_inexact 0
		.amdhsa_exception_int_div_zero 0
	.end_amdhsa_kernel
	.section	.text._ZN9rocsolver6v33100L18getri_kernel_smallILi39E19rocblas_complex_numIdEPS3_EEvT1_iilPiilS6_bb,"axG",@progbits,_ZN9rocsolver6v33100L18getri_kernel_smallILi39E19rocblas_complex_numIdEPS3_EEvT1_iilPiilS6_bb,comdat
.Lfunc_end38:
	.size	_ZN9rocsolver6v33100L18getri_kernel_smallILi39E19rocblas_complex_numIdEPS3_EEvT1_iilPiilS6_bb, .Lfunc_end38-_ZN9rocsolver6v33100L18getri_kernel_smallILi39E19rocblas_complex_numIdEPS3_EEvT1_iilPiilS6_bb
                                        ; -- End function
	.set _ZN9rocsolver6v33100L18getri_kernel_smallILi39E19rocblas_complex_numIdEPS3_EEvT1_iilPiilS6_bb.num_vgpr, 256
	.set _ZN9rocsolver6v33100L18getri_kernel_smallILi39E19rocblas_complex_numIdEPS3_EEvT1_iilPiilS6_bb.num_agpr, 78
	.set _ZN9rocsolver6v33100L18getri_kernel_smallILi39E19rocblas_complex_numIdEPS3_EEvT1_iilPiilS6_bb.numbered_sgpr, 55
	.set _ZN9rocsolver6v33100L18getri_kernel_smallILi39E19rocblas_complex_numIdEPS3_EEvT1_iilPiilS6_bb.num_named_barrier, 0
	.set _ZN9rocsolver6v33100L18getri_kernel_smallILi39E19rocblas_complex_numIdEPS3_EEvT1_iilPiilS6_bb.private_seg_size, 656
	.set _ZN9rocsolver6v33100L18getri_kernel_smallILi39E19rocblas_complex_numIdEPS3_EEvT1_iilPiilS6_bb.uses_vcc, 1
	.set _ZN9rocsolver6v33100L18getri_kernel_smallILi39E19rocblas_complex_numIdEPS3_EEvT1_iilPiilS6_bb.uses_flat_scratch, 0
	.set _ZN9rocsolver6v33100L18getri_kernel_smallILi39E19rocblas_complex_numIdEPS3_EEvT1_iilPiilS6_bb.has_dyn_sized_stack, 0
	.set _ZN9rocsolver6v33100L18getri_kernel_smallILi39E19rocblas_complex_numIdEPS3_EEvT1_iilPiilS6_bb.has_recursion, 0
	.set _ZN9rocsolver6v33100L18getri_kernel_smallILi39E19rocblas_complex_numIdEPS3_EEvT1_iilPiilS6_bb.has_indirect_call, 0
	.section	.AMDGPU.csdata,"",@progbits
; Kernel info:
; codeLenInByte = 67068
; TotalNumSgprs: 61
; NumVgprs: 256
; NumAgprs: 78
; TotalNumVgprs: 334
; ScratchSize: 656
; MemoryBound: 0
; FloatMode: 240
; IeeeMode: 1
; LDSByteSize: 1256 bytes/workgroup (compile time only)
; SGPRBlocks: 7
; VGPRBlocks: 41
; NumSGPRsForWavesPerEU: 61
; NumVGPRsForWavesPerEU: 334
; AccumOffset: 256
; Occupancy: 1
; WaveLimiterHint : 1
; COMPUTE_PGM_RSRC2:SCRATCH_EN: 1
; COMPUTE_PGM_RSRC2:USER_SGPR: 2
; COMPUTE_PGM_RSRC2:TRAP_HANDLER: 0
; COMPUTE_PGM_RSRC2:TGID_X_EN: 1
; COMPUTE_PGM_RSRC2:TGID_Y_EN: 0
; COMPUTE_PGM_RSRC2:TGID_Z_EN: 0
; COMPUTE_PGM_RSRC2:TIDIG_COMP_CNT: 0
; COMPUTE_PGM_RSRC3_GFX90A:ACCUM_OFFSET: 63
; COMPUTE_PGM_RSRC3_GFX90A:TG_SPLIT: 0
	.section	.text._ZN9rocsolver6v33100L18getri_kernel_smallILi40E19rocblas_complex_numIdEPS3_EEvT1_iilPiilS6_bb,"axG",@progbits,_ZN9rocsolver6v33100L18getri_kernel_smallILi40E19rocblas_complex_numIdEPS3_EEvT1_iilPiilS6_bb,comdat
	.globl	_ZN9rocsolver6v33100L18getri_kernel_smallILi40E19rocblas_complex_numIdEPS3_EEvT1_iilPiilS6_bb ; -- Begin function _ZN9rocsolver6v33100L18getri_kernel_smallILi40E19rocblas_complex_numIdEPS3_EEvT1_iilPiilS6_bb
	.p2align	8
	.type	_ZN9rocsolver6v33100L18getri_kernel_smallILi40E19rocblas_complex_numIdEPS3_EEvT1_iilPiilS6_bb,@function
_ZN9rocsolver6v33100L18getri_kernel_smallILi40E19rocblas_complex_numIdEPS3_EEvT1_iilPiilS6_bb: ; @_ZN9rocsolver6v33100L18getri_kernel_smallILi40E19rocblas_complex_numIdEPS3_EEvT1_iilPiilS6_bb
; %bb.0:
	v_cmp_gt_u32_e32 vcc, 40, v0
	s_and_saveexec_b64 s[4:5], vcc
	s_cbranch_execz .LBB39_174
; %bb.1:
	s_load_dword s8, s[0:1], 0x38
	s_load_dwordx4 s[12:15], s[0:1], 0x10
	s_load_dwordx4 s[4:7], s[0:1], 0x28
                                        ; implicit-def: $sgpr16_sgpr17
	s_waitcnt lgkmcnt(0)
	s_bitcmp1_b32 s8, 8
	s_cselect_b64 s[18:19], -1, 0
	s_ashr_i32 s3, s2, 31
	s_bfe_u32 s8, s8, 0x10008
	s_cmp_eq_u32 s8, 0
	s_cbranch_scc1 .LBB39_3
; %bb.2:
	s_load_dword s8, s[0:1], 0x20
	s_mul_i32 s9, s4, s3
	s_mul_hi_u32 s10, s4, s2
	s_mul_i32 s5, s5, s2
	s_add_i32 s10, s10, s9
	s_add_i32 s5, s10, s5
	s_mul_i32 s4, s4, s2
	s_waitcnt lgkmcnt(0)
	s_ashr_i32 s9, s8, 31
	s_lshl_b64 s[4:5], s[4:5], 2
	s_add_u32 s10, s14, s4
	s_addc_u32 s11, s15, s5
	s_lshl_b64 s[4:5], s[8:9], 2
	s_add_u32 s16, s10, s4
	s_addc_u32 s17, s11, s5
.LBB39_3:
	s_load_dwordx4 s[8:11], s[0:1], 0x0
	s_load_dword s4, s[0:1], 0x38
	s_mul_i32 s5, s12, s3
	s_mul_hi_u32 s14, s12, s2
	s_add_i32 s5, s14, s5
	s_waitcnt lgkmcnt(0)
	s_ashr_i32 s1, s10, 31
	s_mov_b32 s0, s10
	s_mul_i32 s10, s13, s2
	s_add_i32 s13, s5, s10
	s_mul_i32 s12, s12, s2
	s_lshl_b64 s[12:13], s[12:13], 4
	s_add_u32 s5, s8, s12
	s_addc_u32 s8, s9, s13
	s_lshl_b64 s[0:1], s[0:1], 4
	s_add_u32 s0, s5, s0
	s_addc_u32 s1, s8, s1
	s_add_i32 s5, s11, s11
	v_add_u32_e32 v14, s5, v0
	v_ashrrev_i32_e32 v15, 31, v14
	v_lshl_add_u64 v[10:11], v[14:15], 4, s[0:1]
	v_add_u32_e32 v14, s11, v14
	v_add_u32_e32 v22, s11, v14
	v_ashrrev_i32_e32 v23, 31, v22
	v_lshl_add_u64 v[18:19], v[22:23], 4, s[0:1]
	v_add_u32_e32 v22, s11, v22
	;; [unrolled: 4-line block ×3, first 2 shown]
	v_ashrrev_i32_e32 v31, 31, v30
	v_lshl_add_u64 v[32:33], v[30:31], 4, s[0:1]
	v_add_u32_e32 v30, s11, v30
	v_add_u32_e32 v38, s11, v30
	;; [unrolled: 1-line block ×4, first 2 shown]
	v_lshlrev_b32_e32 v62, 4, v0
	v_mov_b32_e32 v63, 0
	v_add_u32_e32 v48, s11, v46
	v_lshl_add_u64 v[6:7], s[0:1], 0, v[62:63]
	v_add_u32_e32 v54, s11, v48
	s_ashr_i32 s9, s11, 31
	s_mov_b32 s8, s11
	v_accvgpr_write_b32 a0, v6
	v_ashrrev_i32_e32 v55, 31, v54
	v_accvgpr_write_b32 a1, v7
	v_lshl_add_u64 v[6:7], s[8:9], 4, v[6:7]
	v_lshl_add_u64 v[56:57], v[54:55], 4, s[0:1]
	v_add_u32_e32 v54, s11, v54
	global_load_dwordx4 v[2:5], v62, s[0:1]
	v_accvgpr_write_b32 a2, v6
	v_ashrrev_i32_e32 v15, 31, v14
	v_add_u32_e32 v64, s11, v54
	v_accvgpr_write_b32 a3, v7
	global_load_dwordx4 v[6:9], v[6:7], off
	v_accvgpr_write_b32 a4, v10
	v_lshl_add_u64 v[16:17], v[14:15], 4, s[0:1]
	v_add_u32_e32 v66, s11, v64
	v_accvgpr_write_b32 a5, v11
	global_load_dwordx4 v[10:13], v[10:11], off
	v_accvgpr_write_b32 a6, v16
	v_ashrrev_i32_e32 v23, 31, v22
	v_add_u32_e32 v72, s11, v66
	v_accvgpr_write_b32 a7, v17
	global_load_dwordx4 v[14:17], v[16:17], off
	v_accvgpr_write_b32 a8, v18
	v_lshl_add_u64 v[24:25], v[22:23], 4, s[0:1]
	v_add_u32_e32 v80, s11, v72
	v_accvgpr_write_b32 a9, v19
	global_load_dwordx4 v[18:21], v[18:19], off
	v_accvgpr_write_b32 a10, v24
	v_ashrrev_i32_e32 v81, 31, v80
	v_accvgpr_write_b32 a11, v25
	global_load_dwordx4 v[22:25], v[24:25], off
	v_accvgpr_write_b32 a12, v26
	v_ashrrev_i32_e32 v31, 31, v30
	v_lshl_add_u64 v[76:77], v[80:81], 4, s[0:1]
	v_add_u32_e32 v80, s11, v80
	v_accvgpr_write_b32 a13, v27
	global_load_dwordx4 v[26:29], v[26:27], off
	v_lshl_add_u64 v[34:35], v[30:31], 4, s[0:1]
	v_ashrrev_i32_e32 v39, 31, v38
	v_accvgpr_write_b32 a14, v32
	v_add_u32_e32 v88, s11, v80
	v_accvgpr_write_b32 a15, v33
	global_load_dwordx4 v[30:33], v[32:33], off
	v_accvgpr_write_b32 a16, v34
	v_lshl_add_u64 v[38:39], v[38:39], 4, s[0:1]
	v_ashrrev_i32_e32 v41, 31, v40
	v_ashrrev_i32_e32 v89, 31, v88
	v_accvgpr_write_b32 a17, v35
	global_load_dwordx4 v[34:37], v[34:35], off
	v_lshl_add_u64 v[42:43], v[40:41], 4, s[0:1]
	v_ashrrev_i32_e32 v47, 31, v46
	v_accvgpr_write_b32 a18, v38
	v_lshl_add_u64 v[84:85], v[88:89], 4, s[0:1]
	v_add_u32_e32 v88, s11, v88
	v_accvgpr_write_b32 a19, v39
	global_load_dwordx4 v[38:41], v[38:39], off
	v_accvgpr_write_b32 a20, v42
	v_lshl_add_u64 v[46:47], v[46:47], 4, s[0:1]
	v_ashrrev_i32_e32 v49, 31, v48
	v_add_u32_e32 v96, s11, v88
	v_accvgpr_write_b32 a21, v43
	global_load_dwordx4 v[42:45], v[42:43], off
	v_lshl_add_u64 v[50:51], v[48:49], 4, s[0:1]
	v_accvgpr_write_b32 a22, v46
	v_ashrrev_i32_e32 v97, 31, v96
	v_accvgpr_write_b32 a23, v47
	global_load_dwordx4 v[46:49], v[46:47], off
	v_accvgpr_write_b32 a24, v50
	v_ashrrev_i32_e32 v55, 31, v54
	v_lshl_add_u64 v[92:93], v[96:97], 4, s[0:1]
	v_add_u32_e32 v96, s11, v96
	v_accvgpr_write_b32 a25, v51
	global_load_dwordx4 v[50:53], v[50:51], off
	v_lshl_add_u64 v[58:59], v[54:55], 4, s[0:1]
	v_ashrrev_i32_e32 v65, 31, v64
	v_accvgpr_write_b32 a26, v56
	v_add_u32_e32 v104, s11, v96
	v_accvgpr_write_b32 a27, v57
	global_load_dwordx4 v[54:57], v[56:57], off
	v_accvgpr_write_b32 a28, v58
	v_lshl_add_u64 v[64:65], v[64:65], 4, s[0:1]
	v_ashrrev_i32_e32 v67, 31, v66
	v_ashrrev_i32_e32 v105, 31, v104
	v_accvgpr_write_b32 a29, v59
	global_load_dwordx4 v[58:61], v[58:59], off
	v_lshl_add_u64 v[68:69], v[66:67], 4, s[0:1]
	v_ashrrev_i32_e32 v73, 31, v72
	v_accvgpr_write_b32 a30, v64
	v_lshl_add_u64 v[100:101], v[104:105], 4, s[0:1]
	v_add_u32_e32 v104, s11, v104
	v_accvgpr_write_b32 a31, v65
	global_load_dwordx4 v[64:67], v[64:65], off
	v_accvgpr_write_b32 a32, v68
	v_lshl_add_u64 v[74:75], v[72:73], 4, s[0:1]
	v_add_u32_e32 v112, s11, v104
	v_accvgpr_write_b32 a33, v69
	global_load_dwordx4 v[68:71], v[68:69], off
	v_accvgpr_write_b32 a34, v74
	v_ashrrev_i32_e32 v81, 31, v80
	v_ashrrev_i32_e32 v113, 31, v112
	v_accvgpr_write_b32 a35, v75
	global_load_dwordx4 v[72:75], v[74:75], off
	v_accvgpr_write_b32 a36, v76
	v_lshl_add_u64 v[82:83], v[80:81], 4, s[0:1]
	v_lshl_add_u64 v[108:109], v[112:113], 4, s[0:1]
	v_add_u32_e32 v112, s11, v112
	v_accvgpr_write_b32 a37, v77
	global_load_dwordx4 v[76:79], v[76:77], off
	v_accvgpr_write_b32 a38, v82
	v_ashrrev_i32_e32 v89, 31, v88
	v_add_u32_e32 v120, s11, v112
	v_accvgpr_write_b32 a39, v83
	global_load_dwordx4 v[80:83], v[82:83], off
	v_accvgpr_write_b32 a40, v84
	v_lshl_add_u64 v[90:91], v[88:89], 4, s[0:1]
	v_ashrrev_i32_e32 v121, 31, v120
	v_accvgpr_write_b32 a41, v85
	global_load_dwordx4 v[84:87], v[84:85], off
	v_accvgpr_write_b32 a42, v90
	v_ashrrev_i32_e32 v97, 31, v96
	v_lshl_add_u64 v[116:117], v[120:121], 4, s[0:1]
	v_add_u32_e32 v120, s11, v120
	v_accvgpr_write_b32 a43, v91
	global_load_dwordx4 v[88:91], v[90:91], off
	v_accvgpr_write_b32 a44, v92
	v_lshl_add_u64 v[98:99], v[96:97], 4, s[0:1]
	v_add_u32_e32 v128, s11, v120
	v_accvgpr_write_b32 a45, v93
	global_load_dwordx4 v[92:95], v[92:93], off
	v_accvgpr_write_b32 a46, v98
	v_ashrrev_i32_e32 v105, 31, v104
	v_ashrrev_i32_e32 v129, 31, v128
	v_accvgpr_write_b32 a47, v99
	global_load_dwordx4 v[96:99], v[98:99], off
	v_accvgpr_write_b32 a48, v100
	v_lshl_add_u64 v[106:107], v[104:105], 4, s[0:1]
	v_lshl_add_u64 v[124:125], v[128:129], 4, s[0:1]
	v_add_u32_e32 v128, s11, v128
	v_accvgpr_write_b32 a49, v101
	global_load_dwordx4 v[100:103], v[100:101], off
	v_accvgpr_write_b32 a50, v106
	v_ashrrev_i32_e32 v113, 31, v112
	v_add_u32_e32 v136, s11, v128
	v_accvgpr_write_b32 a51, v107
	global_load_dwordx4 v[104:107], v[106:107], off
	v_accvgpr_write_b32 a52, v108
	v_lshl_add_u64 v[114:115], v[112:113], 4, s[0:1]
	v_ashrrev_i32_e32 v137, 31, v136
	v_accvgpr_write_b32 a53, v109
	global_load_dwordx4 v[108:111], v[108:109], off
	v_accvgpr_write_b32 a54, v114
	v_ashrrev_i32_e32 v121, 31, v120
	;; [unrolled: 32-line block ×3, first 2 shown]
	v_lshl_add_u64 v[148:149], v[152:153], 4, s[0:1]
	v_add_u32_e32 v152, s11, v152
	v_accvgpr_write_b32 a67, v139
	global_load_dwordx4 v[136:139], v[138:139], off
	v_accvgpr_write_b32 a68, v140
	v_lshl_add_u64 v[146:147], v[144:145], 4, s[0:1]
	v_add_u32_e32 v160, s11, v152
	v_accvgpr_write_b32 a69, v141
	global_load_dwordx4 v[140:143], v[140:141], off
	v_accvgpr_write_b32 a70, v146
	v_ashrrev_i32_e32 v153, 31, v152
	v_ashrrev_i32_e32 v161, 31, v160
	v_accvgpr_write_b32 a71, v147
	global_load_dwordx4 v[144:147], v[146:147], off
	v_accvgpr_write_b32 a72, v148
	v_lshl_add_u64 v[154:155], v[152:153], 4, s[0:1]
	v_lshl_add_u64 v[156:157], v[160:161], 4, s[0:1]
	v_add_u32_e32 v160, s11, v160
	v_accvgpr_write_b32 a73, v149
	global_load_dwordx4 v[148:151], v[148:149], off
	v_accvgpr_write_b32 a74, v154
	v_ashrrev_i32_e32 v161, 31, v160
	v_accvgpr_write_b32 a75, v155
	global_load_dwordx4 v[152:155], v[154:155], off
	v_accvgpr_write_b32 a76, v156
	v_lshl_add_u64 v[160:161], v[160:161], 4, s[0:1]
	v_accvgpr_write_b32 a77, v157
	global_load_dwordx4 v[156:159], v[156:157], off
	v_accvgpr_write_b32 a78, v160
	v_accvgpr_write_b32 a79, v161
	global_load_dwordx4 v[160:163], v[160:161], off
	s_movk_i32 s0, 0x50
	s_add_i32 s21, s0, 16
	s_movk_i32 s0, 0x60
	s_add_i32 s22, s0, 16
	;; [unrolled: 2-line block ×35, first 2 shown]
	s_mov_b32 s15, 32
	s_mov_b32 s12, 48
	;; [unrolled: 1-line block ×3, first 2 shown]
	s_movk_i32 s14, 0x50
	s_bitcmp0_b32 s4, 0
	s_mov_b64 s[4:5], -1
	s_waitcnt vmcnt(39)
	scratch_store_dwordx4 off, v[2:5], off offset:16
	s_waitcnt vmcnt(39)
	scratch_store_dwordx4 off, v[6:9], off offset:32
	;; [unrolled: 2-line block ×40, first 2 shown]
	s_cbranch_scc1 .LBB39_172
; %bb.4:
	v_cmp_eq_u32_e64 s[0:1], 0, v0
	s_and_saveexec_b64 s[4:5], s[0:1]
; %bb.5:
	v_mov_b32_e32 v1, 0
	ds_write_b32 v1, v1 offset:1280
; %bb.6:
	s_or_b64 exec, exec, s[4:5]
	s_waitcnt lgkmcnt(0)
	; wave barrier
	scratch_load_dwordx4 v[2:5], v62, off offset:16
	s_waitcnt vmcnt(0)
	v_cmp_eq_f64_e32 vcc, 0, v[2:3]
	v_cmp_eq_f64_e64 s[4:5], 0, v[4:5]
	s_and_b64 s[4:5], vcc, s[4:5]
	s_and_saveexec_b64 s[8:9], s[4:5]
	s_cbranch_execz .LBB39_10
; %bb.7:
	v_mov_b32_e32 v1, 0
	ds_read_b32 v3, v1 offset:1280
	v_add_u32_e32 v2, 1, v0
	s_waitcnt lgkmcnt(0)
	v_readfirstlane_b32 s4, v3
	s_cmp_eq_u32 s4, 0
	s_cselect_b64 s[10:11], -1, 0
	v_cmp_gt_i32_e32 vcc, s4, v2
	s_or_b64 s[10:11], s[10:11], vcc
	s_and_b64 exec, exec, s[10:11]
	s_cbranch_execz .LBB39_10
; %bb.8:
	s_mov_b64 s[10:11], 0
	v_mov_b32_e32 v3, s4
.LBB39_9:                               ; =>This Inner Loop Header: Depth=1
	ds_cmpst_rtn_b32 v3, v1, v3, v2 offset:1280
	s_waitcnt lgkmcnt(0)
	v_cmp_ne_u32_e32 vcc, 0, v3
	v_cmp_le_i32_e64 s[4:5], v3, v2
	s_and_b64 s[4:5], vcc, s[4:5]
	s_and_b64 s[4:5], exec, s[4:5]
	s_or_b64 s[10:11], s[4:5], s[10:11]
	s_andn2_b64 exec, exec, s[10:11]
	s_cbranch_execnz .LBB39_9
.LBB39_10:
	s_or_b64 exec, exec, s[8:9]
	v_mov_b32_e32 v2, 0
	; wave barrier
	ds_read_b32 v1, v2 offset:1280
	s_and_saveexec_b64 s[4:5], s[0:1]
	s_cbranch_execz .LBB39_12
; %bb.11:
	s_lshl_b64 s[8:9], s[2:3], 2
	s_add_u32 s8, s6, s8
	s_addc_u32 s9, s7, s9
	s_waitcnt lgkmcnt(0)
	global_store_dword v2, v1, s[8:9]
.LBB39_12:
	s_or_b64 exec, exec, s[4:5]
	s_waitcnt lgkmcnt(0)
	v_cmp_ne_u32_e32 vcc, 0, v1
	s_mov_b64 s[4:5], 0
	s_cbranch_vccnz .LBB39_172
; %bb.13:
	v_add_u32_e32 v14, 16, v62
	scratch_load_dwordx4 v[2:5], v14, off
                                        ; implicit-def: $vgpr6_vgpr7
                                        ; implicit-def: $vgpr10_vgpr11
	s_waitcnt vmcnt(0)
	v_cmp_ngt_f64_e64 s[4:5], |v[2:3]|, |v[4:5]|
	s_and_saveexec_b64 s[8:9], s[4:5]
	s_xor_b64 s[4:5], exec, s[8:9]
	s_cbranch_execz .LBB39_15
; %bb.14:
	v_div_scale_f64 v[6:7], s[8:9], v[4:5], v[4:5], v[2:3]
	v_rcp_f64_e32 v[8:9], v[6:7]
	v_div_scale_f64 v[10:11], vcc, v[2:3], v[4:5], v[2:3]
	v_fma_f64 v[12:13], -v[6:7], v[8:9], 1.0
	v_fmac_f64_e32 v[8:9], v[8:9], v[12:13]
	v_fma_f64 v[12:13], -v[6:7], v[8:9], 1.0
	v_fmac_f64_e32 v[8:9], v[8:9], v[12:13]
	v_mul_f64 v[12:13], v[10:11], v[8:9]
	v_fma_f64 v[6:7], -v[6:7], v[12:13], v[10:11]
	v_div_fmas_f64 v[6:7], v[6:7], v[8:9], v[12:13]
	v_div_fixup_f64 v[6:7], v[6:7], v[4:5], v[2:3]
	v_fmac_f64_e32 v[4:5], v[2:3], v[6:7]
	v_div_scale_f64 v[2:3], s[8:9], v[4:5], v[4:5], 1.0
	v_rcp_f64_e32 v[8:9], v[2:3]
	s_nop 0
	v_fma_f64 v[10:11], -v[2:3], v[8:9], 1.0
	v_fmac_f64_e32 v[8:9], v[8:9], v[10:11]
	v_fma_f64 v[10:11], -v[2:3], v[8:9], 1.0
	v_fmac_f64_e32 v[8:9], v[8:9], v[10:11]
	v_div_scale_f64 v[10:11], vcc, 1.0, v[4:5], 1.0
	v_mul_f64 v[12:13], v[10:11], v[8:9]
	v_fma_f64 v[2:3], -v[2:3], v[12:13], v[10:11]
	s_nop 1
	v_div_fmas_f64 v[2:3], v[2:3], v[8:9], v[12:13]
	v_div_fixup_f64 v[8:9], v[2:3], v[4:5], 1.0
	v_mul_f64 v[6:7], v[6:7], v[8:9]
	v_xor_b32_e32 v9, 0x80000000, v9
	v_xor_b32_e32 v11, 0x80000000, v7
	v_mov_b32_e32 v10, v6
                                        ; implicit-def: $vgpr2_vgpr3
.LBB39_15:
	s_andn2_saveexec_b64 s[4:5], s[4:5]
	s_cbranch_execz .LBB39_17
; %bb.16:
	v_div_scale_f64 v[6:7], s[8:9], v[2:3], v[2:3], v[4:5]
	v_rcp_f64_e32 v[8:9], v[6:7]
	v_div_scale_f64 v[10:11], vcc, v[4:5], v[2:3], v[4:5]
	v_fma_f64 v[12:13], -v[6:7], v[8:9], 1.0
	v_fmac_f64_e32 v[8:9], v[8:9], v[12:13]
	v_fma_f64 v[12:13], -v[6:7], v[8:9], 1.0
	v_fmac_f64_e32 v[8:9], v[8:9], v[12:13]
	v_mul_f64 v[12:13], v[10:11], v[8:9]
	v_fma_f64 v[6:7], -v[6:7], v[12:13], v[10:11]
	v_div_fmas_f64 v[6:7], v[6:7], v[8:9], v[12:13]
	v_div_fixup_f64 v[8:9], v[6:7], v[2:3], v[4:5]
	v_fmac_f64_e32 v[2:3], v[4:5], v[8:9]
	v_div_scale_f64 v[4:5], s[8:9], v[2:3], v[2:3], 1.0
	v_rcp_f64_e32 v[6:7], v[4:5]
	s_nop 0
	v_fma_f64 v[10:11], -v[4:5], v[6:7], 1.0
	v_fmac_f64_e32 v[6:7], v[6:7], v[10:11]
	v_fma_f64 v[10:11], -v[4:5], v[6:7], 1.0
	v_fmac_f64_e32 v[6:7], v[6:7], v[10:11]
	v_div_scale_f64 v[10:11], vcc, 1.0, v[2:3], 1.0
	v_mul_f64 v[12:13], v[10:11], v[6:7]
	v_fma_f64 v[4:5], -v[4:5], v[12:13], v[10:11]
	s_nop 1
	v_div_fmas_f64 v[4:5], v[4:5], v[6:7], v[12:13]
	v_div_fixup_f64 v[6:7], v[4:5], v[2:3], 1.0
	v_xor_b32_e32 v11, 0x80000000, v7
	v_mov_b32_e32 v10, v6
	v_mul_f64 v[8:9], v[8:9], -v[6:7]
.LBB39_17:
	s_or_b64 exec, exec, s[4:5]
	scratch_store_dwordx4 v14, v[6:9], off
	scratch_load_dwordx4 v[2:5], off, s15
	v_xor_b32_e32 v13, 0x80000000, v9
	v_mov_b32_e32 v12, v8
	v_add_u32_e32 v1, 0x280, v62
	ds_write_b128 v62, v[10:13]
	s_waitcnt vmcnt(0)
	ds_write_b128 v62, v[2:5] offset:640
	s_waitcnt lgkmcnt(0)
	; wave barrier
	s_and_saveexec_b64 s[4:5], s[0:1]
	s_cbranch_execz .LBB39_19
; %bb.18:
	scratch_load_dwordx4 v[2:5], v14, off
	ds_read_b128 v[6:9], v1
	v_mov_b32_e32 v10, 0
	ds_read_b128 v[10:13], v10 offset:16
	s_waitcnt vmcnt(0) lgkmcnt(1)
	v_mul_f64 v[16:17], v[8:9], v[4:5]
	v_mul_f64 v[4:5], v[6:7], v[4:5]
	v_fma_f64 v[6:7], v[6:7], v[2:3], -v[16:17]
	v_fmac_f64_e32 v[4:5], v[8:9], v[2:3]
	v_add_f64 v[2:3], v[6:7], 0
	v_add_f64 v[6:7], v[4:5], 0
	s_waitcnt lgkmcnt(0)
	v_mul_f64 v[8:9], v[6:7], v[12:13]
	v_mul_f64 v[4:5], v[2:3], v[12:13]
	v_fma_f64 v[2:3], v[2:3], v[10:11], -v[8:9]
	v_fmac_f64_e32 v[4:5], v[6:7], v[10:11]
	scratch_store_dwordx4 off, v[2:5], off offset:32
.LBB39_19:
	s_or_b64 exec, exec, s[4:5]
	; wave barrier
	scratch_load_dwordx4 v[2:5], off, s12
	v_cmp_gt_u32_e32 vcc, 2, v0
	s_waitcnt vmcnt(0)
	ds_write_b128 v1, v[2:5]
	s_waitcnt lgkmcnt(0)
	; wave barrier
	s_and_saveexec_b64 s[4:5], vcc
	s_cbranch_execz .LBB39_23
; %bb.20:
	scratch_load_dwordx4 v[2:5], v14, off
	ds_read_b128 v[6:9], v1
	s_waitcnt vmcnt(0) lgkmcnt(0)
	v_mul_f64 v[10:11], v[8:9], v[4:5]
	v_mul_f64 v[12:13], v[6:7], v[4:5]
	v_fma_f64 v[4:5], v[6:7], v[2:3], -v[10:11]
	v_fmac_f64_e32 v[12:13], v[8:9], v[2:3]
	v_add_f64 v[4:5], v[4:5], 0
	v_add_f64 v[2:3], v[12:13], 0
	s_and_saveexec_b64 s[8:9], s[0:1]
	s_cbranch_execz .LBB39_22
; %bb.21:
	scratch_load_dwordx4 v[6:9], off, off offset:32
	v_mov_b32_e32 v10, 0
	ds_read_b128 v[10:13], v10 offset:656
	s_waitcnt vmcnt(0) lgkmcnt(0)
	v_mul_f64 v[14:15], v[10:11], v[8:9]
	v_mul_f64 v[8:9], v[12:13], v[8:9]
	v_fmac_f64_e32 v[14:15], v[12:13], v[6:7]
	v_fma_f64 v[6:7], v[10:11], v[6:7], -v[8:9]
	v_add_f64 v[2:3], v[2:3], v[14:15]
	v_add_f64 v[4:5], v[4:5], v[6:7]
.LBB39_22:
	s_or_b64 exec, exec, s[8:9]
	v_mov_b32_e32 v6, 0
	ds_read_b128 v[6:9], v6 offset:32
	s_waitcnt lgkmcnt(0)
	v_mul_f64 v[12:13], v[2:3], v[8:9]
	v_mul_f64 v[10:11], v[4:5], v[8:9]
	v_fma_f64 v[8:9], v[4:5], v[6:7], -v[12:13]
	v_fmac_f64_e32 v[10:11], v[2:3], v[6:7]
	scratch_store_dwordx4 off, v[8:11], off offset:48
.LBB39_23:
	s_or_b64 exec, exec, s[4:5]
	; wave barrier
	scratch_load_dwordx4 v[2:5], off, s13
	v_cmp_gt_u32_e32 vcc, 3, v0
	v_add_u32_e32 v6, -1, v0
	s_waitcnt vmcnt(0)
	ds_write_b128 v1, v[2:5]
	s_waitcnt lgkmcnt(0)
	; wave barrier
	s_and_saveexec_b64 s[0:1], vcc
	s_cbranch_execz .LBB39_27
; %bb.24:
	v_add_u32_e32 v7, -1, v0
	v_add_u32_e32 v8, 0x280, v62
	v_add_u32_e32 v9, 16, v62
	v_mov_b64_e32 v[2:3], 0
	s_mov_b64 s[4:5], 0
	v_mov_b64_e32 v[4:5], 0
.LBB39_25:                              ; =>This Inner Loop Header: Depth=1
	scratch_load_dwordx4 v[10:13], v9, off
	ds_read_b128 v[14:17], v8
	v_add_u32_e32 v7, 1, v7
	v_cmp_lt_u32_e32 vcc, 1, v7
	v_add_u32_e32 v8, 16, v8
	v_add_u32_e32 v9, 16, v9
	s_or_b64 s[4:5], vcc, s[4:5]
	s_waitcnt vmcnt(0) lgkmcnt(0)
	v_mul_f64 v[18:19], v[16:17], v[12:13]
	v_mul_f64 v[12:13], v[14:15], v[12:13]
	v_fma_f64 v[14:15], v[14:15], v[10:11], -v[18:19]
	v_fmac_f64_e32 v[12:13], v[16:17], v[10:11]
	v_add_f64 v[4:5], v[4:5], v[14:15]
	v_add_f64 v[2:3], v[2:3], v[12:13]
	s_andn2_b64 exec, exec, s[4:5]
	s_cbranch_execnz .LBB39_25
; %bb.26:
	s_or_b64 exec, exec, s[4:5]
	v_mov_b32_e32 v7, 0
	ds_read_b128 v[8:11], v7 offset:48
	s_waitcnt lgkmcnt(0)
	v_mul_f64 v[14:15], v[2:3], v[10:11]
	v_mul_f64 v[12:13], v[4:5], v[10:11]
	v_fma_f64 v[10:11], v[4:5], v[8:9], -v[14:15]
	v_fmac_f64_e32 v[12:13], v[2:3], v[8:9]
	scratch_store_dwordx4 off, v[10:13], off offset:64
.LBB39_27:
	s_or_b64 exec, exec, s[0:1]
	; wave barrier
	scratch_load_dwordx4 v[2:5], off, s14
	v_cmp_gt_u32_e32 vcc, 4, v0
	s_waitcnt vmcnt(0)
	ds_write_b128 v1, v[2:5]
	s_waitcnt lgkmcnt(0)
	; wave barrier
	s_and_saveexec_b64 s[0:1], vcc
	s_cbranch_execz .LBB39_31
; %bb.28:
	v_add_u32_e32 v7, -1, v0
	v_add_u32_e32 v8, 0x280, v62
	v_add_u32_e32 v9, 16, v62
	v_mov_b64_e32 v[2:3], 0
	s_mov_b64 s[4:5], 0
	v_mov_b64_e32 v[4:5], 0
.LBB39_29:                              ; =>This Inner Loop Header: Depth=1
	scratch_load_dwordx4 v[10:13], v9, off
	ds_read_b128 v[14:17], v8
	v_add_u32_e32 v7, 1, v7
	v_cmp_lt_u32_e32 vcc, 2, v7
	v_add_u32_e32 v8, 16, v8
	v_add_u32_e32 v9, 16, v9
	s_or_b64 s[4:5], vcc, s[4:5]
	s_waitcnt vmcnt(0) lgkmcnt(0)
	v_mul_f64 v[18:19], v[16:17], v[12:13]
	v_mul_f64 v[12:13], v[14:15], v[12:13]
	v_fma_f64 v[14:15], v[14:15], v[10:11], -v[18:19]
	v_fmac_f64_e32 v[12:13], v[16:17], v[10:11]
	v_add_f64 v[4:5], v[4:5], v[14:15]
	v_add_f64 v[2:3], v[2:3], v[12:13]
	s_andn2_b64 exec, exec, s[4:5]
	s_cbranch_execnz .LBB39_29
; %bb.30:
	s_or_b64 exec, exec, s[4:5]
	v_mov_b32_e32 v7, 0
	ds_read_b128 v[8:11], v7 offset:64
	s_waitcnt lgkmcnt(0)
	v_mul_f64 v[14:15], v[2:3], v[10:11]
	v_mul_f64 v[12:13], v[4:5], v[10:11]
	v_fma_f64 v[10:11], v[4:5], v[8:9], -v[14:15]
	v_fmac_f64_e32 v[12:13], v[2:3], v[8:9]
	scratch_store_dwordx4 off, v[10:13], off offset:80
.LBB39_31:
	s_or_b64 exec, exec, s[0:1]
	; wave barrier
	scratch_load_dwordx4 v[2:5], off, s21
	v_cmp_gt_u32_e32 vcc, 5, v0
	;; [unrolled: 45-line block ×19, first 2 shown]
	s_waitcnt vmcnt(0)
	ds_write_b128 v1, v[2:5]
	s_waitcnt lgkmcnt(0)
	; wave barrier
	s_and_saveexec_b64 s[0:1], vcc
	s_cbranch_execz .LBB39_103
; %bb.100:
	v_add_u32_e32 v7, -1, v0
	v_add_u32_e32 v8, 0x280, v62
	v_add_u32_e32 v9, 16, v62
	v_mov_b64_e32 v[2:3], 0
	s_mov_b64 s[4:5], 0
	v_mov_b64_e32 v[4:5], 0
.LBB39_101:                             ; =>This Inner Loop Header: Depth=1
	scratch_load_dwordx4 v[10:13], v9, off
	ds_read_b128 v[14:17], v8
	v_add_u32_e32 v7, 1, v7
	v_cmp_lt_u32_e32 vcc, 20, v7
	v_add_u32_e32 v8, 16, v8
	v_add_u32_e32 v9, 16, v9
	s_or_b64 s[4:5], vcc, s[4:5]
	s_waitcnt vmcnt(0) lgkmcnt(0)
	v_mul_f64 v[18:19], v[16:17], v[12:13]
	v_mul_f64 v[12:13], v[14:15], v[12:13]
	v_fma_f64 v[14:15], v[14:15], v[10:11], -v[18:19]
	v_fmac_f64_e32 v[12:13], v[16:17], v[10:11]
	v_add_f64 v[4:5], v[4:5], v[14:15]
	v_add_f64 v[2:3], v[2:3], v[12:13]
	s_andn2_b64 exec, exec, s[4:5]
	s_cbranch_execnz .LBB39_101
; %bb.102:
	s_or_b64 exec, exec, s[4:5]
	v_mov_b32_e32 v7, 0
	ds_read_b128 v[8:11], v7 offset:352
	s_waitcnt lgkmcnt(0)
	v_mul_f64 v[14:15], v[2:3], v[10:11]
	v_mul_f64 v[12:13], v[4:5], v[10:11]
	v_fma_f64 v[10:11], v[4:5], v[8:9], -v[14:15]
	v_fmac_f64_e32 v[12:13], v[2:3], v[8:9]
	scratch_store_dwordx4 off, v[10:13], off offset:368
.LBB39_103:
	s_or_b64 exec, exec, s[0:1]
	; wave barrier
	scratch_load_dwordx4 v[2:5], off, s36
	v_cmp_gt_u32_e32 vcc, 23, v0
	s_waitcnt vmcnt(0)
	ds_write_b128 v1, v[2:5]
	s_waitcnt lgkmcnt(0)
	; wave barrier
	s_and_saveexec_b64 s[0:1], vcc
	s_cbranch_execz .LBB39_107
; %bb.104:
	v_add_u32_e32 v7, -1, v0
	v_add_u32_e32 v8, 0x280, v62
	v_add_u32_e32 v9, 16, v62
	v_mov_b64_e32 v[2:3], 0
	s_mov_b64 s[4:5], 0
	v_mov_b64_e32 v[4:5], 0
.LBB39_105:                             ; =>This Inner Loop Header: Depth=1
	scratch_load_dwordx4 v[10:13], v9, off
	ds_read_b128 v[14:17], v8
	v_add_u32_e32 v7, 1, v7
	v_cmp_lt_u32_e32 vcc, 21, v7
	v_add_u32_e32 v8, 16, v8
	v_add_u32_e32 v9, 16, v9
	s_or_b64 s[4:5], vcc, s[4:5]
	s_waitcnt vmcnt(0) lgkmcnt(0)
	v_mul_f64 v[18:19], v[16:17], v[12:13]
	v_mul_f64 v[12:13], v[14:15], v[12:13]
	v_fma_f64 v[14:15], v[14:15], v[10:11], -v[18:19]
	v_fmac_f64_e32 v[12:13], v[16:17], v[10:11]
	v_add_f64 v[4:5], v[4:5], v[14:15]
	v_add_f64 v[2:3], v[2:3], v[12:13]
	s_andn2_b64 exec, exec, s[4:5]
	s_cbranch_execnz .LBB39_105
; %bb.106:
	s_or_b64 exec, exec, s[4:5]
	v_mov_b32_e32 v7, 0
	ds_read_b128 v[8:11], v7 offset:368
	s_waitcnt lgkmcnt(0)
	v_mul_f64 v[14:15], v[2:3], v[10:11]
	v_mul_f64 v[12:13], v[4:5], v[10:11]
	v_fma_f64 v[10:11], v[4:5], v[8:9], -v[14:15]
	v_fmac_f64_e32 v[12:13], v[2:3], v[8:9]
	scratch_store_dwordx4 off, v[10:13], off offset:384
.LBB39_107:
	s_or_b64 exec, exec, s[0:1]
	; wave barrier
	scratch_load_dwordx4 v[2:5], off, s37
	v_cmp_gt_u32_e32 vcc, 24, v0
	;; [unrolled: 45-line block ×16, first 2 shown]
	s_waitcnt vmcnt(0)
	ds_write_b128 v1, v[2:5]
	s_waitcnt lgkmcnt(0)
	; wave barrier
	s_and_saveexec_b64 s[0:1], vcc
	s_cbranch_execz .LBB39_167
; %bb.164:
	v_add_u32_e32 v7, -1, v0
	v_add_u32_e32 v8, 0x280, v62
	v_add_u32_e32 v9, 16, v62
	v_mov_b64_e32 v[2:3], 0
	s_mov_b64 s[4:5], 0
	v_mov_b64_e32 v[4:5], 0
.LBB39_165:                             ; =>This Inner Loop Header: Depth=1
	scratch_load_dwordx4 v[10:13], v9, off
	ds_read_b128 v[14:17], v8
	v_add_u32_e32 v7, 1, v7
	v_cmp_lt_u32_e32 vcc, 36, v7
	v_add_u32_e32 v8, 16, v8
	v_add_u32_e32 v9, 16, v9
	s_or_b64 s[4:5], vcc, s[4:5]
	s_waitcnt vmcnt(0) lgkmcnt(0)
	v_mul_f64 v[18:19], v[16:17], v[12:13]
	v_mul_f64 v[12:13], v[14:15], v[12:13]
	v_fma_f64 v[14:15], v[14:15], v[10:11], -v[18:19]
	v_fmac_f64_e32 v[12:13], v[16:17], v[10:11]
	v_add_f64 v[4:5], v[4:5], v[14:15]
	v_add_f64 v[2:3], v[2:3], v[12:13]
	s_andn2_b64 exec, exec, s[4:5]
	s_cbranch_execnz .LBB39_165
; %bb.166:
	s_or_b64 exec, exec, s[4:5]
	v_mov_b32_e32 v7, 0
	ds_read_b128 v[8:11], v7 offset:608
	s_waitcnt lgkmcnt(0)
	v_mul_f64 v[14:15], v[2:3], v[10:11]
	v_mul_f64 v[12:13], v[4:5], v[10:11]
	v_fma_f64 v[10:11], v[4:5], v[8:9], -v[14:15]
	v_fmac_f64_e32 v[12:13], v[2:3], v[8:9]
	scratch_store_dwordx4 off, v[10:13], off offset:624
.LBB39_167:
	s_or_b64 exec, exec, s[0:1]
	; wave barrier
	scratch_load_dwordx4 v[2:5], off, s52
	v_cmp_ne_u32_e32 vcc, 39, v0
	s_waitcnt vmcnt(0)
	ds_write_b128 v1, v[2:5]
	s_waitcnt lgkmcnt(0)
	; wave barrier
	s_and_saveexec_b64 s[0:1], vcc
	s_cbranch_execz .LBB39_171
; %bb.168:
	v_add_u32_e32 v1, 0x280, v62
	v_add_u32_e32 v7, 16, v62
	v_mov_b64_e32 v[2:3], 0
	s_mov_b64 s[4:5], 0
	v_mov_b64_e32 v[4:5], 0
.LBB39_169:                             ; =>This Inner Loop Header: Depth=1
	scratch_load_dwordx4 v[8:11], v7, off
	ds_read_b128 v[12:15], v1
	v_add_u32_e32 v6, 1, v6
	v_cmp_lt_u32_e32 vcc, 37, v6
	v_add_u32_e32 v1, 16, v1
	v_add_u32_e32 v7, 16, v7
	s_or_b64 s[4:5], vcc, s[4:5]
	s_waitcnt vmcnt(0) lgkmcnt(0)
	v_mul_f64 v[16:17], v[14:15], v[10:11]
	v_mul_f64 v[10:11], v[12:13], v[10:11]
	v_fma_f64 v[12:13], v[12:13], v[8:9], -v[16:17]
	v_fmac_f64_e32 v[10:11], v[14:15], v[8:9]
	v_add_f64 v[4:5], v[4:5], v[12:13]
	v_add_f64 v[2:3], v[2:3], v[10:11]
	s_andn2_b64 exec, exec, s[4:5]
	s_cbranch_execnz .LBB39_169
; %bb.170:
	s_or_b64 exec, exec, s[4:5]
	v_mov_b32_e32 v1, 0
	ds_read_b128 v[6:9], v1 offset:624
	s_waitcnt lgkmcnt(0)
	v_mul_f64 v[12:13], v[2:3], v[8:9]
	v_mul_f64 v[10:11], v[4:5], v[8:9]
	v_fma_f64 v[8:9], v[4:5], v[6:7], -v[12:13]
	v_fmac_f64_e32 v[10:11], v[2:3], v[6:7]
	scratch_store_dwordx4 off, v[8:11], off offset:640
.LBB39_171:
	s_or_b64 exec, exec, s[0:1]
	s_mov_b64 s[4:5], -1
	; wave barrier
.LBB39_172:
	s_and_b64 vcc, exec, s[4:5]
	s_cbranch_vccz .LBB39_174
; %bb.173:
	s_lshl_b64 s[0:1], s[2:3], 2
	s_add_u32 s0, s6, s0
	s_addc_u32 s1, s7, s1
	v_mov_b32_e32 v1, 0
	global_load_dword v1, v1, s[0:1]
	s_waitcnt vmcnt(0)
	v_cmp_ne_u32_e32 vcc, 0, v1
	s_cbranch_vccz .LBB39_175
.LBB39_174:
	s_endpgm
.LBB39_175:
	v_mov_b32_e32 v1, 0x280
	v_lshl_add_u32 v1, v0, 4, v1
	v_cmp_eq_u32_e32 vcc, 39, v0
	s_and_saveexec_b64 s[0:1], vcc
	s_cbranch_execz .LBB39_177
; %bb.176:
	scratch_load_dwordx4 v[2:5], off, s51
	v_mov_b32_e32 v6, 0
	v_mov_b32_e32 v7, v6
	;; [unrolled: 1-line block ×4, first 2 shown]
	scratch_store_dwordx4 off, v[6:9], off offset:624
	s_waitcnt vmcnt(1)
	ds_write_b128 v1, v[2:5]
.LBB39_177:
	s_or_b64 exec, exec, s[0:1]
	s_waitcnt lgkmcnt(0)
	; wave barrier
	scratch_load_dwordx4 v[4:7], off, off offset:640
	scratch_load_dwordx4 v[8:11], off, off offset:624
	v_mov_b32_e32 v2, 0
	ds_read_b128 v[12:15], v2 offset:1264
	v_cmp_lt_u32_e32 vcc, 37, v0
	s_waitcnt vmcnt(1) lgkmcnt(0)
	v_mul_f64 v[16:17], v[12:13], v[6:7]
	v_mul_f64 v[6:7], v[14:15], v[6:7]
	v_fmac_f64_e32 v[16:17], v[14:15], v[4:5]
	v_fma_f64 v[4:5], v[12:13], v[4:5], -v[6:7]
	v_add_f64 v[6:7], v[16:17], 0
	v_add_f64 v[4:5], v[4:5], 0
	s_waitcnt vmcnt(0)
	v_add_f64 v[4:5], v[8:9], -v[4:5]
	v_add_f64 v[6:7], v[10:11], -v[6:7]
	scratch_store_dwordx4 off, v[4:7], off offset:624
	s_and_saveexec_b64 s[0:1], vcc
	s_cbranch_execz .LBB39_179
; %bb.178:
	scratch_load_dwordx4 v[6:9], off, s50
	v_mov_b32_e32 v3, v2
	v_mov_b32_e32 v4, v2
	;; [unrolled: 1-line block ×3, first 2 shown]
	scratch_store_dwordx4 off, v[2:5], off offset:608
	s_waitcnt vmcnt(1)
	ds_write_b128 v1, v[6:9]
.LBB39_179:
	s_or_b64 exec, exec, s[0:1]
	s_waitcnt lgkmcnt(0)
	; wave barrier
	scratch_load_dwordx4 v[4:7], off, off offset:624
	scratch_load_dwordx4 v[8:11], off, off offset:640
	;; [unrolled: 1-line block ×3, first 2 shown]
	ds_read_b128 v[16:19], v2 offset:1248
	ds_read_b128 v[20:23], v2 offset:1264
	v_cmp_lt_u32_e32 vcc, 36, v0
	s_waitcnt vmcnt(2) lgkmcnt(1)
	v_mul_f64 v[2:3], v[16:17], v[6:7]
	v_mul_f64 v[6:7], v[18:19], v[6:7]
	s_waitcnt vmcnt(1) lgkmcnt(0)
	v_mul_f64 v[24:25], v[20:21], v[10:11]
	v_mul_f64 v[10:11], v[22:23], v[10:11]
	v_fmac_f64_e32 v[2:3], v[18:19], v[4:5]
	v_fma_f64 v[4:5], v[16:17], v[4:5], -v[6:7]
	v_fmac_f64_e32 v[24:25], v[22:23], v[8:9]
	v_fma_f64 v[6:7], v[20:21], v[8:9], -v[10:11]
	v_add_f64 v[2:3], v[2:3], 0
	v_add_f64 v[4:5], v[4:5], 0
	;; [unrolled: 1-line block ×4, first 2 shown]
	s_waitcnt vmcnt(0)
	v_add_f64 v[2:3], v[12:13], -v[2:3]
	v_add_f64 v[4:5], v[14:15], -v[8:9]
	scratch_store_dwordx4 off, v[2:5], off offset:608
	s_and_saveexec_b64 s[0:1], vcc
	s_cbranch_execz .LBB39_181
; %bb.180:
	scratch_load_dwordx4 v[2:5], off, s49
	v_mov_b32_e32 v6, 0
	v_mov_b32_e32 v7, v6
	;; [unrolled: 1-line block ×4, first 2 shown]
	scratch_store_dwordx4 off, v[6:9], off offset:592
	s_waitcnt vmcnt(1)
	ds_write_b128 v1, v[2:5]
.LBB39_181:
	s_or_b64 exec, exec, s[0:1]
	s_waitcnt lgkmcnt(0)
	; wave barrier
	scratch_load_dwordx4 v[4:7], off, off offset:608
	scratch_load_dwordx4 v[8:11], off, off offset:624
	;; [unrolled: 1-line block ×4, first 2 shown]
	v_mov_b32_e32 v2, 0
	ds_read_b128 v[20:23], v2 offset:1232
	ds_read_b128 v[24:27], v2 offset:1248
	;; [unrolled: 1-line block ×3, first 2 shown]
	v_cmp_lt_u32_e32 vcc, 35, v0
	s_waitcnt vmcnt(3) lgkmcnt(2)
	v_mul_f64 v[32:33], v[20:21], v[6:7]
	v_mul_f64 v[6:7], v[22:23], v[6:7]
	s_waitcnt vmcnt(2) lgkmcnt(1)
	v_mul_f64 v[34:35], v[24:25], v[10:11]
	v_mul_f64 v[10:11], v[26:27], v[10:11]
	v_fmac_f64_e32 v[32:33], v[22:23], v[4:5]
	v_fma_f64 v[4:5], v[20:21], v[4:5], -v[6:7]
	s_waitcnt vmcnt(1) lgkmcnt(0)
	v_mul_f64 v[36:37], v[28:29], v[14:15]
	v_mul_f64 v[14:15], v[30:31], v[14:15]
	v_fmac_f64_e32 v[34:35], v[26:27], v[8:9]
	v_fma_f64 v[6:7], v[24:25], v[8:9], -v[10:11]
	v_add_f64 v[10:11], v[32:33], 0
	v_add_f64 v[4:5], v[4:5], 0
	v_fmac_f64_e32 v[36:37], v[30:31], v[12:13]
	v_fma_f64 v[8:9], v[28:29], v[12:13], -v[14:15]
	v_add_f64 v[10:11], v[10:11], v[34:35]
	v_add_f64 v[4:5], v[4:5], v[6:7]
	;; [unrolled: 1-line block ×4, first 2 shown]
	s_waitcnt vmcnt(0)
	v_add_f64 v[4:5], v[16:17], -v[4:5]
	v_add_f64 v[6:7], v[18:19], -v[6:7]
	scratch_store_dwordx4 off, v[4:7], off offset:592
	s_and_saveexec_b64 s[0:1], vcc
	s_cbranch_execz .LBB39_183
; %bb.182:
	scratch_load_dwordx4 v[6:9], off, s48
	v_mov_b32_e32 v3, v2
	v_mov_b32_e32 v4, v2
	;; [unrolled: 1-line block ×3, first 2 shown]
	scratch_store_dwordx4 off, v[2:5], off offset:576
	s_waitcnt vmcnt(1)
	ds_write_b128 v1, v[6:9]
.LBB39_183:
	s_or_b64 exec, exec, s[0:1]
	s_waitcnt lgkmcnt(0)
	; wave barrier
	scratch_load_dwordx4 v[4:7], off, off offset:592
	scratch_load_dwordx4 v[8:11], off, off offset:608
	;; [unrolled: 1-line block ×5, first 2 shown]
	ds_read_b128 v[24:27], v2 offset:1216
	ds_read_b128 v[28:31], v2 offset:1232
	;; [unrolled: 1-line block ×4, first 2 shown]
	v_cmp_lt_u32_e32 vcc, 34, v0
	s_waitcnt vmcnt(4) lgkmcnt(3)
	v_mul_f64 v[2:3], v[24:25], v[6:7]
	v_mul_f64 v[6:7], v[26:27], v[6:7]
	s_waitcnt vmcnt(3) lgkmcnt(2)
	v_mul_f64 v[40:41], v[28:29], v[10:11]
	v_mul_f64 v[10:11], v[30:31], v[10:11]
	v_fmac_f64_e32 v[2:3], v[26:27], v[4:5]
	v_fma_f64 v[4:5], v[24:25], v[4:5], -v[6:7]
	s_waitcnt vmcnt(2) lgkmcnt(1)
	v_mul_f64 v[42:43], v[32:33], v[14:15]
	v_mul_f64 v[14:15], v[34:35], v[14:15]
	v_fmac_f64_e32 v[40:41], v[30:31], v[8:9]
	v_fma_f64 v[6:7], v[28:29], v[8:9], -v[10:11]
	v_add_f64 v[2:3], v[2:3], 0
	v_add_f64 v[4:5], v[4:5], 0
	s_waitcnt vmcnt(1) lgkmcnt(0)
	v_mul_f64 v[44:45], v[36:37], v[18:19]
	v_mul_f64 v[18:19], v[38:39], v[18:19]
	v_fmac_f64_e32 v[42:43], v[34:35], v[12:13]
	v_fma_f64 v[8:9], v[32:33], v[12:13], -v[14:15]
	v_add_f64 v[2:3], v[2:3], v[40:41]
	v_add_f64 v[4:5], v[4:5], v[6:7]
	v_fmac_f64_e32 v[44:45], v[38:39], v[16:17]
	v_fma_f64 v[10:11], v[36:37], v[16:17], -v[18:19]
	v_add_f64 v[2:3], v[2:3], v[42:43]
	v_add_f64 v[4:5], v[4:5], v[8:9]
	;; [unrolled: 1-line block ×4, first 2 shown]
	s_waitcnt vmcnt(0)
	v_add_f64 v[2:3], v[20:21], -v[2:3]
	v_add_f64 v[4:5], v[22:23], -v[6:7]
	scratch_store_dwordx4 off, v[2:5], off offset:576
	s_and_saveexec_b64 s[0:1], vcc
	s_cbranch_execz .LBB39_185
; %bb.184:
	scratch_load_dwordx4 v[2:5], off, s47
	v_mov_b32_e32 v6, 0
	v_mov_b32_e32 v7, v6
	;; [unrolled: 1-line block ×4, first 2 shown]
	scratch_store_dwordx4 off, v[6:9], off offset:560
	s_waitcnt vmcnt(1)
	ds_write_b128 v1, v[2:5]
.LBB39_185:
	s_or_b64 exec, exec, s[0:1]
	s_waitcnt lgkmcnt(0)
	; wave barrier
	scratch_load_dwordx4 v[4:7], off, off offset:576
	scratch_load_dwordx4 v[8:11], off, off offset:592
	scratch_load_dwordx4 v[12:15], off, off offset:608
	scratch_load_dwordx4 v[16:19], off, off offset:624
	scratch_load_dwordx4 v[20:23], off, off offset:640
	scratch_load_dwordx4 v[24:27], off, off offset:560
	v_mov_b32_e32 v2, 0
	ds_read_b128 v[28:31], v2 offset:1200
	ds_read_b128 v[32:35], v2 offset:1216
	;; [unrolled: 1-line block ×5, first 2 shown]
	v_cmp_lt_u32_e32 vcc, 33, v0
	s_waitcnt vmcnt(5) lgkmcnt(4)
	v_mul_f64 v[48:49], v[28:29], v[6:7]
	v_mul_f64 v[6:7], v[30:31], v[6:7]
	s_waitcnt vmcnt(4) lgkmcnt(3)
	v_mul_f64 v[50:51], v[32:33], v[10:11]
	s_waitcnt vmcnt(3) lgkmcnt(2)
	v_mul_f64 v[52:53], v[36:37], v[14:15]
	v_mul_f64 v[10:11], v[34:35], v[10:11]
	;; [unrolled: 1-line block ×3, first 2 shown]
	v_fmac_f64_e32 v[48:49], v[30:31], v[4:5]
	v_fma_f64 v[4:5], v[28:29], v[4:5], -v[6:7]
	v_fmac_f64_e32 v[50:51], v[34:35], v[8:9]
	v_fma_f64 v[6:7], v[32:33], v[8:9], -v[10:11]
	v_fma_f64 v[8:9], v[36:37], v[12:13], -v[14:15]
	v_add_f64 v[14:15], v[48:49], 0
	v_add_f64 v[4:5], v[4:5], 0
	s_waitcnt vmcnt(2) lgkmcnt(1)
	v_mul_f64 v[54:55], v[40:41], v[18:19]
	v_mul_f64 v[18:19], v[42:43], v[18:19]
	v_fmac_f64_e32 v[52:53], v[38:39], v[12:13]
	v_add_f64 v[14:15], v[14:15], v[50:51]
	v_add_f64 v[4:5], v[4:5], v[6:7]
	s_waitcnt vmcnt(1) lgkmcnt(0)
	v_mul_f64 v[56:57], v[44:45], v[22:23]
	v_mul_f64 v[22:23], v[46:47], v[22:23]
	v_fmac_f64_e32 v[54:55], v[42:43], v[16:17]
	v_fma_f64 v[10:11], v[40:41], v[16:17], -v[18:19]
	v_add_f64 v[6:7], v[14:15], v[52:53]
	v_add_f64 v[4:5], v[4:5], v[8:9]
	v_fmac_f64_e32 v[56:57], v[46:47], v[20:21]
	v_fma_f64 v[12:13], v[44:45], v[20:21], -v[22:23]
	v_add_f64 v[6:7], v[6:7], v[54:55]
	v_add_f64 v[4:5], v[4:5], v[10:11]
	;; [unrolled: 1-line block ×4, first 2 shown]
	s_waitcnt vmcnt(0)
	v_add_f64 v[4:5], v[24:25], -v[4:5]
	v_add_f64 v[6:7], v[26:27], -v[6:7]
	scratch_store_dwordx4 off, v[4:7], off offset:560
	s_and_saveexec_b64 s[0:1], vcc
	s_cbranch_execz .LBB39_187
; %bb.186:
	scratch_load_dwordx4 v[6:9], off, s46
	v_mov_b32_e32 v3, v2
	v_mov_b32_e32 v4, v2
	;; [unrolled: 1-line block ×3, first 2 shown]
	scratch_store_dwordx4 off, v[2:5], off offset:544
	s_waitcnt vmcnt(1)
	ds_write_b128 v1, v[6:9]
.LBB39_187:
	s_or_b64 exec, exec, s[0:1]
	s_waitcnt lgkmcnt(0)
	; wave barrier
	scratch_load_dwordx4 v[4:7], off, off offset:560
	scratch_load_dwordx4 v[8:11], off, off offset:576
	;; [unrolled: 1-line block ×7, first 2 shown]
	ds_read_b128 v[32:35], v2 offset:1184
	ds_read_b128 v[36:39], v2 offset:1200
	;; [unrolled: 1-line block ×6, first 2 shown]
	v_cmp_lt_u32_e32 vcc, 32, v0
	s_waitcnt vmcnt(6) lgkmcnt(5)
	v_mul_f64 v[2:3], v[32:33], v[6:7]
	v_mul_f64 v[6:7], v[34:35], v[6:7]
	s_waitcnt vmcnt(5) lgkmcnt(4)
	v_mul_f64 v[56:57], v[36:37], v[10:11]
	v_mul_f64 v[10:11], v[38:39], v[10:11]
	v_fmac_f64_e32 v[2:3], v[34:35], v[4:5]
	v_fma_f64 v[4:5], v[32:33], v[4:5], -v[6:7]
	s_waitcnt vmcnt(4) lgkmcnt(3)
	v_mul_f64 v[58:59], v[40:41], v[14:15]
	v_mul_f64 v[14:15], v[42:43], v[14:15]
	v_fmac_f64_e32 v[56:57], v[38:39], v[8:9]
	v_fma_f64 v[6:7], v[36:37], v[8:9], -v[10:11]
	v_add_f64 v[2:3], v[2:3], 0
	v_add_f64 v[4:5], v[4:5], 0
	s_waitcnt vmcnt(3) lgkmcnt(2)
	v_mul_f64 v[60:61], v[44:45], v[18:19]
	v_mul_f64 v[18:19], v[46:47], v[18:19]
	v_fmac_f64_e32 v[58:59], v[42:43], v[12:13]
	v_fma_f64 v[8:9], v[40:41], v[12:13], -v[14:15]
	v_add_f64 v[2:3], v[2:3], v[56:57]
	v_add_f64 v[4:5], v[4:5], v[6:7]
	s_waitcnt vmcnt(2) lgkmcnt(1)
	v_mul_f64 v[62:63], v[48:49], v[22:23]
	v_mul_f64 v[22:23], v[50:51], v[22:23]
	v_fmac_f64_e32 v[60:61], v[46:47], v[16:17]
	v_fma_f64 v[10:11], v[44:45], v[16:17], -v[18:19]
	v_add_f64 v[2:3], v[2:3], v[58:59]
	v_add_f64 v[4:5], v[4:5], v[8:9]
	s_waitcnt vmcnt(1) lgkmcnt(0)
	v_mul_f64 v[64:65], v[52:53], v[26:27]
	v_mul_f64 v[26:27], v[54:55], v[26:27]
	v_fmac_f64_e32 v[62:63], v[50:51], v[20:21]
	v_fma_f64 v[12:13], v[48:49], v[20:21], -v[22:23]
	v_add_f64 v[2:3], v[2:3], v[60:61]
	v_add_f64 v[4:5], v[4:5], v[10:11]
	v_fmac_f64_e32 v[64:65], v[54:55], v[24:25]
	v_fma_f64 v[14:15], v[52:53], v[24:25], -v[26:27]
	v_add_f64 v[2:3], v[2:3], v[62:63]
	v_add_f64 v[4:5], v[4:5], v[12:13]
	;; [unrolled: 1-line block ×4, first 2 shown]
	s_waitcnt vmcnt(0)
	v_add_f64 v[2:3], v[28:29], -v[2:3]
	v_add_f64 v[4:5], v[30:31], -v[6:7]
	scratch_store_dwordx4 off, v[2:5], off offset:544
	s_and_saveexec_b64 s[0:1], vcc
	s_cbranch_execz .LBB39_189
; %bb.188:
	scratch_load_dwordx4 v[2:5], off, s45
	v_mov_b32_e32 v6, 0
	v_mov_b32_e32 v7, v6
	;; [unrolled: 1-line block ×4, first 2 shown]
	scratch_store_dwordx4 off, v[6:9], off offset:528
	s_waitcnt vmcnt(1)
	ds_write_b128 v1, v[2:5]
.LBB39_189:
	s_or_b64 exec, exec, s[0:1]
	s_waitcnt lgkmcnt(0)
	; wave barrier
	scratch_load_dwordx4 v[4:7], off, off offset:544
	scratch_load_dwordx4 v[8:11], off, off offset:560
	;; [unrolled: 1-line block ×8, first 2 shown]
	v_mov_b32_e32 v2, 0
	ds_read_b128 v[36:39], v2 offset:1168
	ds_read_b128 v[40:43], v2 offset:1184
	;; [unrolled: 1-line block ×7, first 2 shown]
	v_cmp_lt_u32_e32 vcc, 31, v0
	s_waitcnt vmcnt(7) lgkmcnt(6)
	v_mul_f64 v[64:65], v[36:37], v[6:7]
	v_mul_f64 v[6:7], v[38:39], v[6:7]
	s_waitcnt vmcnt(6) lgkmcnt(5)
	v_mul_f64 v[66:67], v[40:41], v[10:11]
	s_waitcnt vmcnt(4) lgkmcnt(3)
	v_mul_f64 v[70:71], v[48:49], v[18:19]
	v_mul_f64 v[10:11], v[42:43], v[10:11]
	;; [unrolled: 1-line block ×3, first 2 shown]
	v_fmac_f64_e32 v[64:65], v[38:39], v[4:5]
	v_fma_f64 v[4:5], v[36:37], v[4:5], -v[6:7]
	v_mul_f64 v[68:69], v[44:45], v[14:15]
	v_mul_f64 v[14:15], v[46:47], v[14:15]
	v_fmac_f64_e32 v[66:67], v[42:43], v[8:9]
	v_fma_f64 v[6:7], v[40:41], v[8:9], -v[10:11]
	v_fma_f64 v[10:11], v[48:49], v[16:17], -v[18:19]
	v_add_f64 v[18:19], v[64:65], 0
	v_add_f64 v[4:5], v[4:5], 0
	v_fmac_f64_e32 v[68:69], v[46:47], v[12:13]
	v_fma_f64 v[8:9], v[44:45], v[12:13], -v[14:15]
	v_add_f64 v[18:19], v[18:19], v[66:67]
	v_add_f64 v[4:5], v[4:5], v[6:7]
	s_waitcnt vmcnt(3) lgkmcnt(2)
	v_mul_f64 v[72:73], v[52:53], v[22:23]
	v_mul_f64 v[22:23], v[54:55], v[22:23]
	v_fmac_f64_e32 v[70:71], v[50:51], v[16:17]
	v_add_f64 v[6:7], v[18:19], v[68:69]
	v_add_f64 v[4:5], v[4:5], v[8:9]
	s_waitcnt vmcnt(2) lgkmcnt(1)
	v_mul_f64 v[74:75], v[56:57], v[26:27]
	v_mul_f64 v[26:27], v[58:59], v[26:27]
	v_fmac_f64_e32 v[72:73], v[54:55], v[20:21]
	v_fma_f64 v[12:13], v[52:53], v[20:21], -v[22:23]
	v_add_f64 v[6:7], v[6:7], v[70:71]
	v_add_f64 v[4:5], v[4:5], v[10:11]
	s_waitcnt vmcnt(1) lgkmcnt(0)
	v_mul_f64 v[76:77], v[60:61], v[30:31]
	v_mul_f64 v[30:31], v[62:63], v[30:31]
	v_fmac_f64_e32 v[74:75], v[58:59], v[24:25]
	v_fma_f64 v[14:15], v[56:57], v[24:25], -v[26:27]
	v_add_f64 v[6:7], v[6:7], v[72:73]
	v_add_f64 v[4:5], v[4:5], v[12:13]
	v_fmac_f64_e32 v[76:77], v[62:63], v[28:29]
	v_fma_f64 v[16:17], v[60:61], v[28:29], -v[30:31]
	v_add_f64 v[6:7], v[6:7], v[74:75]
	v_add_f64 v[4:5], v[4:5], v[14:15]
	;; [unrolled: 1-line block ×4, first 2 shown]
	s_waitcnt vmcnt(0)
	v_add_f64 v[4:5], v[32:33], -v[4:5]
	v_add_f64 v[6:7], v[34:35], -v[6:7]
	scratch_store_dwordx4 off, v[4:7], off offset:528
	s_and_saveexec_b64 s[0:1], vcc
	s_cbranch_execz .LBB39_191
; %bb.190:
	scratch_load_dwordx4 v[6:9], off, s44
	v_mov_b32_e32 v3, v2
	v_mov_b32_e32 v4, v2
	;; [unrolled: 1-line block ×3, first 2 shown]
	scratch_store_dwordx4 off, v[2:5], off offset:512
	s_waitcnt vmcnt(1)
	ds_write_b128 v1, v[6:9]
.LBB39_191:
	s_or_b64 exec, exec, s[0:1]
	s_waitcnt lgkmcnt(0)
	; wave barrier
	scratch_load_dwordx4 v[4:7], off, off offset:528
	scratch_load_dwordx4 v[8:11], off, off offset:544
	;; [unrolled: 1-line block ×9, first 2 shown]
	ds_read_b128 v[40:43], v2 offset:1152
	ds_read_b128 v[44:47], v2 offset:1168
	;; [unrolled: 1-line block ×8, first 2 shown]
	v_cmp_lt_u32_e32 vcc, 30, v0
	s_waitcnt vmcnt(8) lgkmcnt(7)
	v_mul_f64 v[2:3], v[40:41], v[6:7]
	v_mul_f64 v[6:7], v[42:43], v[6:7]
	s_waitcnt vmcnt(7) lgkmcnt(6)
	v_mul_f64 v[72:73], v[44:45], v[10:11]
	v_mul_f64 v[10:11], v[46:47], v[10:11]
	v_fmac_f64_e32 v[2:3], v[42:43], v[4:5]
	v_fma_f64 v[4:5], v[40:41], v[4:5], -v[6:7]
	s_waitcnt vmcnt(6) lgkmcnt(5)
	v_mul_f64 v[74:75], v[48:49], v[14:15]
	v_mul_f64 v[14:15], v[50:51], v[14:15]
	v_fmac_f64_e32 v[72:73], v[46:47], v[8:9]
	v_fma_f64 v[6:7], v[44:45], v[8:9], -v[10:11]
	v_add_f64 v[2:3], v[2:3], 0
	v_add_f64 v[4:5], v[4:5], 0
	s_waitcnt vmcnt(5) lgkmcnt(4)
	v_mul_f64 v[76:77], v[52:53], v[18:19]
	v_mul_f64 v[18:19], v[54:55], v[18:19]
	v_fmac_f64_e32 v[74:75], v[50:51], v[12:13]
	v_fma_f64 v[8:9], v[48:49], v[12:13], -v[14:15]
	v_add_f64 v[2:3], v[2:3], v[72:73]
	v_add_f64 v[4:5], v[4:5], v[6:7]
	s_waitcnt vmcnt(4) lgkmcnt(3)
	v_mul_f64 v[78:79], v[56:57], v[22:23]
	v_mul_f64 v[22:23], v[58:59], v[22:23]
	v_fmac_f64_e32 v[76:77], v[54:55], v[16:17]
	v_fma_f64 v[10:11], v[52:53], v[16:17], -v[18:19]
	v_add_f64 v[2:3], v[2:3], v[74:75]
	v_add_f64 v[4:5], v[4:5], v[8:9]
	s_waitcnt vmcnt(3) lgkmcnt(2)
	v_mul_f64 v[80:81], v[60:61], v[26:27]
	v_mul_f64 v[26:27], v[62:63], v[26:27]
	v_fmac_f64_e32 v[78:79], v[58:59], v[20:21]
	v_fma_f64 v[12:13], v[56:57], v[20:21], -v[22:23]
	v_add_f64 v[2:3], v[2:3], v[76:77]
	v_add_f64 v[4:5], v[4:5], v[10:11]
	s_waitcnt vmcnt(2) lgkmcnt(1)
	v_mul_f64 v[82:83], v[64:65], v[30:31]
	v_mul_f64 v[30:31], v[66:67], v[30:31]
	v_fmac_f64_e32 v[80:81], v[62:63], v[24:25]
	v_fma_f64 v[14:15], v[60:61], v[24:25], -v[26:27]
	v_add_f64 v[2:3], v[2:3], v[78:79]
	v_add_f64 v[4:5], v[4:5], v[12:13]
	s_waitcnt vmcnt(1) lgkmcnt(0)
	v_mul_f64 v[84:85], v[68:69], v[34:35]
	v_mul_f64 v[34:35], v[70:71], v[34:35]
	v_fmac_f64_e32 v[82:83], v[66:67], v[28:29]
	v_fma_f64 v[16:17], v[64:65], v[28:29], -v[30:31]
	v_add_f64 v[2:3], v[2:3], v[80:81]
	v_add_f64 v[4:5], v[4:5], v[14:15]
	v_fmac_f64_e32 v[84:85], v[70:71], v[32:33]
	v_fma_f64 v[18:19], v[68:69], v[32:33], -v[34:35]
	v_add_f64 v[2:3], v[2:3], v[82:83]
	v_add_f64 v[4:5], v[4:5], v[16:17]
	;; [unrolled: 1-line block ×4, first 2 shown]
	s_waitcnt vmcnt(0)
	v_add_f64 v[2:3], v[36:37], -v[2:3]
	v_add_f64 v[4:5], v[38:39], -v[6:7]
	scratch_store_dwordx4 off, v[2:5], off offset:512
	s_and_saveexec_b64 s[0:1], vcc
	s_cbranch_execz .LBB39_193
; %bb.192:
	scratch_load_dwordx4 v[2:5], off, s43
	v_mov_b32_e32 v6, 0
	v_mov_b32_e32 v7, v6
	v_mov_b32_e32 v8, v6
	v_mov_b32_e32 v9, v6
	scratch_store_dwordx4 off, v[6:9], off offset:496
	s_waitcnt vmcnt(1)
	ds_write_b128 v1, v[2:5]
.LBB39_193:
	s_or_b64 exec, exec, s[0:1]
	v_mov_b32_e32 v2, 0
	s_waitcnt lgkmcnt(0)
	; wave barrier
	ds_read_b128 v[4:7], v2 offset:1136
	ds_read_b128 v[8:11], v2 offset:1152
	;; [unrolled: 1-line block ×4, first 2 shown]
	scratch_load_dwordx4 v[20:23], off, off offset:512
	scratch_load_dwordx4 v[40:43], off, off offset:576
	;; [unrolled: 1-line block ×3, first 2 shown]
	v_cmp_lt_u32_e32 vcc, 29, v0
	scratch_load_dwordx4 v[48:51], off, off offset:592
	scratch_load_dwordx4 v[56:59], off, off offset:608
	;; [unrolled: 1-line block ×3, first 2 shown]
	s_waitcnt vmcnt(5) lgkmcnt(3)
	v_mul_f64 v[24:25], v[4:5], v[22:23]
	v_fmac_f64_e32 v[24:25], v[6:7], v[20:21]
	v_add_f64 v[28:29], v[24:25], 0
	scratch_load_dwordx4 v[24:27], off, off offset:528
	v_mul_f64 v[6:7], v[6:7], v[22:23]
	v_fma_f64 v[4:5], v[4:5], v[20:21], -v[6:7]
	v_add_f64 v[4:5], v[4:5], 0
	s_waitcnt vmcnt(0) lgkmcnt(2)
	v_mul_f64 v[30:31], v[8:9], v[26:27]
	v_fmac_f64_e32 v[30:31], v[10:11], v[24:25]
	v_add_f64 v[32:33], v[28:29], v[30:31]
	scratch_load_dwordx4 v[28:31], off, off offset:544
	v_mul_f64 v[6:7], v[10:11], v[26:27]
	v_fma_f64 v[6:7], v[8:9], v[24:25], -v[6:7]
	v_add_f64 v[4:5], v[4:5], v[6:7]
	;; [unrolled: 8-line block ×3, first 2 shown]
	s_waitcnt vmcnt(0) lgkmcnt(0)
	v_mul_f64 v[38:39], v[16:17], v[34:35]
	v_fmac_f64_e32 v[38:39], v[18:19], v[32:33]
	v_add_f64 v[44:45], v[36:37], v[38:39]
	ds_read_b128 v[36:39], v2 offset:1200
	v_mul_f64 v[6:7], v[18:19], v[34:35]
	v_fma_f64 v[6:7], v[16:17], v[32:33], -v[6:7]
	v_add_f64 v[4:5], v[4:5], v[6:7]
	s_waitcnt lgkmcnt(0)
	v_mul_f64 v[46:47], v[36:37], v[42:43]
	v_fmac_f64_e32 v[46:47], v[38:39], v[40:41]
	v_add_f64 v[52:53], v[44:45], v[46:47]
	ds_read_b128 v[44:47], v2 offset:1216
	v_mul_f64 v[6:7], v[38:39], v[42:43]
	v_fma_f64 v[6:7], v[36:37], v[40:41], -v[6:7]
	v_add_f64 v[4:5], v[4:5], v[6:7]
	s_waitcnt lgkmcnt(0)
	;; [unrolled: 8-line block ×5, first 2 shown]
	v_mul_f64 v[6:7], v[70:71], v[74:75]
	v_fma_f64 v[6:7], v[68:69], v[72:73], -v[6:7]
	v_add_f64 v[8:9], v[4:5], v[6:7]
	scratch_load_dwordx4 v[4:7], off, off offset:496
	v_mul_f64 v[78:79], v[68:69], v[74:75]
	v_fmac_f64_e32 v[78:79], v[70:71], v[72:73]
	v_add_f64 v[76:77], v[76:77], v[78:79]
	s_waitcnt vmcnt(0)
	v_add_f64 v[4:5], v[4:5], -v[8:9]
	v_add_f64 v[6:7], v[6:7], -v[76:77]
	scratch_store_dwordx4 off, v[4:7], off offset:496
	s_and_saveexec_b64 s[0:1], vcc
	s_cbranch_execz .LBB39_195
; %bb.194:
	scratch_load_dwordx4 v[6:9], off, s42
	v_mov_b32_e32 v3, v2
	v_mov_b32_e32 v4, v2
	;; [unrolled: 1-line block ×3, first 2 shown]
	scratch_store_dwordx4 off, v[2:5], off offset:480
	s_waitcnt vmcnt(1)
	ds_write_b128 v1, v[6:9]
.LBB39_195:
	s_or_b64 exec, exec, s[0:1]
	s_waitcnt lgkmcnt(0)
	; wave barrier
	ds_read_b128 v[4:7], v2 offset:1120
	ds_read_b128 v[8:11], v2 offset:1136
	ds_read_b128 v[12:15], v2 offset:1152
	ds_read_b128 v[16:19], v2 offset:1168
	scratch_load_dwordx4 v[20:23], off, off offset:496
	scratch_load_dwordx4 v[40:43], off, off offset:560
	;; [unrolled: 1-line block ×4, first 2 shown]
	v_cmp_lt_u32_e32 vcc, 28, v0
	scratch_load_dwordx4 v[48:51], off, off offset:576
	scratch_load_dwordx4 v[56:59], off, off offset:592
	;; [unrolled: 1-line block ×3, first 2 shown]
	s_waitcnt vmcnt(6) lgkmcnt(3)
	v_mul_f64 v[24:25], v[4:5], v[22:23]
	v_fmac_f64_e32 v[24:25], v[6:7], v[20:21]
	v_add_f64 v[28:29], v[24:25], 0
	scratch_load_dwordx4 v[24:27], off, off offset:512
	s_waitcnt vmcnt(0) lgkmcnt(2)
	v_mul_f64 v[30:31], v[8:9], v[26:27]
	v_fmac_f64_e32 v[30:31], v[10:11], v[24:25]
	v_add_f64 v[32:33], v[28:29], v[30:31]
	scratch_load_dwordx4 v[28:31], off, off offset:528
	;; [unrolled: 5-line block ×3, first 2 shown]
	s_waitcnt vmcnt(0) lgkmcnt(0)
	v_mul_f64 v[38:39], v[16:17], v[34:35]
	v_fmac_f64_e32 v[38:39], v[18:19], v[32:33]
	v_add_f64 v[44:45], v[36:37], v[38:39]
	ds_read_b128 v[36:39], v2 offset:1184
	s_waitcnt lgkmcnt(0)
	v_mul_f64 v[46:47], v[36:37], v[42:43]
	v_fmac_f64_e32 v[46:47], v[38:39], v[40:41]
	v_add_f64 v[52:53], v[44:45], v[46:47]
	ds_read_b128 v[44:47], v2 offset:1200
	s_waitcnt lgkmcnt(0)
	;; [unrolled: 5-line block ×6, first 2 shown]
	v_mul_f64 v[2:3], v[76:77], v[82:83]
	v_fmac_f64_e32 v[2:3], v[78:79], v[80:81]
	v_add_f64 v[84:85], v[84:85], v[2:3]
	v_mul_f64 v[2:3], v[6:7], v[22:23]
	v_fma_f64 v[2:3], v[4:5], v[20:21], -v[2:3]
	v_mul_f64 v[4:5], v[10:11], v[26:27]
	v_add_f64 v[2:3], v[2:3], 0
	v_fma_f64 v[4:5], v[8:9], v[24:25], -v[4:5]
	v_add_f64 v[2:3], v[2:3], v[4:5]
	v_mul_f64 v[4:5], v[14:15], v[30:31]
	v_fma_f64 v[4:5], v[12:13], v[28:29], -v[4:5]
	v_add_f64 v[2:3], v[2:3], v[4:5]
	v_mul_f64 v[4:5], v[18:19], v[34:35]
	;; [unrolled: 3-line block ×8, first 2 shown]
	v_fma_f64 v[4:5], v[76:77], v[80:81], -v[4:5]
	v_add_f64 v[6:7], v[2:3], v[4:5]
	scratch_load_dwordx4 v[2:5], off, off offset:480
	s_waitcnt vmcnt(0)
	v_add_f64 v[2:3], v[2:3], -v[6:7]
	v_add_f64 v[4:5], v[4:5], -v[84:85]
	scratch_store_dwordx4 off, v[2:5], off offset:480
	s_and_saveexec_b64 s[0:1], vcc
	s_cbranch_execz .LBB39_197
; %bb.196:
	scratch_load_dwordx4 v[2:5], off, s41
	v_mov_b32_e32 v6, 0
	v_mov_b32_e32 v7, v6
	v_mov_b32_e32 v8, v6
	v_mov_b32_e32 v9, v6
	scratch_store_dwordx4 off, v[6:9], off offset:464
	s_waitcnt vmcnt(1)
	ds_write_b128 v1, v[2:5]
.LBB39_197:
	s_or_b64 exec, exec, s[0:1]
	s_waitcnt lgkmcnt(0)
	; wave barrier
	scratch_load_dwordx4 v[4:7], off, off offset:480
	scratch_load_dwordx4 v[8:11], off, off offset:496
	;; [unrolled: 1-line block ×12, first 2 shown]
	v_mov_b32_e32 v2, 0
	ds_read_b128 v[52:55], v2 offset:1104
	ds_read_b128 v[56:59], v2 offset:1120
	;; [unrolled: 1-line block ×11, first 2 shown]
	v_cmp_lt_u32_e32 vcc, 27, v0
	s_waitcnt vmcnt(11) lgkmcnt(10)
	v_mul_f64 v[96:97], v[52:53], v[6:7]
	v_mul_f64 v[6:7], v[54:55], v[6:7]
	s_waitcnt vmcnt(10) lgkmcnt(9)
	v_mul_f64 v[98:99], v[56:57], v[10:11]
	s_waitcnt vmcnt(9) lgkmcnt(8)
	v_mul_f64 v[100:101], v[60:61], v[14:15]
	v_mul_f64 v[10:11], v[58:59], v[10:11]
	s_waitcnt vmcnt(6) lgkmcnt(5)
	v_mul_f64 v[106:107], v[72:73], v[26:27]
	v_mul_f64 v[14:15], v[62:63], v[14:15]
	;; [unrolled: 1-line block ×3, first 2 shown]
	v_fmac_f64_e32 v[96:97], v[54:55], v[4:5]
	v_fma_f64 v[4:5], v[52:53], v[4:5], -v[6:7]
	v_fmac_f64_e32 v[98:99], v[58:59], v[8:9]
	v_fma_f64 v[6:7], v[56:57], v[8:9], -v[10:11]
	v_fma_f64 v[8:9], v[60:61], v[12:13], -v[14:15]
	;; [unrolled: 1-line block ×3, first 2 shown]
	v_add_f64 v[26:27], v[96:97], 0
	v_add_f64 v[4:5], v[4:5], 0
	v_mul_f64 v[102:103], v[64:65], v[18:19]
	v_mul_f64 v[18:19], v[66:67], v[18:19]
	v_fmac_f64_e32 v[100:101], v[62:63], v[12:13]
	v_add_f64 v[26:27], v[26:27], v[98:99]
	v_add_f64 v[4:5], v[4:5], v[6:7]
	v_mul_f64 v[104:105], v[68:69], v[22:23]
	v_mul_f64 v[22:23], v[70:71], v[22:23]
	v_fmac_f64_e32 v[102:103], v[66:67], v[16:17]
	v_fma_f64 v[10:11], v[64:65], v[16:17], -v[18:19]
	v_add_f64 v[6:7], v[26:27], v[100:101]
	v_add_f64 v[4:5], v[4:5], v[8:9]
	v_fmac_f64_e32 v[104:105], v[70:71], v[20:21]
	v_fma_f64 v[12:13], v[68:69], v[20:21], -v[22:23]
	v_add_f64 v[6:7], v[6:7], v[102:103]
	v_add_f64 v[4:5], v[4:5], v[10:11]
	s_waitcnt vmcnt(5) lgkmcnt(4)
	v_mul_f64 v[108:109], v[76:77], v[30:31]
	v_mul_f64 v[30:31], v[78:79], v[30:31]
	v_fmac_f64_e32 v[106:107], v[74:75], v[24:25]
	v_add_f64 v[6:7], v[6:7], v[104:105]
	v_add_f64 v[4:5], v[4:5], v[12:13]
	s_waitcnt vmcnt(4) lgkmcnt(3)
	v_mul_f64 v[110:111], v[80:81], v[34:35]
	v_mul_f64 v[34:35], v[82:83], v[34:35]
	v_fmac_f64_e32 v[108:109], v[78:79], v[28:29]
	v_fma_f64 v[16:17], v[76:77], v[28:29], -v[30:31]
	v_add_f64 v[6:7], v[6:7], v[106:107]
	v_add_f64 v[4:5], v[4:5], v[14:15]
	s_waitcnt vmcnt(3) lgkmcnt(2)
	v_mul_f64 v[112:113], v[84:85], v[38:39]
	v_mul_f64 v[38:39], v[86:87], v[38:39]
	v_fmac_f64_e32 v[110:111], v[82:83], v[32:33]
	v_fma_f64 v[18:19], v[80:81], v[32:33], -v[34:35]
	;; [unrolled: 7-line block ×4, first 2 shown]
	v_add_f64 v[6:7], v[6:7], v[112:113]
	v_add_f64 v[4:5], v[4:5], v[20:21]
	v_fmac_f64_e32 v[116:117], v[94:95], v[44:45]
	v_fma_f64 v[24:25], v[92:93], v[44:45], -v[46:47]
	v_add_f64 v[6:7], v[6:7], v[114:115]
	v_add_f64 v[4:5], v[4:5], v[22:23]
	;; [unrolled: 1-line block ×4, first 2 shown]
	s_waitcnt vmcnt(0)
	v_add_f64 v[4:5], v[48:49], -v[4:5]
	v_add_f64 v[6:7], v[50:51], -v[6:7]
	scratch_store_dwordx4 off, v[4:7], off offset:464
	s_and_saveexec_b64 s[0:1], vcc
	s_cbranch_execz .LBB39_199
; %bb.198:
	scratch_load_dwordx4 v[6:9], off, s40
	v_mov_b32_e32 v3, v2
	v_mov_b32_e32 v4, v2
	;; [unrolled: 1-line block ×3, first 2 shown]
	scratch_store_dwordx4 off, v[2:5], off offset:448
	s_waitcnt vmcnt(1)
	ds_write_b128 v1, v[6:9]
.LBB39_199:
	s_or_b64 exec, exec, s[0:1]
	s_waitcnt lgkmcnt(0)
	; wave barrier
	scratch_load_dwordx4 v[4:7], off, off offset:464
	scratch_load_dwordx4 v[8:11], off, off offset:480
	;; [unrolled: 1-line block ×12, first 2 shown]
	ds_read_b128 v[52:55], v2 offset:1088
	ds_read_b128 v[56:59], v2 offset:1104
	;; [unrolled: 1-line block ×4, first 2 shown]
	scratch_load_dwordx4 v[68:71], off, off offset:448
	ds_read_b128 v[72:75], v2 offset:1152
	ds_read_b128 v[76:79], v2 offset:1168
	;; [unrolled: 1-line block ×8, first 2 shown]
	v_cmp_lt_u32_e32 vcc, 26, v0
	s_waitcnt vmcnt(12) lgkmcnt(11)
	v_mul_f64 v[2:3], v[52:53], v[6:7]
	s_waitcnt vmcnt(11) lgkmcnt(10)
	v_mul_f64 v[104:105], v[56:57], v[10:11]
	v_fmac_f64_e32 v[2:3], v[54:55], v[4:5]
	s_waitcnt vmcnt(10) lgkmcnt(9)
	v_mul_f64 v[106:107], v[60:61], v[14:15]
	v_mul_f64 v[6:7], v[54:55], v[6:7]
	v_fmac_f64_e32 v[104:105], v[58:59], v[8:9]
	v_add_f64 v[2:3], v[2:3], 0
	s_waitcnt vmcnt(9) lgkmcnt(8)
	v_mul_f64 v[108:109], v[64:65], v[18:19]
	v_mul_f64 v[10:11], v[58:59], v[10:11]
	v_fmac_f64_e32 v[106:107], v[62:63], v[12:13]
	v_fma_f64 v[4:5], v[52:53], v[4:5], -v[6:7]
	v_add_f64 v[2:3], v[2:3], v[104:105]
	s_waitcnt vmcnt(8) lgkmcnt(7)
	v_mul_f64 v[110:111], v[72:73], v[22:23]
	v_mul_f64 v[14:15], v[62:63], v[14:15]
	v_fmac_f64_e32 v[108:109], v[66:67], v[16:17]
	v_fma_f64 v[6:7], v[56:57], v[8:9], -v[10:11]
	v_add_f64 v[4:5], v[4:5], 0
	v_add_f64 v[2:3], v[2:3], v[106:107]
	s_waitcnt vmcnt(7) lgkmcnt(6)
	v_mul_f64 v[112:113], v[76:77], v[26:27]
	v_mul_f64 v[18:19], v[66:67], v[18:19]
	v_fmac_f64_e32 v[110:111], v[74:75], v[20:21]
	v_fma_f64 v[8:9], v[60:61], v[12:13], -v[14:15]
	v_add_f64 v[4:5], v[4:5], v[6:7]
	;; [unrolled: 7-line block ×8, first 2 shown]
	v_add_f64 v[2:3], v[2:3], v[120:121]
	v_mul_f64 v[46:47], v[98:99], v[46:47]
	v_fmac_f64_e32 v[124:125], v[102:103], v[48:49]
	v_fma_f64 v[22:23], v[92:93], v[40:41], -v[42:43]
	v_add_f64 v[4:5], v[4:5], v[20:21]
	v_add_f64 v[2:3], v[2:3], v[122:123]
	;; [unrolled: 1-line block ×4, first 2 shown]
	v_fma_f64 v[2:3], v[96:97], v[44:45], -v[46:47]
	v_add_f64 v[2:3], v[4:5], v[2:3]
	v_mul_f64 v[4:5], v[102:103], v[50:51]
	v_fma_f64 v[4:5], v[100:101], v[48:49], -v[4:5]
	v_add_f64 v[2:3], v[2:3], v[4:5]
	s_waitcnt vmcnt(0)
	v_add_f64 v[2:3], v[68:69], -v[2:3]
	v_add_f64 v[4:5], v[70:71], -v[6:7]
	scratch_store_dwordx4 off, v[2:5], off offset:448
	s_and_saveexec_b64 s[0:1], vcc
	s_cbranch_execz .LBB39_201
; %bb.200:
	scratch_load_dwordx4 v[2:5], off, s39
	v_mov_b32_e32 v6, 0
	v_mov_b32_e32 v7, v6
	;; [unrolled: 1-line block ×4, first 2 shown]
	scratch_store_dwordx4 off, v[6:9], off offset:432
	s_waitcnt vmcnt(1)
	ds_write_b128 v1, v[2:5]
.LBB39_201:
	s_or_b64 exec, exec, s[0:1]
	s_waitcnt lgkmcnt(0)
	; wave barrier
	scratch_load_dwordx4 v[4:7], off, off offset:448
	scratch_load_dwordx4 v[8:11], off, off offset:464
	;; [unrolled: 1-line block ×14, first 2 shown]
	v_mov_b32_e32 v2, 0
	ds_read_b128 v[60:63], v2 offset:1072
	ds_read_b128 v[64:67], v2 offset:1088
	ds_read_b128 v[68:71], v2 offset:1104
	ds_read_b128 v[72:75], v2 offset:1120
	ds_read_b128 v[76:79], v2 offset:1136
	ds_read_b128 v[80:83], v2 offset:1152
	ds_read_b128 v[84:87], v2 offset:1168
	ds_read_b128 v[88:91], v2 offset:1184
	ds_read_b128 v[92:95], v2 offset:1200
	ds_read_b128 v[96:99], v2 offset:1216
	ds_read_b128 v[100:103], v2 offset:1232
	ds_read_b128 v[104:107], v2 offset:1248
	ds_read_b128 v[108:111], v2 offset:1264
	v_cmp_lt_u32_e32 vcc, 25, v0
	s_waitcnt vmcnt(13) lgkmcnt(12)
	v_mul_f64 v[112:113], v[60:61], v[6:7]
	v_mul_f64 v[6:7], v[62:63], v[6:7]
	s_waitcnt vmcnt(12) lgkmcnt(11)
	v_mul_f64 v[114:115], v[64:65], v[10:11]
	v_mul_f64 v[10:11], v[66:67], v[10:11]
	v_fmac_f64_e32 v[112:113], v[62:63], v[4:5]
	v_fma_f64 v[4:5], v[60:61], v[4:5], -v[6:7]
	s_waitcnt vmcnt(11) lgkmcnt(10)
	v_mul_f64 v[116:117], v[68:69], v[14:15]
	v_mul_f64 v[14:15], v[70:71], v[14:15]
	v_fma_f64 v[6:7], v[64:65], v[8:9], -v[10:11]
	v_add_f64 v[4:5], v[4:5], 0
	s_waitcnt vmcnt(10) lgkmcnt(9)
	v_mul_f64 v[118:119], v[72:73], v[18:19]
	v_mul_f64 v[18:19], v[74:75], v[18:19]
	v_fmac_f64_e32 v[114:115], v[66:67], v[8:9]
	v_fma_f64 v[8:9], v[68:69], v[12:13], -v[14:15]
	v_add_f64 v[4:5], v[4:5], v[6:7]
	s_waitcnt vmcnt(9) lgkmcnt(8)
	v_mul_f64 v[120:121], v[76:77], v[22:23]
	v_mul_f64 v[22:23], v[78:79], v[22:23]
	v_fma_f64 v[10:11], v[72:73], v[16:17], -v[18:19]
	v_add_f64 v[4:5], v[4:5], v[8:9]
	s_waitcnt vmcnt(8) lgkmcnt(7)
	v_mul_f64 v[122:123], v[80:81], v[26:27]
	v_mul_f64 v[26:27], v[82:83], v[26:27]
	v_fmac_f64_e32 v[116:117], v[70:71], v[12:13]
	v_fma_f64 v[12:13], v[76:77], v[20:21], -v[22:23]
	v_add_f64 v[22:23], v[112:113], 0
	v_add_f64 v[4:5], v[4:5], v[10:11]
	s_waitcnt vmcnt(7) lgkmcnt(6)
	v_mul_f64 v[124:125], v[84:85], v[30:31]
	v_mul_f64 v[30:31], v[86:87], v[30:31]
	v_fma_f64 v[14:15], v[80:81], v[24:25], -v[26:27]
	v_add_f64 v[22:23], v[22:23], v[114:115]
	v_add_f64 v[4:5], v[4:5], v[12:13]
	s_waitcnt vmcnt(6) lgkmcnt(5)
	v_mul_f64 v[126:127], v[88:89], v[34:35]
	v_mul_f64 v[34:35], v[90:91], v[34:35]
	v_fmac_f64_e32 v[118:119], v[74:75], v[16:17]
	v_fma_f64 v[16:17], v[84:85], v[28:29], -v[30:31]
	v_add_f64 v[6:7], v[22:23], v[116:117]
	v_add_f64 v[4:5], v[4:5], v[14:15]
	s_waitcnt vmcnt(5) lgkmcnt(4)
	v_mul_f64 v[128:129], v[92:93], v[38:39]
	v_mul_f64 v[38:39], v[94:95], v[38:39]
	v_fmac_f64_e32 v[120:121], v[78:79], v[20:21]
	v_fma_f64 v[18:19], v[88:89], v[32:33], -v[34:35]
	v_add_f64 v[6:7], v[6:7], v[118:119]
	v_add_f64 v[4:5], v[4:5], v[16:17]
	v_fmac_f64_e32 v[122:123], v[82:83], v[24:25]
	v_fma_f64 v[20:21], v[92:93], v[36:37], -v[38:39]
	v_add_f64 v[6:7], v[6:7], v[120:121]
	v_add_f64 v[4:5], v[4:5], v[18:19]
	s_waitcnt vmcnt(4) lgkmcnt(3)
	v_mul_f64 v[8:9], v[98:99], v[42:43]
	v_fmac_f64_e32 v[124:125], v[86:87], v[28:29]
	v_add_f64 v[6:7], v[6:7], v[122:123]
	v_add_f64 v[4:5], v[4:5], v[20:21]
	v_fma_f64 v[8:9], v[96:97], v[40:41], -v[8:9]
	v_fmac_f64_e32 v[126:127], v[90:91], v[32:33]
	v_add_f64 v[6:7], v[6:7], v[124:125]
	v_add_f64 v[4:5], v[4:5], v[8:9]
	s_waitcnt vmcnt(3) lgkmcnt(2)
	v_mul_f64 v[8:9], v[102:103], v[46:47]
	v_mul_f64 v[130:131], v[96:97], v[42:43]
	v_fmac_f64_e32 v[128:129], v[94:95], v[36:37]
	v_add_f64 v[6:7], v[6:7], v[126:127]
	v_fma_f64 v[8:9], v[100:101], v[44:45], -v[8:9]
	v_mul_f64 v[132:133], v[100:101], v[46:47]
	v_fmac_f64_e32 v[130:131], v[98:99], v[40:41]
	v_add_f64 v[6:7], v[6:7], v[128:129]
	v_add_f64 v[4:5], v[4:5], v[8:9]
	s_waitcnt vmcnt(2) lgkmcnt(1)
	v_mul_f64 v[8:9], v[106:107], v[50:51]
	v_mul_f64 v[134:135], v[104:105], v[50:51]
	v_fmac_f64_e32 v[132:133], v[102:103], v[44:45]
	v_add_f64 v[6:7], v[6:7], v[130:131]
	v_fma_f64 v[8:9], v[104:105], v[48:49], -v[8:9]
	s_waitcnt vmcnt(1) lgkmcnt(0)
	v_mul_f64 v[136:137], v[108:109], v[54:55]
	v_fmac_f64_e32 v[134:135], v[106:107], v[48:49]
	v_add_f64 v[6:7], v[6:7], v[132:133]
	v_add_f64 v[4:5], v[4:5], v[8:9]
	v_mul_f64 v[8:9], v[110:111], v[54:55]
	v_fmac_f64_e32 v[136:137], v[110:111], v[52:53]
	v_add_f64 v[6:7], v[6:7], v[134:135]
	v_fma_f64 v[8:9], v[108:109], v[52:53], -v[8:9]
	v_add_f64 v[6:7], v[6:7], v[136:137]
	v_add_f64 v[4:5], v[4:5], v[8:9]
	s_waitcnt vmcnt(0)
	v_add_f64 v[4:5], v[56:57], -v[4:5]
	v_add_f64 v[6:7], v[58:59], -v[6:7]
	scratch_store_dwordx4 off, v[4:7], off offset:432
	s_and_saveexec_b64 s[0:1], vcc
	s_cbranch_execz .LBB39_203
; %bb.202:
	scratch_load_dwordx4 v[6:9], off, s38
	v_mov_b32_e32 v3, v2
	v_mov_b32_e32 v4, v2
	v_mov_b32_e32 v5, v2
	scratch_store_dwordx4 off, v[2:5], off offset:416
	s_waitcnt vmcnt(1)
	ds_write_b128 v1, v[6:9]
.LBB39_203:
	s_or_b64 exec, exec, s[0:1]
	s_waitcnt lgkmcnt(0)
	; wave barrier
	scratch_load_dwordx4 v[4:7], off, off offset:432
	scratch_load_dwordx4 v[8:11], off, off offset:448
	;; [unrolled: 1-line block ×14, first 2 shown]
	ds_read_b128 v[60:63], v2 offset:1056
	ds_read_b128 v[64:67], v2 offset:1072
	;; [unrolled: 1-line block ×14, first 2 shown]
	scratch_load_dwordx4 v[116:119], off, off offset:416
	v_cmp_lt_u32_e32 vcc, 24, v0
	s_waitcnt vmcnt(14) lgkmcnt(13)
	v_mul_f64 v[2:3], v[60:61], v[6:7]
	s_waitcnt vmcnt(13) lgkmcnt(12)
	v_mul_f64 v[120:121], v[64:65], v[10:11]
	v_fmac_f64_e32 v[2:3], v[62:63], v[4:5]
	s_waitcnt vmcnt(12) lgkmcnt(11)
	v_mul_f64 v[122:123], v[68:69], v[14:15]
	v_fmac_f64_e32 v[120:121], v[66:67], v[8:9]
	v_add_f64 v[2:3], v[2:3], 0
	s_waitcnt vmcnt(11) lgkmcnt(10)
	v_mul_f64 v[124:125], v[72:73], v[18:19]
	v_fmac_f64_e32 v[122:123], v[70:71], v[12:13]
	v_add_f64 v[2:3], v[2:3], v[120:121]
	s_waitcnt vmcnt(10) lgkmcnt(9)
	v_mul_f64 v[126:127], v[76:77], v[22:23]
	v_fmac_f64_e32 v[124:125], v[74:75], v[16:17]
	v_add_f64 v[2:3], v[2:3], v[122:123]
	s_waitcnt vmcnt(9) lgkmcnt(8)
	v_mul_f64 v[128:129], v[80:81], v[26:27]
	v_fmac_f64_e32 v[126:127], v[78:79], v[20:21]
	v_add_f64 v[2:3], v[2:3], v[124:125]
	s_waitcnt vmcnt(8) lgkmcnt(7)
	v_mul_f64 v[130:131], v[84:85], v[30:31]
	v_mul_f64 v[6:7], v[62:63], v[6:7]
	v_fmac_f64_e32 v[128:129], v[82:83], v[24:25]
	v_add_f64 v[2:3], v[2:3], v[126:127]
	s_waitcnt vmcnt(7) lgkmcnt(6)
	v_mul_f64 v[132:133], v[88:89], v[34:35]
	v_mul_f64 v[10:11], v[66:67], v[10:11]
	v_fmac_f64_e32 v[130:131], v[86:87], v[28:29]
	v_fma_f64 v[4:5], v[60:61], v[4:5], -v[6:7]
	v_add_f64 v[2:3], v[2:3], v[128:129]
	s_waitcnt vmcnt(6) lgkmcnt(5)
	v_mul_f64 v[134:135], v[92:93], v[38:39]
	v_mul_f64 v[14:15], v[70:71], v[14:15]
	v_fmac_f64_e32 v[132:133], v[90:91], v[32:33]
	v_fma_f64 v[6:7], v[64:65], v[8:9], -v[10:11]
	v_add_f64 v[4:5], v[4:5], 0
	v_add_f64 v[2:3], v[2:3], v[130:131]
	s_waitcnt vmcnt(5) lgkmcnt(4)
	v_mul_f64 v[136:137], v[96:97], v[42:43]
	v_mul_f64 v[18:19], v[74:75], v[18:19]
	v_fmac_f64_e32 v[134:135], v[94:95], v[36:37]
	v_fma_f64 v[8:9], v[68:69], v[12:13], -v[14:15]
	v_add_f64 v[4:5], v[4:5], v[6:7]
	;; [unrolled: 7-line block ×6, first 2 shown]
	v_add_f64 v[2:3], v[2:3], v[140:141]
	v_fmac_f64_e32 v[144:145], v[114:115], v[56:57]
	v_fma_f64 v[18:19], v[88:89], v[32:33], -v[34:35]
	v_add_f64 v[4:5], v[4:5], v[16:17]
	v_add_f64 v[2:3], v[2:3], v[142:143]
	;; [unrolled: 1-line block ×4, first 2 shown]
	v_mul_f64 v[4:5], v[94:95], v[38:39]
	v_fma_f64 v[4:5], v[92:93], v[36:37], -v[4:5]
	v_add_f64 v[2:3], v[2:3], v[4:5]
	v_mul_f64 v[4:5], v[98:99], v[42:43]
	v_fma_f64 v[4:5], v[96:97], v[40:41], -v[4:5]
	v_add_f64 v[2:3], v[2:3], v[4:5]
	;; [unrolled: 3-line block ×6, first 2 shown]
	s_waitcnt vmcnt(0)
	v_add_f64 v[2:3], v[116:117], -v[2:3]
	v_add_f64 v[4:5], v[118:119], -v[6:7]
	scratch_store_dwordx4 off, v[2:5], off offset:416
	s_and_saveexec_b64 s[0:1], vcc
	s_cbranch_execz .LBB39_205
; %bb.204:
	scratch_load_dwordx4 v[2:5], off, s37
	v_mov_b32_e32 v6, 0
	v_mov_b32_e32 v7, v6
	v_mov_b32_e32 v8, v6
	v_mov_b32_e32 v9, v6
	scratch_store_dwordx4 off, v[6:9], off offset:400
	s_waitcnt vmcnt(1)
	ds_write_b128 v1, v[2:5]
.LBB39_205:
	s_or_b64 exec, exec, s[0:1]
	s_waitcnt lgkmcnt(0)
	; wave barrier
	scratch_load_dwordx4 v[4:7], off, off offset:416
	scratch_load_dwordx4 v[8:11], off, off offset:432
	;; [unrolled: 1-line block ×16, first 2 shown]
	v_mov_b32_e32 v2, 0
	ds_read_b128 v[68:71], v2 offset:1040
	ds_read_b128 v[72:75], v2 offset:1056
	;; [unrolled: 1-line block ×15, first 2 shown]
	v_cmp_lt_u32_e32 vcc, 23, v0
	s_waitcnt vmcnt(15) lgkmcnt(14)
	v_mul_f64 v[128:129], v[68:69], v[6:7]
	v_mul_f64 v[6:7], v[70:71], v[6:7]
	s_waitcnt vmcnt(14) lgkmcnt(13)
	v_mul_f64 v[130:131], v[72:73], v[10:11]
	v_mul_f64 v[10:11], v[74:75], v[10:11]
	v_fmac_f64_e32 v[128:129], v[70:71], v[4:5]
	v_fma_f64 v[4:5], v[68:69], v[4:5], -v[6:7]
	s_waitcnt vmcnt(13) lgkmcnt(12)
	v_mul_f64 v[132:133], v[76:77], v[14:15]
	v_mul_f64 v[14:15], v[78:79], v[14:15]
	v_fma_f64 v[6:7], v[72:73], v[8:9], -v[10:11]
	v_add_f64 v[4:5], v[4:5], 0
	s_waitcnt vmcnt(12) lgkmcnt(11)
	v_mul_f64 v[134:135], v[80:81], v[18:19]
	v_mul_f64 v[18:19], v[82:83], v[18:19]
	v_fmac_f64_e32 v[130:131], v[74:75], v[8:9]
	v_fma_f64 v[8:9], v[76:77], v[12:13], -v[14:15]
	v_add_f64 v[4:5], v[4:5], v[6:7]
	s_waitcnt vmcnt(11) lgkmcnt(10)
	v_mul_f64 v[136:137], v[84:85], v[22:23]
	v_mul_f64 v[22:23], v[86:87], v[22:23]
	v_fma_f64 v[10:11], v[80:81], v[16:17], -v[18:19]
	v_add_f64 v[4:5], v[4:5], v[8:9]
	s_waitcnt vmcnt(10) lgkmcnt(9)
	v_mul_f64 v[138:139], v[88:89], v[26:27]
	v_mul_f64 v[26:27], v[90:91], v[26:27]
	v_fmac_f64_e32 v[132:133], v[78:79], v[12:13]
	v_fma_f64 v[12:13], v[84:85], v[20:21], -v[22:23]
	v_add_f64 v[4:5], v[4:5], v[10:11]
	v_fma_f64 v[14:15], v[88:89], v[24:25], -v[26:27]
	v_add_f64 v[4:5], v[4:5], v[12:13]
	s_waitcnt vmcnt(9) lgkmcnt(8)
	v_mul_f64 v[8:9], v[94:95], v[30:31]
	v_add_f64 v[4:5], v[4:5], v[14:15]
	v_fma_f64 v[8:9], v[92:93], v[28:29], -v[8:9]
	v_add_f64 v[4:5], v[4:5], v[8:9]
	s_waitcnt vmcnt(8) lgkmcnt(7)
	v_mul_f64 v[8:9], v[98:99], v[34:35]
	v_fma_f64 v[8:9], v[96:97], v[32:33], -v[8:9]
	v_fmac_f64_e32 v[134:135], v[82:83], v[16:17]
	v_add_f64 v[16:17], v[128:129], 0
	v_add_f64 v[4:5], v[4:5], v[8:9]
	s_waitcnt vmcnt(7) lgkmcnt(6)
	v_mul_f64 v[8:9], v[102:103], v[38:39]
	v_add_f64 v[16:17], v[16:17], v[130:131]
	v_fma_f64 v[8:9], v[100:101], v[36:37], -v[8:9]
	v_add_f64 v[6:7], v[16:17], v[132:133]
	v_add_f64 v[4:5], v[4:5], v[8:9]
	s_waitcnt vmcnt(6) lgkmcnt(5)
	v_mul_f64 v[8:9], v[106:107], v[42:43]
	v_fmac_f64_e32 v[136:137], v[86:87], v[20:21]
	v_add_f64 v[6:7], v[6:7], v[134:135]
	v_fma_f64 v[8:9], v[104:105], v[40:41], -v[8:9]
	v_mul_f64 v[140:141], v[92:93], v[30:31]
	v_fmac_f64_e32 v[138:139], v[90:91], v[24:25]
	v_add_f64 v[6:7], v[6:7], v[136:137]
	v_add_f64 v[4:5], v[4:5], v[8:9]
	s_waitcnt vmcnt(5) lgkmcnt(4)
	v_mul_f64 v[8:9], v[110:111], v[46:47]
	v_mul_f64 v[142:143], v[96:97], v[34:35]
	v_fmac_f64_e32 v[140:141], v[94:95], v[28:29]
	v_add_f64 v[6:7], v[6:7], v[138:139]
	v_fma_f64 v[8:9], v[108:109], v[44:45], -v[8:9]
	v_mul_f64 v[144:145], v[100:101], v[38:39]
	v_fmac_f64_e32 v[142:143], v[98:99], v[32:33]
	v_add_f64 v[6:7], v[6:7], v[140:141]
	v_add_f64 v[4:5], v[4:5], v[8:9]
	s_waitcnt vmcnt(4) lgkmcnt(3)
	v_mul_f64 v[8:9], v[114:115], v[50:51]
	;; [unrolled: 10-line block ×4, first 2 shown]
	v_mul_f64 v[154:155], v[120:121], v[58:59]
	v_fmac_f64_e32 v[152:153], v[118:119], v[52:53]
	v_add_f64 v[6:7], v[6:7], v[150:151]
	v_fma_f64 v[8:9], v[120:121], v[56:57], -v[8:9]
	s_waitcnt vmcnt(1) lgkmcnt(0)
	v_mul_f64 v[156:157], v[124:125], v[62:63]
	v_fmac_f64_e32 v[154:155], v[122:123], v[56:57]
	v_add_f64 v[6:7], v[6:7], v[152:153]
	v_add_f64 v[4:5], v[4:5], v[8:9]
	v_mul_f64 v[8:9], v[126:127], v[62:63]
	v_fmac_f64_e32 v[156:157], v[126:127], v[60:61]
	v_add_f64 v[6:7], v[6:7], v[154:155]
	v_fma_f64 v[8:9], v[124:125], v[60:61], -v[8:9]
	v_add_f64 v[6:7], v[6:7], v[156:157]
	v_add_f64 v[4:5], v[4:5], v[8:9]
	s_waitcnt vmcnt(0)
	v_add_f64 v[4:5], v[64:65], -v[4:5]
	v_add_f64 v[6:7], v[66:67], -v[6:7]
	scratch_store_dwordx4 off, v[4:7], off offset:400
	s_and_saveexec_b64 s[0:1], vcc
	s_cbranch_execz .LBB39_207
; %bb.206:
	scratch_load_dwordx4 v[6:9], off, s36
	v_mov_b32_e32 v3, v2
	v_mov_b32_e32 v4, v2
	;; [unrolled: 1-line block ×3, first 2 shown]
	scratch_store_dwordx4 off, v[2:5], off offset:384
	s_waitcnt vmcnt(1)
	ds_write_b128 v1, v[6:9]
.LBB39_207:
	s_or_b64 exec, exec, s[0:1]
	s_waitcnt lgkmcnt(0)
	; wave barrier
	scratch_load_dwordx4 v[4:7], off, off offset:400
	scratch_load_dwordx4 v[8:11], off, off offset:416
	;; [unrolled: 1-line block ×16, first 2 shown]
	ds_read_b128 v[68:71], v2 offset:1024
	ds_read_b128 v[72:75], v2 offset:1040
	;; [unrolled: 1-line block ×16, first 2 shown]
	scratch_load_dwordx4 v[132:135], off, off offset:384
	v_cmp_lt_u32_e32 vcc, 22, v0
	s_waitcnt vmcnt(16) lgkmcnt(14)
	v_mul_f64 v[2:3], v[68:69], v[6:7]
	s_waitcnt vmcnt(15)
	v_mul_f64 v[136:137], v[72:73], v[10:11]
	v_fmac_f64_e32 v[2:3], v[70:71], v[4:5]
	s_waitcnt vmcnt(14) lgkmcnt(13)
	v_mul_f64 v[138:139], v[76:77], v[14:15]
	v_fmac_f64_e32 v[136:137], v[74:75], v[8:9]
	v_add_f64 v[2:3], v[2:3], 0
	s_waitcnt vmcnt(13) lgkmcnt(12)
	v_mul_f64 v[140:141], v[80:81], v[18:19]
	v_fmac_f64_e32 v[138:139], v[78:79], v[12:13]
	v_add_f64 v[2:3], v[2:3], v[136:137]
	;; [unrolled: 4-line block ×10, first 2 shown]
	s_waitcnt vmcnt(4) lgkmcnt(3)
	v_mul_f64 v[158:159], v[116:117], v[54:55]
	v_mul_f64 v[6:7], v[70:71], v[6:7]
	v_fmac_f64_e32 v[156:157], v[114:115], v[48:49]
	v_add_f64 v[2:3], v[2:3], v[154:155]
	s_waitcnt vmcnt(3) lgkmcnt(2)
	v_mul_f64 v[160:161], v[120:121], v[58:59]
	v_mul_f64 v[10:11], v[74:75], v[10:11]
	v_fmac_f64_e32 v[158:159], v[118:119], v[52:53]
	v_fma_f64 v[4:5], v[68:69], v[4:5], -v[6:7]
	v_add_f64 v[2:3], v[2:3], v[156:157]
	s_waitcnt vmcnt(2) lgkmcnt(1)
	v_mul_f64 v[162:163], v[124:125], v[62:63]
	v_mul_f64 v[14:15], v[78:79], v[14:15]
	v_fmac_f64_e32 v[160:161], v[122:123], v[56:57]
	v_fma_f64 v[6:7], v[72:73], v[8:9], -v[10:11]
	v_add_f64 v[4:5], v[4:5], 0
	v_add_f64 v[2:3], v[2:3], v[158:159]
	s_waitcnt vmcnt(1) lgkmcnt(0)
	v_mul_f64 v[164:165], v[128:129], v[66:67]
	v_mul_f64 v[18:19], v[82:83], v[18:19]
	v_fmac_f64_e32 v[162:163], v[126:127], v[60:61]
	v_fma_f64 v[8:9], v[76:77], v[12:13], -v[14:15]
	v_add_f64 v[4:5], v[4:5], v[6:7]
	v_add_f64 v[2:3], v[2:3], v[160:161]
	v_mul_f64 v[26:27], v[86:87], v[26:27]
	v_fmac_f64_e32 v[164:165], v[130:131], v[64:65]
	v_fma_f64 v[10:11], v[80:81], v[16:17], -v[18:19]
	v_add_f64 v[4:5], v[4:5], v[8:9]
	v_add_f64 v[2:3], v[2:3], v[162:163]
	v_fma_f64 v[12:13], v[84:85], v[24:25], -v[26:27]
	v_add_f64 v[4:5], v[4:5], v[10:11]
	v_add_f64 v[6:7], v[2:3], v[164:165]
	v_mul_f64 v[2:3], v[90:91], v[22:23]
	v_add_f64 v[4:5], v[4:5], v[12:13]
	v_fma_f64 v[2:3], v[88:89], v[20:21], -v[2:3]
	v_add_f64 v[2:3], v[4:5], v[2:3]
	v_mul_f64 v[4:5], v[94:95], v[30:31]
	v_fma_f64 v[4:5], v[92:93], v[28:29], -v[4:5]
	v_add_f64 v[2:3], v[2:3], v[4:5]
	v_mul_f64 v[4:5], v[98:99], v[34:35]
	;; [unrolled: 3-line block ×10, first 2 shown]
	v_fma_f64 v[4:5], v[128:129], v[64:65], -v[4:5]
	v_add_f64 v[2:3], v[2:3], v[4:5]
	s_waitcnt vmcnt(0)
	v_add_f64 v[2:3], v[132:133], -v[2:3]
	v_add_f64 v[4:5], v[134:135], -v[6:7]
	scratch_store_dwordx4 off, v[2:5], off offset:384
	s_and_saveexec_b64 s[0:1], vcc
	s_cbranch_execz .LBB39_209
; %bb.208:
	scratch_load_dwordx4 v[2:5], off, s35
	v_mov_b32_e32 v6, 0
	v_mov_b32_e32 v7, v6
	;; [unrolled: 1-line block ×4, first 2 shown]
	scratch_store_dwordx4 off, v[6:9], off offset:368
	s_waitcnt vmcnt(1)
	ds_write_b128 v1, v[2:5]
.LBB39_209:
	s_or_b64 exec, exec, s[0:1]
	v_mov_b32_e32 v2, 0
	s_waitcnt lgkmcnt(0)
	; wave barrier
	ds_read_b128 v[16:19], v2 offset:1008
	ds_read_b128 v[12:15], v2 offset:1024
	;; [unrolled: 1-line block ×4, first 2 shown]
	scratch_load_dwordx4 v[20:23], off, off offset:384
	scratch_load_dwordx4 v[40:43], off, off offset:448
	scratch_load_dwordx4 v[74:77], off, off offset:512
	scratch_load_dwordx4 v[82:85], off, off offset:528
	scratch_load_dwordx4 v[90:93], off, off offset:544
	scratch_load_dwordx4 v[98:101], off, off offset:560
	scratch_load_dwordx4 v[106:109], off, off offset:576
	scratch_load_dwordx4 v[114:117], off, off offset:592
	scratch_load_dwordx4 v[122:125], off, off offset:608
	scratch_load_dwordx4 v[130:133], off, off offset:624
	scratch_load_dwordx4 v[138:141], off, off offset:640
	v_cmp_lt_u32_e32 vcc, 21, v0
	scratch_load_dwordx4 v[48:51], off, off offset:464
	scratch_load_dwordx4 v[56:59], off, off offset:480
	;; [unrolled: 1-line block ×3, first 2 shown]
	s_waitcnt vmcnt(13) lgkmcnt(3)
	v_mul_f64 v[24:25], v[16:17], v[22:23]
	v_fmac_f64_e32 v[24:25], v[18:19], v[20:21]
	v_add_f64 v[28:29], v[24:25], 0
	scratch_load_dwordx4 v[24:27], off, off offset:400
	v_mul_f64 v[18:19], v[18:19], v[22:23]
	v_fma_f64 v[16:17], v[16:17], v[20:21], -v[18:19]
	v_add_f64 v[16:17], v[16:17], 0
	s_waitcnt vmcnt(0) lgkmcnt(2)
	v_mul_f64 v[30:31], v[12:13], v[26:27]
	v_fmac_f64_e32 v[30:31], v[14:15], v[24:25]
	v_add_f64 v[32:33], v[28:29], v[30:31]
	scratch_load_dwordx4 v[28:31], off, off offset:416
	v_mul_f64 v[14:15], v[14:15], v[26:27]
	v_fma_f64 v[12:13], v[12:13], v[24:25], -v[14:15]
	v_add_f64 v[12:13], v[16:17], v[12:13]
	;; [unrolled: 8-line block ×3, first 2 shown]
	s_waitcnt vmcnt(0) lgkmcnt(0)
	v_mul_f64 v[38:39], v[4:5], v[34:35]
	v_fmac_f64_e32 v[38:39], v[6:7], v[32:33]
	v_add_f64 v[44:45], v[36:37], v[38:39]
	ds_read_b128 v[36:39], v2 offset:1072
	v_mul_f64 v[6:7], v[6:7], v[34:35]
	v_fma_f64 v[4:5], v[4:5], v[32:33], -v[6:7]
	v_add_f64 v[4:5], v[8:9], v[4:5]
	s_waitcnt lgkmcnt(0)
	v_mul_f64 v[46:47], v[36:37], v[42:43]
	v_fmac_f64_e32 v[46:47], v[38:39], v[40:41]
	v_add_f64 v[52:53], v[44:45], v[46:47]
	ds_read_b128 v[44:47], v2 offset:1088
	v_mul_f64 v[6:7], v[38:39], v[42:43]
	v_fma_f64 v[6:7], v[36:37], v[40:41], -v[6:7]
	v_add_f64 v[4:5], v[4:5], v[6:7]
	s_waitcnt lgkmcnt(0)
	;; [unrolled: 8-line block ×13, first 2 shown]
	v_mul_f64 v[6:7], v[136:137], v[140:141]
	v_fma_f64 v[6:7], v[134:135], v[138:139], -v[6:7]
	v_add_f64 v[8:9], v[4:5], v[6:7]
	scratch_load_dwordx4 v[4:7], off, off offset:368
	v_mul_f64 v[142:143], v[134:135], v[140:141]
	v_fmac_f64_e32 v[142:143], v[136:137], v[138:139]
	v_add_f64 v[72:73], v[72:73], v[142:143]
	s_waitcnt vmcnt(0)
	v_add_f64 v[4:5], v[4:5], -v[8:9]
	v_add_f64 v[6:7], v[6:7], -v[72:73]
	scratch_store_dwordx4 off, v[4:7], off offset:368
	s_and_saveexec_b64 s[0:1], vcc
	s_cbranch_execz .LBB39_211
; %bb.210:
	scratch_load_dwordx4 v[6:9], off, s34
	v_mov_b32_e32 v3, v2
	v_mov_b32_e32 v4, v2
	;; [unrolled: 1-line block ×3, first 2 shown]
	scratch_store_dwordx4 off, v[2:5], off offset:352
	s_waitcnt vmcnt(1)
	ds_write_b128 v1, v[6:9]
.LBB39_211:
	s_or_b64 exec, exec, s[0:1]
	s_waitcnt lgkmcnt(0)
	; wave barrier
	ds_read_b128 v[16:19], v2 offset:992
	ds_read_b128 v[12:15], v2 offset:1008
	;; [unrolled: 1-line block ×4, first 2 shown]
	scratch_load_dwordx4 v[20:23], off, off offset:368
	scratch_load_dwordx4 v[40:43], off, off offset:432
	;; [unrolled: 1-line block ×12, first 2 shown]
	v_cmp_lt_u32_e32 vcc, 20, v0
	scratch_load_dwordx4 v[48:51], off, off offset:448
	scratch_load_dwordx4 v[56:59], off, off offset:464
	;; [unrolled: 1-line block ×3, first 2 shown]
	s_waitcnt vmcnt(14) lgkmcnt(3)
	v_mul_f64 v[24:25], v[16:17], v[22:23]
	v_fmac_f64_e32 v[24:25], v[18:19], v[20:21]
	v_add_f64 v[28:29], v[24:25], 0
	scratch_load_dwordx4 v[24:27], off, off offset:384
	s_waitcnt vmcnt(0) lgkmcnt(2)
	v_mul_f64 v[30:31], v[12:13], v[26:27]
	v_fmac_f64_e32 v[30:31], v[14:15], v[24:25]
	v_add_f64 v[32:33], v[28:29], v[30:31]
	scratch_load_dwordx4 v[28:31], off, off offset:400
	v_mul_f64 v[14:15], v[14:15], v[26:27]
	v_fma_f64 v[12:13], v[12:13], v[24:25], -v[14:15]
	s_waitcnt vmcnt(0) lgkmcnt(1)
	v_mul_f64 v[34:35], v[8:9], v[30:31]
	v_fmac_f64_e32 v[34:35], v[10:11], v[28:29]
	v_add_f64 v[36:37], v[32:33], v[34:35]
	scratch_load_dwordx4 v[32:35], off, off offset:416
	v_mul_f64 v[10:11], v[10:11], v[30:31]
	v_fma_f64 v[8:9], v[8:9], v[28:29], -v[10:11]
	s_waitcnt vmcnt(0) lgkmcnt(0)
	v_mul_f64 v[38:39], v[4:5], v[34:35]
	v_fmac_f64_e32 v[38:39], v[6:7], v[32:33]
	v_add_f64 v[44:45], v[36:37], v[38:39]
	ds_read_b128 v[36:39], v2 offset:1056
	v_mul_f64 v[6:7], v[6:7], v[34:35]
	v_fma_f64 v[4:5], v[4:5], v[32:33], -v[6:7]
	s_waitcnt lgkmcnt(0)
	v_mul_f64 v[46:47], v[36:37], v[42:43]
	v_fmac_f64_e32 v[46:47], v[38:39], v[40:41]
	v_add_f64 v[52:53], v[44:45], v[46:47]
	ds_read_b128 v[44:47], v2 offset:1072
	s_waitcnt lgkmcnt(0)
	v_mul_f64 v[54:55], v[44:45], v[50:51]
	v_fmac_f64_e32 v[54:55], v[46:47], v[48:49]
	v_add_f64 v[60:61], v[52:53], v[54:55]
	ds_read_b128 v[52:55], v2 offset:1088
	;; [unrolled: 5-line block ×13, first 2 shown]
	s_waitcnt lgkmcnt(0)
	v_mul_f64 v[2:3], v[142:143], v[148:149]
	v_fmac_f64_e32 v[2:3], v[144:145], v[146:147]
	v_add_f64 v[80:81], v[80:81], v[2:3]
	v_mul_f64 v[2:3], v[18:19], v[22:23]
	v_fma_f64 v[2:3], v[16:17], v[20:21], -v[2:3]
	v_add_f64 v[2:3], v[2:3], 0
	v_add_f64 v[2:3], v[2:3], v[12:13]
	;; [unrolled: 1-line block ×4, first 2 shown]
	v_mul_f64 v[4:5], v[38:39], v[42:43]
	v_fma_f64 v[4:5], v[36:37], v[40:41], -v[4:5]
	v_add_f64 v[2:3], v[2:3], v[4:5]
	v_mul_f64 v[4:5], v[46:47], v[50:51]
	v_fma_f64 v[4:5], v[44:45], v[48:49], -v[4:5]
	v_add_f64 v[2:3], v[2:3], v[4:5]
	;; [unrolled: 3-line block ×14, first 2 shown]
	scratch_load_dwordx4 v[2:5], off, off offset:352
	s_waitcnt vmcnt(0)
	v_add_f64 v[2:3], v[2:3], -v[6:7]
	v_add_f64 v[4:5], v[4:5], -v[80:81]
	scratch_store_dwordx4 off, v[2:5], off offset:352
	s_and_saveexec_b64 s[0:1], vcc
	s_cbranch_execz .LBB39_213
; %bb.212:
	scratch_load_dwordx4 v[2:5], off, s33
	v_mov_b32_e32 v6, 0
	v_mov_b32_e32 v7, v6
	;; [unrolled: 1-line block ×4, first 2 shown]
	scratch_store_dwordx4 off, v[6:9], off offset:336
	s_waitcnt vmcnt(1)
	ds_write_b128 v1, v[2:5]
.LBB39_213:
	s_or_b64 exec, exec, s[0:1]
	v_mov_b32_e32 v2, 0
	s_waitcnt lgkmcnt(0)
	; wave barrier
	ds_read_b128 v[16:19], v2 offset:976
	ds_read_b128 v[12:15], v2 offset:992
	;; [unrolled: 1-line block ×4, first 2 shown]
	scratch_load_dwordx4 v[20:23], off, off offset:352
	scratch_load_dwordx4 v[40:43], off, off offset:416
	;; [unrolled: 1-line block ×13, first 2 shown]
	v_cmp_lt_u32_e32 vcc, 19, v0
	scratch_load_dwordx4 v[48:51], off, off offset:432
	scratch_load_dwordx4 v[56:59], off, off offset:448
	;; [unrolled: 1-line block ×3, first 2 shown]
	s_waitcnt vmcnt(15) lgkmcnt(3)
	v_mul_f64 v[24:25], v[16:17], v[22:23]
	v_fmac_f64_e32 v[24:25], v[18:19], v[20:21]
	v_add_f64 v[28:29], v[24:25], 0
	scratch_load_dwordx4 v[24:27], off, off offset:368
	v_mul_f64 v[18:19], v[18:19], v[22:23]
	v_fma_f64 v[16:17], v[16:17], v[20:21], -v[18:19]
	v_add_f64 v[16:17], v[16:17], 0
	s_waitcnt vmcnt(0) lgkmcnt(2)
	v_mul_f64 v[30:31], v[12:13], v[26:27]
	v_fmac_f64_e32 v[30:31], v[14:15], v[24:25]
	v_add_f64 v[32:33], v[28:29], v[30:31]
	scratch_load_dwordx4 v[28:31], off, off offset:384
	v_mul_f64 v[14:15], v[14:15], v[26:27]
	v_fma_f64 v[12:13], v[12:13], v[24:25], -v[14:15]
	v_add_f64 v[12:13], v[16:17], v[12:13]
	s_waitcnt vmcnt(0) lgkmcnt(1)
	v_mul_f64 v[34:35], v[8:9], v[30:31]
	v_fmac_f64_e32 v[34:35], v[10:11], v[28:29]
	v_add_f64 v[36:37], v[32:33], v[34:35]
	scratch_load_dwordx4 v[32:35], off, off offset:400
	v_mul_f64 v[10:11], v[10:11], v[30:31]
	v_fma_f64 v[8:9], v[8:9], v[28:29], -v[10:11]
	v_add_f64 v[8:9], v[12:13], v[8:9]
	s_waitcnt vmcnt(0) lgkmcnt(0)
	v_mul_f64 v[38:39], v[4:5], v[34:35]
	v_fmac_f64_e32 v[38:39], v[6:7], v[32:33]
	v_add_f64 v[44:45], v[36:37], v[38:39]
	ds_read_b128 v[36:39], v2 offset:1040
	v_mul_f64 v[6:7], v[6:7], v[34:35]
	v_fma_f64 v[4:5], v[4:5], v[32:33], -v[6:7]
	v_add_f64 v[4:5], v[8:9], v[4:5]
	s_waitcnt lgkmcnt(0)
	v_mul_f64 v[46:47], v[36:37], v[42:43]
	v_fmac_f64_e32 v[46:47], v[38:39], v[40:41]
	v_add_f64 v[52:53], v[44:45], v[46:47]
	ds_read_b128 v[44:47], v2 offset:1056
	v_mul_f64 v[6:7], v[38:39], v[42:43]
	v_fma_f64 v[6:7], v[36:37], v[40:41], -v[6:7]
	v_add_f64 v[4:5], v[4:5], v[6:7]
	s_waitcnt lgkmcnt(0)
	v_mul_f64 v[54:55], v[44:45], v[50:51]
	v_fmac_f64_e32 v[54:55], v[46:47], v[48:49]
	v_add_f64 v[60:61], v[52:53], v[54:55]
	ds_read_b128 v[52:55], v2 offset:1072
	v_mul_f64 v[6:7], v[46:47], v[50:51]
	v_fma_f64 v[6:7], v[44:45], v[48:49], -v[6:7]
	v_add_f64 v[4:5], v[4:5], v[6:7]
	s_waitcnt lgkmcnt(0)
	v_mul_f64 v[62:63], v[52:53], v[58:59]
	v_fmac_f64_e32 v[62:63], v[54:55], v[56:57]
	v_add_f64 v[68:69], v[60:61], v[62:63]
	ds_read_b128 v[60:63], v2 offset:1088
	v_mul_f64 v[6:7], v[54:55], v[58:59]
	v_fma_f64 v[6:7], v[52:53], v[56:57], -v[6:7]
	v_add_f64 v[4:5], v[4:5], v[6:7]
	s_waitcnt lgkmcnt(0)
	v_mul_f64 v[70:71], v[60:61], v[66:67]
	v_fmac_f64_e32 v[70:71], v[62:63], v[64:65]
	v_add_f64 v[76:77], v[68:69], v[70:71]
	ds_read_b128 v[68:71], v2 offset:1104
	v_mul_f64 v[6:7], v[62:63], v[66:67]
	v_fma_f64 v[6:7], v[60:61], v[64:65], -v[6:7]
	v_add_f64 v[4:5], v[4:5], v[6:7]
	s_waitcnt lgkmcnt(0)
	v_mul_f64 v[78:79], v[68:69], v[74:75]
	v_fmac_f64_e32 v[78:79], v[70:71], v[72:73]
	v_add_f64 v[84:85], v[76:77], v[78:79]
	ds_read_b128 v[76:79], v2 offset:1120
	v_mul_f64 v[6:7], v[70:71], v[74:75]
	v_fma_f64 v[6:7], v[68:69], v[72:73], -v[6:7]
	v_add_f64 v[4:5], v[4:5], v[6:7]
	s_waitcnt lgkmcnt(0)
	v_mul_f64 v[86:87], v[76:77], v[82:83]
	v_fmac_f64_e32 v[86:87], v[78:79], v[80:81]
	v_add_f64 v[88:89], v[84:85], v[86:87]
	ds_read_b128 v[84:87], v2 offset:1136
	v_mul_f64 v[6:7], v[78:79], v[82:83]
	v_fma_f64 v[6:7], v[76:77], v[80:81], -v[6:7]
	v_add_f64 v[4:5], v[4:5], v[6:7]
	s_waitcnt lgkmcnt(0)
	v_mul_f64 v[94:95], v[84:85], v[92:93]
	v_fmac_f64_e32 v[94:95], v[86:87], v[90:91]
	v_add_f64 v[88:89], v[88:89], v[94:95]
	ds_read_b128 v[94:97], v2 offset:1152
	v_mul_f64 v[6:7], v[86:87], v[92:93]
	v_fma_f64 v[6:7], v[84:85], v[90:91], -v[6:7]
	v_add_f64 v[4:5], v[4:5], v[6:7]
	s_waitcnt lgkmcnt(0)
	v_mul_f64 v[102:103], v[94:95], v[100:101]
	v_fmac_f64_e32 v[102:103], v[96:97], v[98:99]
	v_add_f64 v[88:89], v[88:89], v[102:103]
	ds_read_b128 v[102:105], v2 offset:1168
	v_mul_f64 v[6:7], v[96:97], v[100:101]
	v_fma_f64 v[6:7], v[94:95], v[98:99], -v[6:7]
	v_add_f64 v[4:5], v[4:5], v[6:7]
	s_waitcnt lgkmcnt(0)
	v_mul_f64 v[110:111], v[102:103], v[108:109]
	v_fmac_f64_e32 v[110:111], v[104:105], v[106:107]
	v_add_f64 v[88:89], v[88:89], v[110:111]
	ds_read_b128 v[110:113], v2 offset:1184
	v_mul_f64 v[6:7], v[104:105], v[108:109]
	v_fma_f64 v[6:7], v[102:103], v[106:107], -v[6:7]
	v_add_f64 v[4:5], v[4:5], v[6:7]
	s_waitcnt lgkmcnt(0)
	v_mul_f64 v[118:119], v[110:111], v[116:117]
	v_fmac_f64_e32 v[118:119], v[112:113], v[114:115]
	v_add_f64 v[88:89], v[88:89], v[118:119]
	ds_read_b128 v[118:121], v2 offset:1200
	v_mul_f64 v[6:7], v[112:113], v[116:117]
	v_fma_f64 v[6:7], v[110:111], v[114:115], -v[6:7]
	v_add_f64 v[4:5], v[4:5], v[6:7]
	s_waitcnt lgkmcnt(0)
	v_mul_f64 v[126:127], v[118:119], v[124:125]
	v_fmac_f64_e32 v[126:127], v[120:121], v[122:123]
	v_add_f64 v[88:89], v[88:89], v[126:127]
	ds_read_b128 v[126:129], v2 offset:1216
	v_mul_f64 v[6:7], v[120:121], v[124:125]
	v_fma_f64 v[6:7], v[118:119], v[122:123], -v[6:7]
	v_add_f64 v[4:5], v[4:5], v[6:7]
	s_waitcnt lgkmcnt(0)
	v_mul_f64 v[134:135], v[126:127], v[132:133]
	v_fmac_f64_e32 v[134:135], v[128:129], v[130:131]
	v_add_f64 v[88:89], v[88:89], v[134:135]
	ds_read_b128 v[134:137], v2 offset:1232
	v_mul_f64 v[6:7], v[128:129], v[132:133]
	v_fma_f64 v[6:7], v[126:127], v[130:131], -v[6:7]
	v_add_f64 v[4:5], v[4:5], v[6:7]
	s_waitcnt lgkmcnt(0)
	v_mul_f64 v[142:143], v[134:135], v[140:141]
	v_fmac_f64_e32 v[142:143], v[136:137], v[138:139]
	v_add_f64 v[88:89], v[88:89], v[142:143]
	ds_read_b128 v[142:145], v2 offset:1248
	v_mul_f64 v[6:7], v[136:137], v[140:141]
	v_fma_f64 v[6:7], v[134:135], v[138:139], -v[6:7]
	v_add_f64 v[4:5], v[4:5], v[6:7]
	s_waitcnt lgkmcnt(0)
	v_mul_f64 v[150:151], v[142:143], v[148:149]
	v_fmac_f64_e32 v[150:151], v[144:145], v[146:147]
	v_add_f64 v[88:89], v[88:89], v[150:151]
	ds_read_b128 v[150:153], v2 offset:1264
	v_mul_f64 v[6:7], v[144:145], v[148:149]
	v_fma_f64 v[6:7], v[142:143], v[146:147], -v[6:7]
	v_add_f64 v[4:5], v[4:5], v[6:7]
	s_waitcnt lgkmcnt(0)
	v_mul_f64 v[6:7], v[152:153], v[156:157]
	v_fma_f64 v[6:7], v[150:151], v[154:155], -v[6:7]
	v_add_f64 v[8:9], v[4:5], v[6:7]
	scratch_load_dwordx4 v[4:7], off, off offset:336
	v_mul_f64 v[158:159], v[150:151], v[156:157]
	v_fmac_f64_e32 v[158:159], v[152:153], v[154:155]
	v_add_f64 v[88:89], v[88:89], v[158:159]
	s_waitcnt vmcnt(0)
	v_add_f64 v[4:5], v[4:5], -v[8:9]
	v_add_f64 v[6:7], v[6:7], -v[88:89]
	scratch_store_dwordx4 off, v[4:7], off offset:336
	s_and_saveexec_b64 s[0:1], vcc
	s_cbranch_execz .LBB39_215
; %bb.214:
	scratch_load_dwordx4 v[6:9], off, s31
	v_mov_b32_e32 v3, v2
	v_mov_b32_e32 v4, v2
	;; [unrolled: 1-line block ×3, first 2 shown]
	scratch_store_dwordx4 off, v[2:5], off offset:320
	s_waitcnt vmcnt(1)
	ds_write_b128 v1, v[6:9]
.LBB39_215:
	s_or_b64 exec, exec, s[0:1]
	s_waitcnt lgkmcnt(0)
	; wave barrier
	ds_read_b128 v[16:19], v2 offset:960
	ds_read_b128 v[12:15], v2 offset:976
	;; [unrolled: 1-line block ×4, first 2 shown]
	scratch_load_dwordx4 v[20:23], off, off offset:336
	scratch_load_dwordx4 v[40:43], off, off offset:400
	;; [unrolled: 1-line block ×14, first 2 shown]
	v_cmp_lt_u32_e32 vcc, 18, v0
	scratch_load_dwordx4 v[48:51], off, off offset:416
	scratch_load_dwordx4 v[56:59], off, off offset:432
	;; [unrolled: 1-line block ×3, first 2 shown]
	s_waitcnt vmcnt(16) lgkmcnt(3)
	v_mul_f64 v[24:25], v[16:17], v[22:23]
	v_fmac_f64_e32 v[24:25], v[18:19], v[20:21]
	v_add_f64 v[28:29], v[24:25], 0
	scratch_load_dwordx4 v[24:27], off, off offset:352
	s_waitcnt vmcnt(0) lgkmcnt(2)
	v_mul_f64 v[30:31], v[12:13], v[26:27]
	v_fmac_f64_e32 v[30:31], v[14:15], v[24:25]
	v_add_f64 v[32:33], v[28:29], v[30:31]
	scratch_load_dwordx4 v[28:31], off, off offset:368
	v_mul_f64 v[14:15], v[14:15], v[26:27]
	v_fma_f64 v[12:13], v[12:13], v[24:25], -v[14:15]
	s_waitcnt vmcnt(0) lgkmcnt(1)
	v_mul_f64 v[34:35], v[8:9], v[30:31]
	v_fmac_f64_e32 v[34:35], v[10:11], v[28:29]
	v_add_f64 v[36:37], v[32:33], v[34:35]
	scratch_load_dwordx4 v[32:35], off, off offset:384
	v_mul_f64 v[10:11], v[10:11], v[30:31]
	v_fma_f64 v[8:9], v[8:9], v[28:29], -v[10:11]
	s_waitcnt vmcnt(0) lgkmcnt(0)
	v_mul_f64 v[38:39], v[4:5], v[34:35]
	v_fmac_f64_e32 v[38:39], v[6:7], v[32:33]
	v_add_f64 v[44:45], v[36:37], v[38:39]
	ds_read_b128 v[36:39], v2 offset:1024
	v_mul_f64 v[6:7], v[6:7], v[34:35]
	v_fma_f64 v[4:5], v[4:5], v[32:33], -v[6:7]
	s_waitcnt lgkmcnt(0)
	v_mul_f64 v[46:47], v[36:37], v[42:43]
	v_fmac_f64_e32 v[46:47], v[38:39], v[40:41]
	v_add_f64 v[52:53], v[44:45], v[46:47]
	ds_read_b128 v[44:47], v2 offset:1040
	s_waitcnt lgkmcnt(0)
	v_mul_f64 v[54:55], v[44:45], v[50:51]
	v_fmac_f64_e32 v[54:55], v[46:47], v[48:49]
	v_add_f64 v[60:61], v[52:53], v[54:55]
	ds_read_b128 v[52:55], v2 offset:1056
	;; [unrolled: 5-line block ×15, first 2 shown]
	s_waitcnt lgkmcnt(0)
	v_mul_f64 v[2:3], v[158:159], v[164:165]
	v_fmac_f64_e32 v[2:3], v[160:161], v[162:163]
	v_add_f64 v[96:97], v[96:97], v[2:3]
	v_mul_f64 v[2:3], v[18:19], v[22:23]
	v_fma_f64 v[2:3], v[16:17], v[20:21], -v[2:3]
	v_add_f64 v[2:3], v[2:3], 0
	v_add_f64 v[2:3], v[2:3], v[12:13]
	;; [unrolled: 1-line block ×4, first 2 shown]
	v_mul_f64 v[4:5], v[38:39], v[42:43]
	v_fma_f64 v[4:5], v[36:37], v[40:41], -v[4:5]
	v_add_f64 v[2:3], v[2:3], v[4:5]
	v_mul_f64 v[4:5], v[46:47], v[50:51]
	v_fma_f64 v[4:5], v[44:45], v[48:49], -v[4:5]
	v_add_f64 v[2:3], v[2:3], v[4:5]
	;; [unrolled: 3-line block ×16, first 2 shown]
	scratch_load_dwordx4 v[2:5], off, off offset:320
	s_waitcnt vmcnt(0)
	v_add_f64 v[2:3], v[2:3], -v[6:7]
	v_add_f64 v[4:5], v[4:5], -v[96:97]
	scratch_store_dwordx4 off, v[2:5], off offset:320
	s_and_saveexec_b64 s[0:1], vcc
	s_cbranch_execz .LBB39_217
; %bb.216:
	scratch_load_dwordx4 v[2:5], off, s30
	v_mov_b32_e32 v6, 0
	v_mov_b32_e32 v7, v6
	;; [unrolled: 1-line block ×4, first 2 shown]
	scratch_store_dwordx4 off, v[6:9], off offset:304
	s_waitcnt vmcnt(1)
	ds_write_b128 v1, v[2:5]
.LBB39_217:
	s_or_b64 exec, exec, s[0:1]
	v_mov_b32_e32 v2, 0
	s_waitcnt lgkmcnt(0)
	; wave barrier
	ds_read_b128 v[16:19], v2 offset:944
	ds_read_b128 v[12:15], v2 offset:960
	;; [unrolled: 1-line block ×4, first 2 shown]
	scratch_load_dwordx4 v[20:23], off, off offset:320
	scratch_load_dwordx4 v[40:43], off, off offset:384
	;; [unrolled: 1-line block ×15, first 2 shown]
	v_cmp_lt_u32_e32 vcc, 17, v0
	scratch_load_dwordx4 v[48:51], off, off offset:400
	scratch_load_dwordx4 v[56:59], off, off offset:416
	;; [unrolled: 1-line block ×3, first 2 shown]
	s_waitcnt vmcnt(17) lgkmcnt(3)
	v_mul_f64 v[24:25], v[16:17], v[22:23]
	v_fmac_f64_e32 v[24:25], v[18:19], v[20:21]
	v_add_f64 v[28:29], v[24:25], 0
	scratch_load_dwordx4 v[24:27], off, off offset:336
	v_mul_f64 v[18:19], v[18:19], v[22:23]
	v_fma_f64 v[16:17], v[16:17], v[20:21], -v[18:19]
	v_add_f64 v[16:17], v[16:17], 0
	s_waitcnt vmcnt(0) lgkmcnt(2)
	v_mul_f64 v[30:31], v[12:13], v[26:27]
	v_fmac_f64_e32 v[30:31], v[14:15], v[24:25]
	v_add_f64 v[32:33], v[28:29], v[30:31]
	scratch_load_dwordx4 v[28:31], off, off offset:352
	v_mul_f64 v[14:15], v[14:15], v[26:27]
	v_fma_f64 v[12:13], v[12:13], v[24:25], -v[14:15]
	v_add_f64 v[12:13], v[16:17], v[12:13]
	;; [unrolled: 8-line block ×3, first 2 shown]
	s_waitcnt vmcnt(0) lgkmcnt(0)
	v_mul_f64 v[38:39], v[4:5], v[34:35]
	v_fmac_f64_e32 v[38:39], v[6:7], v[32:33]
	v_add_f64 v[44:45], v[36:37], v[38:39]
	ds_read_b128 v[36:39], v2 offset:1008
	v_mul_f64 v[6:7], v[6:7], v[34:35]
	v_fma_f64 v[4:5], v[4:5], v[32:33], -v[6:7]
	v_add_f64 v[4:5], v[8:9], v[4:5]
	s_waitcnt lgkmcnt(0)
	v_mul_f64 v[46:47], v[36:37], v[42:43]
	v_fmac_f64_e32 v[46:47], v[38:39], v[40:41]
	v_add_f64 v[52:53], v[44:45], v[46:47]
	ds_read_b128 v[44:47], v2 offset:1024
	v_mul_f64 v[6:7], v[38:39], v[42:43]
	v_fma_f64 v[6:7], v[36:37], v[40:41], -v[6:7]
	v_add_f64 v[4:5], v[4:5], v[6:7]
	s_waitcnt lgkmcnt(0)
	;; [unrolled: 8-line block ×17, first 2 shown]
	v_mul_f64 v[6:7], v[168:169], v[172:173]
	v_fma_f64 v[6:7], v[166:167], v[170:171], -v[6:7]
	v_add_f64 v[8:9], v[4:5], v[6:7]
	scratch_load_dwordx4 v[4:7], off, off offset:304
	v_mul_f64 v[174:175], v[166:167], v[172:173]
	v_fmac_f64_e32 v[174:175], v[168:169], v[170:171]
	v_add_f64 v[104:105], v[104:105], v[174:175]
	s_waitcnt vmcnt(0)
	v_add_f64 v[4:5], v[4:5], -v[8:9]
	v_add_f64 v[6:7], v[6:7], -v[104:105]
	scratch_store_dwordx4 off, v[4:7], off offset:304
	s_and_saveexec_b64 s[0:1], vcc
	s_cbranch_execz .LBB39_219
; %bb.218:
	scratch_load_dwordx4 v[6:9], off, s29
	v_mov_b32_e32 v3, v2
	v_mov_b32_e32 v4, v2
	;; [unrolled: 1-line block ×3, first 2 shown]
	scratch_store_dwordx4 off, v[2:5], off offset:288
	s_waitcnt vmcnt(1)
	ds_write_b128 v1, v[6:9]
.LBB39_219:
	s_or_b64 exec, exec, s[0:1]
	s_waitcnt lgkmcnt(0)
	; wave barrier
	ds_read_b128 v[16:19], v2 offset:928
	ds_read_b128 v[12:15], v2 offset:944
	;; [unrolled: 1-line block ×4, first 2 shown]
	scratch_load_dwordx4 v[20:23], off, off offset:304
	scratch_load_dwordx4 v[40:43], off, off offset:368
	;; [unrolled: 1-line block ×16, first 2 shown]
	v_cmp_lt_u32_e32 vcc, 16, v0
	scratch_load_dwordx4 v[48:51], off, off offset:384
	scratch_load_dwordx4 v[56:59], off, off offset:400
	;; [unrolled: 1-line block ×3, first 2 shown]
	s_waitcnt vmcnt(18) lgkmcnt(3)
	v_mul_f64 v[24:25], v[16:17], v[22:23]
	v_fmac_f64_e32 v[24:25], v[18:19], v[20:21]
	v_add_f64 v[28:29], v[24:25], 0
	scratch_load_dwordx4 v[24:27], off, off offset:320
	s_waitcnt vmcnt(0) lgkmcnt(2)
	v_mul_f64 v[30:31], v[12:13], v[26:27]
	v_fmac_f64_e32 v[30:31], v[14:15], v[24:25]
	v_add_f64 v[32:33], v[28:29], v[30:31]
	scratch_load_dwordx4 v[28:31], off, off offset:336
	v_mul_f64 v[14:15], v[14:15], v[26:27]
	v_fma_f64 v[12:13], v[12:13], v[24:25], -v[14:15]
	s_waitcnt vmcnt(0) lgkmcnt(1)
	v_mul_f64 v[34:35], v[8:9], v[30:31]
	v_fmac_f64_e32 v[34:35], v[10:11], v[28:29]
	v_add_f64 v[36:37], v[32:33], v[34:35]
	scratch_load_dwordx4 v[32:35], off, off offset:352
	v_mul_f64 v[10:11], v[10:11], v[30:31]
	v_fma_f64 v[8:9], v[8:9], v[28:29], -v[10:11]
	s_waitcnt vmcnt(0) lgkmcnt(0)
	v_mul_f64 v[38:39], v[4:5], v[34:35]
	v_fmac_f64_e32 v[38:39], v[6:7], v[32:33]
	v_add_f64 v[44:45], v[36:37], v[38:39]
	ds_read_b128 v[36:39], v2 offset:992
	v_mul_f64 v[6:7], v[6:7], v[34:35]
	v_fma_f64 v[4:5], v[4:5], v[32:33], -v[6:7]
	s_waitcnt lgkmcnt(0)
	v_mul_f64 v[46:47], v[36:37], v[42:43]
	v_fmac_f64_e32 v[46:47], v[38:39], v[40:41]
	v_add_f64 v[52:53], v[44:45], v[46:47]
	ds_read_b128 v[44:47], v2 offset:1008
	s_waitcnt lgkmcnt(0)
	v_mul_f64 v[54:55], v[44:45], v[50:51]
	v_fmac_f64_e32 v[54:55], v[46:47], v[48:49]
	v_add_f64 v[60:61], v[52:53], v[54:55]
	ds_read_b128 v[52:55], v2 offset:1024
	;; [unrolled: 5-line block ×17, first 2 shown]
	s_waitcnt lgkmcnt(0)
	v_mul_f64 v[2:3], v[174:175], v[180:181]
	v_fmac_f64_e32 v[2:3], v[176:177], v[178:179]
	v_add_f64 v[120:121], v[120:121], v[2:3]
	v_mul_f64 v[2:3], v[18:19], v[22:23]
	v_fma_f64 v[2:3], v[16:17], v[20:21], -v[2:3]
	v_add_f64 v[2:3], v[2:3], 0
	v_add_f64 v[2:3], v[2:3], v[12:13]
	;; [unrolled: 1-line block ×4, first 2 shown]
	v_mul_f64 v[4:5], v[38:39], v[42:43]
	v_fma_f64 v[4:5], v[36:37], v[40:41], -v[4:5]
	v_add_f64 v[2:3], v[2:3], v[4:5]
	v_mul_f64 v[4:5], v[46:47], v[50:51]
	v_fma_f64 v[4:5], v[44:45], v[48:49], -v[4:5]
	v_add_f64 v[2:3], v[2:3], v[4:5]
	;; [unrolled: 3-line block ×18, first 2 shown]
	scratch_load_dwordx4 v[2:5], off, off offset:288
	s_waitcnt vmcnt(0)
	v_add_f64 v[2:3], v[2:3], -v[6:7]
	v_add_f64 v[4:5], v[4:5], -v[120:121]
	scratch_store_dwordx4 off, v[2:5], off offset:288
	s_and_saveexec_b64 s[0:1], vcc
	s_cbranch_execz .LBB39_221
; %bb.220:
	scratch_load_dwordx4 v[2:5], off, s28
	v_mov_b32_e32 v6, 0
	v_mov_b32_e32 v7, v6
	;; [unrolled: 1-line block ×4, first 2 shown]
	scratch_store_dwordx4 off, v[6:9], off offset:272
	s_waitcnt vmcnt(1)
	ds_write_b128 v1, v[2:5]
.LBB39_221:
	s_or_b64 exec, exec, s[0:1]
	v_mov_b32_e32 v2, 0
	s_waitcnt lgkmcnt(0)
	; wave barrier
	ds_read_b128 v[16:19], v2 offset:912
	ds_read_b128 v[12:15], v2 offset:928
	;; [unrolled: 1-line block ×4, first 2 shown]
	scratch_load_dwordx4 v[20:23], off, off offset:288
	scratch_load_dwordx4 v[40:43], off, off offset:352
	;; [unrolled: 1-line block ×17, first 2 shown]
	v_cmp_lt_u32_e32 vcc, 15, v0
	scratch_load_dwordx4 v[48:51], off, off offset:368
	scratch_load_dwordx4 v[56:59], off, off offset:384
	scratch_load_dwordx4 v[64:67], off, off offset:400
	s_waitcnt vmcnt(19) lgkmcnt(3)
	v_mul_f64 v[24:25], v[16:17], v[22:23]
	v_fmac_f64_e32 v[24:25], v[18:19], v[20:21]
	v_add_f64 v[28:29], v[24:25], 0
	scratch_load_dwordx4 v[24:27], off, off offset:304
	v_mul_f64 v[18:19], v[18:19], v[22:23]
	v_fma_f64 v[16:17], v[16:17], v[20:21], -v[18:19]
	v_add_f64 v[16:17], v[16:17], 0
	s_waitcnt vmcnt(0) lgkmcnt(2)
	v_mul_f64 v[30:31], v[12:13], v[26:27]
	v_fmac_f64_e32 v[30:31], v[14:15], v[24:25]
	v_add_f64 v[32:33], v[28:29], v[30:31]
	scratch_load_dwordx4 v[28:31], off, off offset:320
	v_mul_f64 v[14:15], v[14:15], v[26:27]
	v_fma_f64 v[12:13], v[12:13], v[24:25], -v[14:15]
	v_add_f64 v[12:13], v[16:17], v[12:13]
	;; [unrolled: 8-line block ×3, first 2 shown]
	s_waitcnt vmcnt(0) lgkmcnt(0)
	v_mul_f64 v[38:39], v[4:5], v[34:35]
	v_fmac_f64_e32 v[38:39], v[6:7], v[32:33]
	v_add_f64 v[44:45], v[36:37], v[38:39]
	ds_read_b128 v[36:39], v2 offset:976
	v_mul_f64 v[6:7], v[6:7], v[34:35]
	v_fma_f64 v[4:5], v[4:5], v[32:33], -v[6:7]
	v_add_f64 v[4:5], v[8:9], v[4:5]
	s_waitcnt lgkmcnt(0)
	v_mul_f64 v[46:47], v[36:37], v[42:43]
	v_fmac_f64_e32 v[46:47], v[38:39], v[40:41]
	v_add_f64 v[52:53], v[44:45], v[46:47]
	ds_read_b128 v[44:47], v2 offset:992
	v_mul_f64 v[6:7], v[38:39], v[42:43]
	v_fma_f64 v[6:7], v[36:37], v[40:41], -v[6:7]
	v_add_f64 v[4:5], v[4:5], v[6:7]
	s_waitcnt lgkmcnt(0)
	;; [unrolled: 8-line block ×19, first 2 shown]
	v_mul_f64 v[6:7], v[184:185], v[188:189]
	v_fma_f64 v[6:7], v[182:183], v[186:187], -v[6:7]
	v_add_f64 v[8:9], v[4:5], v[6:7]
	scratch_load_dwordx4 v[4:7], off, off offset:272
	v_mul_f64 v[190:191], v[182:183], v[188:189]
	v_fmac_f64_e32 v[190:191], v[184:185], v[186:187]
	v_add_f64 v[128:129], v[128:129], v[190:191]
	s_waitcnt vmcnt(0)
	v_add_f64 v[4:5], v[4:5], -v[8:9]
	v_add_f64 v[6:7], v[6:7], -v[128:129]
	scratch_store_dwordx4 off, v[4:7], off offset:272
	s_and_saveexec_b64 s[0:1], vcc
	s_cbranch_execz .LBB39_223
; %bb.222:
	scratch_load_dwordx4 v[6:9], off, s27
	v_mov_b32_e32 v3, v2
	v_mov_b32_e32 v4, v2
	;; [unrolled: 1-line block ×3, first 2 shown]
	scratch_store_dwordx4 off, v[2:5], off offset:256
	s_waitcnt vmcnt(1)
	ds_write_b128 v1, v[6:9]
.LBB39_223:
	s_or_b64 exec, exec, s[0:1]
	s_waitcnt lgkmcnt(0)
	; wave barrier
	ds_read_b128 v[16:19], v2 offset:896
	ds_read_b128 v[12:15], v2 offset:912
	;; [unrolled: 1-line block ×4, first 2 shown]
	scratch_load_dwordx4 v[20:23], off, off offset:272
	scratch_load_dwordx4 v[40:43], off, off offset:336
	;; [unrolled: 1-line block ×18, first 2 shown]
	v_cmp_lt_u32_e32 vcc, 14, v0
	scratch_load_dwordx4 v[48:51], off, off offset:352
	scratch_load_dwordx4 v[56:59], off, off offset:368
	;; [unrolled: 1-line block ×3, first 2 shown]
	s_waitcnt vmcnt(20) lgkmcnt(3)
	v_mul_f64 v[24:25], v[16:17], v[22:23]
	v_fmac_f64_e32 v[24:25], v[18:19], v[20:21]
	v_add_f64 v[28:29], v[24:25], 0
	scratch_load_dwordx4 v[24:27], off, off offset:288
	s_waitcnt vmcnt(0) lgkmcnt(2)
	v_mul_f64 v[30:31], v[12:13], v[26:27]
	v_fmac_f64_e32 v[30:31], v[14:15], v[24:25]
	v_add_f64 v[32:33], v[28:29], v[30:31]
	scratch_load_dwordx4 v[28:31], off, off offset:304
	v_mul_f64 v[14:15], v[14:15], v[26:27]
	v_fma_f64 v[12:13], v[12:13], v[24:25], -v[14:15]
	s_waitcnt vmcnt(0) lgkmcnt(1)
	v_mul_f64 v[34:35], v[8:9], v[30:31]
	v_fmac_f64_e32 v[34:35], v[10:11], v[28:29]
	v_add_f64 v[36:37], v[32:33], v[34:35]
	scratch_load_dwordx4 v[32:35], off, off offset:320
	v_mul_f64 v[10:11], v[10:11], v[30:31]
	v_fma_f64 v[8:9], v[8:9], v[28:29], -v[10:11]
	s_waitcnt vmcnt(0) lgkmcnt(0)
	v_mul_f64 v[38:39], v[4:5], v[34:35]
	v_fmac_f64_e32 v[38:39], v[6:7], v[32:33]
	v_add_f64 v[44:45], v[36:37], v[38:39]
	ds_read_b128 v[36:39], v2 offset:960
	v_mul_f64 v[6:7], v[6:7], v[34:35]
	v_fma_f64 v[4:5], v[4:5], v[32:33], -v[6:7]
	s_waitcnt lgkmcnt(0)
	v_mul_f64 v[46:47], v[36:37], v[42:43]
	v_fmac_f64_e32 v[46:47], v[38:39], v[40:41]
	v_add_f64 v[52:53], v[44:45], v[46:47]
	ds_read_b128 v[44:47], v2 offset:976
	s_waitcnt lgkmcnt(0)
	v_mul_f64 v[54:55], v[44:45], v[50:51]
	v_fmac_f64_e32 v[54:55], v[46:47], v[48:49]
	v_add_f64 v[60:61], v[52:53], v[54:55]
	ds_read_b128 v[52:55], v2 offset:992
	;; [unrolled: 5-line block ×19, first 2 shown]
	s_waitcnt lgkmcnt(0)
	v_mul_f64 v[2:3], v[190:191], v[196:197]
	v_fmac_f64_e32 v[2:3], v[192:193], v[194:195]
	v_add_f64 v[148:149], v[148:149], v[2:3]
	v_mul_f64 v[2:3], v[18:19], v[22:23]
	v_fma_f64 v[2:3], v[16:17], v[20:21], -v[2:3]
	v_add_f64 v[2:3], v[2:3], 0
	v_add_f64 v[2:3], v[2:3], v[12:13]
	;; [unrolled: 1-line block ×4, first 2 shown]
	v_mul_f64 v[4:5], v[38:39], v[42:43]
	v_fma_f64 v[4:5], v[36:37], v[40:41], -v[4:5]
	v_add_f64 v[2:3], v[2:3], v[4:5]
	v_mul_f64 v[4:5], v[46:47], v[50:51]
	v_fma_f64 v[4:5], v[44:45], v[48:49], -v[4:5]
	v_add_f64 v[2:3], v[2:3], v[4:5]
	;; [unrolled: 3-line block ×20, first 2 shown]
	scratch_load_dwordx4 v[2:5], off, off offset:256
	s_waitcnt vmcnt(0)
	v_add_f64 v[2:3], v[2:3], -v[6:7]
	v_add_f64 v[4:5], v[4:5], -v[148:149]
	scratch_store_dwordx4 off, v[2:5], off offset:256
	s_and_saveexec_b64 s[0:1], vcc
	s_cbranch_execz .LBB39_225
; %bb.224:
	scratch_load_dwordx4 v[2:5], off, s26
	v_mov_b32_e32 v6, 0
	v_mov_b32_e32 v7, v6
	;; [unrolled: 1-line block ×4, first 2 shown]
	scratch_store_dwordx4 off, v[6:9], off offset:240
	s_waitcnt vmcnt(1)
	ds_write_b128 v1, v[2:5]
.LBB39_225:
	s_or_b64 exec, exec, s[0:1]
	v_mov_b32_e32 v2, 0
	s_waitcnt lgkmcnt(0)
	; wave barrier
	ds_read_b128 v[16:19], v2 offset:880
	ds_read_b128 v[12:15], v2 offset:896
	ds_read_b128 v[8:11], v2 offset:912
	ds_read_b128 v[4:7], v2 offset:928
	scratch_load_dwordx4 v[20:23], off, off offset:256
	scratch_load_dwordx4 v[40:43], off, off offset:320
	;; [unrolled: 1-line block ×19, first 2 shown]
	v_cmp_lt_u32_e32 vcc, 13, v0
	scratch_load_dwordx4 v[48:51], off, off offset:336
	scratch_load_dwordx4 v[56:59], off, off offset:352
	;; [unrolled: 1-line block ×3, first 2 shown]
	s_waitcnt vmcnt(21) lgkmcnt(3)
	v_mul_f64 v[24:25], v[16:17], v[22:23]
	v_fmac_f64_e32 v[24:25], v[18:19], v[20:21]
	v_add_f64 v[28:29], v[24:25], 0
	scratch_load_dwordx4 v[24:27], off, off offset:272
	v_mul_f64 v[18:19], v[18:19], v[22:23]
	v_fma_f64 v[16:17], v[16:17], v[20:21], -v[18:19]
	v_add_f64 v[16:17], v[16:17], 0
	s_waitcnt vmcnt(0) lgkmcnt(2)
	v_mul_f64 v[30:31], v[12:13], v[26:27]
	v_fmac_f64_e32 v[30:31], v[14:15], v[24:25]
	v_add_f64 v[32:33], v[28:29], v[30:31]
	scratch_load_dwordx4 v[28:31], off, off offset:288
	v_mul_f64 v[14:15], v[14:15], v[26:27]
	v_fma_f64 v[12:13], v[12:13], v[24:25], -v[14:15]
	v_add_f64 v[12:13], v[16:17], v[12:13]
	;; [unrolled: 8-line block ×3, first 2 shown]
	s_waitcnt vmcnt(0) lgkmcnt(0)
	v_mul_f64 v[38:39], v[4:5], v[34:35]
	v_fmac_f64_e32 v[38:39], v[6:7], v[32:33]
	v_add_f64 v[44:45], v[36:37], v[38:39]
	ds_read_b128 v[36:39], v2 offset:944
	v_mul_f64 v[6:7], v[6:7], v[34:35]
	v_fma_f64 v[4:5], v[4:5], v[32:33], -v[6:7]
	v_add_f64 v[4:5], v[8:9], v[4:5]
	s_waitcnt lgkmcnt(0)
	v_mul_f64 v[46:47], v[36:37], v[42:43]
	v_fmac_f64_e32 v[46:47], v[38:39], v[40:41]
	v_add_f64 v[52:53], v[44:45], v[46:47]
	ds_read_b128 v[44:47], v2 offset:960
	v_mul_f64 v[6:7], v[38:39], v[42:43]
	v_fma_f64 v[6:7], v[36:37], v[40:41], -v[6:7]
	v_add_f64 v[4:5], v[4:5], v[6:7]
	s_waitcnt lgkmcnt(0)
	;; [unrolled: 8-line block ×21, first 2 shown]
	v_mul_f64 v[6:7], v[200:201], v[204:205]
	v_fma_f64 v[6:7], v[198:199], v[202:203], -v[6:7]
	v_add_f64 v[8:9], v[4:5], v[6:7]
	scratch_load_dwordx4 v[4:7], off, off offset:240
	v_mul_f64 v[206:207], v[198:199], v[204:205]
	v_fmac_f64_e32 v[206:207], v[200:201], v[202:203]
	v_add_f64 v[144:145], v[144:145], v[206:207]
	s_waitcnt vmcnt(0)
	v_add_f64 v[4:5], v[4:5], -v[8:9]
	v_add_f64 v[6:7], v[6:7], -v[144:145]
	scratch_store_dwordx4 off, v[4:7], off offset:240
	s_and_saveexec_b64 s[0:1], vcc
	s_cbranch_execz .LBB39_227
; %bb.226:
	scratch_load_dwordx4 v[6:9], off, s25
	v_mov_b32_e32 v3, v2
	v_mov_b32_e32 v4, v2
	;; [unrolled: 1-line block ×3, first 2 shown]
	scratch_store_dwordx4 off, v[2:5], off offset:224
	s_waitcnt vmcnt(1)
	ds_write_b128 v1, v[6:9]
.LBB39_227:
	s_or_b64 exec, exec, s[0:1]
	s_waitcnt lgkmcnt(0)
	; wave barrier
	ds_read_b128 v[16:19], v2 offset:864
	ds_read_b128 v[12:15], v2 offset:880
	;; [unrolled: 1-line block ×4, first 2 shown]
	scratch_load_dwordx4 v[20:23], off, off offset:240
	scratch_load_dwordx4 v[40:43], off, off offset:304
	;; [unrolled: 1-line block ×20, first 2 shown]
	v_cmp_lt_u32_e32 vcc, 12, v0
	scratch_load_dwordx4 v[48:51], off, off offset:320
	scratch_load_dwordx4 v[56:59], off, off offset:336
	;; [unrolled: 1-line block ×3, first 2 shown]
	s_waitcnt vmcnt(22) lgkmcnt(3)
	v_mul_f64 v[24:25], v[16:17], v[22:23]
	v_fmac_f64_e32 v[24:25], v[18:19], v[20:21]
	v_add_f64 v[28:29], v[24:25], 0
	scratch_load_dwordx4 v[24:27], off, off offset:256
	s_waitcnt vmcnt(0) lgkmcnt(2)
	v_mul_f64 v[30:31], v[12:13], v[26:27]
	v_fmac_f64_e32 v[30:31], v[14:15], v[24:25]
	v_add_f64 v[32:33], v[28:29], v[30:31]
	scratch_load_dwordx4 v[28:31], off, off offset:272
	v_mul_f64 v[14:15], v[14:15], v[26:27]
	v_fma_f64 v[12:13], v[12:13], v[24:25], -v[14:15]
	s_waitcnt vmcnt(0) lgkmcnt(1)
	v_mul_f64 v[34:35], v[8:9], v[30:31]
	v_fmac_f64_e32 v[34:35], v[10:11], v[28:29]
	v_add_f64 v[36:37], v[32:33], v[34:35]
	scratch_load_dwordx4 v[32:35], off, off offset:288
	v_mul_f64 v[10:11], v[10:11], v[30:31]
	v_fma_f64 v[8:9], v[8:9], v[28:29], -v[10:11]
	s_waitcnt vmcnt(0) lgkmcnt(0)
	v_mul_f64 v[38:39], v[4:5], v[34:35]
	v_fmac_f64_e32 v[38:39], v[6:7], v[32:33]
	v_add_f64 v[44:45], v[36:37], v[38:39]
	ds_read_b128 v[36:39], v2 offset:928
	v_mul_f64 v[6:7], v[6:7], v[34:35]
	v_fma_f64 v[4:5], v[4:5], v[32:33], -v[6:7]
	s_waitcnt lgkmcnt(0)
	v_mul_f64 v[46:47], v[36:37], v[42:43]
	v_fmac_f64_e32 v[46:47], v[38:39], v[40:41]
	v_add_f64 v[52:53], v[44:45], v[46:47]
	ds_read_b128 v[44:47], v2 offset:944
	s_waitcnt lgkmcnt(0)
	v_mul_f64 v[54:55], v[44:45], v[50:51]
	v_fmac_f64_e32 v[54:55], v[46:47], v[48:49]
	v_add_f64 v[60:61], v[52:53], v[54:55]
	ds_read_b128 v[52:55], v2 offset:960
	;; [unrolled: 5-line block ×21, first 2 shown]
	s_waitcnt lgkmcnt(0)
	v_mul_f64 v[2:3], v[206:207], v[212:213]
	v_fmac_f64_e32 v[2:3], v[208:209], v[210:211]
	v_add_f64 v[168:169], v[168:169], v[2:3]
	v_mul_f64 v[2:3], v[18:19], v[22:23]
	v_fma_f64 v[2:3], v[16:17], v[20:21], -v[2:3]
	v_add_f64 v[2:3], v[2:3], 0
	v_add_f64 v[2:3], v[2:3], v[12:13]
	;; [unrolled: 1-line block ×4, first 2 shown]
	v_mul_f64 v[4:5], v[38:39], v[42:43]
	v_fma_f64 v[4:5], v[36:37], v[40:41], -v[4:5]
	v_add_f64 v[2:3], v[2:3], v[4:5]
	v_mul_f64 v[4:5], v[46:47], v[50:51]
	v_fma_f64 v[4:5], v[44:45], v[48:49], -v[4:5]
	v_add_f64 v[2:3], v[2:3], v[4:5]
	;; [unrolled: 3-line block ×22, first 2 shown]
	scratch_load_dwordx4 v[2:5], off, off offset:224
	s_waitcnt vmcnt(0)
	v_add_f64 v[2:3], v[2:3], -v[6:7]
	v_add_f64 v[4:5], v[4:5], -v[168:169]
	scratch_store_dwordx4 off, v[2:5], off offset:224
	s_and_saveexec_b64 s[0:1], vcc
	s_cbranch_execz .LBB39_229
; %bb.228:
	scratch_load_dwordx4 v[2:5], off, s24
	v_mov_b32_e32 v6, 0
	v_mov_b32_e32 v7, v6
	;; [unrolled: 1-line block ×4, first 2 shown]
	scratch_store_dwordx4 off, v[6:9], off offset:208
	s_waitcnt vmcnt(1)
	ds_write_b128 v1, v[2:5]
.LBB39_229:
	s_or_b64 exec, exec, s[0:1]
	v_mov_b32_e32 v2, 0
	s_waitcnt lgkmcnt(0)
	; wave barrier
	ds_read_b128 v[16:19], v2 offset:848
	ds_read_b128 v[12:15], v2 offset:864
	;; [unrolled: 1-line block ×4, first 2 shown]
	scratch_load_dwordx4 v[20:23], off, off offset:224
	scratch_load_dwordx4 v[40:43], off, off offset:288
	;; [unrolled: 1-line block ×21, first 2 shown]
	v_cmp_lt_u32_e32 vcc, 11, v0
	scratch_load_dwordx4 v[48:51], off, off offset:304
	scratch_load_dwordx4 v[56:59], off, off offset:320
	;; [unrolled: 1-line block ×3, first 2 shown]
	s_waitcnt vmcnt(23) lgkmcnt(3)
	v_mul_f64 v[24:25], v[16:17], v[22:23]
	v_fmac_f64_e32 v[24:25], v[18:19], v[20:21]
	v_add_f64 v[28:29], v[24:25], 0
	scratch_load_dwordx4 v[24:27], off, off offset:240
	v_mul_f64 v[18:19], v[18:19], v[22:23]
	v_fma_f64 v[16:17], v[16:17], v[20:21], -v[18:19]
	v_add_f64 v[16:17], v[16:17], 0
	s_waitcnt vmcnt(0) lgkmcnt(2)
	v_mul_f64 v[30:31], v[12:13], v[26:27]
	v_fmac_f64_e32 v[30:31], v[14:15], v[24:25]
	v_add_f64 v[32:33], v[28:29], v[30:31]
	scratch_load_dwordx4 v[28:31], off, off offset:256
	v_mul_f64 v[14:15], v[14:15], v[26:27]
	v_fma_f64 v[12:13], v[12:13], v[24:25], -v[14:15]
	v_add_f64 v[12:13], v[16:17], v[12:13]
	;; [unrolled: 8-line block ×3, first 2 shown]
	s_waitcnt vmcnt(0) lgkmcnt(0)
	v_mul_f64 v[38:39], v[4:5], v[34:35]
	v_fmac_f64_e32 v[38:39], v[6:7], v[32:33]
	v_add_f64 v[44:45], v[36:37], v[38:39]
	ds_read_b128 v[36:39], v2 offset:912
	v_mul_f64 v[6:7], v[6:7], v[34:35]
	v_fma_f64 v[4:5], v[4:5], v[32:33], -v[6:7]
	v_add_f64 v[4:5], v[8:9], v[4:5]
	s_waitcnt lgkmcnt(0)
	v_mul_f64 v[46:47], v[36:37], v[42:43]
	v_fmac_f64_e32 v[46:47], v[38:39], v[40:41]
	v_add_f64 v[52:53], v[44:45], v[46:47]
	ds_read_b128 v[44:47], v2 offset:928
	v_mul_f64 v[6:7], v[38:39], v[42:43]
	v_fma_f64 v[6:7], v[36:37], v[40:41], -v[6:7]
	v_add_f64 v[4:5], v[4:5], v[6:7]
	s_waitcnt lgkmcnt(0)
	;; [unrolled: 8-line block ×23, first 2 shown]
	v_mul_f64 v[6:7], v[216:217], v[220:221]
	v_fma_f64 v[6:7], v[214:215], v[218:219], -v[6:7]
	v_add_f64 v[8:9], v[4:5], v[6:7]
	scratch_load_dwordx4 v[4:7], off, off offset:208
	v_mul_f64 v[222:223], v[214:215], v[220:221]
	v_fmac_f64_e32 v[222:223], v[216:217], v[218:219]
	v_add_f64 v[160:161], v[160:161], v[222:223]
	s_waitcnt vmcnt(0)
	v_add_f64 v[4:5], v[4:5], -v[8:9]
	v_add_f64 v[6:7], v[6:7], -v[160:161]
	scratch_store_dwordx4 off, v[4:7], off offset:208
	s_and_saveexec_b64 s[0:1], vcc
	s_cbranch_execz .LBB39_231
; %bb.230:
	scratch_load_dwordx4 v[6:9], off, s55
	v_mov_b32_e32 v3, v2
	v_mov_b32_e32 v4, v2
	;; [unrolled: 1-line block ×3, first 2 shown]
	scratch_store_dwordx4 off, v[2:5], off offset:192
	s_waitcnt vmcnt(1)
	ds_write_b128 v1, v[6:9]
.LBB39_231:
	s_or_b64 exec, exec, s[0:1]
	s_waitcnt lgkmcnt(0)
	; wave barrier
	ds_read_b128 v[16:19], v2 offset:832
	ds_read_b128 v[12:15], v2 offset:848
	;; [unrolled: 1-line block ×4, first 2 shown]
	scratch_load_dwordx4 v[20:23], off, off offset:208
	scratch_load_dwordx4 v[40:43], off, off offset:272
	;; [unrolled: 1-line block ×22, first 2 shown]
	v_cmp_lt_u32_e32 vcc, 10, v0
	scratch_load_dwordx4 v[48:51], off, off offset:288
	scratch_load_dwordx4 v[56:59], off, off offset:304
	;; [unrolled: 1-line block ×3, first 2 shown]
	s_waitcnt vmcnt(24) lgkmcnt(3)
	v_mul_f64 v[24:25], v[16:17], v[22:23]
	v_fmac_f64_e32 v[24:25], v[18:19], v[20:21]
	v_add_f64 v[28:29], v[24:25], 0
	scratch_load_dwordx4 v[24:27], off, off offset:224
	s_waitcnt vmcnt(0) lgkmcnt(2)
	v_mul_f64 v[30:31], v[12:13], v[26:27]
	v_fmac_f64_e32 v[30:31], v[14:15], v[24:25]
	v_add_f64 v[32:33], v[28:29], v[30:31]
	scratch_load_dwordx4 v[28:31], off, off offset:240
	v_mul_f64 v[14:15], v[14:15], v[26:27]
	v_fma_f64 v[12:13], v[12:13], v[24:25], -v[14:15]
	s_waitcnt vmcnt(0) lgkmcnt(1)
	v_mul_f64 v[34:35], v[8:9], v[30:31]
	v_fmac_f64_e32 v[34:35], v[10:11], v[28:29]
	v_add_f64 v[36:37], v[32:33], v[34:35]
	scratch_load_dwordx4 v[32:35], off, off offset:256
	v_mul_f64 v[10:11], v[10:11], v[30:31]
	v_fma_f64 v[8:9], v[8:9], v[28:29], -v[10:11]
	s_waitcnt vmcnt(0) lgkmcnt(0)
	v_mul_f64 v[38:39], v[4:5], v[34:35]
	v_fmac_f64_e32 v[38:39], v[6:7], v[32:33]
	v_add_f64 v[44:45], v[36:37], v[38:39]
	ds_read_b128 v[36:39], v2 offset:896
	v_mul_f64 v[6:7], v[6:7], v[34:35]
	v_fma_f64 v[4:5], v[4:5], v[32:33], -v[6:7]
	s_waitcnt lgkmcnt(0)
	v_mul_f64 v[46:47], v[36:37], v[42:43]
	v_fmac_f64_e32 v[46:47], v[38:39], v[40:41]
	v_add_f64 v[52:53], v[44:45], v[46:47]
	ds_read_b128 v[44:47], v2 offset:912
	s_waitcnt lgkmcnt(0)
	v_mul_f64 v[54:55], v[44:45], v[50:51]
	v_fmac_f64_e32 v[54:55], v[46:47], v[48:49]
	v_add_f64 v[60:61], v[52:53], v[54:55]
	ds_read_b128 v[52:55], v2 offset:928
	;; [unrolled: 5-line block ×23, first 2 shown]
	s_waitcnt lgkmcnt(0)
	v_mul_f64 v[2:3], v[222:223], v[228:229]
	v_fmac_f64_e32 v[2:3], v[224:225], v[226:227]
	v_add_f64 v[176:177], v[176:177], v[2:3]
	v_mul_f64 v[2:3], v[18:19], v[22:23]
	v_fma_f64 v[2:3], v[16:17], v[20:21], -v[2:3]
	v_add_f64 v[2:3], v[2:3], 0
	v_add_f64 v[2:3], v[2:3], v[12:13]
	;; [unrolled: 1-line block ×4, first 2 shown]
	v_mul_f64 v[4:5], v[38:39], v[42:43]
	v_fma_f64 v[4:5], v[36:37], v[40:41], -v[4:5]
	v_add_f64 v[2:3], v[2:3], v[4:5]
	v_mul_f64 v[4:5], v[46:47], v[50:51]
	v_fma_f64 v[4:5], v[44:45], v[48:49], -v[4:5]
	v_add_f64 v[2:3], v[2:3], v[4:5]
	v_mul_f64 v[4:5], v[54:55], v[58:59]
	v_fma_f64 v[4:5], v[52:53], v[56:57], -v[4:5]
	v_add_f64 v[2:3], v[2:3], v[4:5]
	v_mul_f64 v[4:5], v[62:63], v[66:67]
	v_fma_f64 v[4:5], v[60:61], v[64:65], -v[4:5]
	v_add_f64 v[2:3], v[2:3], v[4:5]
	v_mul_f64 v[4:5], v[70:71], v[74:75]
	v_fma_f64 v[4:5], v[68:69], v[72:73], -v[4:5]
	v_add_f64 v[2:3], v[2:3], v[4:5]
	v_mul_f64 v[4:5], v[78:79], v[82:83]
	v_fma_f64 v[4:5], v[76:77], v[80:81], -v[4:5]
	v_add_f64 v[2:3], v[2:3], v[4:5]
	v_mul_f64 v[4:5], v[86:87], v[90:91]
	v_fma_f64 v[4:5], v[84:85], v[88:89], -v[4:5]
	v_add_f64 v[2:3], v[2:3], v[4:5]
	v_mul_f64 v[4:5], v[94:95], v[98:99]
	v_fma_f64 v[4:5], v[92:93], v[96:97], -v[4:5]
	v_add_f64 v[2:3], v[2:3], v[4:5]
	v_mul_f64 v[4:5], v[102:103], v[106:107]
	v_fma_f64 v[4:5], v[100:101], v[104:105], -v[4:5]
	v_add_f64 v[2:3], v[2:3], v[4:5]
	v_mul_f64 v[4:5], v[110:111], v[114:115]
	v_fma_f64 v[4:5], v[108:109], v[112:113], -v[4:5]
	v_add_f64 v[2:3], v[2:3], v[4:5]
	v_mul_f64 v[4:5], v[118:119], v[122:123]
	v_fma_f64 v[4:5], v[116:117], v[120:121], -v[4:5]
	v_add_f64 v[2:3], v[2:3], v[4:5]
	v_mul_f64 v[4:5], v[126:127], v[130:131]
	v_fma_f64 v[4:5], v[124:125], v[128:129], -v[4:5]
	v_add_f64 v[2:3], v[2:3], v[4:5]
	v_mul_f64 v[4:5], v[134:135], v[138:139]
	v_fma_f64 v[4:5], v[132:133], v[136:137], -v[4:5]
	v_add_f64 v[2:3], v[2:3], v[4:5]
	v_mul_f64 v[4:5], v[142:143], v[146:147]
	v_fma_f64 v[4:5], v[140:141], v[144:145], -v[4:5]
	v_add_f64 v[2:3], v[2:3], v[4:5]
	v_mul_f64 v[4:5], v[150:151], v[154:155]
	v_fma_f64 v[4:5], v[148:149], v[152:153], -v[4:5]
	v_add_f64 v[2:3], v[2:3], v[4:5]
	v_mul_f64 v[4:5], v[158:159], v[162:163]
	v_fma_f64 v[4:5], v[156:157], v[160:161], -v[4:5]
	v_add_f64 v[2:3], v[2:3], v[4:5]
	v_mul_f64 v[4:5], v[166:167], v[170:171]
	v_fma_f64 v[4:5], v[164:165], v[168:169], -v[4:5]
	v_add_f64 v[2:3], v[2:3], v[4:5]
	v_mul_f64 v[4:5], v[174:175], v[180:181]
	v_fma_f64 v[4:5], v[172:173], v[178:179], -v[4:5]
	v_add_f64 v[2:3], v[2:3], v[4:5]
	v_mul_f64 v[4:5], v[184:185], v[188:189]
	v_fma_f64 v[4:5], v[182:183], v[186:187], -v[4:5]
	v_add_f64 v[2:3], v[2:3], v[4:5]
	v_mul_f64 v[4:5], v[192:193], v[196:197]
	v_fma_f64 v[4:5], v[190:191], v[194:195], -v[4:5]
	v_add_f64 v[2:3], v[2:3], v[4:5]
	v_mul_f64 v[4:5], v[200:201], v[204:205]
	v_fma_f64 v[4:5], v[198:199], v[202:203], -v[4:5]
	v_add_f64 v[2:3], v[2:3], v[4:5]
	v_mul_f64 v[4:5], v[208:209], v[212:213]
	v_fma_f64 v[4:5], v[206:207], v[210:211], -v[4:5]
	v_add_f64 v[2:3], v[2:3], v[4:5]
	v_mul_f64 v[4:5], v[216:217], v[220:221]
	v_fma_f64 v[4:5], v[214:215], v[218:219], -v[4:5]
	v_add_f64 v[2:3], v[2:3], v[4:5]
	v_mul_f64 v[4:5], v[224:225], v[228:229]
	v_fma_f64 v[4:5], v[222:223], v[226:227], -v[4:5]
	v_add_f64 v[6:7], v[2:3], v[4:5]
	scratch_load_dwordx4 v[2:5], off, off offset:192
	s_waitcnt vmcnt(0)
	v_add_f64 v[2:3], v[2:3], -v[6:7]
	v_add_f64 v[4:5], v[4:5], -v[176:177]
	scratch_store_dwordx4 off, v[2:5], off offset:192
	s_and_saveexec_b64 s[0:1], vcc
	s_cbranch_execz .LBB39_233
; %bb.232:
	scratch_load_dwordx4 v[2:5], off, s54
	v_mov_b32_e32 v6, 0
	v_mov_b32_e32 v7, v6
	;; [unrolled: 1-line block ×4, first 2 shown]
	scratch_store_dwordx4 off, v[6:9], off offset:176
	s_waitcnt vmcnt(1)
	ds_write_b128 v1, v[2:5]
.LBB39_233:
	s_or_b64 exec, exec, s[0:1]
	v_mov_b32_e32 v2, 0
	s_waitcnt lgkmcnt(0)
	; wave barrier
	ds_read_b128 v[16:19], v2 offset:816
	ds_read_b128 v[12:15], v2 offset:832
	;; [unrolled: 1-line block ×4, first 2 shown]
	scratch_load_dwordx4 v[20:23], off, off offset:192
	scratch_load_dwordx4 v[40:43], off, off offset:256
	;; [unrolled: 1-line block ×23, first 2 shown]
	v_cmp_lt_u32_e32 vcc, 9, v0
	scratch_load_dwordx4 v[48:51], off, off offset:272
	scratch_load_dwordx4 v[56:59], off, off offset:288
	;; [unrolled: 1-line block ×3, first 2 shown]
	s_waitcnt vmcnt(25) lgkmcnt(3)
	v_mul_f64 v[24:25], v[16:17], v[22:23]
	v_fmac_f64_e32 v[24:25], v[18:19], v[20:21]
	v_add_f64 v[28:29], v[24:25], 0
	scratch_load_dwordx4 v[24:27], off, off offset:208
	v_mul_f64 v[18:19], v[18:19], v[22:23]
	v_fma_f64 v[16:17], v[16:17], v[20:21], -v[18:19]
	v_add_f64 v[16:17], v[16:17], 0
	s_waitcnt vmcnt(0) lgkmcnt(2)
	v_mul_f64 v[30:31], v[12:13], v[26:27]
	v_fmac_f64_e32 v[30:31], v[14:15], v[24:25]
	v_add_f64 v[32:33], v[28:29], v[30:31]
	scratch_load_dwordx4 v[28:31], off, off offset:224
	v_mul_f64 v[14:15], v[14:15], v[26:27]
	v_fma_f64 v[12:13], v[12:13], v[24:25], -v[14:15]
	v_add_f64 v[12:13], v[16:17], v[12:13]
	;; [unrolled: 8-line block ×3, first 2 shown]
	s_waitcnt vmcnt(0) lgkmcnt(0)
	v_mul_f64 v[38:39], v[4:5], v[34:35]
	v_fmac_f64_e32 v[38:39], v[6:7], v[32:33]
	v_add_f64 v[44:45], v[36:37], v[38:39]
	ds_read_b128 v[36:39], v2 offset:880
	v_mul_f64 v[6:7], v[6:7], v[34:35]
	v_fma_f64 v[4:5], v[4:5], v[32:33], -v[6:7]
	v_add_f64 v[4:5], v[8:9], v[4:5]
	s_waitcnt lgkmcnt(0)
	v_mul_f64 v[46:47], v[36:37], v[42:43]
	v_fmac_f64_e32 v[46:47], v[38:39], v[40:41]
	v_add_f64 v[52:53], v[44:45], v[46:47]
	ds_read_b128 v[44:47], v2 offset:896
	v_mul_f64 v[6:7], v[38:39], v[42:43]
	v_fma_f64 v[6:7], v[36:37], v[40:41], -v[6:7]
	v_add_f64 v[4:5], v[4:5], v[6:7]
	s_waitcnt lgkmcnt(0)
	;; [unrolled: 8-line block ×25, first 2 shown]
	v_mul_f64 v[6:7], v[232:233], v[236:237]
	v_fma_f64 v[6:7], v[230:231], v[234:235], -v[6:7]
	v_add_f64 v[8:9], v[4:5], v[6:7]
	scratch_load_dwordx4 v[4:7], off, off offset:176
	v_mul_f64 v[238:239], v[230:231], v[236:237]
	v_fmac_f64_e32 v[238:239], v[232:233], v[234:235]
	v_add_f64 v[176:177], v[176:177], v[238:239]
	s_waitcnt vmcnt(0)
	v_add_f64 v[4:5], v[4:5], -v[8:9]
	v_add_f64 v[6:7], v[6:7], -v[176:177]
	scratch_store_dwordx4 off, v[4:7], off offset:176
	s_and_saveexec_b64 s[0:1], vcc
	s_cbranch_execz .LBB39_235
; %bb.234:
	scratch_load_dwordx4 v[6:9], off, s23
	v_mov_b32_e32 v3, v2
	v_mov_b32_e32 v4, v2
	;; [unrolled: 1-line block ×3, first 2 shown]
	scratch_store_dwordx4 off, v[2:5], off offset:160
	s_waitcnt vmcnt(1)
	ds_write_b128 v1, v[6:9]
.LBB39_235:
	s_or_b64 exec, exec, s[0:1]
	s_waitcnt lgkmcnt(0)
	; wave barrier
	ds_read_b128 v[16:19], v2 offset:800
	ds_read_b128 v[12:15], v2 offset:816
	;; [unrolled: 1-line block ×4, first 2 shown]
	scratch_load_dwordx4 v[20:23], off, off offset:176
	scratch_load_dwordx4 v[40:43], off, off offset:240
	;; [unrolled: 1-line block ×24, first 2 shown]
	v_cmp_lt_u32_e32 vcc, 8, v0
	scratch_load_dwordx4 v[48:51], off, off offset:256
	scratch_load_dwordx4 v[56:59], off, off offset:272
	scratch_load_dwordx4 v[64:67], off, off offset:288
	s_waitcnt vmcnt(26) lgkmcnt(3)
	v_mul_f64 v[24:25], v[16:17], v[22:23]
	v_fmac_f64_e32 v[24:25], v[18:19], v[20:21]
	v_add_f64 v[28:29], v[24:25], 0
	scratch_load_dwordx4 v[24:27], off, off offset:192
	s_waitcnt vmcnt(0) lgkmcnt(2)
	v_mul_f64 v[30:31], v[12:13], v[26:27]
	v_fmac_f64_e32 v[30:31], v[14:15], v[24:25]
	v_add_f64 v[32:33], v[28:29], v[30:31]
	scratch_load_dwordx4 v[28:31], off, off offset:208
	v_mul_f64 v[14:15], v[14:15], v[26:27]
	v_fma_f64 v[12:13], v[12:13], v[24:25], -v[14:15]
	s_waitcnt vmcnt(0) lgkmcnt(1)
	v_mul_f64 v[34:35], v[8:9], v[30:31]
	v_fmac_f64_e32 v[34:35], v[10:11], v[28:29]
	v_add_f64 v[36:37], v[32:33], v[34:35]
	scratch_load_dwordx4 v[32:35], off, off offset:224
	v_mul_f64 v[10:11], v[10:11], v[30:31]
	v_fma_f64 v[8:9], v[8:9], v[28:29], -v[10:11]
	s_waitcnt vmcnt(0) lgkmcnt(0)
	v_mul_f64 v[38:39], v[4:5], v[34:35]
	v_fmac_f64_e32 v[38:39], v[6:7], v[32:33]
	v_add_f64 v[44:45], v[36:37], v[38:39]
	ds_read_b128 v[36:39], v2 offset:864
	v_mul_f64 v[6:7], v[6:7], v[34:35]
	v_fma_f64 v[4:5], v[4:5], v[32:33], -v[6:7]
	s_waitcnt lgkmcnt(0)
	v_mul_f64 v[46:47], v[36:37], v[42:43]
	v_fmac_f64_e32 v[46:47], v[38:39], v[40:41]
	v_add_f64 v[52:53], v[44:45], v[46:47]
	ds_read_b128 v[44:47], v2 offset:880
	s_waitcnt lgkmcnt(0)
	v_mul_f64 v[54:55], v[44:45], v[50:51]
	v_fmac_f64_e32 v[54:55], v[46:47], v[48:49]
	v_add_f64 v[60:61], v[52:53], v[54:55]
	ds_read_b128 v[52:55], v2 offset:896
	;; [unrolled: 5-line block ×25, first 2 shown]
	s_waitcnt lgkmcnt(0)
	v_mul_f64 v[2:3], v[238:239], v[244:245]
	v_fmac_f64_e32 v[2:3], v[240:241], v[242:243]
	v_add_f64 v[184:185], v[184:185], v[2:3]
	v_mul_f64 v[2:3], v[18:19], v[22:23]
	v_fma_f64 v[2:3], v[16:17], v[20:21], -v[2:3]
	v_add_f64 v[2:3], v[2:3], 0
	v_add_f64 v[2:3], v[2:3], v[12:13]
	;; [unrolled: 1-line block ×4, first 2 shown]
	v_mul_f64 v[4:5], v[38:39], v[42:43]
	v_fma_f64 v[4:5], v[36:37], v[40:41], -v[4:5]
	v_add_f64 v[2:3], v[2:3], v[4:5]
	v_mul_f64 v[4:5], v[46:47], v[50:51]
	v_fma_f64 v[4:5], v[44:45], v[48:49], -v[4:5]
	v_add_f64 v[2:3], v[2:3], v[4:5]
	;; [unrolled: 3-line block ×26, first 2 shown]
	scratch_load_dwordx4 v[2:5], off, off offset:160
	s_waitcnt vmcnt(0)
	v_add_f64 v[2:3], v[2:3], -v[6:7]
	v_add_f64 v[4:5], v[4:5], -v[184:185]
	scratch_store_dwordx4 off, v[2:5], off offset:160
	s_and_saveexec_b64 s[0:1], vcc
	s_cbranch_execz .LBB39_237
; %bb.236:
	scratch_load_dwordx4 v[2:5], off, s20
	v_mov_b32_e32 v6, 0
	v_mov_b32_e32 v7, v6
	;; [unrolled: 1-line block ×4, first 2 shown]
	scratch_store_dwordx4 off, v[6:9], off offset:144
	s_waitcnt vmcnt(1)
	ds_write_b128 v1, v[2:5]
.LBB39_237:
	s_or_b64 exec, exec, s[0:1]
	s_waitcnt lgkmcnt(0)
	; wave barrier
	scratch_load_dwordx4 v[16:19], off, off offset:160
	scratch_load_dwordx4 v[12:15], off, off offset:176
	;; [unrolled: 1-line block ×32, first 2 shown]
	v_mov_b32_e32 v2, 0
	ds_read_b128 v[132:135], v2 offset:784
	ds_read_b128 v[136:139], v2 offset:800
	;; [unrolled: 1-line block ×17, first 2 shown]
	v_cmp_lt_u32_e32 vcc, 7, v0
	s_waitcnt vmcnt(31) lgkmcnt(14)
	v_mul_f64 v[200:201], v[132:133], v[18:19]
	s_waitcnt vmcnt(30)
	v_mul_f64 v[202:203], v[136:137], v[14:15]
	v_fmac_f64_e32 v[200:201], v[134:135], v[16:17]
	s_waitcnt vmcnt(29)
	v_mul_f64 v[204:205], v[140:141], v[10:11]
	v_fmac_f64_e32 v[202:203], v[138:139], v[12:13]
	v_add_f64 v[200:201], v[200:201], 0
	s_waitcnt vmcnt(28) lgkmcnt(13)
	v_mul_f64 v[206:207], v[144:145], v[6:7]
	v_fmac_f64_e32 v[204:205], v[142:143], v[8:9]
	v_add_f64 v[200:201], v[200:201], v[202:203]
	s_waitcnt vmcnt(27) lgkmcnt(12)
	v_mul_f64 v[208:209], v[148:149], v[22:23]
	v_fmac_f64_e32 v[206:207], v[146:147], v[4:5]
	v_add_f64 v[200:201], v[200:201], v[204:205]
	s_waitcnt vmcnt(26) lgkmcnt(11)
	v_mul_f64 v[210:211], v[152:153], v[26:27]
	v_fmac_f64_e32 v[208:209], v[150:151], v[20:21]
	v_add_f64 v[200:201], v[200:201], v[206:207]
	s_waitcnt vmcnt(25) lgkmcnt(10)
	v_mul_f64 v[212:213], v[156:157], v[30:31]
	v_fmac_f64_e32 v[210:211], v[154:155], v[24:25]
	v_add_f64 v[200:201], v[200:201], v[208:209]
	s_waitcnt vmcnt(24) lgkmcnt(9)
	v_mul_f64 v[214:215], v[160:161], v[34:35]
	v_fmac_f64_e32 v[212:213], v[158:159], v[28:29]
	v_add_f64 v[200:201], v[200:201], v[210:211]
	s_waitcnt vmcnt(23) lgkmcnt(8)
	v_mul_f64 v[216:217], v[164:165], v[38:39]
	v_fmac_f64_e32 v[214:215], v[162:163], v[32:33]
	v_add_f64 v[200:201], v[200:201], v[212:213]
	s_waitcnt vmcnt(22) lgkmcnt(7)
	v_mul_f64 v[218:219], v[168:169], v[42:43]
	v_fmac_f64_e32 v[216:217], v[166:167], v[36:37]
	v_add_f64 v[200:201], v[200:201], v[214:215]
	s_waitcnt vmcnt(21) lgkmcnt(6)
	v_mul_f64 v[220:221], v[172:173], v[46:47]
	v_fmac_f64_e32 v[218:219], v[170:171], v[40:41]
	v_add_f64 v[200:201], v[200:201], v[216:217]
	s_waitcnt vmcnt(20) lgkmcnt(5)
	v_mul_f64 v[222:223], v[176:177], v[50:51]
	v_fmac_f64_e32 v[220:221], v[174:175], v[44:45]
	v_add_f64 v[200:201], v[200:201], v[218:219]
	s_waitcnt vmcnt(19) lgkmcnt(4)
	v_mul_f64 v[224:225], v[180:181], v[54:55]
	v_fmac_f64_e32 v[222:223], v[178:179], v[48:49]
	v_add_f64 v[200:201], v[200:201], v[220:221]
	s_waitcnt vmcnt(18) lgkmcnt(3)
	v_mul_f64 v[226:227], v[184:185], v[58:59]
	v_fmac_f64_e32 v[224:225], v[182:183], v[52:53]
	v_add_f64 v[200:201], v[200:201], v[222:223]
	s_waitcnt vmcnt(17) lgkmcnt(2)
	v_mul_f64 v[228:229], v[188:189], v[62:63]
	v_fmac_f64_e32 v[226:227], v[186:187], v[56:57]
	v_add_f64 v[200:201], v[200:201], v[224:225]
	v_fmac_f64_e32 v[228:229], v[190:191], v[60:61]
	v_add_f64 v[200:201], v[200:201], v[226:227]
	s_waitcnt vmcnt(16) lgkmcnt(1)
	v_mul_f64 v[202:203], v[192:193], v[66:67]
	v_add_f64 v[200:201], v[200:201], v[228:229]
	v_fmac_f64_e32 v[202:203], v[194:195], v[64:65]
	s_waitcnt vmcnt(15) lgkmcnt(0)
	v_mul_f64 v[206:207], v[196:197], v[70:71]
	v_add_f64 v[204:205], v[200:201], v[202:203]
	ds_read_b128 v[200:203], v2 offset:1056
	v_fmac_f64_e32 v[206:207], v[198:199], v[68:69]
	v_add_f64 v[208:209], v[204:205], v[206:207]
	ds_read_b128 v[204:207], v2 offset:1072
	v_mul_f64 v[18:19], v[134:135], v[18:19]
	s_waitcnt vmcnt(14) lgkmcnt(1)
	v_mul_f64 v[210:211], v[200:201], v[74:75]
	v_fmac_f64_e32 v[210:211], v[202:203], v[72:73]
	v_add_f64 v[212:213], v[208:209], v[210:211]
	s_waitcnt vmcnt(13) lgkmcnt(0)
	v_mul_f64 v[214:215], v[204:205], v[78:79]
	ds_read_b128 v[208:211], v2 offset:1088
	v_fmac_f64_e32 v[214:215], v[206:207], v[76:77]
	v_add_f64 v[216:217], v[212:213], v[214:215]
	ds_read_b128 v[212:215], v2 offset:1104
	v_fma_f64 v[242:243], v[132:133], v[16:17], -v[18:19]
	s_waitcnt vmcnt(12) lgkmcnt(1)
	v_mul_f64 v[218:219], v[208:209], v[82:83]
	v_fmac_f64_e32 v[218:219], v[210:211], v[80:81]
	v_add_f64 v[220:221], v[216:217], v[218:219]
	s_waitcnt vmcnt(11) lgkmcnt(0)
	v_mul_f64 v[222:223], v[212:213], v[86:87]
	ds_read_b128 v[216:219], v2 offset:1120
	v_fmac_f64_e32 v[222:223], v[214:215], v[84:85]
	v_add_f64 v[224:225], v[220:221], v[222:223]
	ds_read_b128 v[220:223], v2 offset:1136
	ds_read_b128 v[16:19], v2 offset:1216
	s_waitcnt vmcnt(10) lgkmcnt(2)
	v_mul_f64 v[226:227], v[216:217], v[90:91]
	v_fmac_f64_e32 v[226:227], v[218:219], v[88:89]
	v_add_f64 v[228:229], v[224:225], v[226:227]
	s_waitcnt vmcnt(9) lgkmcnt(1)
	v_mul_f64 v[230:231], v[220:221], v[94:95]
	ds_read_b128 v[224:227], v2 offset:1152
	v_fmac_f64_e32 v[230:231], v[222:223], v[92:93]
	v_add_f64 v[232:233], v[228:229], v[230:231]
	ds_read_b128 v[228:231], v2 offset:1168
	v_mul_f64 v[14:15], v[138:139], v[14:15]
	s_waitcnt vmcnt(8) lgkmcnt(1)
	v_mul_f64 v[234:235], v[224:225], v[98:99]
	v_fmac_f64_e32 v[234:235], v[226:227], v[96:97]
	v_add_f64 v[236:237], v[232:233], v[234:235]
	s_waitcnt vmcnt(7) lgkmcnt(0)
	v_mul_f64 v[238:239], v[228:229], v[102:103]
	ds_read_b128 v[232:235], v2 offset:1184
	v_fmac_f64_e32 v[238:239], v[230:231], v[100:101]
	v_add_f64 v[240:241], v[236:237], v[238:239]
	ds_read_b128 v[236:239], v2 offset:1200
	v_fma_f64 v[136:137], v[136:137], v[12:13], -v[14:15]
	s_waitcnt vmcnt(6) lgkmcnt(1)
	v_mul_f64 v[132:133], v[232:233], v[106:107]
	v_fmac_f64_e32 v[132:133], v[234:235], v[104:105]
	v_add_f64 v[132:133], v[240:241], v[132:133]
	s_waitcnt vmcnt(5) lgkmcnt(0)
	v_mul_f64 v[134:135], v[236:237], v[110:111]
	v_fmac_f64_e32 v[134:135], v[238:239], v[108:109]
	v_add_f64 v[132:133], v[132:133], v[134:135]
	ds_read_b128 v[12:15], v2 offset:1232
	s_waitcnt vmcnt(4)
	v_mul_f64 v[134:135], v[16:17], v[114:115]
	v_fmac_f64_e32 v[134:135], v[18:19], v[112:113]
	v_add_f64 v[138:139], v[132:133], v[134:135]
	ds_read_b128 v[132:135], v2 offset:1248
	v_mul_f64 v[10:11], v[142:143], v[10:11]
	v_fma_f64 v[140:141], v[140:141], v[8:9], -v[10:11]
	ds_read_b128 v[8:11], v2 offset:1264
	s_waitcnt vmcnt(3) lgkmcnt(2)
	v_mul_f64 v[142:143], v[12:13], v[118:119]
	v_fmac_f64_e32 v[142:143], v[14:15], v[116:117]
	v_add_f64 v[138:139], v[138:139], v[142:143]
	s_waitcnt vmcnt(2) lgkmcnt(1)
	v_mul_f64 v[142:143], v[132:133], v[122:123]
	v_fmac_f64_e32 v[142:143], v[134:135], v[120:121]
	v_add_f64 v[138:139], v[138:139], v[142:143]
	;; [unrolled: 4-line block ×3, first 2 shown]
	v_add_f64 v[142:143], v[242:243], 0
	v_add_f64 v[136:137], v[142:143], v[136:137]
	v_mul_f64 v[6:7], v[146:147], v[6:7]
	v_add_f64 v[136:137], v[136:137], v[140:141]
	v_fma_f64 v[4:5], v[144:145], v[4:5], -v[6:7]
	v_mul_f64 v[6:7], v[150:151], v[22:23]
	v_add_f64 v[4:5], v[136:137], v[4:5]
	v_fma_f64 v[6:7], v[148:149], v[20:21], -v[6:7]
	v_add_f64 v[4:5], v[4:5], v[6:7]
	v_mul_f64 v[6:7], v[154:155], v[26:27]
	v_fma_f64 v[6:7], v[152:153], v[24:25], -v[6:7]
	v_add_f64 v[4:5], v[4:5], v[6:7]
	v_mul_f64 v[6:7], v[158:159], v[30:31]
	;; [unrolled: 3-line block ×26, first 2 shown]
	v_fma_f64 v[6:7], v[8:9], v[124:125], -v[6:7]
	v_add_f64 v[4:5], v[4:5], v[6:7]
	s_waitcnt vmcnt(0)
	v_add_f64 v[4:5], v[128:129], -v[4:5]
	v_add_f64 v[6:7], v[130:131], -v[138:139]
	scratch_store_dwordx4 off, v[4:7], off offset:144
	s_and_saveexec_b64 s[0:1], vcc
	s_cbranch_execz .LBB39_239
; %bb.238:
	scratch_load_dwordx4 v[6:9], off, s53
	v_mov_b32_e32 v3, v2
	v_mov_b32_e32 v4, v2
	;; [unrolled: 1-line block ×3, first 2 shown]
	scratch_store_dwordx4 off, v[2:5], off offset:128
	s_waitcnt vmcnt(1)
	ds_write_b128 v1, v[6:9]
.LBB39_239:
	s_or_b64 exec, exec, s[0:1]
	s_waitcnt lgkmcnt(0)
	; wave barrier
	scratch_load_dwordx4 v[140:143], off, off offset:144
	scratch_load_dwordx4 v[148:151], off, off offset:160
	;; [unrolled: 1-line block ×16, first 2 shown]
	ds_read_b128 v[188:191], v2 offset:768
	ds_read_b128 v[184:187], v2 offset:784
	scratch_load_dwordx4 v[56:59], off, off offset:400
	ds_read_b128 v[192:195], v2 offset:800
	ds_read_b128 v[68:71], v2 offset:816
	scratch_load_dwordx4 v[60:63], off, off offset:416
	ds_read_b128 v[88:91], v2 offset:832
	ds_read_b128 v[84:87], v2 offset:848
	ds_read_b128 v[80:83], v2 offset:864
	ds_read_b128 v[76:79], v2 offset:880
	scratch_load_dwordx4 v[64:67], off, off offset:432
	ds_read_b128 v[100:103], v2 offset:896
	ds_read_b128 v[96:99], v2 offset:912
	scratch_load_dwordx4 v[72:75], off, off offset:448
	ds_read_b128 v[116:119], v2 offset:928
	ds_read_b128 v[112:115], v2 offset:944
	;; [unrolled: 1-line block ×4, first 2 shown]
	scratch_load_dwordx4 v[92:95], off, off offset:464
	ds_read_b128 v[132:135], v2 offset:992
	ds_read_b128 v[128:131], v2 offset:1008
	;; [unrolled: 1-line block ×3, first 2 shown]
	scratch_load_dwordx4 v[120:123], off, off offset:480
	scratch_load_dwordx4 v[136:139], off, off offset:496
	;; [unrolled: 1-line block ×11, first 2 shown]
	v_cmp_lt_u32_e32 vcc, 6, v0
	s_waitcnt vmcnt(31) lgkmcnt(14)
	v_mul_f64 v[200:201], v[188:189], v[142:143]
	s_waitcnt vmcnt(30)
	v_mul_f64 v[202:203], v[184:185], v[150:151]
	v_fmac_f64_e32 v[200:201], v[190:191], v[140:141]
	s_waitcnt vmcnt(29)
	v_mul_f64 v[204:205], v[192:193], v[154:155]
	v_fmac_f64_e32 v[202:203], v[186:187], v[148:149]
	v_add_f64 v[200:201], v[200:201], 0
	s_waitcnt vmcnt(28) lgkmcnt(13)
	v_mul_f64 v[206:207], v[68:69], v[6:7]
	v_fmac_f64_e32 v[204:205], v[194:195], v[152:153]
	v_add_f64 v[200:201], v[200:201], v[202:203]
	s_waitcnt vmcnt(27) lgkmcnt(12)
	;; [unrolled: 4-line block ×13, first 2 shown]
	v_mul_f64 v[230:231], v[128:129], v[54:55]
	v_fmac_f64_e32 v[228:229], v[134:135], v[48:49]
	v_add_f64 v[200:201], v[200:201], v[226:227]
	v_add_f64 v[200:201], v[200:201], v[228:229]
	v_fmac_f64_e32 v[230:231], v[130:131], v[52:53]
	v_add_f64 v[204:205], v[200:201], v[230:231]
	ds_read_b128 v[200:203], v2 offset:1040
	s_waitcnt vmcnt(15) lgkmcnt(1)
	v_mul_f64 v[206:207], v[124:125], v[58:59]
	v_fmac_f64_e32 v[206:207], v[126:127], v[56:57]
	v_add_f64 v[208:209], v[204:205], v[206:207]
	ds_read_b128 v[204:207], v2 offset:1056
	s_waitcnt vmcnt(14) lgkmcnt(1)
	v_mul_f64 v[210:211], v[200:201], v[62:63]
	;; [unrolled: 5-line block ×10, first 2 shown]
	v_fmac_f64_e32 v[242:243], v[234:235], v[160:161]
	v_mul_f64 v[142:143], v[190:191], v[142:143]
	v_add_f64 v[242:243], v[240:241], v[242:243]
	v_fma_f64 v[240:241], v[188:189], v[140:141], -v[142:143]
	ds_read_b128 v[140:143], v2 offset:1200
	s_waitcnt vmcnt(5) lgkmcnt(1)
	v_mul_f64 v[188:189], v[236:237], v[166:167]
	v_fmac_f64_e32 v[188:189], v[238:239], v[164:165]
	v_mul_f64 v[150:151], v[186:187], v[150:151]
	v_add_f64 v[188:189], v[242:243], v[188:189]
	v_fma_f64 v[242:243], v[184:185], v[148:149], -v[150:151]
	ds_read_b128 v[148:151], v2 offset:1216
	s_waitcnt vmcnt(4) lgkmcnt(1)
	v_mul_f64 v[184:185], v[140:141], v[170:171]
	v_fmac_f64_e32 v[184:185], v[142:143], v[168:169]
	v_add_f64 v[188:189], v[188:189], v[184:185]
	ds_read_b128 v[184:187], v2 offset:1232
	v_mul_f64 v[154:155], v[194:195], v[154:155]
	s_waitcnt vmcnt(3) lgkmcnt(1)
	v_mul_f64 v[190:191], v[148:149], v[174:175]
	v_fma_f64 v[246:247], v[192:193], v[152:153], -v[154:155]
	ds_read_b128 v[152:155], v2 offset:1248
	v_fmac_f64_e32 v[190:191], v[150:151], v[172:173]
	v_add_f64 v[244:245], v[188:189], v[190:191]
	ds_read_b128 v[188:191], v2 offset:1264
	s_waitcnt vmcnt(2) lgkmcnt(2)
	v_mul_f64 v[192:193], v[184:185], v[178:179]
	v_fmac_f64_e32 v[192:193], v[186:187], v[176:177]
	v_add_f64 v[2:3], v[244:245], v[192:193]
	s_waitcnt vmcnt(1) lgkmcnt(1)
	v_mul_f64 v[192:193], v[152:153], v[182:183]
	v_fmac_f64_e32 v[192:193], v[154:155], v[180:181]
	v_add_f64 v[2:3], v[2:3], v[192:193]
	;; [unrolled: 4-line block ×3, first 2 shown]
	scratch_load_dwordx4 v[192:195], off, off offset:128
	v_add_f64 v[240:241], v[240:241], 0
	v_add_f64 v[240:241], v[240:241], v[242:243]
	v_mul_f64 v[6:7], v[70:71], v[6:7]
	v_add_f64 v[240:241], v[240:241], v[246:247]
	v_fma_f64 v[4:5], v[68:69], v[4:5], -v[6:7]
	v_mul_f64 v[6:7], v[90:91], v[10:11]
	v_add_f64 v[4:5], v[240:241], v[4:5]
	v_fma_f64 v[6:7], v[88:89], v[8:9], -v[6:7]
	v_add_f64 v[4:5], v[4:5], v[6:7]
	v_mul_f64 v[6:7], v[86:87], v[14:15]
	v_fma_f64 v[6:7], v[84:85], v[12:13], -v[6:7]
	v_add_f64 v[4:5], v[4:5], v[6:7]
	v_mul_f64 v[6:7], v[82:83], v[18:19]
	;; [unrolled: 3-line block ×27, first 2 shown]
	v_fma_f64 v[6:7], v[188:189], v[196:197], -v[6:7]
	v_add_f64 v[4:5], v[4:5], v[6:7]
	s_waitcnt vmcnt(0)
	v_add_f64 v[4:5], v[192:193], -v[4:5]
	v_add_f64 v[6:7], v[194:195], -v[2:3]
	scratch_store_dwordx4 off, v[4:7], off offset:128
	s_and_saveexec_b64 s[0:1], vcc
	s_cbranch_execz .LBB39_241
; %bb.240:
	scratch_load_dwordx4 v[2:5], off, s22
	v_mov_b32_e32 v6, 0
	v_mov_b32_e32 v7, v6
	;; [unrolled: 1-line block ×4, first 2 shown]
	scratch_store_dwordx4 off, v[6:9], off offset:112
	s_waitcnt vmcnt(1)
	ds_write_b128 v1, v[2:5]
.LBB39_241:
	s_or_b64 exec, exec, s[0:1]
	s_waitcnt lgkmcnt(0)
	; wave barrier
	scratch_load_dwordx4 v[108:111], off, off offset:128
	scratch_load_dwordx4 v[116:119], off, off offset:144
	;; [unrolled: 1-line block ×33, first 2 shown]
	v_mov_b32_e32 v2, 0
	ds_read_b128 v[220:223], v2 offset:752
	ds_read_b128 v[224:227], v2 offset:768
	;; [unrolled: 1-line block ×16, first 2 shown]
	v_cmp_lt_u32_e32 vcc, 5, v0
	s_waitcnt vmcnt(32) lgkmcnt(14)
	v_mul_f64 v[180:181], v[220:221], v[110:111]
	s_waitcnt vmcnt(31)
	v_mul_f64 v[182:183], v[224:225], v[118:119]
	v_fmac_f64_e32 v[180:181], v[222:223], v[108:109]
	s_waitcnt vmcnt(30) lgkmcnt(13)
	v_mul_f64 v[184:185], v[234:235], v[122:123]
	v_fmac_f64_e32 v[182:183], v[226:227], v[116:117]
	v_add_f64 v[180:181], v[180:181], 0
	s_waitcnt vmcnt(29) lgkmcnt(12)
	v_mul_f64 v[186:187], v[238:239], v[126:127]
	v_fmac_f64_e32 v[184:185], v[236:237], v[120:121]
	v_add_f64 v[180:181], v[180:181], v[182:183]
	;; [unrolled: 4-line block ×13, first 2 shown]
	v_fmac_f64_e32 v[208:209], v[142:143], v[40:41]
	v_add_f64 v[180:181], v[180:181], v[206:207]
	v_add_f64 v[184:185], v[180:181], v[208:209]
	ds_read_b128 v[180:183], v2 offset:1008
	s_waitcnt vmcnt(17) lgkmcnt(1)
	v_mul_f64 v[186:187], v[136:137], v[46:47]
	v_fmac_f64_e32 v[186:187], v[138:139], v[44:45]
	v_add_f64 v[188:189], v[184:185], v[186:187]
	ds_read_b128 v[184:187], v2 offset:1024
	s_waitcnt vmcnt(16) lgkmcnt(1)
	v_mul_f64 v[190:191], v[180:181], v[50:51]
	v_fmac_f64_e32 v[190:191], v[182:183], v[48:49]
	;; [unrolled: 5-line block ×10, first 2 shown]
	v_mul_f64 v[110:111], v[222:223], v[110:111]
	v_add_f64 v[228:229], v[228:229], v[230:231]
	v_fma_f64 v[230:231], v[220:221], v[108:109], -v[110:111]
	ds_read_b128 v[108:111], v2 offset:1168
	s_waitcnt vmcnt(7) lgkmcnt(1)
	v_mul_f64 v[220:221], v[216:217], v[86:87]
	v_mul_f64 v[118:119], v[226:227], v[118:119]
	v_fmac_f64_e32 v[220:221], v[218:219], v[84:85]
	v_fma_f64 v[232:233], v[224:225], v[116:117], -v[118:119]
	ds_read_b128 v[116:119], v2 offset:1184
	s_waitcnt vmcnt(6) lgkmcnt(1)
	v_mul_f64 v[222:223], v[108:109], v[90:91]
	v_add_f64 v[220:221], v[228:229], v[220:221]
	v_fmac_f64_e32 v[222:223], v[110:111], v[88:89]
	v_add_f64 v[224:225], v[220:221], v[222:223]
	ds_read_b128 v[220:223], v2 offset:1200
	v_mul_f64 v[122:123], v[236:237], v[122:123]
	v_fma_f64 v[234:235], v[234:235], v[120:121], -v[122:123]
	ds_read_b128 v[120:123], v2 offset:1216
	s_waitcnt vmcnt(5) lgkmcnt(2)
	v_mul_f64 v[226:227], v[116:117], v[94:95]
	v_fmac_f64_e32 v[226:227], v[118:119], v[92:93]
	v_mul_f64 v[126:127], v[240:241], v[126:127]
	v_add_f64 v[224:225], v[224:225], v[226:227]
	s_waitcnt vmcnt(4) lgkmcnt(1)
	v_mul_f64 v[226:227], v[220:221], v[98:99]
	v_fma_f64 v[236:237], v[238:239], v[124:125], -v[126:127]
	ds_read_b128 v[124:127], v2 offset:1232
	v_fmac_f64_e32 v[226:227], v[222:223], v[96:97]
	v_add_f64 v[228:229], v[224:225], v[226:227]
	s_waitcnt vmcnt(3) lgkmcnt(1)
	v_mul_f64 v[238:239], v[120:121], v[102:103]
	ds_read_b128 v[224:227], v2 offset:1248
	v_fmac_f64_e32 v[238:239], v[122:123], v[100:101]
	v_mul_f64 v[130:131], v[244:245], v[130:131]
	v_add_f64 v[228:229], v[228:229], v[238:239]
	v_fma_f64 v[238:239], v[242:243], v[128:129], -v[130:131]
	ds_read_b128 v[128:131], v2 offset:1264
	s_waitcnt vmcnt(2) lgkmcnt(2)
	v_mul_f64 v[240:241], v[124:125], v[106:107]
	v_fmac_f64_e32 v[240:241], v[126:127], v[104:105]
	v_add_f64 v[228:229], v[228:229], v[240:241]
	s_waitcnt vmcnt(1) lgkmcnt(1)
	v_mul_f64 v[240:241], v[224:225], v[114:115]
	v_fmac_f64_e32 v[240:241], v[226:227], v[112:113]
	v_add_f64 v[228:229], v[228:229], v[240:241]
	;; [unrolled: 4-line block ×3, first 2 shown]
	scratch_load_dwordx4 v[240:243], off, off offset:112
	v_add_f64 v[230:231], v[230:231], 0
	v_add_f64 v[230:231], v[230:231], v[232:233]
	;; [unrolled: 1-line block ×4, first 2 shown]
	v_mul_f64 v[6:7], v[178:179], v[6:7]
	v_add_f64 v[230:231], v[230:231], v[238:239]
	v_fma_f64 v[4:5], v[176:177], v[4:5], -v[6:7]
	v_mul_f64 v[6:7], v[174:175], v[10:11]
	v_add_f64 v[4:5], v[230:231], v[4:5]
	v_fma_f64 v[6:7], v[172:173], v[8:9], -v[6:7]
	v_add_f64 v[4:5], v[4:5], v[6:7]
	v_mul_f64 v[6:7], v[170:171], v[14:15]
	v_fma_f64 v[6:7], v[168:169], v[12:13], -v[6:7]
	v_add_f64 v[4:5], v[4:5], v[6:7]
	v_mul_f64 v[6:7], v[166:167], v[18:19]
	;; [unrolled: 3-line block ×26, first 2 shown]
	v_fma_f64 v[6:7], v[128:129], v[132:133], -v[6:7]
	v_add_f64 v[4:5], v[4:5], v[6:7]
	s_waitcnt vmcnt(0)
	v_add_f64 v[4:5], v[240:241], -v[4:5]
	v_add_f64 v[6:7], v[242:243], -v[228:229]
	scratch_store_dwordx4 off, v[4:7], off offset:112
	s_and_saveexec_b64 s[0:1], vcc
	s_cbranch_execz .LBB39_243
; %bb.242:
	scratch_load_dwordx4 v[6:9], off, s21
	v_mov_b32_e32 v3, v2
	v_mov_b32_e32 v4, v2
	;; [unrolled: 1-line block ×3, first 2 shown]
	scratch_store_dwordx4 off, v[2:5], off offset:96
	s_waitcnt vmcnt(1)
	ds_write_b128 v1, v[6:9]
.LBB39_243:
	s_or_b64 exec, exec, s[0:1]
	s_waitcnt lgkmcnt(0)
	; wave barrier
	scratch_load_dwordx4 v[144:147], off, off offset:112
	scratch_load_dwordx4 v[152:155], off, off offset:128
	;; [unrolled: 1-line block ×16, first 2 shown]
	ds_read_b128 v[196:199], v2 offset:736
	ds_read_b128 v[188:191], v2 offset:752
	ds_read_b128 v[180:183], v2 offset:768
	scratch_load_dwordx4 v[48:51], off, off offset:368
	ds_read_b128 v[192:195], v2 offset:784
	ds_read_b128 v[184:187], v2 offset:800
	ds_read_b128 v[64:67], v2 offset:816
	scratch_load_dwordx4 v[52:55], off, off offset:384
	;; [unrolled: 4-line block ×5, first 2 shown]
	ds_read_b128 v[116:119], v2 offset:976
	ds_read_b128 v[112:115], v2 offset:992
	scratch_load_dwordx4 v[108:111], off, off offset:448
	scratch_load_dwordx4 v[120:123], off, off offset:464
	;; [unrolled: 1-line block ×12, first 2 shown]
	v_cmp_lt_u32_e32 vcc, 4, v0
	s_waitcnt vmcnt(32) lgkmcnt(14)
	v_mul_f64 v[204:205], v[196:197], v[146:147]
	s_waitcnt vmcnt(31)
	v_mul_f64 v[206:207], v[188:189], v[154:155]
	v_fmac_f64_e32 v[204:205], v[198:199], v[144:145]
	s_waitcnt vmcnt(30)
	v_mul_f64 v[208:209], v[180:181], v[158:159]
	v_fmac_f64_e32 v[206:207], v[190:191], v[152:153]
	v_add_f64 v[204:205], v[204:205], 0
	s_waitcnt vmcnt(29) lgkmcnt(13)
	v_mul_f64 v[210:211], v[192:193], v[162:163]
	v_fmac_f64_e32 v[208:209], v[182:183], v[156:157]
	v_add_f64 v[204:205], v[204:205], v[206:207]
	s_waitcnt vmcnt(28) lgkmcnt(12)
	;; [unrolled: 4-line block ×12, first 2 shown]
	v_mul_f64 v[232:233], v[96:97], v[42:43]
	v_fmac_f64_e32 v[230:231], v[102:103], v[36:37]
	v_add_f64 v[204:205], v[204:205], v[228:229]
	v_fmac_f64_e32 v[232:233], v[98:99], v[40:41]
	v_add_f64 v[204:205], v[204:205], v[230:231]
	s_waitcnt vmcnt(17) lgkmcnt(1)
	v_mul_f64 v[206:207], v[116:117], v[46:47]
	v_add_f64 v[204:205], v[204:205], v[232:233]
	v_fmac_f64_e32 v[206:207], v[118:119], v[44:45]
	s_waitcnt vmcnt(16) lgkmcnt(0)
	v_mul_f64 v[210:211], v[112:113], v[50:51]
	v_add_f64 v[208:209], v[204:205], v[206:207]
	ds_read_b128 v[204:207], v2 offset:1008
	v_fmac_f64_e32 v[210:211], v[114:115], v[48:49]
	v_add_f64 v[212:213], v[208:209], v[210:211]
	ds_read_b128 v[208:211], v2 offset:1024
	v_mul_f64 v[146:147], v[198:199], v[146:147]
	s_waitcnt vmcnt(15) lgkmcnt(1)
	v_mul_f64 v[214:215], v[204:205], v[54:55]
	v_fmac_f64_e32 v[214:215], v[206:207], v[52:53]
	v_add_f64 v[216:217], v[212:213], v[214:215]
	s_waitcnt vmcnt(14) lgkmcnt(0)
	v_mul_f64 v[218:219], v[208:209], v[58:59]
	ds_read_b128 v[212:215], v2 offset:1040
	v_fmac_f64_e32 v[218:219], v[210:211], v[56:57]
	v_add_f64 v[220:221], v[216:217], v[218:219]
	ds_read_b128 v[216:219], v2 offset:1056
	v_mul_f64 v[154:155], v[190:191], v[154:155]
	s_waitcnt vmcnt(13) lgkmcnt(1)
	v_mul_f64 v[222:223], v[212:213], v[62:63]
	v_fmac_f64_e32 v[222:223], v[214:215], v[60:61]
	v_add_f64 v[224:225], v[220:221], v[222:223]
	s_waitcnt vmcnt(12) lgkmcnt(0)
	v_mul_f64 v[226:227], v[216:217], v[94:95]
	ds_read_b128 v[220:223], v2 offset:1072
	v_fmac_f64_e32 v[226:227], v[218:219], v[92:93]
	v_add_f64 v[228:229], v[224:225], v[226:227]
	ds_read_b128 v[224:227], v2 offset:1088
	v_fma_f64 v[244:245], v[188:189], v[152:153], -v[154:155]
	s_waitcnt vmcnt(11) lgkmcnt(1)
	v_mul_f64 v[230:231], v[220:221], v[110:111]
	v_fmac_f64_e32 v[230:231], v[222:223], v[108:109]
	v_add_f64 v[232:233], v[228:229], v[230:231]
	s_waitcnt vmcnt(10) lgkmcnt(0)
	v_mul_f64 v[234:235], v[224:225], v[122:123]
	ds_read_b128 v[228:231], v2 offset:1104
	v_fmac_f64_e32 v[234:235], v[226:227], v[120:121]
	v_add_f64 v[236:237], v[232:233], v[234:235]
	ds_read_b128 v[232:235], v2 offset:1120
	ds_read_b128 v[152:155], v2 offset:1168
	s_waitcnt vmcnt(9) lgkmcnt(2)
	v_mul_f64 v[238:239], v[228:229], v[126:127]
	v_fmac_f64_e32 v[238:239], v[230:231], v[124:125]
	v_add_f64 v[240:241], v[236:237], v[238:239]
	s_waitcnt vmcnt(8) lgkmcnt(1)
	v_mul_f64 v[242:243], v[232:233], v[130:131]
	ds_read_b128 v[236:239], v2 offset:1136
	v_fmac_f64_e32 v[242:243], v[234:235], v[128:129]
	v_add_f64 v[240:241], v[240:241], v[242:243]
	v_fma_f64 v[242:243], v[196:197], v[144:145], -v[146:147]
	ds_read_b128 v[144:147], v2 offset:1152
	s_waitcnt vmcnt(7) lgkmcnt(1)
	v_mul_f64 v[196:197], v[236:237], v[134:135]
	v_fmac_f64_e32 v[196:197], v[238:239], v[132:133]
	v_add_f64 v[188:189], v[240:241], v[196:197]
	v_mul_f64 v[158:159], v[182:183], v[158:159]
	s_waitcnt vmcnt(6) lgkmcnt(0)
	v_mul_f64 v[190:191], v[144:145], v[138:139]
	v_fmac_f64_e32 v[190:191], v[146:147], v[136:137]
	v_add_f64 v[196:197], v[188:189], v[190:191]
	ds_read_b128 v[188:191], v2 offset:1184
	v_fma_f64 v[240:241], v[180:181], v[156:157], -v[158:159]
	ds_read_b128 v[156:159], v2 offset:1200
	s_waitcnt vmcnt(5)
	v_mul_f64 v[198:199], v[152:153], v[142:143]
	v_fmac_f64_e32 v[198:199], v[154:155], v[140:141]
	s_waitcnt vmcnt(4) lgkmcnt(1)
	v_mul_f64 v[180:181], v[188:189], v[150:151]
	v_add_f64 v[196:197], v[196:197], v[198:199]
	v_fmac_f64_e32 v[180:181], v[190:191], v[148:149]
	v_mul_f64 v[162:163], v[194:195], v[162:163]
	v_add_f64 v[198:199], v[196:197], v[180:181]
	v_fma_f64 v[196:197], v[192:193], v[160:161], -v[162:163]
	ds_read_b128 v[160:163], v2 offset:1216
	s_waitcnt vmcnt(3) lgkmcnt(1)
	v_mul_f64 v[192:193], v[156:157], v[166:167]
	ds_read_b128 v[180:183], v2 offset:1232
	v_fmac_f64_e32 v[192:193], v[158:159], v[164:165]
	v_mul_f64 v[170:171], v[186:187], v[170:171]
	v_add_f64 v[192:193], v[198:199], v[192:193]
	v_fma_f64 v[198:199], v[184:185], v[168:169], -v[170:171]
	ds_read_b128 v[168:171], v2 offset:1248
	s_waitcnt vmcnt(2) lgkmcnt(2)
	v_mul_f64 v[184:185], v[160:161], v[174:175]
	v_fmac_f64_e32 v[184:185], v[162:163], v[172:173]
	s_waitcnt vmcnt(1) lgkmcnt(1)
	v_mul_f64 v[186:187], v[180:181], v[178:179]
	v_add_f64 v[184:185], v[192:193], v[184:185]
	v_fmac_f64_e32 v[186:187], v[182:183], v[176:177]
	v_add_f64 v[184:185], v[184:185], v[186:187]
	s_waitcnt vmcnt(0) lgkmcnt(0)
	v_mul_f64 v[186:187], v[168:169], v[202:203]
	v_fmac_f64_e32 v[186:187], v[170:171], v[200:201]
	v_add_f64 v[246:247], v[184:185], v[186:187]
	scratch_load_dwordx4 v[184:187], off, off offset:640
	v_add_f64 v[242:243], v[242:243], 0
	v_add_f64 v[242:243], v[242:243], v[244:245]
	;; [unrolled: 1-line block ×3, first 2 shown]
	scratch_load_dwordx4 v[242:245], off, off offset:96
	v_add_f64 v[196:197], v[240:241], v[196:197]
	v_mul_f64 v[6:7], v[66:67], v[6:7]
	v_add_f64 v[196:197], v[196:197], v[198:199]
	v_fma_f64 v[4:5], v[64:65], v[4:5], -v[6:7]
	v_mul_f64 v[6:7], v[78:79], v[10:11]
	v_add_f64 v[4:5], v[196:197], v[4:5]
	v_fma_f64 v[6:7], v[76:77], v[8:9], -v[6:7]
	v_add_f64 v[4:5], v[4:5], v[6:7]
	v_mul_f64 v[6:7], v[74:75], v[14:15]
	v_fma_f64 v[6:7], v[72:73], v[12:13], -v[6:7]
	v_add_f64 v[4:5], v[4:5], v[6:7]
	v_mul_f64 v[6:7], v[70:71], v[18:19]
	;; [unrolled: 3-line block ×24, first 2 shown]
	ds_read_b128 v[192:195], v2 offset:1264
	v_fma_f64 v[6:7], v[160:161], v[172:173], -v[6:7]
	v_add_f64 v[4:5], v[4:5], v[6:7]
	v_mul_f64 v[6:7], v[182:183], v[178:179]
	v_fma_f64 v[6:7], v[180:181], v[176:177], -v[6:7]
	v_add_f64 v[4:5], v[4:5], v[6:7]
	v_mul_f64 v[6:7], v[170:171], v[202:203]
	v_fma_f64 v[6:7], v[168:169], v[200:201], -v[6:7]
	s_waitcnt vmcnt(1) lgkmcnt(0)
	v_mul_f64 v[2:3], v[192:193], v[186:187]
	v_add_f64 v[4:5], v[4:5], v[6:7]
	v_mul_f64 v[6:7], v[194:195], v[186:187]
	v_fmac_f64_e32 v[2:3], v[194:195], v[184:185]
	v_fma_f64 v[6:7], v[192:193], v[184:185], -v[6:7]
	v_add_f64 v[2:3], v[246:247], v[2:3]
	v_add_f64 v[4:5], v[4:5], v[6:7]
	s_waitcnt vmcnt(0)
	v_add_f64 v[4:5], v[242:243], -v[4:5]
	v_add_f64 v[6:7], v[244:245], -v[2:3]
	scratch_store_dwordx4 off, v[4:7], off offset:96
	s_and_saveexec_b64 s[0:1], vcc
	s_cbranch_execz .LBB39_245
; %bb.244:
	scratch_load_dwordx4 v[2:5], off, s14
	v_mov_b32_e32 v6, 0
	v_mov_b32_e32 v7, v6
	;; [unrolled: 1-line block ×4, first 2 shown]
	scratch_store_dwordx4 off, v[6:9], off offset:80
	s_waitcnt vmcnt(1)
	ds_write_b128 v1, v[2:5]
.LBB39_245:
	s_or_b64 exec, exec, s[0:1]
	s_waitcnt lgkmcnt(0)
	; wave barrier
	scratch_load_dwordx4 v[184:187], off, off offset:96
	scratch_load_dwordx4 v[188:191], off, off offset:112
	;; [unrolled: 1-line block ×32, first 2 shown]
	v_mov_b32_e32 v2, 0
	ds_read_b128 v[192:195], v2 offset:720
	ds_read_b128 v[204:207], v2 offset:736
	;; [unrolled: 1-line block ×16, first 2 shown]
	v_cmp_lt_u32_e32 vcc, 3, v0
	s_waitcnt vmcnt(31) lgkmcnt(14)
	v_mul_f64 v[104:105], v[192:193], v[186:187]
	s_waitcnt vmcnt(30)
	v_mul_f64 v[106:107], v[204:205], v[190:191]
	v_fmac_f64_e32 v[104:105], v[194:195], v[184:185]
	s_waitcnt vmcnt(29) lgkmcnt(13)
	v_mul_f64 v[112:113], v[216:217], v[198:199]
	v_fmac_f64_e32 v[106:107], v[206:207], v[188:189]
	v_add_f64 v[104:105], v[104:105], 0
	s_waitcnt vmcnt(28) lgkmcnt(12)
	v_mul_f64 v[114:115], v[224:225], v[202:203]
	v_fmac_f64_e32 v[112:113], v[218:219], v[196:197]
	v_add_f64 v[104:105], v[104:105], v[106:107]
	;; [unrolled: 4-line block ×10, first 2 shown]
	ds_read_b128 v[152:155], v2 offset:976
	ds_read_b128 v[156:159], v2 offset:992
	s_waitcnt vmcnt(19) lgkmcnt(5)
	v_mul_f64 v[164:165], v[124:125], v[26:27]
	v_fmac_f64_e32 v[162:163], v[134:135], v[20:21]
	v_add_f64 v[104:105], v[104:105], v[160:161]
	s_waitcnt vmcnt(18) lgkmcnt(4)
	v_mul_f64 v[166:167], v[120:121], v[30:31]
	v_fmac_f64_e32 v[164:165], v[126:127], v[24:25]
	v_add_f64 v[104:105], v[104:105], v[162:163]
	;; [unrolled: 4-line block ×4, first 2 shown]
	v_add_f64 v[112:113], v[104:105], v[168:169]
	v_fmac_f64_e32 v[170:171], v[110:111], v[36:37]
	scratch_load_dwordx4 v[104:107], off, off offset:608
	s_waitcnt vmcnt(16) lgkmcnt(1)
	v_mul_f64 v[114:115], v[152:153], v[42:43]
	v_add_f64 v[112:113], v[112:113], v[170:171]
	v_fmac_f64_e32 v[114:115], v[154:155], v[40:41]
	v_add_f64 v[128:129], v[112:113], v[114:115]
	scratch_load_dwordx4 v[112:115], off, off offset:624
	s_waitcnt vmcnt(16) lgkmcnt(0)
	v_mul_f64 v[130:131], v[156:157], v[46:47]
	v_fmac_f64_e32 v[130:131], v[158:159], v[44:45]
	v_add_f64 v[168:169], v[128:129], v[130:131]
	scratch_load_dwordx4 v[128:131], off, off offset:640
	ds_read_b128 v[160:163], v2 offset:1008
	ds_read_b128 v[164:167], v2 offset:1024
	v_mul_f64 v[186:187], v[194:195], v[186:187]
	v_fma_f64 v[246:247], v[192:193], v[184:185], -v[186:187]
	ds_read_b128 v[184:187], v2 offset:1104
	s_waitcnt vmcnt(16) lgkmcnt(2)
	v_mul_f64 v[170:171], v[160:161], v[50:51]
	v_fmac_f64_e32 v[170:171], v[162:163], v[48:49]
	s_waitcnt vmcnt(15) lgkmcnt(1)
	v_mul_f64 v[174:175], v[164:165], v[54:55]
	v_add_f64 v[172:173], v[168:169], v[170:171]
	ds_read_b128 v[168:171], v2 offset:1040
	v_fmac_f64_e32 v[174:175], v[166:167], v[52:53]
	v_add_f64 v[176:177], v[172:173], v[174:175]
	ds_read_b128 v[172:175], v2 offset:1056
	v_mul_f64 v[190:191], v[206:207], v[190:191]
	s_waitcnt vmcnt(14) lgkmcnt(1)
	v_mul_f64 v[178:179], v[168:169], v[58:59]
	v_fmac_f64_e32 v[178:179], v[170:171], v[56:57]
	v_add_f64 v[180:181], v[176:177], v[178:179]
	s_waitcnt vmcnt(13) lgkmcnt(0)
	v_mul_f64 v[182:183], v[172:173], v[62:63]
	ds_read_b128 v[176:179], v2 offset:1072
	v_fmac_f64_e32 v[182:183], v[174:175], v[60:61]
	v_add_f64 v[232:233], v[180:181], v[182:183]
	ds_read_b128 v[180:183], v2 offset:1088
	v_fma_f64 v[248:249], v[204:205], v[188:189], -v[190:191]
	s_waitcnt vmcnt(12) lgkmcnt(1)
	v_mul_f64 v[234:235], v[176:177], v[66:67]
	v_fmac_f64_e32 v[234:235], v[178:179], v[64:65]
	v_add_f64 v[232:233], v[232:233], v[234:235]
	s_waitcnt vmcnt(11) lgkmcnt(0)
	v_mul_f64 v[192:193], v[180:181], v[70:71]
	v_fmac_f64_e32 v[192:193], v[182:183], v[68:69]
	ds_read_b128 v[188:191], v2 offset:1120
	s_waitcnt vmcnt(10)
	v_mul_f64 v[194:195], v[184:185], v[74:75]
	v_add_f64 v[192:193], v[232:233], v[192:193]
	v_fmac_f64_e32 v[194:195], v[186:187], v[72:73]
	v_add_f64 v[204:205], v[192:193], v[194:195]
	ds_read_b128 v[192:195], v2 offset:1136
	v_mul_f64 v[198:199], v[218:219], v[198:199]
	v_fma_f64 v[250:251], v[216:217], v[196:197], -v[198:199]
	ds_read_b128 v[196:199], v2 offset:1152
	s_waitcnt vmcnt(9) lgkmcnt(2)
	v_mul_f64 v[206:207], v[188:189], v[78:79]
	v_fmac_f64_e32 v[206:207], v[190:191], v[76:77]
	v_add_f64 v[204:205], v[204:205], v[206:207]
	s_waitcnt vmcnt(8) lgkmcnt(1)
	v_mul_f64 v[206:207], v[192:193], v[82:83]
	v_fmac_f64_e32 v[206:207], v[194:195], v[80:81]
	v_mul_f64 v[202:203], v[226:227], v[202:203]
	v_add_f64 v[204:205], v[204:205], v[206:207]
	v_fma_f64 v[234:235], v[224:225], v[200:201], -v[202:203]
	ds_read_b128 v[200:203], v2 offset:1168
	s_waitcnt vmcnt(7) lgkmcnt(1)
	v_mul_f64 v[206:207], v[196:197], v[86:87]
	v_fmac_f64_e32 v[206:207], v[198:199], v[84:85]
	v_add_f64 v[216:217], v[204:205], v[206:207]
	ds_read_b128 v[204:207], v2 offset:1184
	v_mul_f64 v[210:211], v[230:231], v[210:211]
	v_fma_f64 v[236:237], v[228:229], v[208:209], -v[210:211]
	ds_read_b128 v[208:211], v2 offset:1200
	s_waitcnt vmcnt(6) lgkmcnt(2)
	v_mul_f64 v[218:219], v[200:201], v[90:91]
	v_fmac_f64_e32 v[218:219], v[202:203], v[88:89]
	v_add_f64 v[216:217], v[216:217], v[218:219]
	s_waitcnt vmcnt(5) lgkmcnt(1)
	v_mul_f64 v[218:219], v[204:205], v[94:95]
	v_fmac_f64_e32 v[218:219], v[206:207], v[92:93]
	v_mul_f64 v[214:215], v[240:241], v[214:215]
	v_fma_f64 v[238:239], v[238:239], v[212:213], -v[214:215]
	ds_read_b128 v[212:215], v2 offset:1216
	v_add_f64 v[216:217], v[216:217], v[218:219]
	s_waitcnt vmcnt(4) lgkmcnt(1)
	v_mul_f64 v[218:219], v[208:209], v[102:103]
	v_fmac_f64_e32 v[218:219], v[210:211], v[100:101]
	v_add_f64 v[224:225], v[216:217], v[218:219]
	ds_read_b128 v[216:219], v2 offset:1232
	v_mul_f64 v[222:223], v[244:245], v[222:223]
	v_fma_f64 v[240:241], v[242:243], v[220:221], -v[222:223]
	ds_read_b128 v[220:223], v2 offset:1248
	s_waitcnt vmcnt(3) lgkmcnt(2)
	v_mul_f64 v[226:227], v[212:213], v[98:99]
	v_fmac_f64_e32 v[226:227], v[214:215], v[96:97]
	v_add_f64 v[224:225], v[224:225], v[226:227]
	s_waitcnt vmcnt(2) lgkmcnt(1)
	v_mul_f64 v[226:227], v[216:217], v[106:107]
	v_fmac_f64_e32 v[226:227], v[218:219], v[104:105]
	v_add_f64 v[224:225], v[224:225], v[226:227]
	;; [unrolled: 4-line block ×3, first 2 shown]
	ds_read_b128 v[224:227], v2 offset:1264
	v_mul_f64 v[6:7], v[150:151], v[6:7]
	v_fma_f64 v[4:5], v[148:149], v[4:5], -v[6:7]
	v_mul_f64 v[6:7], v[146:147], v[10:11]
	v_fma_f64 v[6:7], v[144:145], v[8:9], -v[6:7]
	s_waitcnt vmcnt(0) lgkmcnt(0)
	v_mul_f64 v[230:231], v[224:225], v[130:131]
	v_fmac_f64_e32 v[230:231], v[226:227], v[128:129]
	v_add_f64 v[232:233], v[228:229], v[230:231]
	v_add_f64 v[228:229], v[246:247], 0
	;; [unrolled: 1-line block ×4, first 2 shown]
	scratch_load_dwordx4 v[228:231], off, off offset:80
	v_add_f64 v[234:235], v[242:243], v[234:235]
	v_add_f64 v[234:235], v[234:235], v[236:237]
	;; [unrolled: 1-line block ×6, first 2 shown]
	v_mul_f64 v[6:7], v[142:143], v[14:15]
	v_fma_f64 v[6:7], v[140:141], v[12:13], -v[6:7]
	v_add_f64 v[4:5], v[4:5], v[6:7]
	v_mul_f64 v[6:7], v[138:139], v[18:19]
	v_fma_f64 v[6:7], v[136:137], v[16:17], -v[6:7]
	v_add_f64 v[4:5], v[4:5], v[6:7]
	;; [unrolled: 3-line block ×26, first 2 shown]
	s_waitcnt vmcnt(0)
	v_add_f64 v[4:5], v[228:229], -v[4:5]
	v_add_f64 v[6:7], v[230:231], -v[232:233]
	scratch_store_dwordx4 off, v[4:7], off offset:80
	s_and_saveexec_b64 s[0:1], vcc
	s_cbranch_execz .LBB39_247
; %bb.246:
	scratch_load_dwordx4 v[6:9], off, s13
	v_mov_b32_e32 v3, v2
	v_mov_b32_e32 v4, v2
	;; [unrolled: 1-line block ×3, first 2 shown]
	scratch_store_dwordx4 off, v[2:5], off offset:64
	s_waitcnt vmcnt(1)
	ds_write_b128 v1, v[6:9]
.LBB39_247:
	s_or_b64 exec, exec, s[0:1]
	s_waitcnt lgkmcnt(0)
	; wave barrier
	scratch_load_dwordx4 v[140:143], off, off offset:80
	scratch_load_dwordx4 v[144:147], off, off offset:96
	;; [unrolled: 1-line block ×16, first 2 shown]
	ds_read_b128 v[208:211], v2 offset:704
	ds_read_b128 v[200:203], v2 offset:720
	;; [unrolled: 1-line block ×3, first 2 shown]
	scratch_load_dwordx4 v[40:43], off, off offset:336
	ds_read_b128 v[204:207], v2 offset:752
	ds_read_b128 v[192:195], v2 offset:768
	ds_read_b128 v[184:187], v2 offset:784
	scratch_load_dwordx4 v[44:47], off, off offset:352
	ds_read_b128 v[196:199], v2 offset:800
	ds_read_b128 v[64:67], v2 offset:816
	;; [unrolled: 1-line block ×4, first 2 shown]
	scratch_load_dwordx4 v[48:51], off, off offset:368
	ds_read_b128 v[72:75], v2 offset:864
	ds_read_b128 v[68:71], v2 offset:880
	scratch_load_dwordx4 v[56:59], off, off offset:384
	ds_read_b128 v[92:95], v2 offset:896
	ds_read_b128 v[88:91], v2 offset:912
	ds_read_b128 v[84:87], v2 offset:928
	ds_read_b128 v[80:83], v2 offset:944
	scratch_load_dwordx4 v[76:79], off, off offset:400
	scratch_load_dwordx4 v[96:99], off, off offset:416
	;; [unrolled: 1-line block ×12, first 2 shown]
	ds_read_b128 v[168:171], v2 offset:960
	v_cmp_lt_u32_e32 vcc, 2, v0
	s_waitcnt vmcnt(31) lgkmcnt(14)
	v_mul_f64 v[172:173], v[208:209], v[142:143]
	s_waitcnt vmcnt(30)
	v_mul_f64 v[174:175], v[200:201], v[146:147]
	v_fmac_f64_e32 v[172:173], v[210:211], v[140:141]
	s_waitcnt vmcnt(29)
	v_mul_f64 v[176:177], v[188:189], v[150:151]
	v_fmac_f64_e32 v[174:175], v[202:203], v[144:145]
	v_add_f64 v[172:173], v[172:173], 0
	s_waitcnt vmcnt(28) lgkmcnt(13)
	v_mul_f64 v[178:179], v[204:205], v[154:155]
	v_fmac_f64_e32 v[176:177], v[190:191], v[148:149]
	v_add_f64 v[172:173], v[172:173], v[174:175]
	s_waitcnt vmcnt(27) lgkmcnt(12)
	;; [unrolled: 4-line block ×10, first 2 shown]
	v_mul_f64 v[224:225], v[92:93], v[26:27]
	v_fmac_f64_e32 v[222:223], v[70:71], v[20:21]
	v_add_f64 v[172:173], v[172:173], v[220:221]
	ds_read_b128 v[212:215], v2 offset:976
	s_waitcnt vmcnt(18) lgkmcnt(4)
	v_mul_f64 v[226:227], v[88:89], v[30:31]
	v_fmac_f64_e32 v[224:225], v[94:95], v[24:25]
	v_add_f64 v[172:173], v[172:173], v[222:223]
	ds_read_b128 v[216:219], v2 offset:992
	ds_read_b128 v[220:223], v2 offset:1008
	s_waitcnt vmcnt(17) lgkmcnt(5)
	v_mul_f64 v[228:229], v[84:85], v[34:35]
	v_fmac_f64_e32 v[226:227], v[90:91], v[28:29]
	v_add_f64 v[172:173], v[172:173], v[224:225]
	s_waitcnt vmcnt(16) lgkmcnt(4)
	v_mul_f64 v[230:231], v[80:81], v[38:39]
	v_fmac_f64_e32 v[228:229], v[86:87], v[32:33]
	v_add_f64 v[172:173], v[172:173], v[226:227]
	v_add_f64 v[176:177], v[172:173], v[228:229]
	v_fmac_f64_e32 v[230:231], v[82:83], v[36:37]
	s_waitcnt vmcnt(15) lgkmcnt(3)
	v_mul_f64 v[178:179], v[168:169], v[42:43]
	v_add_f64 v[176:177], v[176:177], v[230:231]
	v_fmac_f64_e32 v[178:179], v[170:171], v[40:41]
	s_waitcnt vmcnt(14) lgkmcnt(2)
	v_mul_f64 v[182:183], v[212:213], v[46:47]
	;; [unrolled: 4-line block ×3, first 2 shown]
	v_add_f64 v[224:225], v[180:181], v[182:183]
	v_fmac_f64_e32 v[226:227], v[218:219], v[48:49]
	v_add_f64 v[228:229], v[224:225], v[226:227]
	ds_read_b128 v[224:227], v2 offset:1024
	s_waitcnt vmcnt(12) lgkmcnt(1)
	v_mul_f64 v[230:231], v[220:221], v[58:59]
	v_fmac_f64_e32 v[230:231], v[222:223], v[56:57]
	v_add_f64 v[232:233], v[228:229], v[230:231]
	ds_read_b128 v[228:231], v2 offset:1040
	s_waitcnt vmcnt(11) lgkmcnt(1)
	v_mul_f64 v[234:235], v[224:225], v[78:79]
	;; [unrolled: 5-line block ×4, first 2 shown]
	v_fmac_f64_e32 v[242:243], v[234:235], v[100:101]
	v_mul_f64 v[142:143], v[210:211], v[142:143]
	v_add_f64 v[240:241], v[240:241], v[242:243]
	v_fma_f64 v[242:243], v[208:209], v[140:141], -v[142:143]
	ds_read_b128 v[140:143], v2 offset:1088
	s_waitcnt vmcnt(8) lgkmcnt(1)
	v_mul_f64 v[208:209], v[236:237], v[106:107]
	v_fmac_f64_e32 v[208:209], v[238:239], v[104:105]
	v_mul_f64 v[146:147], v[202:203], v[146:147]
	v_add_f64 v[208:209], v[240:241], v[208:209]
	v_fma_f64 v[240:241], v[200:201], v[144:145], -v[146:147]
	ds_read_b128 v[144:147], v2 offset:1104
	s_waitcnt vmcnt(7) lgkmcnt(1)
	v_mul_f64 v[200:201], v[140:141], v[110:111]
	scratch_load_dwordx4 v[172:175], off, off offset:592
	v_fmac_f64_e32 v[200:201], v[142:143], v[108:109]
	v_add_f64 v[208:209], v[208:209], v[200:201]
	ds_read_b128 v[200:203], v2 offset:1120
	v_mul_f64 v[150:151], v[190:191], v[150:151]
	scratch_load_dwordx4 v[176:179], off, off offset:608
	scratch_load_dwordx4 v[180:183], off, off offset:624
	v_fma_f64 v[244:245], v[188:189], v[148:149], -v[150:151]
	ds_read_b128 v[148:151], v2 offset:1136
	s_waitcnt vmcnt(9) lgkmcnt(2)
	v_mul_f64 v[210:211], v[144:145], v[114:115]
	v_fmac_f64_e32 v[210:211], v[146:147], v[112:113]
	s_waitcnt vmcnt(8) lgkmcnt(1)
	v_mul_f64 v[188:189], v[200:201], v[118:119]
	v_add_f64 v[208:209], v[208:209], v[210:211]
	v_fmac_f64_e32 v[188:189], v[202:203], v[116:117]
	v_mul_f64 v[154:155], v[206:207], v[154:155]
	s_waitcnt vmcnt(7) lgkmcnt(0)
	v_mul_f64 v[190:191], v[148:149], v[122:123]
	v_add_f64 v[188:189], v[208:209], v[188:189]
	v_fma_f64 v[246:247], v[204:205], v[152:153], -v[154:155]
	ds_read_b128 v[152:155], v2 offset:1152
	v_fmac_f64_e32 v[190:191], v[150:151], v[120:121]
	v_add_f64 v[204:205], v[188:189], v[190:191]
	ds_read_b128 v[188:191], v2 offset:1168
	v_mul_f64 v[158:159], v[194:195], v[158:159]
	s_waitcnt vmcnt(6) lgkmcnt(1)
	v_mul_f64 v[206:207], v[152:153], v[126:127]
	v_fmac_f64_e32 v[206:207], v[154:155], v[124:125]
	v_fma_f64 v[248:249], v[192:193], v[156:157], -v[158:159]
	s_waitcnt vmcnt(5) lgkmcnt(0)
	v_mul_f64 v[192:193], v[188:189], v[130:131]
	v_add_f64 v[204:205], v[204:205], v[206:207]
	v_fmac_f64_e32 v[192:193], v[190:191], v[128:129]
	v_mul_f64 v[162:163], v[186:187], v[162:163]
	v_fma_f64 v[208:209], v[184:185], v[160:161], -v[162:163]
	v_add_f64 v[184:185], v[204:205], v[192:193]
	scratch_load_dwordx4 v[204:207], off, off offset:640
	v_add_f64 v[242:243], v[242:243], 0
	v_add_f64 v[240:241], v[242:243], v[240:241]
	;; [unrolled: 1-line block ×3, first 2 shown]
	scratch_load_dwordx4 v[242:245], off, off offset:64
	v_add_f64 v[240:241], v[240:241], v[246:247]
	v_mul_f64 v[166:167], v[198:199], v[166:167]
	v_add_f64 v[240:241], v[240:241], v[248:249]
	v_fma_f64 v[210:211], v[196:197], v[164:165], -v[166:167]
	v_add_f64 v[208:209], v[240:241], v[208:209]
	v_mul_f64 v[6:7], v[66:67], v[6:7]
	v_add_f64 v[208:209], v[208:209], v[210:211]
	v_fma_f64 v[4:5], v[64:65], v[4:5], -v[6:7]
	v_mul_f64 v[6:7], v[62:63], v[10:11]
	v_add_f64 v[4:5], v[208:209], v[4:5]
	v_fma_f64 v[6:7], v[60:61], v[8:9], -v[6:7]
	v_add_f64 v[4:5], v[4:5], v[6:7]
	v_mul_f64 v[6:7], v[54:55], v[14:15]
	v_fma_f64 v[6:7], v[52:53], v[12:13], -v[6:7]
	v_add_f64 v[4:5], v[4:5], v[6:7]
	v_mul_f64 v[6:7], v[74:75], v[18:19]
	;; [unrolled: 3-line block ×12, first 2 shown]
	v_fma_f64 v[6:7], v[224:225], v[76:77], -v[6:7]
	ds_read_b128 v[156:159], v2 offset:1184
	ds_read_b128 v[160:163], v2 offset:1200
	v_add_f64 v[4:5], v[4:5], v[6:7]
	v_mul_f64 v[6:7], v[230:231], v[98:99]
	v_fma_f64 v[6:7], v[228:229], v[96:97], -v[6:7]
	v_add_f64 v[4:5], v[4:5], v[6:7]
	v_mul_f64 v[6:7], v[234:235], v[102:103]
	v_fma_f64 v[6:7], v[232:233], v[100:101], -v[6:7]
	v_add_f64 v[4:5], v[4:5], v[6:7]
	v_mul_f64 v[6:7], v[238:239], v[106:107]
	s_waitcnt vmcnt(6) lgkmcnt(1)
	v_mul_f64 v[186:187], v[156:157], v[138:139]
	v_fma_f64 v[6:7], v[236:237], v[104:105], -v[6:7]
	v_fmac_f64_e32 v[186:187], v[158:159], v[136:137]
	v_add_f64 v[4:5], v[4:5], v[6:7]
	v_mul_f64 v[6:7], v[142:143], v[110:111]
	v_add_f64 v[192:193], v[184:185], v[186:187]
	ds_read_b128 v[184:187], v2 offset:1216
	ds_read_b128 v[164:167], v2 offset:1232
	v_fma_f64 v[6:7], v[140:141], v[108:109], -v[6:7]
	v_add_f64 v[4:5], v[4:5], v[6:7]
	v_mul_f64 v[6:7], v[146:147], v[114:115]
	v_fma_f64 v[6:7], v[144:145], v[112:113], -v[6:7]
	s_waitcnt vmcnt(5) lgkmcnt(2)
	v_mul_f64 v[194:195], v[160:161], v[134:135]
	v_add_f64 v[4:5], v[4:5], v[6:7]
	v_mul_f64 v[6:7], v[202:203], v[118:119]
	v_fmac_f64_e32 v[194:195], v[162:163], v[132:133]
	v_fma_f64 v[6:7], v[200:201], v[116:117], -v[6:7]
	v_add_f64 v[192:193], v[192:193], v[194:195]
	s_waitcnt vmcnt(4) lgkmcnt(1)
	v_mul_f64 v[194:195], v[184:185], v[174:175]
	v_add_f64 v[4:5], v[4:5], v[6:7]
	v_mul_f64 v[6:7], v[150:151], v[122:123]
	v_fmac_f64_e32 v[194:195], v[186:187], v[172:173]
	v_fma_f64 v[6:7], v[148:149], v[120:121], -v[6:7]
	v_add_f64 v[192:193], v[192:193], v[194:195]
	;; [unrolled: 7-line block ×3, first 2 shown]
	ds_read_b128 v[192:195], v2 offset:1248
	v_add_f64 v[4:5], v[4:5], v[6:7]
	v_mul_f64 v[6:7], v[190:191], v[130:131]
	v_fma_f64 v[6:7], v[188:189], v[128:129], -v[6:7]
	v_add_f64 v[4:5], v[4:5], v[6:7]
	v_mul_f64 v[6:7], v[158:159], v[138:139]
	v_fma_f64 v[6:7], v[156:157], v[136:137], -v[6:7]
	v_add_f64 v[4:5], v[4:5], v[6:7]
	v_mul_f64 v[6:7], v[162:163], v[134:135]
	s_waitcnt vmcnt(2) lgkmcnt(0)
	v_mul_f64 v[198:199], v[192:193], v[182:183]
	v_fma_f64 v[6:7], v[160:161], v[132:133], -v[6:7]
	v_fmac_f64_e32 v[198:199], v[194:195], v[180:181]
	v_add_f64 v[4:5], v[4:5], v[6:7]
	v_mul_f64 v[6:7], v[186:187], v[174:175]
	v_add_f64 v[250:251], v[196:197], v[198:199]
	ds_read_b128 v[196:199], v2 offset:1264
	v_fma_f64 v[6:7], v[184:185], v[172:173], -v[6:7]
	v_add_f64 v[4:5], v[4:5], v[6:7]
	v_mul_f64 v[6:7], v[166:167], v[178:179]
	v_fma_f64 v[6:7], v[164:165], v[176:177], -v[6:7]
	v_add_f64 v[4:5], v[4:5], v[6:7]
	v_mul_f64 v[6:7], v[194:195], v[182:183]
	v_fma_f64 v[6:7], v[192:193], v[180:181], -v[6:7]
	s_waitcnt vmcnt(1) lgkmcnt(0)
	v_mul_f64 v[2:3], v[196:197], v[206:207]
	v_add_f64 v[4:5], v[4:5], v[6:7]
	v_mul_f64 v[6:7], v[198:199], v[206:207]
	v_fmac_f64_e32 v[2:3], v[198:199], v[204:205]
	v_fma_f64 v[6:7], v[196:197], v[204:205], -v[6:7]
	v_add_f64 v[2:3], v[250:251], v[2:3]
	v_add_f64 v[4:5], v[4:5], v[6:7]
	s_waitcnt vmcnt(0)
	v_add_f64 v[4:5], v[242:243], -v[4:5]
	v_add_f64 v[6:7], v[244:245], -v[2:3]
	scratch_store_dwordx4 off, v[4:7], off offset:64
	s_and_saveexec_b64 s[0:1], vcc
	s_cbranch_execz .LBB39_249
; %bb.248:
	scratch_load_dwordx4 v[2:5], off, s12
	v_mov_b32_e32 v6, 0
	v_mov_b32_e32 v7, v6
	;; [unrolled: 1-line block ×4, first 2 shown]
	scratch_store_dwordx4 off, v[6:9], off offset:48
	s_waitcnt vmcnt(1)
	ds_write_b128 v1, v[2:5]
.LBB39_249:
	s_or_b64 exec, exec, s[0:1]
	s_waitcnt lgkmcnt(0)
	; wave barrier
	scratch_load_dwordx4 v[168:171], off, off offset:64
	scratch_load_dwordx4 v[172:175], off, off offset:80
	;; [unrolled: 1-line block ×32, first 2 shown]
	v_mov_b32_e32 v2, 0
	ds_read_b128 v[176:179], v2 offset:688
	ds_read_b128 v[188:191], v2 offset:704
	;; [unrolled: 1-line block ×17, first 2 shown]
	v_cmp_lt_u32_e32 vcc, 1, v0
	s_waitcnt vmcnt(31) lgkmcnt(14)
	v_mul_f64 v[104:105], v[176:177], v[170:171]
	s_waitcnt vmcnt(30)
	v_mul_f64 v[106:107], v[188:189], v[174:175]
	v_fmac_f64_e32 v[104:105], v[178:179], v[168:169]
	s_waitcnt vmcnt(29)
	v_mul_f64 v[108:109], v[200:201], v[182:183]
	v_fmac_f64_e32 v[106:107], v[190:191], v[172:173]
	v_add_f64 v[104:105], v[104:105], 0
	s_waitcnt vmcnt(28) lgkmcnt(13)
	v_mul_f64 v[110:111], v[212:213], v[186:187]
	v_fmac_f64_e32 v[108:109], v[202:203], v[180:181]
	v_add_f64 v[104:105], v[104:105], v[106:107]
	s_waitcnt vmcnt(27) lgkmcnt(12)
	;; [unrolled: 4-line block ×12, first 2 shown]
	v_mul_f64 v[156:157], v[112:113], v[26:27]
	v_fmac_f64_e32 v[154:155], v[118:119], v[20:21]
	v_add_f64 v[104:105], v[104:105], v[152:153]
	v_fmac_f64_e32 v[156:157], v[114:115], v[24:25]
	v_add_f64 v[104:105], v[104:105], v[154:155]
	s_waitcnt vmcnt(16) lgkmcnt(1)
	v_mul_f64 v[106:107], v[100:101], v[30:31]
	v_add_f64 v[104:105], v[104:105], v[156:157]
	v_fmac_f64_e32 v[106:107], v[102:103], v[28:29]
	v_add_f64 v[108:109], v[104:105], v[106:107]
	ds_read_b128 v[144:147], v2 offset:960
	ds_read_b128 v[148:151], v2 offset:976
	scratch_load_dwordx4 v[104:107], off, off offset:576
	s_waitcnt vmcnt(16) lgkmcnt(2)
	v_mul_f64 v[110:111], v[96:97], v[34:35]
	v_fmac_f64_e32 v[110:111], v[98:99], v[32:33]
	v_add_f64 v[120:121], v[108:109], v[110:111]
	scratch_load_dwordx4 v[108:111], off, off offset:592
	s_waitcnt vmcnt(16) lgkmcnt(1)
	v_mul_f64 v[122:123], v[144:145], v[38:39]
	v_fmac_f64_e32 v[122:123], v[146:147], v[36:37]
	v_add_f64 v[132:133], v[120:121], v[122:123]
	s_waitcnt vmcnt(15) lgkmcnt(0)
	v_mul_f64 v[134:135], v[148:149], v[42:43]
	scratch_load_dwordx4 v[120:123], off, off offset:608
	v_fmac_f64_e32 v[134:135], v[150:151], v[40:41]
	v_add_f64 v[160:161], v[132:133], v[134:135]
	scratch_load_dwordx4 v[132:135], off, off offset:624
	ds_read_b128 v[152:155], v2 offset:992
	ds_read_b128 v[156:159], v2 offset:1008
	v_mul_f64 v[170:171], v[178:179], v[170:171]
	v_fma_f64 v[246:247], v[176:177], v[168:169], -v[170:171]
	ds_read_b128 v[168:171], v2 offset:1056
	s_waitcnt vmcnt(16) lgkmcnt(2)
	v_mul_f64 v[162:163], v[152:153], v[46:47]
	v_fmac_f64_e32 v[162:163], v[154:155], v[44:45]
	s_waitcnt vmcnt(15) lgkmcnt(1)
	v_mul_f64 v[166:167], v[156:157], v[50:51]
	v_add_f64 v[164:165], v[160:161], v[162:163]
	ds_read_b128 v[160:163], v2 offset:1024
	v_fmac_f64_e32 v[166:167], v[158:159], v[48:49]
	v_add_f64 v[232:233], v[164:165], v[166:167]
	ds_read_b128 v[164:167], v2 offset:1040
	v_mul_f64 v[174:175], v[190:191], v[174:175]
	s_waitcnt vmcnt(14) lgkmcnt(1)
	v_mul_f64 v[234:235], v[160:161], v[54:55]
	v_fmac_f64_e32 v[234:235], v[162:163], v[52:53]
	v_add_f64 v[232:233], v[232:233], v[234:235]
	s_waitcnt vmcnt(13) lgkmcnt(0)
	v_mul_f64 v[176:177], v[164:165], v[58:59]
	v_fmac_f64_e32 v[176:177], v[166:167], v[56:57]
	v_fma_f64 v[248:249], v[188:189], v[172:173], -v[174:175]
	ds_read_b128 v[172:175], v2 offset:1072
	s_waitcnt vmcnt(12)
	v_mul_f64 v[178:179], v[168:169], v[62:63]
	v_add_f64 v[176:177], v[232:233], v[176:177]
	v_fmac_f64_e32 v[178:179], v[170:171], v[60:61]
	v_add_f64 v[188:189], v[176:177], v[178:179]
	ds_read_b128 v[176:179], v2 offset:1088
	v_mul_f64 v[182:183], v[202:203], v[182:183]
	v_fma_f64 v[250:251], v[200:201], v[180:181], -v[182:183]
	ds_read_b128 v[180:183], v2 offset:1104
	s_waitcnt vmcnt(11) lgkmcnt(2)
	v_mul_f64 v[190:191], v[172:173], v[66:67]
	v_fmac_f64_e32 v[190:191], v[174:175], v[64:65]
	v_add_f64 v[188:189], v[188:189], v[190:191]
	s_waitcnt vmcnt(10) lgkmcnt(1)
	v_mul_f64 v[190:191], v[176:177], v[70:71]
	v_fmac_f64_e32 v[190:191], v[178:179], v[68:69]
	v_mul_f64 v[186:187], v[214:215], v[186:187]
	v_fma_f64 v[252:253], v[212:213], v[184:185], -v[186:187]
	ds_read_b128 v[184:187], v2 offset:1120
	v_add_f64 v[188:189], v[188:189], v[190:191]
	s_waitcnt vmcnt(9) lgkmcnt(1)
	v_mul_f64 v[190:191], v[180:181], v[74:75]
	v_fmac_f64_e32 v[190:191], v[182:183], v[72:73]
	v_add_f64 v[200:201], v[188:189], v[190:191]
	ds_read_b128 v[188:191], v2 offset:1136
	v_mul_f64 v[194:195], v[222:223], v[194:195]
	v_fma_f64 v[254:255], v[220:221], v[192:193], -v[194:195]
	ds_read_b128 v[192:195], v2 offset:1152
	s_waitcnt vmcnt(8) lgkmcnt(2)
	v_mul_f64 v[202:203], v[184:185], v[78:79]
	v_fmac_f64_e32 v[202:203], v[186:187], v[76:77]
	v_add_f64 v[200:201], v[200:201], v[202:203]
	s_waitcnt vmcnt(7) lgkmcnt(1)
	v_mul_f64 v[202:203], v[188:189], v[82:83]
	v_fmac_f64_e32 v[202:203], v[190:191], v[80:81]
	v_mul_f64 v[198:199], v[226:227], v[198:199]
	v_add_f64 v[200:201], v[200:201], v[202:203]
	v_fma_f64 v[234:235], v[224:225], v[196:197], -v[198:199]
	ds_read_b128 v[196:199], v2 offset:1168
	s_waitcnt vmcnt(6) lgkmcnt(1)
	v_mul_f64 v[202:203], v[192:193], v[86:87]
	v_fmac_f64_e32 v[202:203], v[194:195], v[84:85]
	v_add_f64 v[212:213], v[200:201], v[202:203]
	ds_read_b128 v[200:203], v2 offset:1184
	v_mul_f64 v[206:207], v[230:231], v[206:207]
	v_fma_f64 v[236:237], v[228:229], v[204:205], -v[206:207]
	ds_read_b128 v[204:207], v2 offset:1200
	s_waitcnt vmcnt(5) lgkmcnt(2)
	v_mul_f64 v[214:215], v[196:197], v[94:95]
	v_fmac_f64_e32 v[214:215], v[198:199], v[92:93]
	v_add_f64 v[212:213], v[212:213], v[214:215]
	s_waitcnt vmcnt(4) lgkmcnt(1)
	v_mul_f64 v[214:215], v[200:201], v[90:91]
	v_fmac_f64_e32 v[214:215], v[202:203], v[88:89]
	v_mul_f64 v[210:211], v[240:241], v[210:211]
	v_fma_f64 v[238:239], v[238:239], v[208:209], -v[210:211]
	ds_read_b128 v[208:211], v2 offset:1216
	v_add_f64 v[212:213], v[212:213], v[214:215]
	s_waitcnt vmcnt(3) lgkmcnt(1)
	v_mul_f64 v[214:215], v[204:205], v[106:107]
	v_fmac_f64_e32 v[214:215], v[206:207], v[104:105]
	v_add_f64 v[220:221], v[212:213], v[214:215]
	ds_read_b128 v[212:215], v2 offset:1232
	v_mul_f64 v[218:219], v[244:245], v[218:219]
	v_fma_f64 v[240:241], v[242:243], v[216:217], -v[218:219]
	ds_read_b128 v[216:219], v2 offset:1248
	ds_read_b128 v[224:227], v2 offset:1264
	s_waitcnt vmcnt(2) lgkmcnt(3)
	v_mul_f64 v[222:223], v[208:209], v[110:111]
	v_fmac_f64_e32 v[222:223], v[210:211], v[108:109]
	v_add_f64 v[220:221], v[220:221], v[222:223]
	s_waitcnt vmcnt(1) lgkmcnt(2)
	v_mul_f64 v[222:223], v[212:213], v[122:123]
	v_fmac_f64_e32 v[222:223], v[214:215], v[120:121]
	v_add_f64 v[220:221], v[220:221], v[222:223]
	;; [unrolled: 4-line block ×3, first 2 shown]
	scratch_load_dwordx4 v[220:223], off, off offset:640
	v_mul_f64 v[6:7], v[142:143], v[6:7]
	v_fma_f64 v[4:5], v[140:141], v[4:5], -v[6:7]
	v_mul_f64 v[6:7], v[138:139], v[10:11]
	v_fma_f64 v[6:7], v[136:137], v[8:9], -v[6:7]
	s_waitcnt vmcnt(0) lgkmcnt(0)
	v_mul_f64 v[230:231], v[224:225], v[222:223]
	v_fmac_f64_e32 v[230:231], v[226:227], v[220:221]
	v_add_f64 v[232:233], v[228:229], v[230:231]
	v_add_f64 v[228:229], v[246:247], 0
	;; [unrolled: 1-line block ×6, first 2 shown]
	scratch_load_dwordx4 v[228:231], off, off offset:48
	v_add_f64 v[234:235], v[242:243], v[234:235]
	v_add_f64 v[234:235], v[234:235], v[236:237]
	;; [unrolled: 1-line block ×6, first 2 shown]
	v_mul_f64 v[6:7], v[130:131], v[14:15]
	v_fma_f64 v[6:7], v[128:129], v[12:13], -v[6:7]
	v_add_f64 v[4:5], v[4:5], v[6:7]
	v_mul_f64 v[6:7], v[126:127], v[18:19]
	v_fma_f64 v[6:7], v[124:125], v[16:17], -v[6:7]
	v_add_f64 v[4:5], v[4:5], v[6:7]
	;; [unrolled: 3-line block ×26, first 2 shown]
	s_waitcnt vmcnt(0)
	v_add_f64 v[4:5], v[228:229], -v[4:5]
	v_add_f64 v[6:7], v[230:231], -v[232:233]
	scratch_store_dwordx4 off, v[4:7], off offset:48
	s_and_saveexec_b64 s[0:1], vcc
	s_cbranch_execz .LBB39_251
; %bb.250:
	scratch_load_dwordx4 v[6:9], off, s15
	v_mov_b32_e32 v3, v2
	v_mov_b32_e32 v4, v2
	;; [unrolled: 1-line block ×3, first 2 shown]
	scratch_store_dwordx4 off, v[2:5], off offset:32
	s_waitcnt vmcnt(1)
	ds_write_b128 v1, v[6:9]
.LBB39_251:
	s_or_b64 exec, exec, s[0:1]
	s_waitcnt lgkmcnt(0)
	; wave barrier
	scratch_load_dwordx4 v[168:171], off, off offset:48
	scratch_load_dwordx4 v[172:175], off, off offset:64
	;; [unrolled: 1-line block ×16, first 2 shown]
	ds_read_b128 v[232:235], v2 offset:672
	ds_read_b128 v[176:179], v2 offset:688
	scratch_load_dwordx4 v[32:35], off, off offset:304
	ds_read_b128 v[236:239], v2 offset:704
	ds_read_b128 v[188:191], v2 offset:720
	;; [unrolled: 1-line block ×5, first 2 shown]
	scratch_load_dwordx4 v[36:39], off, off offset:320
	ds_read_b128 v[224:227], v2 offset:784
	ds_read_b128 v[220:223], v2 offset:800
	;; [unrolled: 1-line block ×3, first 2 shown]
	scratch_load_dwordx4 v[40:43], off, off offset:336
	ds_read_b128 v[64:67], v2 offset:832
	ds_read_b128 v[60:63], v2 offset:848
	;; [unrolled: 1-line block ×4, first 2 shown]
	scratch_load_dwordx4 v[48:51], off, off offset:352
	ds_read_b128 v[80:83], v2 offset:896
	ds_read_b128 v[72:75], v2 offset:912
	;; [unrolled: 1-line block ×3, first 2 shown]
	scratch_load_dwordx4 v[76:79], off, off offset:368
	scratch_load_dwordx4 v[84:87], off, off offset:384
	;; [unrolled: 1-line block ×12, first 2 shown]
	v_cmp_ne_u32_e32 vcc, 0, v0
	s_waitcnt vmcnt(31) lgkmcnt(14)
	v_mul_f64 v[128:129], v[232:233], v[170:171]
	s_waitcnt vmcnt(30)
	v_mul_f64 v[130:131], v[176:177], v[174:175]
	v_fmac_f64_e32 v[128:129], v[234:235], v[168:169]
	s_waitcnt vmcnt(29)
	v_mul_f64 v[132:133], v[236:237], v[182:183]
	v_fmac_f64_e32 v[130:131], v[178:179], v[172:173]
	v_add_f64 v[128:129], v[128:129], 0
	s_waitcnt vmcnt(28) lgkmcnt(13)
	v_mul_f64 v[134:135], v[188:189], v[186:187]
	v_fmac_f64_e32 v[132:133], v[238:239], v[180:181]
	v_add_f64 v[128:129], v[128:129], v[130:131]
	s_waitcnt vmcnt(27) lgkmcnt(12)
	;; [unrolled: 4-line block ×13, first 2 shown]
	v_mul_f64 v[158:159], v[72:73], v[30:31]
	v_fmac_f64_e32 v[156:157], v[82:83], v[24:25]
	v_add_f64 v[128:129], v[128:129], v[154:155]
	v_add_f64 v[128:129], v[128:129], v[156:157]
	v_fmac_f64_e32 v[158:159], v[74:75], v[28:29]
	v_add_f64 v[132:133], v[128:129], v[158:159]
	ds_read_b128 v[144:147], v2 offset:944
	ds_read_b128 v[148:151], v2 offset:960
	scratch_load_dwordx4 v[128:131], off, off offset:560
	s_waitcnt vmcnt(16) lgkmcnt(2)
	v_mul_f64 v[134:135], v[68:69], v[34:35]
	v_fmac_f64_e32 v[134:135], v[70:71], v[32:33]
	s_waitcnt vmcnt(15) lgkmcnt(1)
	v_mul_f64 v[138:139], v[144:145], v[38:39]
	v_add_f64 v[136:137], v[132:133], v[134:135]
	scratch_load_dwordx4 v[132:135], off, off offset:576
	v_fmac_f64_e32 v[138:139], v[146:147], v[36:37]
	v_add_f64 v[140:141], v[136:137], v[138:139]
	s_waitcnt vmcnt(15) lgkmcnt(0)
	v_mul_f64 v[142:143], v[148:149], v[42:43]
	scratch_load_dwordx4 v[136:139], off, off offset:592
	v_fmac_f64_e32 v[142:143], v[150:151], v[40:41]
	v_add_f64 v[160:161], v[140:141], v[142:143]
	scratch_load_dwordx4 v[140:143], off, off offset:608
	ds_read_b128 v[152:155], v2 offset:976
	ds_read_b128 v[156:159], v2 offset:992
	v_mul_f64 v[170:171], v[234:235], v[170:171]
	v_fma_f64 v[244:245], v[232:233], v[168:169], -v[170:171]
	ds_read_b128 v[168:171], v2 offset:1040
	s_waitcnt vmcnt(16) lgkmcnt(2)
	v_mul_f64 v[162:163], v[152:153], v[50:51]
	v_fmac_f64_e32 v[162:163], v[154:155], v[48:49]
	s_waitcnt vmcnt(15) lgkmcnt(1)
	v_mul_f64 v[166:167], v[156:157], v[78:79]
	v_add_f64 v[164:165], v[160:161], v[162:163]
	ds_read_b128 v[160:163], v2 offset:1008
	v_fmac_f64_e32 v[166:167], v[158:159], v[76:77]
	v_add_f64 v[240:241], v[164:165], v[166:167]
	ds_read_b128 v[164:167], v2 offset:1024
	v_mul_f64 v[174:175], v[178:179], v[174:175]
	s_waitcnt vmcnt(14) lgkmcnt(1)
	v_mul_f64 v[242:243], v[160:161], v[86:87]
	v_fmac_f64_e32 v[242:243], v[162:163], v[84:85]
	v_add_f64 v[240:241], v[240:241], v[242:243]
	s_waitcnt vmcnt(13) lgkmcnt(0)
	v_mul_f64 v[232:233], v[164:165], v[90:91]
	v_fmac_f64_e32 v[232:233], v[166:167], v[88:89]
	v_fma_f64 v[246:247], v[176:177], v[172:173], -v[174:175]
	ds_read_b128 v[172:175], v2 offset:1056
	s_waitcnt vmcnt(12)
	v_mul_f64 v[176:177], v[168:169], v[94:95]
	v_add_f64 v[232:233], v[240:241], v[232:233]
	v_fmac_f64_e32 v[176:177], v[170:171], v[92:93]
	v_add_f64 v[232:233], v[232:233], v[176:177]
	ds_read_b128 v[176:179], v2 offset:1072
	v_mul_f64 v[182:183], v[238:239], v[182:183]
	v_fma_f64 v[236:237], v[236:237], v[180:181], -v[182:183]
	ds_read_b128 v[180:183], v2 offset:1088
	s_waitcnt vmcnt(11) lgkmcnt(2)
	v_mul_f64 v[234:235], v[172:173], v[98:99]
	v_fmac_f64_e32 v[234:235], v[174:175], v[96:97]
	v_add_f64 v[232:233], v[232:233], v[234:235]
	s_waitcnt vmcnt(10) lgkmcnt(1)
	v_mul_f64 v[234:235], v[176:177], v[102:103]
	v_fmac_f64_e32 v[234:235], v[178:179], v[100:101]
	v_mul_f64 v[186:187], v[190:191], v[186:187]
	s_waitcnt vmcnt(9) lgkmcnt(0)
	v_mul_f64 v[190:191], v[180:181], v[106:107]
	v_fma_f64 v[238:239], v[188:189], v[184:185], -v[186:187]
	ds_read_b128 v[184:187], v2 offset:1104
	v_add_f64 v[188:189], v[232:233], v[234:235]
	v_fmac_f64_e32 v[190:191], v[182:183], v[104:105]
	v_add_f64 v[232:233], v[188:189], v[190:191]
	ds_read_b128 v[188:191], v2 offset:1120
	v_mul_f64 v[194:195], v[230:231], v[194:195]
	v_fma_f64 v[248:249], v[228:229], v[192:193], -v[194:195]
	ds_read_b128 v[192:195], v2 offset:1136
	s_waitcnt vmcnt(8) lgkmcnt(2)
	v_mul_f64 v[234:235], v[184:185], v[110:111]
	v_fmac_f64_e32 v[234:235], v[186:187], v[108:109]
	s_waitcnt vmcnt(7) lgkmcnt(1)
	v_mul_f64 v[228:229], v[188:189], v[114:115]
	v_mul_f64 v[198:199], v[202:203], v[198:199]
	v_add_f64 v[232:233], v[232:233], v[234:235]
	v_fmac_f64_e32 v[228:229], v[190:191], v[112:113]
	v_fma_f64 v[250:251], v[200:201], v[196:197], -v[198:199]
	ds_read_b128 v[196:199], v2 offset:1152
	s_waitcnt vmcnt(6) lgkmcnt(1)
	v_mul_f64 v[200:201], v[192:193], v[118:119]
	v_add_f64 v[228:229], v[232:233], v[228:229]
	v_fmac_f64_e32 v[200:201], v[194:195], v[116:117]
	v_add_f64 v[228:229], v[228:229], v[200:201]
	ds_read_b128 v[200:203], v2 offset:1168
	v_mul_f64 v[206:207], v[214:215], v[206:207]
	v_add_f64 v[244:245], v[244:245], 0
	v_fma_f64 v[252:253], v[212:213], v[204:205], -v[206:207]
	ds_read_b128 v[204:207], v2 offset:1184
	v_add_f64 v[244:245], v[244:245], v[246:247]
	v_add_f64 v[236:237], v[244:245], v[236:237]
	v_add_f64 v[236:237], v[236:237], v[238:239]
	s_waitcnt vmcnt(5) lgkmcnt(2)
	v_mul_f64 v[230:231], v[196:197], v[126:127]
	v_add_f64 v[236:237], v[236:237], v[248:249]
	v_fmac_f64_e32 v[230:231], v[198:199], v[124:125]
	s_waitcnt vmcnt(4) lgkmcnt(1)
	v_mul_f64 v[212:213], v[200:201], v[122:123]
	v_add_f64 v[236:237], v[236:237], v[250:251]
	v_add_f64 v[228:229], v[228:229], v[230:231]
	v_fmac_f64_e32 v[212:213], v[202:203], v[120:121]
	v_mul_f64 v[210:211], v[226:227], v[210:211]
	v_add_f64 v[244:245], v[236:237], v[252:253]
	scratch_load_dwordx4 v[236:239], off, off offset:32
	s_waitcnt vmcnt(4) lgkmcnt(0)
	v_mul_f64 v[214:215], v[204:205], v[130:131]
	v_fma_f64 v[240:241], v[224:225], v[208:209], -v[210:211]
	ds_read_b128 v[208:211], v2 offset:1200
	v_add_f64 v[212:213], v[228:229], v[212:213]
	v_fmac_f64_e32 v[214:215], v[206:207], v[128:129]
	v_add_f64 v[224:225], v[212:213], v[214:215]
	ds_read_b128 v[212:215], v2 offset:1216
	v_mul_f64 v[218:219], v[222:223], v[218:219]
	v_fma_f64 v[242:243], v[220:221], v[216:217], -v[218:219]
	ds_read_b128 v[216:219], v2 offset:1232
	s_waitcnt vmcnt(3) lgkmcnt(2)
	v_mul_f64 v[220:221], v[208:209], v[134:135]
	v_fmac_f64_e32 v[220:221], v[210:211], v[132:133]
	s_waitcnt vmcnt(2) lgkmcnt(1)
	v_mul_f64 v[222:223], v[212:213], v[138:139]
	v_add_f64 v[220:221], v[224:225], v[220:221]
	v_fmac_f64_e32 v[222:223], v[214:215], v[136:137]
	v_add_f64 v[220:221], v[220:221], v[222:223]
	ds_read_b128 v[224:227], v2 offset:1248
	scratch_load_dwordx4 v[232:235], off, off offset:640
	s_waitcnt vmcnt(2) lgkmcnt(1)
	v_mul_f64 v[222:223], v[216:217], v[142:143]
	v_fmac_f64_e32 v[222:223], v[218:219], v[140:141]
	v_add_f64 v[228:229], v[220:221], v[222:223]
	scratch_load_dwordx4 v[220:223], off, off offset:624
	v_add_f64 v[240:241], v[244:245], v[240:241]
	v_mul_f64 v[6:7], v[46:47], v[6:7]
	v_add_f64 v[240:241], v[240:241], v[242:243]
	v_fma_f64 v[4:5], v[44:45], v[4:5], -v[6:7]
	v_mul_f64 v[6:7], v[66:67], v[10:11]
	v_add_f64 v[4:5], v[240:241], v[4:5]
	v_fma_f64 v[6:7], v[64:65], v[8:9], -v[6:7]
	v_add_f64 v[4:5], v[4:5], v[6:7]
	v_mul_f64 v[6:7], v[62:63], v[14:15]
	v_fma_f64 v[6:7], v[60:61], v[12:13], -v[6:7]
	v_add_f64 v[4:5], v[4:5], v[6:7]
	v_mul_f64 v[6:7], v[58:59], v[18:19]
	;; [unrolled: 3-line block ×24, first 2 shown]
	v_fma_f64 v[6:7], v[212:213], v[136:137], -v[6:7]
	s_waitcnt vmcnt(0) lgkmcnt(0)
	v_mul_f64 v[230:231], v[224:225], v[222:223]
	v_fmac_f64_e32 v[230:231], v[226:227], v[220:221]
	v_add_f64 v[254:255], v[228:229], v[230:231]
	ds_read_b128 v[228:231], v2 offset:1264
	v_add_f64 v[4:5], v[4:5], v[6:7]
	v_mul_f64 v[6:7], v[218:219], v[142:143]
	v_fma_f64 v[6:7], v[216:217], v[140:141], -v[6:7]
	v_add_f64 v[4:5], v[4:5], v[6:7]
	v_mul_f64 v[6:7], v[226:227], v[222:223]
	v_fma_f64 v[6:7], v[224:225], v[220:221], -v[6:7]
	s_waitcnt lgkmcnt(0)
	v_mul_f64 v[2:3], v[228:229], v[234:235]
	v_add_f64 v[4:5], v[4:5], v[6:7]
	v_mul_f64 v[6:7], v[230:231], v[234:235]
	v_fmac_f64_e32 v[2:3], v[230:231], v[232:233]
	v_fma_f64 v[6:7], v[228:229], v[232:233], -v[6:7]
	v_add_f64 v[2:3], v[254:255], v[2:3]
	v_add_f64 v[4:5], v[4:5], v[6:7]
	v_add_f64 v[4:5], v[236:237], -v[4:5]
	v_add_f64 v[6:7], v[238:239], -v[2:3]
	scratch_store_dwordx4 off, v[4:7], off offset:32
	s_and_saveexec_b64 s[0:1], vcc
	s_cbranch_execz .LBB39_253
; %bb.252:
	scratch_load_dwordx4 v[2:5], off, off offset:16
	v_mov_b32_e32 v6, 0
	v_mov_b32_e32 v7, v6
	;; [unrolled: 1-line block ×4, first 2 shown]
	scratch_store_dwordx4 off, v[6:9], off offset:16
	s_waitcnt vmcnt(1)
	ds_write_b128 v1, v[2:5]
.LBB39_253:
	s_or_b64 exec, exec, s[0:1]
	s_waitcnt lgkmcnt(0)
	; wave barrier
	scratch_load_dwordx4 v[136:139], off, off offset:32
	scratch_load_dwordx4 v[168:171], off, off offset:48
	scratch_load_dwordx4 v[172:175], off, off offset:64
	scratch_load_dwordx4 v[176:179], off, off offset:80
	scratch_load_dwordx4 v[184:187], off, off offset:96
	scratch_load_dwordx4 v[188:191], off, off offset:112
	scratch_load_dwordx4 v[196:199], off, off offset:128
	scratch_load_dwordx4 v[200:203], off, off offset:144
	scratch_load_dwordx4 v[208:211], off, off offset:160
	scratch_load_dwordx4 v[212:215], off, off offset:176
	scratch_load_dwordx4 v[0:3], off, off offset:192
	scratch_load_dwordx4 v[148:151], off, off offset:208
	scratch_load_dwordx4 v[8:11], off, off offset:224
	scratch_load_dwordx4 v[12:15], off, off offset:240
	scratch_load_dwordx4 v[16:19], off, off offset:256
	scratch_load_dwordx4 v[20:23], off, off offset:272
	scratch_load_dwordx4 v[24:27], off, off offset:288
	scratch_load_dwordx4 v[28:31], off, off offset:304
	scratch_load_dwordx4 v[32:35], off, off offset:320
	scratch_load_dwordx4 v[36:39], off, off offset:336
	scratch_load_dwordx4 v[40:43], off, off offset:352
	scratch_load_dwordx4 v[44:47], off, off offset:368
	scratch_load_dwordx4 v[48:51], off, off offset:384
	scratch_load_dwordx4 v[52:55], off, off offset:400
	scratch_load_dwordx4 v[56:59], off, off offset:416
	scratch_load_dwordx4 v[60:63], off, off offset:432
	scratch_load_dwordx4 v[64:67], off, off offset:448
	scratch_load_dwordx4 v[68:71], off, off offset:464
	scratch_load_dwordx4 v[72:75], off, off offset:480
	scratch_load_dwordx4 v[76:79], off, off offset:496
	scratch_load_dwordx4 v[80:83], off, off offset:512
	v_mov_b32_e32 v4, 0
	ds_read_b128 v[160:163], v4 offset:656
	ds_read_b128 v[180:183], v4 offset:672
	;; [unrolled: 1-line block ×18, first 2 shown]
	s_and_b64 vcc, exec, s[18:19]
	ds_read_b128 v[152:155], v4 offset:976
	s_waitcnt vmcnt(30) lgkmcnt(14)
	v_mul_f64 v[96:97], v[160:161], v[138:139]
	s_waitcnt vmcnt(29)
	v_mul_f64 v[98:99], v[180:181], v[170:171]
	v_fmac_f64_e32 v[96:97], v[162:163], v[136:137]
	s_waitcnt vmcnt(28)
	v_mul_f64 v[104:105], v[192:193], v[174:175]
	v_fmac_f64_e32 v[98:99], v[182:183], v[168:169]
	v_add_f64 v[96:97], v[96:97], 0
	s_waitcnt vmcnt(27)
	v_mul_f64 v[106:107], v[204:205], v[178:179]
	v_fmac_f64_e32 v[104:105], v[194:195], v[172:173]
	v_add_f64 v[96:97], v[96:97], v[98:99]
	;; [unrolled: 4-line block ×3, first 2 shown]
	s_waitcnt vmcnt(25) lgkmcnt(13)
	v_mul_f64 v[114:115], v[220:221], v[190:191]
	v_fmac_f64_e32 v[112:113], v[218:219], v[184:185]
	v_add_f64 v[96:97], v[96:97], v[106:107]
	s_waitcnt vmcnt(24) lgkmcnt(12)
	v_mul_f64 v[124:125], v[224:225], v[198:199]
	v_fmac_f64_e32 v[114:115], v[222:223], v[188:189]
	v_add_f64 v[96:97], v[96:97], v[112:113]
	;; [unrolled: 4-line block ×11, first 2 shown]
	v_add_f64 v[96:97], v[96:97], v[144:145]
	v_fmac_f64_e32 v[146:147], v[90:91], v[20:21]
	v_add_f64 v[104:105], v[96:97], v[146:147]
	scratch_load_dwordx4 v[96:99], off, off offset:528
	s_waitcnt vmcnt(15) lgkmcnt(2)
	v_mul_f64 v[106:107], v[84:85], v[26:27]
	v_fmac_f64_e32 v[106:107], v[86:87], v[24:25]
	ds_read_b128 v[140:143], v4 offset:928
	v_add_f64 v[124:125], v[104:105], v[106:107]
	scratch_load_dwordx4 v[104:107], off, off offset:544
	v_accvgpr_write_b32 a84, v148
	v_accvgpr_write_b32 a85, v149
	;; [unrolled: 1-line block ×4, first 2 shown]
	ds_read_b128 v[148:151], v4 offset:944
	ds_read_b128 v[144:147], v4 offset:960
	scratch_load_dwordx4 v[112:115], off, off offset:560
	s_waitcnt vmcnt(16) lgkmcnt(2)
	v_mul_f64 v[126:127], v[140:141], v[30:31]
	v_fmac_f64_e32 v[126:127], v[142:143], v[28:29]
	v_add_f64 v[124:125], v[124:125], v[126:127]
	s_waitcnt vmcnt(15) lgkmcnt(1)
	v_mul_f64 v[126:127], v[148:149], v[34:35]
	v_fmac_f64_e32 v[126:127], v[150:151], v[32:33]
	s_waitcnt vmcnt(14) lgkmcnt(0)
	v_mul_f64 v[130:131], v[144:145], v[38:39]
	v_add_f64 v[128:129], v[124:125], v[126:127]
	scratch_load_dwordx4 v[124:127], off, off offset:576
	v_fmac_f64_e32 v[130:131], v[146:147], v[36:37]
	s_waitcnt vmcnt(14)
	v_mul_f64 v[134:135], v[152:153], v[42:43]
	v_add_f64 v[132:133], v[128:129], v[130:131]
	v_fmac_f64_e32 v[134:135], v[154:155], v[40:41]
	v_mul_f64 v[138:139], v[162:163], v[138:139]
	scratch_load_dwordx4 v[128:131], off, off offset:592
	v_add_f64 v[236:237], v[132:133], v[134:135]
	scratch_load_dwordx4 v[132:135], off, off offset:608
	v_fma_f64 v[246:247], v[160:161], v[136:137], -v[138:139]
	ds_read_b128 v[164:167], v4 offset:1008
	ds_read_b128 v[160:163], v4 offset:1024
	s_waitcnt vmcnt(15)
	v_mul_f64 v[238:239], v[156:157], v[46:47]
	v_mul_f64 v[136:137], v[182:183], v[170:171]
	v_fmac_f64_e32 v[238:239], v[158:159], v[44:45]
	v_fma_f64 v[248:249], v[180:181], v[168:169], -v[136:137]
	scratch_load_dwordx4 v[136:139], off, off offset:624
	s_waitcnt vmcnt(15) lgkmcnt(1)
	v_mul_f64 v[168:169], v[164:165], v[50:51]
	v_add_f64 v[236:237], v[236:237], v[238:239]
	v_fmac_f64_e32 v[168:169], v[166:167], v[48:49]
	v_mul_f64 v[198:199], v[226:227], v[198:199]
	v_add_f64 v[180:181], v[236:237], v[168:169]
	v_fma_f64 v[236:237], v[224:225], v[196:197], -v[198:199]
	scratch_load_dwordx4 v[224:227], off, off offset:640
	ds_read_b128 v[168:171], v4 offset:1040
	v_mul_f64 v[174:175], v[194:195], v[174:175]
	v_fma_f64 v[250:251], v[192:193], v[172:173], -v[174:175]
	ds_read_b128 v[172:175], v4 offset:1056
	s_waitcnt vmcnt(15) lgkmcnt(2)
	v_mul_f64 v[182:183], v[160:161], v[54:55]
	v_fmac_f64_e32 v[182:183], v[162:163], v[52:53]
	v_add_f64 v[180:181], v[180:181], v[182:183]
	s_waitcnt vmcnt(14) lgkmcnt(1)
	v_mul_f64 v[182:183], v[168:169], v[58:59]
	v_fmac_f64_e32 v[182:183], v[170:171], v[56:57]
	v_mul_f64 v[178:179], v[206:207], v[178:179]
	v_add_f64 v[180:181], v[180:181], v[182:183]
	v_fma_f64 v[252:253], v[204:205], v[176:177], -v[178:179]
	ds_read_b128 v[176:179], v4 offset:1072
	s_waitcnt vmcnt(13) lgkmcnt(1)
	v_mul_f64 v[182:183], v[172:173], v[62:63]
	v_fmac_f64_e32 v[182:183], v[174:175], v[60:61]
	v_add_f64 v[192:193], v[180:181], v[182:183]
	ds_read_b128 v[180:183], v4 offset:1088
	v_mul_f64 v[186:187], v[218:219], v[186:187]
	v_fma_f64 v[254:255], v[216:217], v[184:185], -v[186:187]
	ds_read_b128 v[184:187], v4 offset:1104
	s_waitcnt vmcnt(12) lgkmcnt(2)
	v_mul_f64 v[194:195], v[176:177], v[66:67]
	v_fmac_f64_e32 v[194:195], v[178:179], v[64:65]
	v_add_f64 v[192:193], v[192:193], v[194:195]
	s_waitcnt vmcnt(11) lgkmcnt(1)
	v_mul_f64 v[194:195], v[180:181], v[70:71]
	v_accvgpr_write_b32 a83, v3
	v_fmac_f64_e32 v[194:195], v[182:183], v[68:69]
	v_mul_f64 v[190:191], v[222:223], v[190:191]
	v_accvgpr_write_b32 a82, v2
	v_accvgpr_write_b32 a81, v1
	v_accvgpr_write_b32 a80, v0
	v_fma_f64 v[0:1], v[220:221], v[188:189], -v[190:191]
	ds_read_b128 v[188:191], v4 offset:1120
	v_add_f64 v[2:3], v[192:193], v[194:195]
	s_waitcnt vmcnt(10) lgkmcnt(1)
	v_mul_f64 v[192:193], v[184:185], v[74:75]
	v_fmac_f64_e32 v[192:193], v[186:187], v[72:73]
	v_add_f64 v[2:3], v[2:3], v[192:193]
	ds_read_b128 v[192:195], v4 offset:1136
	ds_read_b128 v[196:199], v4 offset:1152
	s_waitcnt vmcnt(9) lgkmcnt(2)
	v_mul_f64 v[204:205], v[188:189], v[78:79]
	v_mul_f64 v[202:203], v[230:231], v[202:203]
	v_fmac_f64_e32 v[204:205], v[190:191], v[76:77]
	v_fma_f64 v[244:245], v[228:229], v[200:201], -v[202:203]
	ds_read_b128 v[200:203], v4 offset:1168
	v_add_f64 v[2:3], v[2:3], v[204:205]
	s_waitcnt vmcnt(8) lgkmcnt(2)
	v_mul_f64 v[204:205], v[192:193], v[82:83]
	v_fmac_f64_e32 v[204:205], v[194:195], v[80:81]
	v_add_f64 v[2:3], v[2:3], v[204:205]
	s_waitcnt vmcnt(7) lgkmcnt(1)
	v_mul_f64 v[6:7], v[196:197], v[98:99]
	ds_read_b128 v[204:207], v4 offset:1184
	v_fmac_f64_e32 v[6:7], v[198:199], v[96:97]
	v_add_f64 v[2:3], v[2:3], v[6:7]
	s_waitcnt vmcnt(6) lgkmcnt(1)
	v_mul_f64 v[6:7], v[200:201], v[106:107]
	v_fmac_f64_e32 v[6:7], v[202:203], v[104:105]
	v_add_f64 v[2:3], v[2:3], v[6:7]
	v_mul_f64 v[6:7], v[234:235], v[210:211]
	v_fma_f64 v[238:239], v[232:233], v[208:209], -v[6:7]
	s_waitcnt vmcnt(5) lgkmcnt(0)
	v_mul_f64 v[6:7], v[204:205], v[114:115]
	v_fmac_f64_e32 v[6:7], v[206:207], v[112:113]
	ds_read_b128 v[208:211], v4 offset:1200
	v_add_f64 v[2:3], v[2:3], v[6:7]
	v_mul_f64 v[6:7], v[242:243], v[214:215]
	v_fma_f64 v[240:241], v[240:241], v[212:213], -v[6:7]
	ds_read_b128 v[212:215], v4 offset:1216
	ds_read_b128 v[216:219], v4 offset:1232
	;; [unrolled: 1-line block ×3, first 2 shown]
	s_waitcnt vmcnt(4) lgkmcnt(3)
	v_mul_f64 v[6:7], v[208:209], v[126:127]
	scratch_load_dwordx4 v[232:235], off, off offset:16
	v_fmac_f64_e32 v[6:7], v[210:211], v[124:125]
	v_add_f64 v[2:3], v[2:3], v[6:7]
	s_waitcnt vmcnt(4) lgkmcnt(2)
	v_mul_f64 v[6:7], v[212:213], v[130:131]
	v_fmac_f64_e32 v[6:7], v[214:215], v[128:129]
	ds_read_b128 v[228:231], v4 offset:1264
	v_add_f64 v[2:3], v[2:3], v[6:7]
	s_waitcnt vmcnt(3) lgkmcnt(2)
	v_mul_f64 v[6:7], v[216:217], v[134:135]
	v_fmac_f64_e32 v[6:7], v[218:219], v[132:133]
	v_add_f64 v[2:3], v[2:3], v[6:7]
	s_waitcnt vmcnt(2) lgkmcnt(1)
	v_mul_f64 v[6:7], v[220:221], v[138:139]
	v_fmac_f64_e32 v[6:7], v[222:223], v[136:137]
	v_add_f64 v[2:3], v[2:3], v[6:7]
	s_waitcnt vmcnt(1) lgkmcnt(0)
	v_mul_f64 v[6:7], v[228:229], v[226:227]
	v_fmac_f64_e32 v[6:7], v[230:231], v[224:225]
	v_add_f64 v[2:3], v[2:3], v[6:7]
	v_add_f64 v[6:7], v[246:247], 0
	;; [unrolled: 1-line block ×10, first 2 shown]
	v_accvgpr_read_b32 v239, a83
	v_accvgpr_read_b32 v238, a82
	;; [unrolled: 1-line block ×4, first 2 shown]
	v_mul_f64 v[6:7], v[122:123], v[238:239]
	v_fma_f64 v[6:7], v[120:121], v[236:237], -v[6:7]
	v_accvgpr_read_b32 v123, a87
	v_add_f64 v[0:1], v[0:1], v[240:241]
	v_accvgpr_read_b32 v122, a86
	v_add_f64 v[0:1], v[0:1], v[6:7]
	v_accvgpr_read_b32 v121, a85
	v_accvgpr_read_b32 v120, a84
	v_mul_f64 v[6:7], v[118:119], v[122:123]
	v_fma_f64 v[6:7], v[116:117], v[120:121], -v[6:7]
	v_add_f64 v[0:1], v[0:1], v[6:7]
	v_mul_f64 v[6:7], v[110:111], v[10:11]
	v_fma_f64 v[6:7], v[108:109], v[8:9], -v[6:7]
	v_add_f64 v[0:1], v[0:1], v[6:7]
	;; [unrolled: 3-line block ×28, first 2 shown]
	s_waitcnt vmcnt(0)
	v_add_f64 v[0:1], v[232:233], -v[0:1]
	v_add_f64 v[2:3], v[234:235], -v[2:3]
	scratch_store_dwordx4 off, v[0:3], off offset:16
	s_cbranch_vccz .LBB39_332
; %bb.254:
	global_load_dword v0, v4, s[16:17] offset:152
	s_waitcnt vmcnt(0)
	v_readfirstlane_b32 s0, v0
	s_add_i32 s0, s0, -1
	s_cmp_lg_u32 s0, 38
	s_cbranch_scc0 .LBB39_256
; %bb.255:
	s_lshl_b32 s0, s0, 4
	s_add_i32 s0, s0, 16
	scratch_load_dwordx4 v[0:3], off, s0
	scratch_load_dwordx4 v[4:7], off, s51
	s_waitcnt vmcnt(1)
	scratch_store_dwordx4 off, v[0:3], s51
	s_waitcnt vmcnt(1)
	scratch_store_dwordx4 off, v[4:7], s0
.LBB39_256:
	v_mov_b32_e32 v0, 0
	global_load_dword v1, v0, s[16:17] offset:148
	s_waitcnt vmcnt(0)
	v_readfirstlane_b32 s0, v1
	s_add_i32 s0, s0, -1
	s_cmp_eq_u32 s0, 37
	s_cbranch_scc1 .LBB39_258
; %bb.257:
	s_lshl_b32 s0, s0, 4
	s_add_i32 s0, s0, 16
	scratch_load_dwordx4 v[2:5], off, s0
	scratch_load_dwordx4 v[6:9], off, s50
	s_waitcnt vmcnt(1)
	scratch_store_dwordx4 off, v[2:5], s50
	s_waitcnt vmcnt(1)
	scratch_store_dwordx4 off, v[6:9], s0
.LBB39_258:
	global_load_dword v0, v0, s[16:17] offset:144
	s_waitcnt vmcnt(0)
	v_readfirstlane_b32 s0, v0
	s_add_i32 s0, s0, -1
	s_cmp_eq_u32 s0, 36
	s_cbranch_scc1 .LBB39_260
; %bb.259:
	s_lshl_b32 s0, s0, 4
	s_add_i32 s0, s0, 16
	scratch_load_dwordx4 v[0:3], off, s0
	scratch_load_dwordx4 v[4:7], off, s49
	s_waitcnt vmcnt(1)
	scratch_store_dwordx4 off, v[0:3], s49
	s_waitcnt vmcnt(1)
	scratch_store_dwordx4 off, v[4:7], s0
.LBB39_260:
	v_mov_b32_e32 v0, 0
	global_load_dword v1, v0, s[16:17] offset:140
	s_waitcnt vmcnt(0)
	v_readfirstlane_b32 s0, v1
	s_add_i32 s0, s0, -1
	s_cmp_eq_u32 s0, 35
	s_cbranch_scc1 .LBB39_262
; %bb.261:
	s_lshl_b32 s0, s0, 4
	s_add_i32 s0, s0, 16
	scratch_load_dwordx4 v[2:5], off, s0
	scratch_load_dwordx4 v[6:9], off, s48
	s_waitcnt vmcnt(1)
	scratch_store_dwordx4 off, v[2:5], s48
	s_waitcnt vmcnt(1)
	scratch_store_dwordx4 off, v[6:9], s0
.LBB39_262:
	global_load_dword v0, v0, s[16:17] offset:136
	s_waitcnt vmcnt(0)
	v_readfirstlane_b32 s0, v0
	s_add_i32 s0, s0, -1
	s_cmp_eq_u32 s0, 34
	s_cbranch_scc1 .LBB39_264
; %bb.263:
	s_lshl_b32 s0, s0, 4
	s_add_i32 s0, s0, 16
	scratch_load_dwordx4 v[0:3], off, s0
	scratch_load_dwordx4 v[4:7], off, s47
	s_waitcnt vmcnt(1)
	scratch_store_dwordx4 off, v[0:3], s47
	s_waitcnt vmcnt(1)
	scratch_store_dwordx4 off, v[4:7], s0
.LBB39_264:
	;; [unrolled: 33-line block ×18, first 2 shown]
	v_mov_b32_e32 v0, 0
	global_load_dword v1, v0, s[16:17] offset:4
	s_waitcnt vmcnt(0)
	v_readfirstlane_b32 s0, v1
	s_add_i32 s0, s0, -1
	s_cmp_eq_u32 s0, 1
	s_cbranch_scc1 .LBB39_330
; %bb.329:
	s_lshl_b32 s0, s0, 4
	s_add_i32 s0, s0, 16
	scratch_load_dwordx4 v[2:5], off, s0
	scratch_load_dwordx4 v[6:9], off, s15
	s_waitcnt vmcnt(1)
	scratch_store_dwordx4 off, v[2:5], s15
	s_waitcnt vmcnt(1)
	scratch_store_dwordx4 off, v[6:9], s0
.LBB39_330:
	global_load_dword v0, v0, s[16:17]
	s_waitcnt vmcnt(0)
	v_readfirstlane_b32 s0, v0
	s_add_i32 s0, s0, -1
	s_cmp_eq_u32 s0, 0
	s_cbranch_scc1 .LBB39_332
; %bb.331:
	s_lshl_b32 s0, s0, 4
	s_add_i32 s0, s0, 16
	scratch_load_dwordx4 v[0:3], off, s0
	scratch_load_dwordx4 v[4:7], off, off offset:16
	s_waitcnt vmcnt(1)
	scratch_store_dwordx4 off, v[0:3], off offset:16
	s_waitcnt vmcnt(1)
	scratch_store_dwordx4 off, v[4:7], s0
.LBB39_332:
	scratch_load_dwordx4 v[0:3], off, off offset:16
	s_nop 0
	scratch_load_dwordx4 v[4:7], off, s15
	scratch_load_dwordx4 v[8:11], off, s12
	scratch_load_dwordx4 v[12:15], off, s13
	scratch_load_dwordx4 v[16:19], off, s14
	scratch_load_dwordx4 v[20:23], off, s21
	scratch_load_dwordx4 v[24:27], off, s22
	scratch_load_dwordx4 v[28:31], off, s53
	scratch_load_dwordx4 v[32:35], off, s20
	scratch_load_dwordx4 v[36:39], off, s23
	scratch_load_dwordx4 v[40:43], off, s54
	scratch_load_dwordx4 v[44:47], off, s55
                                        ; kill: killed $sgpr15
                                        ; kill: killed $sgpr53
                                        ; kill: killed $sgpr22
                                        ; kill: killed $sgpr21
                                        ; kill: killed $sgpr55
                                        ; kill: killed $sgpr14
                                        ; kill: killed $sgpr54
                                        ; kill: killed $sgpr13
                                        ; kill: killed $sgpr23
                                        ; kill: killed $sgpr12
                                        ; kill: killed $sgpr20
	scratch_load_dwordx4 v[48:51], off, s24
	scratch_load_dwordx4 v[52:55], off, s25
	;; [unrolled: 1-line block ×28, first 2 shown]
	v_accvgpr_read_b32 v161, a1
	v_accvgpr_read_b32 v160, a0
	s_waitcnt vmcnt(39)
	global_store_dwordx4 v[160:161], v[0:3], off
	s_nop 1
	v_accvgpr_read_b32 v0, a2
	v_accvgpr_read_b32 v1, a3
	s_waitcnt vmcnt(39)
	global_store_dwordx4 v[0:1], v[4:7], off
	v_accvgpr_read_b32 v0, a4
	v_accvgpr_read_b32 v1, a5
	s_waitcnt vmcnt(39)
	global_store_dwordx4 v[0:1], v[8:11], off
	v_accvgpr_read_b32 v0, a6
	v_accvgpr_read_b32 v1, a7
	s_waitcnt vmcnt(39)
	global_store_dwordx4 v[0:1], v[12:15], off
	v_accvgpr_read_b32 v0, a8
	v_accvgpr_read_b32 v1, a9
	s_waitcnt vmcnt(39)
	global_store_dwordx4 v[0:1], v[16:19], off
	v_accvgpr_read_b32 v0, a10
	v_accvgpr_read_b32 v1, a11
	s_waitcnt vmcnt(39)
	global_store_dwordx4 v[0:1], v[20:23], off
	v_accvgpr_read_b32 v0, a12
	v_accvgpr_read_b32 v1, a13
	s_waitcnt vmcnt(39)
	global_store_dwordx4 v[0:1], v[24:27], off
	v_accvgpr_read_b32 v0, a14
	v_accvgpr_read_b32 v1, a15
	s_waitcnt vmcnt(39)
	global_store_dwordx4 v[0:1], v[28:31], off
	v_accvgpr_read_b32 v0, a16
	v_accvgpr_read_b32 v1, a17
	s_waitcnt vmcnt(39)
	global_store_dwordx4 v[0:1], v[32:35], off
	v_accvgpr_read_b32 v0, a18
	v_accvgpr_read_b32 v1, a19
	s_waitcnt vmcnt(39)
	global_store_dwordx4 v[0:1], v[36:39], off
	v_accvgpr_read_b32 v0, a20
	v_accvgpr_read_b32 v1, a21
	s_waitcnt vmcnt(39)
	global_store_dwordx4 v[0:1], v[40:43], off
	v_accvgpr_read_b32 v0, a22
	v_accvgpr_read_b32 v1, a23
	s_waitcnt vmcnt(39)
	global_store_dwordx4 v[0:1], v[44:47], off
	v_accvgpr_read_b32 v0, a24
	v_accvgpr_read_b32 v1, a25
	s_waitcnt vmcnt(39)
	global_store_dwordx4 v[0:1], v[48:51], off
	v_accvgpr_read_b32 v0, a26
	v_accvgpr_read_b32 v1, a27
	s_waitcnt vmcnt(39)
	global_store_dwordx4 v[0:1], v[52:55], off
	v_accvgpr_read_b32 v0, a28
	v_accvgpr_read_b32 v1, a29
	s_waitcnt vmcnt(39)
	global_store_dwordx4 v[0:1], v[56:59], off
	v_accvgpr_read_b32 v0, a30
	v_accvgpr_read_b32 v1, a31
	s_waitcnt vmcnt(39)
	global_store_dwordx4 v[0:1], v[60:63], off
	v_accvgpr_read_b32 v0, a32
	v_accvgpr_read_b32 v1, a33
	s_waitcnt vmcnt(39)
	global_store_dwordx4 v[0:1], v[64:67], off
	v_accvgpr_read_b32 v0, a34
	v_accvgpr_read_b32 v1, a35
	s_waitcnt vmcnt(39)
	global_store_dwordx4 v[0:1], v[68:71], off
	v_accvgpr_read_b32 v0, a36
	v_accvgpr_read_b32 v1, a37
	s_waitcnt vmcnt(39)
	global_store_dwordx4 v[0:1], v[72:75], off
	v_accvgpr_read_b32 v0, a38
	v_accvgpr_read_b32 v1, a39
	s_waitcnt vmcnt(39)
	global_store_dwordx4 v[0:1], v[76:79], off
	v_accvgpr_read_b32 v0, a40
	v_accvgpr_read_b32 v1, a41
	s_waitcnt vmcnt(39)
	global_store_dwordx4 v[0:1], v[80:83], off
	v_accvgpr_read_b32 v0, a42
	v_accvgpr_read_b32 v1, a43
	s_waitcnt vmcnt(39)
	global_store_dwordx4 v[0:1], v[84:87], off
	v_accvgpr_read_b32 v0, a44
	v_accvgpr_read_b32 v1, a45
	s_waitcnt vmcnt(39)
	global_store_dwordx4 v[0:1], v[88:91], off
	v_accvgpr_read_b32 v0, a46
	v_accvgpr_read_b32 v1, a47
	s_waitcnt vmcnt(39)
	global_store_dwordx4 v[0:1], v[92:95], off
	v_accvgpr_read_b32 v0, a48
	v_accvgpr_read_b32 v1, a49
	s_waitcnt vmcnt(39)
	global_store_dwordx4 v[0:1], v[96:99], off
	v_accvgpr_read_b32 v0, a50
	v_accvgpr_read_b32 v1, a51
	s_waitcnt vmcnt(39)
	global_store_dwordx4 v[0:1], v[100:103], off
	v_accvgpr_read_b32 v0, a52
	v_accvgpr_read_b32 v1, a53
	s_waitcnt vmcnt(39)
	global_store_dwordx4 v[0:1], v[104:107], off
	v_accvgpr_read_b32 v0, a54
	v_accvgpr_read_b32 v1, a55
	s_waitcnt vmcnt(39)
	global_store_dwordx4 v[0:1], v[108:111], off
	v_accvgpr_read_b32 v0, a56
	v_accvgpr_read_b32 v1, a57
	s_waitcnt vmcnt(39)
	global_store_dwordx4 v[0:1], v[112:115], off
	v_accvgpr_read_b32 v0, a58
	v_accvgpr_read_b32 v1, a59
	s_waitcnt vmcnt(39)
	global_store_dwordx4 v[0:1], v[116:119], off
	v_accvgpr_read_b32 v0, a60
	v_accvgpr_read_b32 v1, a61
	s_waitcnt vmcnt(39)
	global_store_dwordx4 v[0:1], v[120:123], off
	v_accvgpr_read_b32 v0, a62
	v_accvgpr_read_b32 v1, a63
	s_waitcnt vmcnt(39)
	global_store_dwordx4 v[0:1], v[124:127], off
	v_accvgpr_read_b32 v0, a64
	v_accvgpr_read_b32 v1, a65
	s_waitcnt vmcnt(39)
	global_store_dwordx4 v[0:1], v[128:131], off
	v_accvgpr_read_b32 v0, a66
	v_accvgpr_read_b32 v1, a67
	s_waitcnt vmcnt(39)
	global_store_dwordx4 v[0:1], v[132:135], off
	v_accvgpr_read_b32 v0, a68
	v_accvgpr_read_b32 v1, a69
	s_waitcnt vmcnt(39)
	global_store_dwordx4 v[0:1], v[136:139], off
	v_accvgpr_read_b32 v0, a70
	v_accvgpr_read_b32 v1, a71
	s_waitcnt vmcnt(39)
	global_store_dwordx4 v[0:1], v[140:143], off
	v_accvgpr_read_b32 v0, a72
	v_accvgpr_read_b32 v1, a73
	s_waitcnt vmcnt(39)
	global_store_dwordx4 v[0:1], v[144:147], off
	v_accvgpr_read_b32 v0, a74
	v_accvgpr_read_b32 v1, a75
	s_waitcnt vmcnt(39)
	global_store_dwordx4 v[0:1], v[148:151], off
	v_accvgpr_read_b32 v0, a76
	v_accvgpr_read_b32 v1, a77
	s_waitcnt vmcnt(39)
	global_store_dwordx4 v[0:1], v[152:155], off
	v_accvgpr_read_b32 v0, a78
	v_accvgpr_read_b32 v1, a79
	s_waitcnt vmcnt(39)
	global_store_dwordx4 v[0:1], v[156:159], off
	s_endpgm
	.section	.rodata,"a",@progbits
	.p2align	6, 0x0
	.amdhsa_kernel _ZN9rocsolver6v33100L18getri_kernel_smallILi40E19rocblas_complex_numIdEPS3_EEvT1_iilPiilS6_bb
		.amdhsa_group_segment_fixed_size 1288
		.amdhsa_private_segment_fixed_size 672
		.amdhsa_kernarg_size 60
		.amdhsa_user_sgpr_count 2
		.amdhsa_user_sgpr_dispatch_ptr 0
		.amdhsa_user_sgpr_queue_ptr 0
		.amdhsa_user_sgpr_kernarg_segment_ptr 1
		.amdhsa_user_sgpr_dispatch_id 0
		.amdhsa_user_sgpr_kernarg_preload_length 0
		.amdhsa_user_sgpr_kernarg_preload_offset 0
		.amdhsa_user_sgpr_private_segment_size 0
		.amdhsa_uses_dynamic_stack 0
		.amdhsa_enable_private_segment 1
		.amdhsa_system_sgpr_workgroup_id_x 1
		.amdhsa_system_sgpr_workgroup_id_y 0
		.amdhsa_system_sgpr_workgroup_id_z 0
		.amdhsa_system_sgpr_workgroup_info 0
		.amdhsa_system_vgpr_workitem_id 0
		.amdhsa_next_free_vgpr 344
		.amdhsa_next_free_sgpr 56
		.amdhsa_accum_offset 256
		.amdhsa_reserve_vcc 1
		.amdhsa_float_round_mode_32 0
		.amdhsa_float_round_mode_16_64 0
		.amdhsa_float_denorm_mode_32 3
		.amdhsa_float_denorm_mode_16_64 3
		.amdhsa_dx10_clamp 1
		.amdhsa_ieee_mode 1
		.amdhsa_fp16_overflow 0
		.amdhsa_tg_split 0
		.amdhsa_exception_fp_ieee_invalid_op 0
		.amdhsa_exception_fp_denorm_src 0
		.amdhsa_exception_fp_ieee_div_zero 0
		.amdhsa_exception_fp_ieee_overflow 0
		.amdhsa_exception_fp_ieee_underflow 0
		.amdhsa_exception_fp_ieee_inexact 0
		.amdhsa_exception_int_div_zero 0
	.end_amdhsa_kernel
	.section	.text._ZN9rocsolver6v33100L18getri_kernel_smallILi40E19rocblas_complex_numIdEPS3_EEvT1_iilPiilS6_bb,"axG",@progbits,_ZN9rocsolver6v33100L18getri_kernel_smallILi40E19rocblas_complex_numIdEPS3_EEvT1_iilPiilS6_bb,comdat
.Lfunc_end39:
	.size	_ZN9rocsolver6v33100L18getri_kernel_smallILi40E19rocblas_complex_numIdEPS3_EEvT1_iilPiilS6_bb, .Lfunc_end39-_ZN9rocsolver6v33100L18getri_kernel_smallILi40E19rocblas_complex_numIdEPS3_EEvT1_iilPiilS6_bb
                                        ; -- End function
	.set _ZN9rocsolver6v33100L18getri_kernel_smallILi40E19rocblas_complex_numIdEPS3_EEvT1_iilPiilS6_bb.num_vgpr, 256
	.set _ZN9rocsolver6v33100L18getri_kernel_smallILi40E19rocblas_complex_numIdEPS3_EEvT1_iilPiilS6_bb.num_agpr, 88
	.set _ZN9rocsolver6v33100L18getri_kernel_smallILi40E19rocblas_complex_numIdEPS3_EEvT1_iilPiilS6_bb.numbered_sgpr, 56
	.set _ZN9rocsolver6v33100L18getri_kernel_smallILi40E19rocblas_complex_numIdEPS3_EEvT1_iilPiilS6_bb.num_named_barrier, 0
	.set _ZN9rocsolver6v33100L18getri_kernel_smallILi40E19rocblas_complex_numIdEPS3_EEvT1_iilPiilS6_bb.private_seg_size, 672
	.set _ZN9rocsolver6v33100L18getri_kernel_smallILi40E19rocblas_complex_numIdEPS3_EEvT1_iilPiilS6_bb.uses_vcc, 1
	.set _ZN9rocsolver6v33100L18getri_kernel_smallILi40E19rocblas_complex_numIdEPS3_EEvT1_iilPiilS6_bb.uses_flat_scratch, 0
	.set _ZN9rocsolver6v33100L18getri_kernel_smallILi40E19rocblas_complex_numIdEPS3_EEvT1_iilPiilS6_bb.has_dyn_sized_stack, 0
	.set _ZN9rocsolver6v33100L18getri_kernel_smallILi40E19rocblas_complex_numIdEPS3_EEvT1_iilPiilS6_bb.has_recursion, 0
	.set _ZN9rocsolver6v33100L18getri_kernel_smallILi40E19rocblas_complex_numIdEPS3_EEvT1_iilPiilS6_bb.has_indirect_call, 0
	.section	.AMDGPU.csdata,"",@progbits
; Kernel info:
; codeLenInByte = 70180
; TotalNumSgprs: 62
; NumVgprs: 256
; NumAgprs: 88
; TotalNumVgprs: 344
; ScratchSize: 672
; MemoryBound: 0
; FloatMode: 240
; IeeeMode: 1
; LDSByteSize: 1288 bytes/workgroup (compile time only)
; SGPRBlocks: 7
; VGPRBlocks: 42
; NumSGPRsForWavesPerEU: 62
; NumVGPRsForWavesPerEU: 344
; AccumOffset: 256
; Occupancy: 1
; WaveLimiterHint : 1
; COMPUTE_PGM_RSRC2:SCRATCH_EN: 1
; COMPUTE_PGM_RSRC2:USER_SGPR: 2
; COMPUTE_PGM_RSRC2:TRAP_HANDLER: 0
; COMPUTE_PGM_RSRC2:TGID_X_EN: 1
; COMPUTE_PGM_RSRC2:TGID_Y_EN: 0
; COMPUTE_PGM_RSRC2:TGID_Z_EN: 0
; COMPUTE_PGM_RSRC2:TIDIG_COMP_CNT: 0
; COMPUTE_PGM_RSRC3_GFX90A:ACCUM_OFFSET: 63
; COMPUTE_PGM_RSRC3_GFX90A:TG_SPLIT: 0
	.section	.text._ZN9rocsolver6v33100L18getri_kernel_smallILi41E19rocblas_complex_numIdEPS3_EEvT1_iilPiilS6_bb,"axG",@progbits,_ZN9rocsolver6v33100L18getri_kernel_smallILi41E19rocblas_complex_numIdEPS3_EEvT1_iilPiilS6_bb,comdat
	.globl	_ZN9rocsolver6v33100L18getri_kernel_smallILi41E19rocblas_complex_numIdEPS3_EEvT1_iilPiilS6_bb ; -- Begin function _ZN9rocsolver6v33100L18getri_kernel_smallILi41E19rocblas_complex_numIdEPS3_EEvT1_iilPiilS6_bb
	.p2align	8
	.type	_ZN9rocsolver6v33100L18getri_kernel_smallILi41E19rocblas_complex_numIdEPS3_EEvT1_iilPiilS6_bb,@function
_ZN9rocsolver6v33100L18getri_kernel_smallILi41E19rocblas_complex_numIdEPS3_EEvT1_iilPiilS6_bb: ; @_ZN9rocsolver6v33100L18getri_kernel_smallILi41E19rocblas_complex_numIdEPS3_EEvT1_iilPiilS6_bb
; %bb.0:
	v_mov_b32_e32 v240, v0
	v_cmp_gt_u32_e32 vcc, 41, v240
	s_and_saveexec_b64 s[4:5], vcc
	s_cbranch_execz .LBB40_178
; %bb.1:
	s_load_dword s8, s[0:1], 0x38
	s_load_dwordx4 s[12:15], s[0:1], 0x10
	s_load_dwordx4 s[4:7], s[0:1], 0x28
                                        ; implicit-def: $sgpr16_sgpr17
	s_waitcnt lgkmcnt(0)
	s_bitcmp1_b32 s8, 8
	s_cselect_b64 s[18:19], -1, 0
	s_ashr_i32 s3, s2, 31
	s_bfe_u32 s8, s8, 0x10008
	s_cmp_eq_u32 s8, 0
	s_cbranch_scc1 .LBB40_3
; %bb.2:
	s_load_dword s8, s[0:1], 0x20
	s_mul_i32 s9, s4, s3
	s_mul_hi_u32 s10, s4, s2
	s_mul_i32 s5, s5, s2
	s_add_i32 s10, s10, s9
	s_add_i32 s5, s10, s5
	s_mul_i32 s4, s4, s2
	s_waitcnt lgkmcnt(0)
	s_ashr_i32 s9, s8, 31
	s_lshl_b64 s[4:5], s[4:5], 2
	s_add_u32 s10, s14, s4
	s_addc_u32 s11, s15, s5
	s_lshl_b64 s[4:5], s[8:9], 2
	s_add_u32 s16, s10, s4
	s_addc_u32 s17, s11, s5
.LBB40_3:
	s_load_dwordx4 s[8:11], s[0:1], 0x0
	s_load_dword s4, s[0:1], 0x38
	s_mul_i32 s5, s12, s3
	s_mul_hi_u32 s14, s12, s2
	s_add_i32 s5, s14, s5
	s_waitcnt lgkmcnt(0)
	s_ashr_i32 s1, s10, 31
	s_mov_b32 s0, s10
	s_mul_i32 s10, s13, s2
	s_add_i32 s13, s5, s10
	s_mul_i32 s12, s12, s2
	s_lshl_b64 s[12:13], s[12:13], 4
	s_add_u32 s5, s8, s12
	s_addc_u32 s8, s9, s13
	s_lshl_b64 s[0:1], s[0:1], 4
	s_add_u32 s0, s5, s0
	s_addc_u32 s1, s8, s1
	s_add_i32 s5, s11, s11
	v_add_u32_e32 v14, s5, v240
	v_lshlrev_b32_e32 v70, 4, v240
	v_mov_b32_e32 v71, 0
	v_ashrrev_i32_e32 v15, 31, v14
	v_lshl_add_u64 v[0:1], s[0:1], 0, v[70:71]
	v_lshl_add_u64 v[10:11], v[14:15], 4, s[0:1]
	v_add_u32_e32 v14, s11, v14
	s_ashr_i32 s9, s11, 31
	s_mov_b32 s8, s11
	v_accvgpr_write_b32 a0, v0
	v_add_u32_e32 v22, s11, v14
	v_accvgpr_write_b32 a1, v1
	v_lshl_add_u64 v[0:1], s[8:9], 4, v[0:1]
	v_ashrrev_i32_e32 v23, 31, v22
	v_accvgpr_write_b32 a3, v1
	v_ashrrev_i32_e32 v15, 31, v14
	v_lshl_add_u64 v[18:19], v[22:23], 4, s[0:1]
	v_add_u32_e32 v22, s11, v22
	global_load_dwordx4 v[2:5], v70, s[0:1]
	global_load_dwordx4 v[6:9], v[0:1], off
	v_accvgpr_write_b32 a2, v0
	v_lshl_add_u64 v[0:1], v[14:15], 4, s[0:1]
	v_add_u32_e32 v30, s11, v22
	v_accvgpr_write_b32 a4, v10
	v_accvgpr_write_b32 a7, v1
	v_ashrrev_i32_e32 v23, 31, v22
	v_ashrrev_i32_e32 v31, 31, v30
	v_accvgpr_write_b32 a5, v11
	global_load_dwordx4 v[10:13], v[10:11], off
	v_accvgpr_write_b32 a6, v0
	global_load_dwordx4 v[14:17], v[0:1], off
	v_lshl_add_u64 v[0:1], v[22:23], 4, s[0:1]
	v_lshl_add_u64 v[26:27], v[30:31], 4, s[0:1]
	v_add_u32_e32 v30, s11, v30
	v_accvgpr_write_b32 a8, v18
	v_accvgpr_write_b32 a11, v1
	v_ashrrev_i32_e32 v31, 31, v30
	v_accvgpr_write_b32 a9, v19
	global_load_dwordx4 v[18:21], v[18:19], off
	v_accvgpr_write_b32 a10, v0
	global_load_dwordx4 v[22:25], v[0:1], off
	v_lshl_add_u64 v[0:1], v[30:31], 4, s[0:1]
	v_add_u32_e32 v30, s11, v30
	v_add_u32_e32 v38, s11, v30
	v_accvgpr_write_b32 a12, v26
	v_ashrrev_i32_e32 v31, 31, v30
	v_ashrrev_i32_e32 v39, 31, v38
	v_add_u32_e32 v40, s11, v38
	v_accvgpr_write_b32 a15, v1
	v_accvgpr_write_b32 a13, v27
	global_load_dwordx4 v[26:29], v[26:27], off
	v_lshl_add_u64 v[34:35], v[30:31], 4, s[0:1]
	v_accvgpr_write_b32 a14, v0
	global_load_dwordx4 v[30:33], v[0:1], off
	v_lshl_add_u64 v[0:1], v[38:39], 4, s[0:1]
	v_add_u32_e32 v46, s11, v40
	v_accvgpr_write_b32 a16, v34
	v_ashrrev_i32_e32 v41, 31, v40
	v_ashrrev_i32_e32 v47, 31, v46
	v_add_u32_e32 v48, s11, v46
	v_accvgpr_write_b32 a19, v1
	v_accvgpr_write_b32 a17, v35
	global_load_dwordx4 v[34:37], v[34:35], off
	v_lshl_add_u64 v[42:43], v[40:41], 4, s[0:1]
	v_accvgpr_write_b32 a18, v0
	global_load_dwordx4 v[38:41], v[0:1], off
	v_lshl_add_u64 v[0:1], v[46:47], 4, s[0:1]
	v_add_u32_e32 v54, s11, v48
	v_accvgpr_write_b32 a20, v42
	v_ashrrev_i32_e32 v49, 31, v48
	v_ashrrev_i32_e32 v55, 31, v54
	v_accvgpr_write_b32 a23, v1
	v_accvgpr_write_b32 a21, v43
	global_load_dwordx4 v[42:45], v[42:43], off
	v_lshl_add_u64 v[50:51], v[48:49], 4, s[0:1]
	v_accvgpr_write_b32 a22, v0
	global_load_dwordx4 v[46:49], v[0:1], off
	v_lshl_add_u64 v[0:1], v[54:55], 4, s[0:1]
	v_add_u32_e32 v54, s11, v54
	v_add_u32_e32 v62, s11, v54
	;; [unrolled: 1-line block ×5, first 2 shown]
	v_ashrrev_i32_e32 v81, 31, v80
	v_lshl_add_u64 v[76:77], v[80:81], 4, s[0:1]
	v_add_u32_e32 v80, s11, v80
	v_add_u32_e32 v88, s11, v80
	v_ashrrev_i32_e32 v89, 31, v88
	v_lshl_add_u64 v[84:85], v[88:89], 4, s[0:1]
	v_add_u32_e32 v88, s11, v88
	v_add_u32_e32 v96, s11, v88
	v_ashrrev_i32_e32 v97, 31, v96
	v_lshl_add_u64 v[92:93], v[96:97], 4, s[0:1]
	v_add_u32_e32 v96, s11, v96
	v_accvgpr_write_b32 a24, v50
	v_ashrrev_i32_e32 v55, 31, v54
	v_ashrrev_i32_e32 v63, 31, v62
	v_accvgpr_write_b32 a27, v1
	v_add_u32_e32 v104, s11, v96
	v_accvgpr_write_b32 a25, v51
	global_load_dwordx4 v[50:53], v[50:51], off
	v_lshl_add_u64 v[58:59], v[54:55], 4, s[0:1]
	v_accvgpr_write_b32 a26, v0
	global_load_dwordx4 v[54:57], v[0:1], off
	v_lshl_add_u64 v[0:1], v[62:63], 4, s[0:1]
	v_ashrrev_i32_e32 v105, 31, v104
	v_accvgpr_write_b32 a28, v58
	v_ashrrev_i32_e32 v65, 31, v64
	v_ashrrev_i32_e32 v73, 31, v72
	v_accvgpr_write_b32 a31, v1
	v_lshl_add_u64 v[100:101], v[104:105], 4, s[0:1]
	v_add_u32_e32 v104, s11, v104
	v_accvgpr_write_b32 a29, v59
	global_load_dwordx4 v[58:61], v[58:59], off
	v_lshl_add_u64 v[66:67], v[64:65], 4, s[0:1]
	v_accvgpr_write_b32 a30, v0
	global_load_dwordx4 v[62:65], v[0:1], off
	v_lshl_add_u64 v[0:1], v[72:73], 4, s[0:1]
	v_add_u32_e32 v112, s11, v104
	v_accvgpr_write_b32 a32, v66
	v_accvgpr_write_b32 a35, v1
	v_ashrrev_i32_e32 v81, 31, v80
	v_ashrrev_i32_e32 v113, 31, v112
	v_accvgpr_write_b32 a33, v67
	global_load_dwordx4 v[66:69], v[66:67], off
	v_accvgpr_write_b32 a34, v0
	global_load_dwordx4 v[72:75], v[0:1], off
	v_lshl_add_u64 v[0:1], v[80:81], 4, s[0:1]
	v_lshl_add_u64 v[108:109], v[112:113], 4, s[0:1]
	v_add_u32_e32 v112, s11, v112
	v_accvgpr_write_b32 a36, v76
	v_accvgpr_write_b32 a39, v1
	v_ashrrev_i32_e32 v89, 31, v88
	v_add_u32_e32 v120, s11, v112
	v_accvgpr_write_b32 a37, v77
	global_load_dwordx4 v[76:79], v[76:77], off
	v_accvgpr_write_b32 a38, v0
	global_load_dwordx4 v[80:83], v[0:1], off
	v_lshl_add_u64 v[0:1], v[88:89], 4, s[0:1]
	v_ashrrev_i32_e32 v121, 31, v120
	v_accvgpr_write_b32 a40, v84
	v_accvgpr_write_b32 a43, v1
	v_ashrrev_i32_e32 v97, 31, v96
	v_lshl_add_u64 v[116:117], v[120:121], 4, s[0:1]
	v_add_u32_e32 v120, s11, v120
	v_accvgpr_write_b32 a41, v85
	global_load_dwordx4 v[84:87], v[84:85], off
	v_accvgpr_write_b32 a42, v0
	global_load_dwordx4 v[88:91], v[0:1], off
	v_lshl_add_u64 v[0:1], v[96:97], 4, s[0:1]
	v_add_u32_e32 v128, s11, v120
	v_accvgpr_write_b32 a44, v92
	v_accvgpr_write_b32 a47, v1
	v_ashrrev_i32_e32 v105, 31, v104
	v_ashrrev_i32_e32 v129, 31, v128
	v_accvgpr_write_b32 a45, v93
	global_load_dwordx4 v[92:95], v[92:93], off
	v_accvgpr_write_b32 a46, v0
	global_load_dwordx4 v[96:99], v[0:1], off
	v_lshl_add_u64 v[0:1], v[104:105], 4, s[0:1]
	v_lshl_add_u64 v[124:125], v[128:129], 4, s[0:1]
	v_add_u32_e32 v128, s11, v128
	v_accvgpr_write_b32 a48, v100
	v_accvgpr_write_b32 a51, v1
	v_ashrrev_i32_e32 v113, 31, v112
	v_add_u32_e32 v136, s11, v128
	v_accvgpr_write_b32 a49, v101
	global_load_dwordx4 v[100:103], v[100:101], off
	v_accvgpr_write_b32 a50, v0
	global_load_dwordx4 v[104:107], v[0:1], off
	v_lshl_add_u64 v[0:1], v[112:113], 4, s[0:1]
	v_ashrrev_i32_e32 v137, 31, v136
	v_accvgpr_write_b32 a52, v108
	v_accvgpr_write_b32 a55, v1
	v_ashrrev_i32_e32 v121, 31, v120
	v_lshl_add_u64 v[132:133], v[136:137], 4, s[0:1]
	v_add_u32_e32 v136, s11, v136
	v_accvgpr_write_b32 a53, v109
	global_load_dwordx4 v[108:111], v[108:109], off
	;; [unrolled: 32-line block ×3, first 2 shown]
	v_accvgpr_write_b32 a66, v0
	global_load_dwordx4 v[136:139], v[0:1], off
	v_lshl_add_u64 v[0:1], v[144:145], 4, s[0:1]
	v_add_u32_e32 v160, s11, v152
	v_accvgpr_write_b32 a68, v140
	v_accvgpr_write_b32 a71, v1
	v_ashrrev_i32_e32 v153, 31, v152
	v_ashrrev_i32_e32 v161, 31, v160
	v_accvgpr_write_b32 a69, v141
	global_load_dwordx4 v[140:143], v[140:141], off
	v_accvgpr_write_b32 a70, v0
	global_load_dwordx4 v[144:147], v[0:1], off
	v_lshl_add_u64 v[0:1], v[152:153], 4, s[0:1]
	v_lshl_add_u64 v[156:157], v[160:161], 4, s[0:1]
	v_add_u32_e32 v160, s11, v160
	v_accvgpr_write_b32 a72, v148
	v_accvgpr_write_b32 a75, v1
	v_ashrrev_i32_e32 v161, 31, v160
	v_accvgpr_write_b32 a73, v149
	global_load_dwordx4 v[148:151], v[148:149], off
	v_accvgpr_write_b32 a74, v0
	global_load_dwordx4 v[152:155], v[0:1], off
	v_lshl_add_u64 v[0:1], v[160:161], 4, s[0:1]
	v_add_u32_e32 v160, s11, v160
	v_accvgpr_write_b32 a76, v156
	v_ashrrev_i32_e32 v161, 31, v160
	v_accvgpr_write_b32 a77, v157
	global_load_dwordx4 v[156:159], v[156:157], off
	v_lshl_add_u64 v[164:165], v[160:161], 4, s[0:1]
	global_load_dwordx4 v[160:163], v[0:1], off
	v_accvgpr_write_b32 a80, v164
	v_accvgpr_write_b32 a81, v165
	global_load_dwordx4 v[164:167], v[164:165], off
	s_movk_i32 s0, 0x50
	s_add_i32 s20, s0, 16
	s_movk_i32 s0, 0x60
	s_add_i32 s22, s0, 16
	;; [unrolled: 2-line block ×35, first 2 shown]
	s_movk_i32 s0, 0x280
	v_accvgpr_write_b32 a79, v1
	s_add_i32 s54, s0, 16
	v_accvgpr_write_b32 a78, v0
	s_mov_b32 s15, 32
	s_mov_b32 s12, 48
	;; [unrolled: 1-line block ×3, first 2 shown]
	s_movk_i32 s14, 0x50
	s_bitcmp0_b32 s4, 0
	s_mov_b64 s[4:5], -1
	s_waitcnt vmcnt(40)
	scratch_store_dwordx4 off, v[2:5], off offset:16
	s_waitcnt vmcnt(40)
	scratch_store_dwordx4 off, v[6:9], off offset:32
	;; [unrolled: 2-line block ×41, first 2 shown]
	s_cbranch_scc1 .LBB40_176
; %bb.4:
	v_cmp_eq_u32_e64 s[0:1], 0, v240
	s_and_saveexec_b64 s[4:5], s[0:1]
; %bb.5:
	v_mov_b32_e32 v0, 0
	ds_write_b32 v0, v0 offset:1312
; %bb.6:
	s_or_b64 exec, exec, s[4:5]
	s_waitcnt lgkmcnt(0)
	; wave barrier
	scratch_load_dwordx4 v[2:5], v70, off offset:16
	s_waitcnt vmcnt(0)
	v_cmp_eq_f64_e32 vcc, 0, v[2:3]
	v_cmp_eq_f64_e64 s[4:5], 0, v[4:5]
	s_and_b64 s[4:5], vcc, s[4:5]
	s_and_saveexec_b64 s[8:9], s[4:5]
	s_cbranch_execz .LBB40_10
; %bb.7:
	v_mov_b32_e32 v1, 0
	ds_read_b32 v0, v1 offset:1312
	v_add_u32_e32 v2, 1, v240
	s_waitcnt lgkmcnt(0)
	v_readfirstlane_b32 s4, v0
	s_cmp_eq_u32 s4, 0
	s_cselect_b64 s[10:11], -1, 0
	v_cmp_gt_i32_e32 vcc, s4, v2
	s_or_b64 s[10:11], s[10:11], vcc
	s_and_b64 exec, exec, s[10:11]
	s_cbranch_execz .LBB40_10
; %bb.8:
	s_mov_b64 s[10:11], 0
	v_mov_b32_e32 v3, s4
.LBB40_9:                               ; =>This Inner Loop Header: Depth=1
	ds_cmpst_rtn_b32 v3, v1, v3, v2 offset:1312
	s_waitcnt lgkmcnt(0)
	v_cmp_ne_u32_e32 vcc, 0, v3
	v_cmp_le_i32_e64 s[4:5], v3, v2
	s_and_b64 s[4:5], vcc, s[4:5]
	s_and_b64 s[4:5], exec, s[4:5]
	s_or_b64 s[10:11], s[4:5], s[10:11]
	s_andn2_b64 exec, exec, s[10:11]
	s_cbranch_execnz .LBB40_9
.LBB40_10:
	s_or_b64 exec, exec, s[8:9]
	v_mov_b32_e32 v2, 0
	; wave barrier
	ds_read_b32 v1, v2 offset:1312
	s_and_saveexec_b64 s[4:5], s[0:1]
	s_cbranch_execz .LBB40_12
; %bb.11:
	s_lshl_b64 s[8:9], s[2:3], 2
	s_add_u32 s8, s6, s8
	s_addc_u32 s9, s7, s9
	s_waitcnt lgkmcnt(0)
	global_store_dword v2, v1, s[8:9]
.LBB40_12:
	s_or_b64 exec, exec, s[4:5]
	s_waitcnt lgkmcnt(0)
	v_cmp_ne_u32_e32 vcc, 0, v1
	s_mov_b64 s[4:5], 0
	s_cbranch_vccnz .LBB40_176
; %bb.13:
	v_add_u32_e32 v14, 16, v70
	scratch_load_dwordx4 v[2:5], v14, off
                                        ; implicit-def: $vgpr6_vgpr7
                                        ; implicit-def: $vgpr10_vgpr11
	s_waitcnt vmcnt(0)
	v_cmp_ngt_f64_e64 s[4:5], |v[2:3]|, |v[4:5]|
	s_and_saveexec_b64 s[8:9], s[4:5]
	s_xor_b64 s[4:5], exec, s[8:9]
	s_cbranch_execz .LBB40_15
; %bb.14:
	v_div_scale_f64 v[6:7], s[8:9], v[4:5], v[4:5], v[2:3]
	v_rcp_f64_e32 v[8:9], v[6:7]
	v_div_scale_f64 v[10:11], vcc, v[2:3], v[4:5], v[2:3]
	v_fma_f64 v[12:13], -v[6:7], v[8:9], 1.0
	v_fmac_f64_e32 v[8:9], v[8:9], v[12:13]
	v_fma_f64 v[12:13], -v[6:7], v[8:9], 1.0
	v_fmac_f64_e32 v[8:9], v[8:9], v[12:13]
	v_mul_f64 v[12:13], v[10:11], v[8:9]
	v_fma_f64 v[6:7], -v[6:7], v[12:13], v[10:11]
	v_div_fmas_f64 v[6:7], v[6:7], v[8:9], v[12:13]
	v_div_fixup_f64 v[6:7], v[6:7], v[4:5], v[2:3]
	v_fmac_f64_e32 v[4:5], v[2:3], v[6:7]
	v_div_scale_f64 v[2:3], s[8:9], v[4:5], v[4:5], 1.0
	v_rcp_f64_e32 v[8:9], v[2:3]
	s_nop 0
	v_fma_f64 v[10:11], -v[2:3], v[8:9], 1.0
	v_fmac_f64_e32 v[8:9], v[8:9], v[10:11]
	v_fma_f64 v[10:11], -v[2:3], v[8:9], 1.0
	v_fmac_f64_e32 v[8:9], v[8:9], v[10:11]
	v_div_scale_f64 v[10:11], vcc, 1.0, v[4:5], 1.0
	v_mul_f64 v[12:13], v[10:11], v[8:9]
	v_fma_f64 v[2:3], -v[2:3], v[12:13], v[10:11]
	s_nop 1
	v_div_fmas_f64 v[2:3], v[2:3], v[8:9], v[12:13]
	v_div_fixup_f64 v[8:9], v[2:3], v[4:5], 1.0
	v_mul_f64 v[6:7], v[6:7], v[8:9]
	v_xor_b32_e32 v9, 0x80000000, v9
	v_xor_b32_e32 v11, 0x80000000, v7
	v_mov_b32_e32 v10, v6
                                        ; implicit-def: $vgpr2_vgpr3
.LBB40_15:
	s_andn2_saveexec_b64 s[4:5], s[4:5]
	s_cbranch_execz .LBB40_17
; %bb.16:
	v_div_scale_f64 v[6:7], s[8:9], v[2:3], v[2:3], v[4:5]
	v_rcp_f64_e32 v[8:9], v[6:7]
	v_div_scale_f64 v[10:11], vcc, v[4:5], v[2:3], v[4:5]
	v_fma_f64 v[12:13], -v[6:7], v[8:9], 1.0
	v_fmac_f64_e32 v[8:9], v[8:9], v[12:13]
	v_fma_f64 v[12:13], -v[6:7], v[8:9], 1.0
	v_fmac_f64_e32 v[8:9], v[8:9], v[12:13]
	v_mul_f64 v[12:13], v[10:11], v[8:9]
	v_fma_f64 v[6:7], -v[6:7], v[12:13], v[10:11]
	v_div_fmas_f64 v[6:7], v[6:7], v[8:9], v[12:13]
	v_div_fixup_f64 v[8:9], v[6:7], v[2:3], v[4:5]
	v_fmac_f64_e32 v[2:3], v[4:5], v[8:9]
	v_div_scale_f64 v[4:5], s[8:9], v[2:3], v[2:3], 1.0
	v_rcp_f64_e32 v[6:7], v[4:5]
	s_nop 0
	v_fma_f64 v[10:11], -v[4:5], v[6:7], 1.0
	v_fmac_f64_e32 v[6:7], v[6:7], v[10:11]
	v_fma_f64 v[10:11], -v[4:5], v[6:7], 1.0
	v_fmac_f64_e32 v[6:7], v[6:7], v[10:11]
	v_div_scale_f64 v[10:11], vcc, 1.0, v[2:3], 1.0
	v_mul_f64 v[12:13], v[10:11], v[6:7]
	v_fma_f64 v[4:5], -v[4:5], v[12:13], v[10:11]
	s_nop 1
	v_div_fmas_f64 v[4:5], v[4:5], v[6:7], v[12:13]
	v_div_fixup_f64 v[6:7], v[4:5], v[2:3], 1.0
	v_xor_b32_e32 v11, 0x80000000, v7
	v_mov_b32_e32 v10, v6
	v_mul_f64 v[8:9], v[8:9], -v[6:7]
.LBB40_17:
	s_or_b64 exec, exec, s[4:5]
	scratch_store_dwordx4 v14, v[6:9], off
	scratch_load_dwordx4 v[2:5], off, s15
	v_xor_b32_e32 v13, 0x80000000, v9
	v_mov_b32_e32 v12, v8
	v_add_u32_e32 v1, 0x290, v70
	ds_write_b128 v70, v[10:13]
	s_waitcnt vmcnt(0)
	ds_write_b128 v70, v[2:5] offset:656
	s_waitcnt lgkmcnt(0)
	; wave barrier
	s_and_saveexec_b64 s[4:5], s[0:1]
	s_cbranch_execz .LBB40_19
; %bb.18:
	scratch_load_dwordx4 v[2:5], v14, off
	ds_read_b128 v[6:9], v1
	v_mov_b32_e32 v0, 0
	ds_read_b128 v[10:13], v0 offset:16
	s_waitcnt vmcnt(0) lgkmcnt(1)
	v_mul_f64 v[16:17], v[8:9], v[4:5]
	v_mul_f64 v[4:5], v[6:7], v[4:5]
	v_fma_f64 v[6:7], v[6:7], v[2:3], -v[16:17]
	v_fmac_f64_e32 v[4:5], v[8:9], v[2:3]
	v_add_f64 v[2:3], v[6:7], 0
	v_add_f64 v[6:7], v[4:5], 0
	s_waitcnt lgkmcnt(0)
	v_mul_f64 v[8:9], v[6:7], v[12:13]
	v_mul_f64 v[4:5], v[2:3], v[12:13]
	v_fma_f64 v[2:3], v[2:3], v[10:11], -v[8:9]
	v_fmac_f64_e32 v[4:5], v[6:7], v[10:11]
	scratch_store_dwordx4 off, v[2:5], off offset:32
.LBB40_19:
	s_or_b64 exec, exec, s[4:5]
	; wave barrier
	scratch_load_dwordx4 v[2:5], off, s12
	v_cmp_gt_u32_e32 vcc, 2, v240
	s_waitcnt vmcnt(0)
	ds_write_b128 v1, v[2:5]
	s_waitcnt lgkmcnt(0)
	; wave barrier
	s_and_saveexec_b64 s[4:5], vcc
	s_cbranch_execz .LBB40_23
; %bb.20:
	scratch_load_dwordx4 v[2:5], v14, off
	ds_read_b128 v[6:9], v1
	s_waitcnt vmcnt(0) lgkmcnt(0)
	v_mul_f64 v[10:11], v[8:9], v[4:5]
	v_mul_f64 v[12:13], v[6:7], v[4:5]
	v_fma_f64 v[4:5], v[6:7], v[2:3], -v[10:11]
	v_fmac_f64_e32 v[12:13], v[8:9], v[2:3]
	v_add_f64 v[4:5], v[4:5], 0
	v_add_f64 v[2:3], v[12:13], 0
	s_and_saveexec_b64 s[8:9], s[0:1]
	s_cbranch_execz .LBB40_22
; %bb.21:
	scratch_load_dwordx4 v[6:9], off, off offset:32
	v_mov_b32_e32 v0, 0
	ds_read_b128 v[10:13], v0 offset:672
	s_waitcnt vmcnt(0) lgkmcnt(0)
	v_mul_f64 v[14:15], v[10:11], v[8:9]
	v_mul_f64 v[8:9], v[12:13], v[8:9]
	v_fmac_f64_e32 v[14:15], v[12:13], v[6:7]
	v_fma_f64 v[6:7], v[10:11], v[6:7], -v[8:9]
	v_add_f64 v[2:3], v[2:3], v[14:15]
	v_add_f64 v[4:5], v[4:5], v[6:7]
.LBB40_22:
	s_or_b64 exec, exec, s[8:9]
	v_mov_b32_e32 v0, 0
	ds_read_b128 v[6:9], v0 offset:32
	s_waitcnt lgkmcnt(0)
	v_mul_f64 v[12:13], v[2:3], v[8:9]
	v_mul_f64 v[10:11], v[4:5], v[8:9]
	v_fma_f64 v[8:9], v[4:5], v[6:7], -v[12:13]
	v_fmac_f64_e32 v[10:11], v[2:3], v[6:7]
	scratch_store_dwordx4 off, v[8:11], off offset:48
.LBB40_23:
	s_or_b64 exec, exec, s[4:5]
	; wave barrier
	scratch_load_dwordx4 v[2:5], off, s13
	v_cmp_gt_u32_e32 vcc, 3, v240
	v_add_u32_e32 v6, -1, v240
	s_waitcnt vmcnt(0)
	ds_write_b128 v1, v[2:5]
	s_waitcnt lgkmcnt(0)
	; wave barrier
	s_and_saveexec_b64 s[0:1], vcc
	s_cbranch_execz .LBB40_27
; %bb.24:
	v_add_u32_e32 v7, -1, v240
	v_add_u32_e32 v8, 0x290, v70
	v_add_u32_e32 v9, 16, v70
	v_mov_b64_e32 v[2:3], 0
	s_mov_b64 s[4:5], 0
	v_mov_b64_e32 v[4:5], 0
.LBB40_25:                              ; =>This Inner Loop Header: Depth=1
	scratch_load_dwordx4 v[10:13], v9, off
	ds_read_b128 v[14:17], v8
	v_add_u32_e32 v7, 1, v7
	v_cmp_lt_u32_e32 vcc, 1, v7
	v_add_u32_e32 v8, 16, v8
	v_add_u32_e32 v9, 16, v9
	s_or_b64 s[4:5], vcc, s[4:5]
	s_waitcnt vmcnt(0) lgkmcnt(0)
	v_mul_f64 v[18:19], v[16:17], v[12:13]
	v_mul_f64 v[12:13], v[14:15], v[12:13]
	v_fma_f64 v[14:15], v[14:15], v[10:11], -v[18:19]
	v_fmac_f64_e32 v[12:13], v[16:17], v[10:11]
	v_add_f64 v[4:5], v[4:5], v[14:15]
	v_add_f64 v[2:3], v[2:3], v[12:13]
	s_andn2_b64 exec, exec, s[4:5]
	s_cbranch_execnz .LBB40_25
; %bb.26:
	s_or_b64 exec, exec, s[4:5]
	v_mov_b32_e32 v0, 0
	ds_read_b128 v[8:11], v0 offset:48
	s_waitcnt lgkmcnt(0)
	v_mul_f64 v[14:15], v[2:3], v[10:11]
	v_mul_f64 v[12:13], v[4:5], v[10:11]
	v_fma_f64 v[10:11], v[4:5], v[8:9], -v[14:15]
	v_fmac_f64_e32 v[12:13], v[2:3], v[8:9]
	scratch_store_dwordx4 off, v[10:13], off offset:64
.LBB40_27:
	s_or_b64 exec, exec, s[0:1]
	; wave barrier
	scratch_load_dwordx4 v[2:5], off, s14
	v_cmp_gt_u32_e32 vcc, 4, v240
	s_waitcnt vmcnt(0)
	ds_write_b128 v1, v[2:5]
	s_waitcnt lgkmcnt(0)
	; wave barrier
	s_and_saveexec_b64 s[0:1], vcc
	s_cbranch_execz .LBB40_31
; %bb.28:
	v_add_u32_e32 v7, -1, v240
	v_add_u32_e32 v8, 0x290, v70
	v_add_u32_e32 v9, 16, v70
	v_mov_b64_e32 v[2:3], 0
	s_mov_b64 s[4:5], 0
	v_mov_b64_e32 v[4:5], 0
.LBB40_29:                              ; =>This Inner Loop Header: Depth=1
	scratch_load_dwordx4 v[10:13], v9, off
	ds_read_b128 v[14:17], v8
	v_add_u32_e32 v7, 1, v7
	v_cmp_lt_u32_e32 vcc, 2, v7
	v_add_u32_e32 v8, 16, v8
	v_add_u32_e32 v9, 16, v9
	s_or_b64 s[4:5], vcc, s[4:5]
	s_waitcnt vmcnt(0) lgkmcnt(0)
	v_mul_f64 v[18:19], v[16:17], v[12:13]
	v_mul_f64 v[12:13], v[14:15], v[12:13]
	v_fma_f64 v[14:15], v[14:15], v[10:11], -v[18:19]
	v_fmac_f64_e32 v[12:13], v[16:17], v[10:11]
	v_add_f64 v[4:5], v[4:5], v[14:15]
	v_add_f64 v[2:3], v[2:3], v[12:13]
	s_andn2_b64 exec, exec, s[4:5]
	s_cbranch_execnz .LBB40_29
; %bb.30:
	s_or_b64 exec, exec, s[4:5]
	v_mov_b32_e32 v0, 0
	ds_read_b128 v[8:11], v0 offset:64
	s_waitcnt lgkmcnt(0)
	v_mul_f64 v[14:15], v[2:3], v[10:11]
	v_mul_f64 v[12:13], v[4:5], v[10:11]
	v_fma_f64 v[10:11], v[4:5], v[8:9], -v[14:15]
	v_fmac_f64_e32 v[12:13], v[2:3], v[8:9]
	scratch_store_dwordx4 off, v[10:13], off offset:80
.LBB40_31:
	s_or_b64 exec, exec, s[0:1]
	; wave barrier
	scratch_load_dwordx4 v[2:5], off, s20
	v_cmp_gt_u32_e32 vcc, 5, v240
	;; [unrolled: 45-line block ×19, first 2 shown]
	s_waitcnt vmcnt(0)
	ds_write_b128 v1, v[2:5]
	s_waitcnt lgkmcnt(0)
	; wave barrier
	s_and_saveexec_b64 s[0:1], vcc
	s_cbranch_execz .LBB40_103
; %bb.100:
	v_add_u32_e32 v7, -1, v240
	v_add_u32_e32 v8, 0x290, v70
	v_add_u32_e32 v9, 16, v70
	v_mov_b64_e32 v[2:3], 0
	s_mov_b64 s[4:5], 0
	v_mov_b64_e32 v[4:5], 0
.LBB40_101:                             ; =>This Inner Loop Header: Depth=1
	scratch_load_dwordx4 v[10:13], v9, off
	ds_read_b128 v[14:17], v8
	v_add_u32_e32 v7, 1, v7
	v_cmp_lt_u32_e32 vcc, 20, v7
	v_add_u32_e32 v8, 16, v8
	v_add_u32_e32 v9, 16, v9
	s_or_b64 s[4:5], vcc, s[4:5]
	s_waitcnt vmcnt(0) lgkmcnt(0)
	v_mul_f64 v[18:19], v[16:17], v[12:13]
	v_mul_f64 v[12:13], v[14:15], v[12:13]
	v_fma_f64 v[14:15], v[14:15], v[10:11], -v[18:19]
	v_fmac_f64_e32 v[12:13], v[16:17], v[10:11]
	v_add_f64 v[4:5], v[4:5], v[14:15]
	v_add_f64 v[2:3], v[2:3], v[12:13]
	s_andn2_b64 exec, exec, s[4:5]
	s_cbranch_execnz .LBB40_101
; %bb.102:
	s_or_b64 exec, exec, s[4:5]
	v_mov_b32_e32 v0, 0
	ds_read_b128 v[8:11], v0 offset:352
	s_waitcnt lgkmcnt(0)
	v_mul_f64 v[14:15], v[2:3], v[10:11]
	v_mul_f64 v[12:13], v[4:5], v[10:11]
	v_fma_f64 v[10:11], v[4:5], v[8:9], -v[14:15]
	v_fmac_f64_e32 v[12:13], v[2:3], v[8:9]
	scratch_store_dwordx4 off, v[10:13], off offset:368
.LBB40_103:
	s_or_b64 exec, exec, s[0:1]
	; wave barrier
	scratch_load_dwordx4 v[2:5], off, s37
	v_cmp_gt_u32_e32 vcc, 23, v240
	s_waitcnt vmcnt(0)
	ds_write_b128 v1, v[2:5]
	s_waitcnt lgkmcnt(0)
	; wave barrier
	s_and_saveexec_b64 s[0:1], vcc
	s_cbranch_execz .LBB40_107
; %bb.104:
	v_add_u32_e32 v7, -1, v240
	v_add_u32_e32 v8, 0x290, v70
	v_add_u32_e32 v9, 16, v70
	v_mov_b64_e32 v[2:3], 0
	s_mov_b64 s[4:5], 0
	v_mov_b64_e32 v[4:5], 0
.LBB40_105:                             ; =>This Inner Loop Header: Depth=1
	scratch_load_dwordx4 v[10:13], v9, off
	ds_read_b128 v[14:17], v8
	v_add_u32_e32 v7, 1, v7
	v_cmp_lt_u32_e32 vcc, 21, v7
	v_add_u32_e32 v8, 16, v8
	v_add_u32_e32 v9, 16, v9
	s_or_b64 s[4:5], vcc, s[4:5]
	s_waitcnt vmcnt(0) lgkmcnt(0)
	v_mul_f64 v[18:19], v[16:17], v[12:13]
	v_mul_f64 v[12:13], v[14:15], v[12:13]
	v_fma_f64 v[14:15], v[14:15], v[10:11], -v[18:19]
	v_fmac_f64_e32 v[12:13], v[16:17], v[10:11]
	v_add_f64 v[4:5], v[4:5], v[14:15]
	v_add_f64 v[2:3], v[2:3], v[12:13]
	s_andn2_b64 exec, exec, s[4:5]
	s_cbranch_execnz .LBB40_105
; %bb.106:
	s_or_b64 exec, exec, s[4:5]
	v_mov_b32_e32 v0, 0
	ds_read_b128 v[8:11], v0 offset:368
	s_waitcnt lgkmcnt(0)
	v_mul_f64 v[14:15], v[2:3], v[10:11]
	v_mul_f64 v[12:13], v[4:5], v[10:11]
	v_fma_f64 v[10:11], v[4:5], v[8:9], -v[14:15]
	v_fmac_f64_e32 v[12:13], v[2:3], v[8:9]
	scratch_store_dwordx4 off, v[10:13], off offset:384
.LBB40_107:
	s_or_b64 exec, exec, s[0:1]
	; wave barrier
	scratch_load_dwordx4 v[2:5], off, s38
	v_cmp_gt_u32_e32 vcc, 24, v240
	;; [unrolled: 45-line block ×17, first 2 shown]
	s_waitcnt vmcnt(0)
	ds_write_b128 v1, v[2:5]
	s_waitcnt lgkmcnt(0)
	; wave barrier
	s_and_saveexec_b64 s[0:1], vcc
	s_cbranch_execz .LBB40_171
; %bb.168:
	v_add_u32_e32 v7, -1, v240
	v_add_u32_e32 v8, 0x290, v70
	v_add_u32_e32 v9, 16, v70
	v_mov_b64_e32 v[2:3], 0
	s_mov_b64 s[4:5], 0
	v_mov_b64_e32 v[4:5], 0
.LBB40_169:                             ; =>This Inner Loop Header: Depth=1
	scratch_load_dwordx4 v[10:13], v9, off
	ds_read_b128 v[14:17], v8
	v_add_u32_e32 v7, 1, v7
	v_cmp_lt_u32_e32 vcc, 37, v7
	v_add_u32_e32 v8, 16, v8
	v_add_u32_e32 v9, 16, v9
	s_or_b64 s[4:5], vcc, s[4:5]
	s_waitcnt vmcnt(0) lgkmcnt(0)
	v_mul_f64 v[18:19], v[16:17], v[12:13]
	v_mul_f64 v[12:13], v[14:15], v[12:13]
	v_fma_f64 v[14:15], v[14:15], v[10:11], -v[18:19]
	v_fmac_f64_e32 v[12:13], v[16:17], v[10:11]
	v_add_f64 v[4:5], v[4:5], v[14:15]
	v_add_f64 v[2:3], v[2:3], v[12:13]
	s_andn2_b64 exec, exec, s[4:5]
	s_cbranch_execnz .LBB40_169
; %bb.170:
	s_or_b64 exec, exec, s[4:5]
	v_mov_b32_e32 v0, 0
	ds_read_b128 v[8:11], v0 offset:624
	s_waitcnt lgkmcnt(0)
	v_mul_f64 v[14:15], v[2:3], v[10:11]
	v_mul_f64 v[12:13], v[4:5], v[10:11]
	v_fma_f64 v[10:11], v[4:5], v[8:9], -v[14:15]
	v_fmac_f64_e32 v[12:13], v[2:3], v[8:9]
	scratch_store_dwordx4 off, v[10:13], off offset:640
.LBB40_171:
	s_or_b64 exec, exec, s[0:1]
	; wave barrier
	scratch_load_dwordx4 v[2:5], off, s54
	v_cmp_ne_u32_e32 vcc, 40, v240
	s_waitcnt vmcnt(0)
	ds_write_b128 v1, v[2:5]
	s_waitcnt lgkmcnt(0)
	; wave barrier
	s_and_saveexec_b64 s[0:1], vcc
	s_cbranch_execz .LBB40_175
; %bb.172:
	v_add_u32_e32 v1, 0x290, v70
	v_add_u32_e32 v7, 16, v70
	v_mov_b64_e32 v[2:3], 0
	s_mov_b64 s[4:5], 0
	v_mov_b64_e32 v[4:5], 0
.LBB40_173:                             ; =>This Inner Loop Header: Depth=1
	scratch_load_dwordx4 v[8:11], v7, off
	ds_read_b128 v[12:15], v1
	v_add_u32_e32 v6, 1, v6
	v_cmp_lt_u32_e32 vcc, 38, v6
	v_add_u32_e32 v1, 16, v1
	v_add_u32_e32 v7, 16, v7
	s_or_b64 s[4:5], vcc, s[4:5]
	s_waitcnt vmcnt(0) lgkmcnt(0)
	v_mul_f64 v[16:17], v[14:15], v[10:11]
	v_mul_f64 v[10:11], v[12:13], v[10:11]
	v_fma_f64 v[12:13], v[12:13], v[8:9], -v[16:17]
	v_fmac_f64_e32 v[10:11], v[14:15], v[8:9]
	v_add_f64 v[4:5], v[4:5], v[12:13]
	v_add_f64 v[2:3], v[2:3], v[10:11]
	s_andn2_b64 exec, exec, s[4:5]
	s_cbranch_execnz .LBB40_173
; %bb.174:
	s_or_b64 exec, exec, s[4:5]
	v_mov_b32_e32 v0, 0
	ds_read_b128 v[6:9], v0 offset:640
	s_waitcnt lgkmcnt(0)
	v_mul_f64 v[12:13], v[2:3], v[8:9]
	v_mul_f64 v[10:11], v[4:5], v[8:9]
	v_fma_f64 v[8:9], v[4:5], v[6:7], -v[12:13]
	v_fmac_f64_e32 v[10:11], v[2:3], v[6:7]
	scratch_store_dwordx4 off, v[8:11], off offset:656
.LBB40_175:
	s_or_b64 exec, exec, s[0:1]
	s_mov_b64 s[4:5], -1
	; wave barrier
.LBB40_176:
	s_and_b64 vcc, exec, s[4:5]
	s_cbranch_vccz .LBB40_178
; %bb.177:
	s_lshl_b64 s[0:1], s[2:3], 2
	s_add_u32 s0, s6, s0
	s_addc_u32 s1, s7, s1
	v_mov_b32_e32 v0, 0
	global_load_dword v0, v0, s[0:1]
	s_waitcnt vmcnt(0)
	v_cmp_ne_u32_e32 vcc, 0, v0
	s_cbranch_vccz .LBB40_179
.LBB40_178:
	s_endpgm
.LBB40_179:
	v_mov_b32_e32 v0, 0x290
	v_lshl_add_u32 v0, v240, 4, v0
	v_accvgpr_write_b32 a83, v0
	v_cmp_eq_u32_e32 vcc, 40, v240
	s_and_saveexec_b64 s[0:1], vcc
	s_cbranch_execz .LBB40_181
; %bb.180:
	scratch_load_dwordx4 v[2:5], off, s53
	v_mov_b32_e32 v6, 0
	v_mov_b32_e32 v7, v6
	;; [unrolled: 1-line block ×4, first 2 shown]
	v_accvgpr_read_b32 v0, a83
	scratch_store_dwordx4 off, v[6:9], off offset:640
	s_waitcnt vmcnt(1)
	ds_write_b128 v0, v[2:5]
.LBB40_181:
	s_or_b64 exec, exec, s[0:1]
	s_waitcnt lgkmcnt(0)
	; wave barrier
	scratch_load_dwordx4 v[4:7], off, off offset:656
	scratch_load_dwordx4 v[8:11], off, off offset:640
	v_mov_b32_e32 v2, 0
	ds_read_b128 v[12:15], v2 offset:1296
	v_cmp_lt_u32_e32 vcc, 38, v240
	s_waitcnt vmcnt(1) lgkmcnt(0)
	v_mul_f64 v[16:17], v[12:13], v[6:7]
	v_mul_f64 v[6:7], v[14:15], v[6:7]
	v_fmac_f64_e32 v[16:17], v[14:15], v[4:5]
	v_fma_f64 v[4:5], v[12:13], v[4:5], -v[6:7]
	v_add_f64 v[6:7], v[16:17], 0
	v_add_f64 v[4:5], v[4:5], 0
	s_waitcnt vmcnt(0)
	v_add_f64 v[4:5], v[8:9], -v[4:5]
	v_add_f64 v[6:7], v[10:11], -v[6:7]
	scratch_store_dwordx4 off, v[4:7], off offset:640
	s_and_saveexec_b64 s[0:1], vcc
	s_cbranch_execz .LBB40_183
; %bb.182:
	scratch_load_dwordx4 v[6:9], off, s52
	v_mov_b32_e32 v3, v2
	v_mov_b32_e32 v4, v2
	;; [unrolled: 1-line block ×3, first 2 shown]
	v_accvgpr_read_b32 v0, a83
	scratch_store_dwordx4 off, v[2:5], off offset:624
	s_waitcnt vmcnt(1)
	ds_write_b128 v0, v[6:9]
.LBB40_183:
	s_or_b64 exec, exec, s[0:1]
	s_waitcnt lgkmcnt(0)
	; wave barrier
	scratch_load_dwordx4 v[4:7], off, off offset:640
	scratch_load_dwordx4 v[8:11], off, off offset:656
	;; [unrolled: 1-line block ×3, first 2 shown]
	ds_read_b128 v[16:19], v2 offset:1280
	ds_read_b128 v[20:23], v2 offset:1296
	v_cmp_lt_u32_e32 vcc, 37, v240
	s_waitcnt vmcnt(2) lgkmcnt(1)
	v_mul_f64 v[2:3], v[16:17], v[6:7]
	v_mul_f64 v[6:7], v[18:19], v[6:7]
	s_waitcnt vmcnt(1) lgkmcnt(0)
	v_mul_f64 v[24:25], v[20:21], v[10:11]
	v_mul_f64 v[10:11], v[22:23], v[10:11]
	v_fmac_f64_e32 v[2:3], v[18:19], v[4:5]
	v_fma_f64 v[4:5], v[16:17], v[4:5], -v[6:7]
	v_fmac_f64_e32 v[24:25], v[22:23], v[8:9]
	v_fma_f64 v[6:7], v[20:21], v[8:9], -v[10:11]
	v_add_f64 v[2:3], v[2:3], 0
	v_add_f64 v[4:5], v[4:5], 0
	;; [unrolled: 1-line block ×4, first 2 shown]
	s_waitcnt vmcnt(0)
	v_add_f64 v[2:3], v[12:13], -v[2:3]
	v_add_f64 v[4:5], v[14:15], -v[8:9]
	scratch_store_dwordx4 off, v[2:5], off offset:624
	s_and_saveexec_b64 s[0:1], vcc
	s_cbranch_execz .LBB40_185
; %bb.184:
	scratch_load_dwordx4 v[2:5], off, s51
	v_mov_b32_e32 v6, 0
	v_mov_b32_e32 v7, v6
	;; [unrolled: 1-line block ×4, first 2 shown]
	v_accvgpr_read_b32 v0, a83
	scratch_store_dwordx4 off, v[6:9], off offset:608
	s_waitcnt vmcnt(1)
	ds_write_b128 v0, v[2:5]
.LBB40_185:
	s_or_b64 exec, exec, s[0:1]
	s_waitcnt lgkmcnt(0)
	; wave barrier
	scratch_load_dwordx4 v[4:7], off, off offset:624
	scratch_load_dwordx4 v[8:11], off, off offset:640
	;; [unrolled: 1-line block ×4, first 2 shown]
	v_mov_b32_e32 v2, 0
	ds_read_b128 v[20:23], v2 offset:1264
	ds_read_b128 v[24:27], v2 offset:1280
	ds_read_b128 v[28:31], v2 offset:1296
	v_cmp_lt_u32_e32 vcc, 36, v240
	s_waitcnt vmcnt(3) lgkmcnt(2)
	v_mul_f64 v[32:33], v[20:21], v[6:7]
	v_mul_f64 v[6:7], v[22:23], v[6:7]
	s_waitcnt vmcnt(2) lgkmcnt(1)
	v_mul_f64 v[34:35], v[24:25], v[10:11]
	v_mul_f64 v[10:11], v[26:27], v[10:11]
	v_fmac_f64_e32 v[32:33], v[22:23], v[4:5]
	v_fma_f64 v[4:5], v[20:21], v[4:5], -v[6:7]
	s_waitcnt vmcnt(1) lgkmcnt(0)
	v_mul_f64 v[36:37], v[28:29], v[14:15]
	v_mul_f64 v[14:15], v[30:31], v[14:15]
	v_fmac_f64_e32 v[34:35], v[26:27], v[8:9]
	v_fma_f64 v[6:7], v[24:25], v[8:9], -v[10:11]
	v_add_f64 v[10:11], v[32:33], 0
	v_add_f64 v[4:5], v[4:5], 0
	v_fmac_f64_e32 v[36:37], v[30:31], v[12:13]
	v_fma_f64 v[8:9], v[28:29], v[12:13], -v[14:15]
	v_add_f64 v[10:11], v[10:11], v[34:35]
	v_add_f64 v[4:5], v[4:5], v[6:7]
	;; [unrolled: 1-line block ×4, first 2 shown]
	s_waitcnt vmcnt(0)
	v_add_f64 v[4:5], v[16:17], -v[4:5]
	v_add_f64 v[6:7], v[18:19], -v[6:7]
	scratch_store_dwordx4 off, v[4:7], off offset:608
	s_and_saveexec_b64 s[0:1], vcc
	s_cbranch_execz .LBB40_187
; %bb.186:
	scratch_load_dwordx4 v[6:9], off, s50
	v_mov_b32_e32 v3, v2
	v_mov_b32_e32 v4, v2
	;; [unrolled: 1-line block ×3, first 2 shown]
	v_accvgpr_read_b32 v0, a83
	scratch_store_dwordx4 off, v[2:5], off offset:592
	s_waitcnt vmcnt(1)
	ds_write_b128 v0, v[6:9]
.LBB40_187:
	s_or_b64 exec, exec, s[0:1]
	s_waitcnt lgkmcnt(0)
	; wave barrier
	ds_read_b128 v[4:7], v2 offset:1248
	ds_read_b128 v[8:11], v2 offset:1264
	;; [unrolled: 1-line block ×4, first 2 shown]
	scratch_load_dwordx4 v[20:23], off, off offset:608
	scratch_load_dwordx4 v[24:27], off, off offset:624
	v_cmp_lt_u32_e32 vcc, 35, v240
	s_waitcnt vmcnt(1) lgkmcnt(3)
	v_mul_f64 v[2:3], v[4:5], v[22:23]
	v_fmac_f64_e32 v[2:3], v[6:7], v[20:21]
	s_waitcnt vmcnt(0) lgkmcnt(2)
	v_mul_f64 v[28:29], v[8:9], v[26:27]
	v_add_f64 v[2:3], v[2:3], 0
	v_fmac_f64_e32 v[28:29], v[10:11], v[24:25]
	v_add_f64 v[2:3], v[2:3], v[28:29]
	scratch_load_dwordx4 v[28:31], off, off offset:640
	s_waitcnt vmcnt(0) lgkmcnt(1)
	v_mul_f64 v[32:33], v[12:13], v[30:31]
	v_fmac_f64_e32 v[32:33], v[14:15], v[28:29]
	v_add_f64 v[2:3], v[2:3], v[32:33]
	scratch_load_dwordx4 v[32:35], off, off offset:656
	s_waitcnt vmcnt(0) lgkmcnt(0)
	v_mul_f64 v[36:37], v[16:17], v[34:35]
	v_fmac_f64_e32 v[36:37], v[18:19], v[32:33]
	v_add_f64 v[36:37], v[2:3], v[36:37]
	v_mul_f64 v[2:3], v[6:7], v[22:23]
	v_fma_f64 v[2:3], v[4:5], v[20:21], -v[2:3]
	v_mul_f64 v[4:5], v[10:11], v[26:27]
	v_add_f64 v[2:3], v[2:3], 0
	v_fma_f64 v[4:5], v[8:9], v[24:25], -v[4:5]
	v_add_f64 v[2:3], v[2:3], v[4:5]
	v_mul_f64 v[4:5], v[14:15], v[30:31]
	v_fma_f64 v[4:5], v[12:13], v[28:29], -v[4:5]
	v_add_f64 v[2:3], v[2:3], v[4:5]
	v_mul_f64 v[4:5], v[18:19], v[34:35]
	v_fma_f64 v[4:5], v[16:17], v[32:33], -v[4:5]
	v_add_f64 v[6:7], v[2:3], v[4:5]
	scratch_load_dwordx4 v[2:5], off, off offset:592
	s_waitcnt vmcnt(0)
	v_add_f64 v[2:3], v[2:3], -v[6:7]
	v_add_f64 v[4:5], v[4:5], -v[36:37]
	scratch_store_dwordx4 off, v[2:5], off offset:592
	s_and_saveexec_b64 s[0:1], vcc
	s_cbranch_execz .LBB40_189
; %bb.188:
	scratch_load_dwordx4 v[2:5], off, s49
	v_mov_b32_e32 v6, 0
	v_mov_b32_e32 v7, v6
	;; [unrolled: 1-line block ×4, first 2 shown]
	v_accvgpr_read_b32 v0, a83
	scratch_store_dwordx4 off, v[6:9], off offset:576
	s_waitcnt vmcnt(1)
	ds_write_b128 v0, v[2:5]
.LBB40_189:
	s_or_b64 exec, exec, s[0:1]
	s_waitcnt lgkmcnt(0)
	; wave barrier
	scratch_load_dwordx4 v[4:7], off, off offset:592
	scratch_load_dwordx4 v[8:11], off, off offset:608
	;; [unrolled: 1-line block ×6, first 2 shown]
	v_mov_b32_e32 v2, 0
	ds_read_b128 v[28:31], v2 offset:1232
	ds_read_b128 v[32:35], v2 offset:1248
	;; [unrolled: 1-line block ×5, first 2 shown]
	v_cmp_lt_u32_e32 vcc, 34, v240
	s_waitcnt vmcnt(5) lgkmcnt(4)
	v_mul_f64 v[48:49], v[28:29], v[6:7]
	v_mul_f64 v[6:7], v[30:31], v[6:7]
	s_waitcnt vmcnt(4) lgkmcnt(3)
	v_mul_f64 v[50:51], v[32:33], v[10:11]
	s_waitcnt vmcnt(3) lgkmcnt(2)
	v_mul_f64 v[52:53], v[36:37], v[14:15]
	v_mul_f64 v[10:11], v[34:35], v[10:11]
	;; [unrolled: 1-line block ×3, first 2 shown]
	v_fmac_f64_e32 v[48:49], v[30:31], v[4:5]
	v_fma_f64 v[4:5], v[28:29], v[4:5], -v[6:7]
	v_fmac_f64_e32 v[50:51], v[34:35], v[8:9]
	v_fma_f64 v[6:7], v[32:33], v[8:9], -v[10:11]
	v_fma_f64 v[8:9], v[36:37], v[12:13], -v[14:15]
	v_add_f64 v[14:15], v[48:49], 0
	v_add_f64 v[4:5], v[4:5], 0
	s_waitcnt vmcnt(2) lgkmcnt(1)
	v_mul_f64 v[54:55], v[40:41], v[18:19]
	v_mul_f64 v[18:19], v[42:43], v[18:19]
	v_fmac_f64_e32 v[52:53], v[38:39], v[12:13]
	v_add_f64 v[14:15], v[14:15], v[50:51]
	v_add_f64 v[4:5], v[4:5], v[6:7]
	s_waitcnt vmcnt(1) lgkmcnt(0)
	v_mul_f64 v[56:57], v[44:45], v[22:23]
	v_mul_f64 v[22:23], v[46:47], v[22:23]
	v_fmac_f64_e32 v[54:55], v[42:43], v[16:17]
	v_fma_f64 v[10:11], v[40:41], v[16:17], -v[18:19]
	v_add_f64 v[6:7], v[14:15], v[52:53]
	v_add_f64 v[4:5], v[4:5], v[8:9]
	v_fmac_f64_e32 v[56:57], v[46:47], v[20:21]
	v_fma_f64 v[12:13], v[44:45], v[20:21], -v[22:23]
	v_add_f64 v[6:7], v[6:7], v[54:55]
	v_add_f64 v[4:5], v[4:5], v[10:11]
	;; [unrolled: 1-line block ×4, first 2 shown]
	s_waitcnt vmcnt(0)
	v_add_f64 v[4:5], v[24:25], -v[4:5]
	v_add_f64 v[6:7], v[26:27], -v[6:7]
	scratch_store_dwordx4 off, v[4:7], off offset:576
	s_and_saveexec_b64 s[0:1], vcc
	s_cbranch_execz .LBB40_191
; %bb.190:
	scratch_load_dwordx4 v[6:9], off, s48
	v_mov_b32_e32 v3, v2
	v_mov_b32_e32 v4, v2
	v_mov_b32_e32 v5, v2
	v_accvgpr_read_b32 v0, a83
	scratch_store_dwordx4 off, v[2:5], off offset:560
	s_waitcnt vmcnt(1)
	ds_write_b128 v0, v[6:9]
.LBB40_191:
	s_or_b64 exec, exec, s[0:1]
	s_waitcnt lgkmcnt(0)
	; wave barrier
	scratch_load_dwordx4 v[4:7], off, off offset:576
	scratch_load_dwordx4 v[8:11], off, off offset:592
	scratch_load_dwordx4 v[12:15], off, off offset:608
	scratch_load_dwordx4 v[16:19], off, off offset:624
	scratch_load_dwordx4 v[20:23], off, off offset:640
	scratch_load_dwordx4 v[24:27], off, off offset:656
	scratch_load_dwordx4 v[28:31], off, off offset:560
	ds_read_b128 v[32:35], v2 offset:1216
	ds_read_b128 v[36:39], v2 offset:1232
	;; [unrolled: 1-line block ×6, first 2 shown]
	v_cmp_lt_u32_e32 vcc, 33, v240
	s_waitcnt vmcnt(6) lgkmcnt(5)
	v_mul_f64 v[2:3], v[32:33], v[6:7]
	v_mul_f64 v[6:7], v[34:35], v[6:7]
	s_waitcnt vmcnt(5) lgkmcnt(4)
	v_mul_f64 v[56:57], v[36:37], v[10:11]
	v_mul_f64 v[10:11], v[38:39], v[10:11]
	v_fmac_f64_e32 v[2:3], v[34:35], v[4:5]
	v_fma_f64 v[4:5], v[32:33], v[4:5], -v[6:7]
	s_waitcnt vmcnt(4) lgkmcnt(3)
	v_mul_f64 v[58:59], v[40:41], v[14:15]
	v_mul_f64 v[14:15], v[42:43], v[14:15]
	v_fmac_f64_e32 v[56:57], v[38:39], v[8:9]
	v_fma_f64 v[6:7], v[36:37], v[8:9], -v[10:11]
	v_add_f64 v[2:3], v[2:3], 0
	v_add_f64 v[4:5], v[4:5], 0
	s_waitcnt vmcnt(3) lgkmcnt(2)
	v_mul_f64 v[60:61], v[44:45], v[18:19]
	v_mul_f64 v[18:19], v[46:47], v[18:19]
	v_fmac_f64_e32 v[58:59], v[42:43], v[12:13]
	v_fma_f64 v[8:9], v[40:41], v[12:13], -v[14:15]
	v_add_f64 v[2:3], v[2:3], v[56:57]
	v_add_f64 v[4:5], v[4:5], v[6:7]
	;; [unrolled: 7-line block ×4, first 2 shown]
	v_fmac_f64_e32 v[64:65], v[54:55], v[24:25]
	v_fma_f64 v[14:15], v[52:53], v[24:25], -v[26:27]
	v_add_f64 v[2:3], v[2:3], v[62:63]
	v_add_f64 v[4:5], v[4:5], v[12:13]
	;; [unrolled: 1-line block ×4, first 2 shown]
	s_waitcnt vmcnt(0)
	v_add_f64 v[2:3], v[28:29], -v[2:3]
	v_add_f64 v[4:5], v[30:31], -v[6:7]
	scratch_store_dwordx4 off, v[2:5], off offset:560
	s_and_saveexec_b64 s[0:1], vcc
	s_cbranch_execz .LBB40_193
; %bb.192:
	scratch_load_dwordx4 v[2:5], off, s47
	v_mov_b32_e32 v6, 0
	v_mov_b32_e32 v7, v6
	;; [unrolled: 1-line block ×4, first 2 shown]
	v_accvgpr_read_b32 v0, a83
	scratch_store_dwordx4 off, v[6:9], off offset:544
	s_waitcnt vmcnt(1)
	ds_write_b128 v0, v[2:5]
.LBB40_193:
	s_or_b64 exec, exec, s[0:1]
	s_waitcnt lgkmcnt(0)
	; wave barrier
	scratch_load_dwordx4 v[4:7], off, off offset:560
	scratch_load_dwordx4 v[8:11], off, off offset:576
	;; [unrolled: 1-line block ×8, first 2 shown]
	v_mov_b32_e32 v2, 0
	ds_read_b128 v[36:39], v2 offset:1200
	ds_read_b128 v[40:43], v2 offset:1216
	ds_read_b128 v[44:47], v2 offset:1232
	ds_read_b128 v[48:51], v2 offset:1248
	ds_read_b128 v[52:55], v2 offset:1264
	ds_read_b128 v[56:59], v2 offset:1280
	ds_read_b128 v[60:63], v2 offset:1296
	v_cmp_lt_u32_e32 vcc, 32, v240
	s_waitcnt vmcnt(7) lgkmcnt(6)
	v_mul_f64 v[64:65], v[36:37], v[6:7]
	v_mul_f64 v[6:7], v[38:39], v[6:7]
	s_waitcnt vmcnt(6) lgkmcnt(5)
	v_mul_f64 v[66:67], v[40:41], v[10:11]
	s_waitcnt vmcnt(4) lgkmcnt(3)
	v_mul_f64 v[70:71], v[48:49], v[18:19]
	v_mul_f64 v[10:11], v[42:43], v[10:11]
	;; [unrolled: 1-line block ×3, first 2 shown]
	v_fmac_f64_e32 v[64:65], v[38:39], v[4:5]
	v_fma_f64 v[4:5], v[36:37], v[4:5], -v[6:7]
	v_mul_f64 v[68:69], v[44:45], v[14:15]
	v_mul_f64 v[14:15], v[46:47], v[14:15]
	v_fmac_f64_e32 v[66:67], v[42:43], v[8:9]
	v_fma_f64 v[6:7], v[40:41], v[8:9], -v[10:11]
	v_fma_f64 v[10:11], v[48:49], v[16:17], -v[18:19]
	v_add_f64 v[18:19], v[64:65], 0
	v_add_f64 v[4:5], v[4:5], 0
	v_fmac_f64_e32 v[68:69], v[46:47], v[12:13]
	v_fma_f64 v[8:9], v[44:45], v[12:13], -v[14:15]
	v_add_f64 v[18:19], v[18:19], v[66:67]
	v_add_f64 v[4:5], v[4:5], v[6:7]
	s_waitcnt vmcnt(3) lgkmcnt(2)
	v_mul_f64 v[72:73], v[52:53], v[22:23]
	v_mul_f64 v[22:23], v[54:55], v[22:23]
	v_fmac_f64_e32 v[70:71], v[50:51], v[16:17]
	v_add_f64 v[6:7], v[18:19], v[68:69]
	v_add_f64 v[4:5], v[4:5], v[8:9]
	s_waitcnt vmcnt(2) lgkmcnt(1)
	v_mul_f64 v[74:75], v[56:57], v[26:27]
	v_mul_f64 v[26:27], v[58:59], v[26:27]
	v_fmac_f64_e32 v[72:73], v[54:55], v[20:21]
	v_fma_f64 v[12:13], v[52:53], v[20:21], -v[22:23]
	v_add_f64 v[6:7], v[6:7], v[70:71]
	v_add_f64 v[4:5], v[4:5], v[10:11]
	s_waitcnt vmcnt(1) lgkmcnt(0)
	v_mul_f64 v[76:77], v[60:61], v[30:31]
	v_mul_f64 v[30:31], v[62:63], v[30:31]
	v_fmac_f64_e32 v[74:75], v[58:59], v[24:25]
	v_fma_f64 v[14:15], v[56:57], v[24:25], -v[26:27]
	v_add_f64 v[6:7], v[6:7], v[72:73]
	v_add_f64 v[4:5], v[4:5], v[12:13]
	v_fmac_f64_e32 v[76:77], v[62:63], v[28:29]
	v_fma_f64 v[16:17], v[60:61], v[28:29], -v[30:31]
	v_add_f64 v[6:7], v[6:7], v[74:75]
	v_add_f64 v[4:5], v[4:5], v[14:15]
	;; [unrolled: 1-line block ×4, first 2 shown]
	s_waitcnt vmcnt(0)
	v_add_f64 v[4:5], v[32:33], -v[4:5]
	v_add_f64 v[6:7], v[34:35], -v[6:7]
	scratch_store_dwordx4 off, v[4:7], off offset:544
	s_and_saveexec_b64 s[0:1], vcc
	s_cbranch_execz .LBB40_195
; %bb.194:
	scratch_load_dwordx4 v[6:9], off, s46
	v_mov_b32_e32 v3, v2
	v_mov_b32_e32 v4, v2
	;; [unrolled: 1-line block ×3, first 2 shown]
	v_accvgpr_read_b32 v0, a83
	scratch_store_dwordx4 off, v[2:5], off offset:528
	s_waitcnt vmcnt(1)
	ds_write_b128 v0, v[6:9]
.LBB40_195:
	s_or_b64 exec, exec, s[0:1]
	s_waitcnt lgkmcnt(0)
	; wave barrier
	ds_read_b128 v[4:7], v2 offset:1184
	ds_read_b128 v[8:11], v2 offset:1200
	;; [unrolled: 1-line block ×4, first 2 shown]
	scratch_load_dwordx4 v[20:23], off, off offset:544
	scratch_load_dwordx4 v[40:43], off, off offset:608
	v_cmp_lt_u32_e32 vcc, 31, v240
	scratch_load_dwordx4 v[48:51], off, off offset:624
	scratch_load_dwordx4 v[56:59], off, off offset:640
	;; [unrolled: 1-line block ×3, first 2 shown]
	s_waitcnt vmcnt(4) lgkmcnt(3)
	v_mul_f64 v[24:25], v[4:5], v[22:23]
	v_fmac_f64_e32 v[24:25], v[6:7], v[20:21]
	v_add_f64 v[28:29], v[24:25], 0
	scratch_load_dwordx4 v[24:27], off, off offset:560
	s_waitcnt vmcnt(0) lgkmcnt(2)
	v_mul_f64 v[30:31], v[8:9], v[26:27]
	v_fmac_f64_e32 v[30:31], v[10:11], v[24:25]
	v_add_f64 v[32:33], v[28:29], v[30:31]
	scratch_load_dwordx4 v[28:31], off, off offset:576
	;; [unrolled: 5-line block ×3, first 2 shown]
	s_waitcnt vmcnt(0) lgkmcnt(0)
	v_mul_f64 v[38:39], v[16:17], v[34:35]
	v_fmac_f64_e32 v[38:39], v[18:19], v[32:33]
	v_add_f64 v[44:45], v[36:37], v[38:39]
	ds_read_b128 v[36:39], v2 offset:1248
	s_waitcnt lgkmcnt(0)
	v_mul_f64 v[46:47], v[36:37], v[42:43]
	v_fmac_f64_e32 v[46:47], v[38:39], v[40:41]
	v_add_f64 v[52:53], v[44:45], v[46:47]
	ds_read_b128 v[44:47], v2 offset:1264
	s_waitcnt lgkmcnt(0)
	;; [unrolled: 5-line block ×4, first 2 shown]
	v_mul_f64 v[2:3], v[60:61], v[66:67]
	v_fmac_f64_e32 v[2:3], v[62:63], v[64:65]
	v_add_f64 v[68:69], v[68:69], v[2:3]
	v_mul_f64 v[2:3], v[6:7], v[22:23]
	v_fma_f64 v[2:3], v[4:5], v[20:21], -v[2:3]
	v_mul_f64 v[4:5], v[10:11], v[26:27]
	v_add_f64 v[2:3], v[2:3], 0
	v_fma_f64 v[4:5], v[8:9], v[24:25], -v[4:5]
	v_add_f64 v[2:3], v[2:3], v[4:5]
	v_mul_f64 v[4:5], v[14:15], v[30:31]
	v_fma_f64 v[4:5], v[12:13], v[28:29], -v[4:5]
	v_add_f64 v[2:3], v[2:3], v[4:5]
	v_mul_f64 v[4:5], v[18:19], v[34:35]
	;; [unrolled: 3-line block ×6, first 2 shown]
	v_fma_f64 v[4:5], v[60:61], v[64:65], -v[4:5]
	v_add_f64 v[6:7], v[2:3], v[4:5]
	scratch_load_dwordx4 v[2:5], off, off offset:528
	s_waitcnt vmcnt(0)
	v_add_f64 v[2:3], v[2:3], -v[6:7]
	v_add_f64 v[4:5], v[4:5], -v[68:69]
	scratch_store_dwordx4 off, v[2:5], off offset:528
	s_and_saveexec_b64 s[0:1], vcc
	s_cbranch_execz .LBB40_197
; %bb.196:
	scratch_load_dwordx4 v[2:5], off, s45
	v_mov_b32_e32 v6, 0
	v_mov_b32_e32 v7, v6
	;; [unrolled: 1-line block ×4, first 2 shown]
	v_accvgpr_read_b32 v0, a83
	scratch_store_dwordx4 off, v[6:9], off offset:512
	s_waitcnt vmcnt(1)
	ds_write_b128 v0, v[2:5]
.LBB40_197:
	s_or_b64 exec, exec, s[0:1]
	v_mov_b32_e32 v2, 0
	s_waitcnt lgkmcnt(0)
	; wave barrier
	ds_read_b128 v[4:7], v2 offset:1168
	ds_read_b128 v[8:11], v2 offset:1184
	;; [unrolled: 1-line block ×4, first 2 shown]
	scratch_load_dwordx4 v[20:23], off, off offset:528
	scratch_load_dwordx4 v[40:43], off, off offset:592
	;; [unrolled: 1-line block ×3, first 2 shown]
	v_cmp_lt_u32_e32 vcc, 30, v240
	scratch_load_dwordx4 v[48:51], off, off offset:608
	scratch_load_dwordx4 v[56:59], off, off offset:624
	;; [unrolled: 1-line block ×3, first 2 shown]
	s_waitcnt vmcnt(5) lgkmcnt(3)
	v_mul_f64 v[24:25], v[4:5], v[22:23]
	v_fmac_f64_e32 v[24:25], v[6:7], v[20:21]
	v_add_f64 v[28:29], v[24:25], 0
	scratch_load_dwordx4 v[24:27], off, off offset:544
	v_mul_f64 v[6:7], v[6:7], v[22:23]
	v_fma_f64 v[4:5], v[4:5], v[20:21], -v[6:7]
	v_add_f64 v[4:5], v[4:5], 0
	s_waitcnt vmcnt(0) lgkmcnt(2)
	v_mul_f64 v[30:31], v[8:9], v[26:27]
	v_fmac_f64_e32 v[30:31], v[10:11], v[24:25]
	v_add_f64 v[32:33], v[28:29], v[30:31]
	scratch_load_dwordx4 v[28:31], off, off offset:560
	v_mul_f64 v[6:7], v[10:11], v[26:27]
	v_fma_f64 v[6:7], v[8:9], v[24:25], -v[6:7]
	v_add_f64 v[4:5], v[4:5], v[6:7]
	;; [unrolled: 8-line block ×3, first 2 shown]
	s_waitcnt vmcnt(0) lgkmcnt(0)
	v_mul_f64 v[38:39], v[16:17], v[34:35]
	v_fmac_f64_e32 v[38:39], v[18:19], v[32:33]
	v_add_f64 v[44:45], v[36:37], v[38:39]
	ds_read_b128 v[36:39], v2 offset:1232
	v_mul_f64 v[6:7], v[18:19], v[34:35]
	v_fma_f64 v[6:7], v[16:17], v[32:33], -v[6:7]
	v_add_f64 v[4:5], v[4:5], v[6:7]
	s_waitcnt lgkmcnt(0)
	v_mul_f64 v[46:47], v[36:37], v[42:43]
	v_fmac_f64_e32 v[46:47], v[38:39], v[40:41]
	v_add_f64 v[52:53], v[44:45], v[46:47]
	ds_read_b128 v[44:47], v2 offset:1248
	v_mul_f64 v[6:7], v[38:39], v[42:43]
	v_fma_f64 v[6:7], v[36:37], v[40:41], -v[6:7]
	v_add_f64 v[4:5], v[4:5], v[6:7]
	s_waitcnt lgkmcnt(0)
	;; [unrolled: 8-line block ×5, first 2 shown]
	v_mul_f64 v[6:7], v[70:71], v[74:75]
	v_fma_f64 v[6:7], v[68:69], v[72:73], -v[6:7]
	v_add_f64 v[8:9], v[4:5], v[6:7]
	scratch_load_dwordx4 v[4:7], off, off offset:512
	v_mul_f64 v[78:79], v[68:69], v[74:75]
	v_fmac_f64_e32 v[78:79], v[70:71], v[72:73]
	v_add_f64 v[76:77], v[76:77], v[78:79]
	s_waitcnt vmcnt(0)
	v_add_f64 v[4:5], v[4:5], -v[8:9]
	v_add_f64 v[6:7], v[6:7], -v[76:77]
	scratch_store_dwordx4 off, v[4:7], off offset:512
	s_and_saveexec_b64 s[0:1], vcc
	s_cbranch_execz .LBB40_199
; %bb.198:
	scratch_load_dwordx4 v[6:9], off, s44
	v_mov_b32_e32 v3, v2
	v_mov_b32_e32 v4, v2
	;; [unrolled: 1-line block ×3, first 2 shown]
	v_accvgpr_read_b32 v0, a83
	scratch_store_dwordx4 off, v[2:5], off offset:496
	s_waitcnt vmcnt(1)
	ds_write_b128 v0, v[6:9]
.LBB40_199:
	s_or_b64 exec, exec, s[0:1]
	s_waitcnt lgkmcnt(0)
	; wave barrier
	scratch_load_dwordx4 v[4:7], off, off offset:512
	scratch_load_dwordx4 v[8:11], off, off offset:528
	;; [unrolled: 1-line block ×11, first 2 shown]
	ds_read_b128 v[48:51], v2 offset:1152
	ds_read_b128 v[52:55], v2 offset:1168
	ds_read_b128 v[56:59], v2 offset:1184
	ds_read_b128 v[60:63], v2 offset:1200
	ds_read_b128 v[64:67], v2 offset:1216
	ds_read_b128 v[68:71], v2 offset:1232
	ds_read_b128 v[72:75], v2 offset:1248
	ds_read_b128 v[76:79], v2 offset:1264
	ds_read_b128 v[80:83], v2 offset:1280
	ds_read_b128 v[84:87], v2 offset:1296
	v_cmp_lt_u32_e32 vcc, 29, v240
	s_waitcnt vmcnt(10) lgkmcnt(9)
	v_mul_f64 v[2:3], v[48:49], v[6:7]
	v_mul_f64 v[6:7], v[50:51], v[6:7]
	s_waitcnt vmcnt(9) lgkmcnt(8)
	v_mul_f64 v[88:89], v[52:53], v[10:11]
	v_mul_f64 v[10:11], v[54:55], v[10:11]
	v_fmac_f64_e32 v[2:3], v[50:51], v[4:5]
	v_fma_f64 v[4:5], v[48:49], v[4:5], -v[6:7]
	s_waitcnt vmcnt(8) lgkmcnt(7)
	v_mul_f64 v[90:91], v[56:57], v[14:15]
	v_mul_f64 v[14:15], v[58:59], v[14:15]
	v_fmac_f64_e32 v[88:89], v[54:55], v[8:9]
	v_fma_f64 v[6:7], v[52:53], v[8:9], -v[10:11]
	v_add_f64 v[2:3], v[2:3], 0
	v_add_f64 v[4:5], v[4:5], 0
	s_waitcnt vmcnt(7) lgkmcnt(6)
	v_mul_f64 v[92:93], v[60:61], v[18:19]
	v_mul_f64 v[18:19], v[62:63], v[18:19]
	v_fmac_f64_e32 v[90:91], v[58:59], v[12:13]
	v_fma_f64 v[8:9], v[56:57], v[12:13], -v[14:15]
	v_add_f64 v[2:3], v[2:3], v[88:89]
	v_add_f64 v[4:5], v[4:5], v[6:7]
	;; [unrolled: 7-line block ×8, first 2 shown]
	v_fmac_f64_e32 v[104:105], v[86:87], v[40:41]
	v_fma_f64 v[22:23], v[84:85], v[40:41], -v[42:43]
	v_add_f64 v[2:3], v[2:3], v[102:103]
	v_add_f64 v[4:5], v[4:5], v[20:21]
	;; [unrolled: 1-line block ×4, first 2 shown]
	s_waitcnt vmcnt(0)
	v_add_f64 v[2:3], v[44:45], -v[2:3]
	v_add_f64 v[4:5], v[46:47], -v[6:7]
	scratch_store_dwordx4 off, v[2:5], off offset:496
	s_and_saveexec_b64 s[0:1], vcc
	s_cbranch_execz .LBB40_201
; %bb.200:
	scratch_load_dwordx4 v[2:5], off, s43
	v_mov_b32_e32 v6, 0
	v_mov_b32_e32 v7, v6
	;; [unrolled: 1-line block ×4, first 2 shown]
	v_accvgpr_read_b32 v0, a83
	scratch_store_dwordx4 off, v[6:9], off offset:480
	s_waitcnt vmcnt(1)
	ds_write_b128 v0, v[2:5]
.LBB40_201:
	s_or_b64 exec, exec, s[0:1]
	s_waitcnt lgkmcnt(0)
	; wave barrier
	scratch_load_dwordx4 v[4:7], off, off offset:496
	scratch_load_dwordx4 v[8:11], off, off offset:512
	;; [unrolled: 1-line block ×12, first 2 shown]
	v_mov_b32_e32 v2, 0
	ds_read_b128 v[52:55], v2 offset:1136
	ds_read_b128 v[56:59], v2 offset:1152
	;; [unrolled: 1-line block ×11, first 2 shown]
	v_cmp_lt_u32_e32 vcc, 28, v240
	s_waitcnt vmcnt(11) lgkmcnt(10)
	v_mul_f64 v[96:97], v[52:53], v[6:7]
	v_mul_f64 v[6:7], v[54:55], v[6:7]
	s_waitcnt vmcnt(10) lgkmcnt(9)
	v_mul_f64 v[98:99], v[56:57], v[10:11]
	s_waitcnt vmcnt(9) lgkmcnt(8)
	v_mul_f64 v[100:101], v[60:61], v[14:15]
	v_mul_f64 v[10:11], v[58:59], v[10:11]
	s_waitcnt vmcnt(6) lgkmcnt(5)
	v_mul_f64 v[106:107], v[72:73], v[26:27]
	v_mul_f64 v[14:15], v[62:63], v[14:15]
	;; [unrolled: 1-line block ×3, first 2 shown]
	v_fmac_f64_e32 v[96:97], v[54:55], v[4:5]
	v_fma_f64 v[4:5], v[52:53], v[4:5], -v[6:7]
	v_fmac_f64_e32 v[98:99], v[58:59], v[8:9]
	v_fma_f64 v[6:7], v[56:57], v[8:9], -v[10:11]
	v_fma_f64 v[8:9], v[60:61], v[12:13], -v[14:15]
	;; [unrolled: 1-line block ×3, first 2 shown]
	v_add_f64 v[26:27], v[96:97], 0
	v_add_f64 v[4:5], v[4:5], 0
	v_mul_f64 v[102:103], v[64:65], v[18:19]
	v_mul_f64 v[18:19], v[66:67], v[18:19]
	v_fmac_f64_e32 v[100:101], v[62:63], v[12:13]
	v_add_f64 v[26:27], v[26:27], v[98:99]
	v_add_f64 v[4:5], v[4:5], v[6:7]
	v_mul_f64 v[104:105], v[68:69], v[22:23]
	v_mul_f64 v[22:23], v[70:71], v[22:23]
	v_fmac_f64_e32 v[102:103], v[66:67], v[16:17]
	v_fma_f64 v[10:11], v[64:65], v[16:17], -v[18:19]
	v_add_f64 v[6:7], v[26:27], v[100:101]
	v_add_f64 v[4:5], v[4:5], v[8:9]
	v_fmac_f64_e32 v[104:105], v[70:71], v[20:21]
	v_fma_f64 v[12:13], v[68:69], v[20:21], -v[22:23]
	v_add_f64 v[6:7], v[6:7], v[102:103]
	v_add_f64 v[4:5], v[4:5], v[10:11]
	s_waitcnt vmcnt(5) lgkmcnt(4)
	v_mul_f64 v[108:109], v[76:77], v[30:31]
	v_mul_f64 v[30:31], v[78:79], v[30:31]
	v_fmac_f64_e32 v[106:107], v[74:75], v[24:25]
	v_add_f64 v[6:7], v[6:7], v[104:105]
	v_add_f64 v[4:5], v[4:5], v[12:13]
	s_waitcnt vmcnt(4) lgkmcnt(3)
	v_mul_f64 v[110:111], v[80:81], v[34:35]
	v_mul_f64 v[34:35], v[82:83], v[34:35]
	v_fmac_f64_e32 v[108:109], v[78:79], v[28:29]
	v_fma_f64 v[16:17], v[76:77], v[28:29], -v[30:31]
	v_add_f64 v[6:7], v[6:7], v[106:107]
	v_add_f64 v[4:5], v[4:5], v[14:15]
	s_waitcnt vmcnt(3) lgkmcnt(2)
	v_mul_f64 v[112:113], v[84:85], v[38:39]
	v_mul_f64 v[38:39], v[86:87], v[38:39]
	v_fmac_f64_e32 v[110:111], v[82:83], v[32:33]
	v_fma_f64 v[18:19], v[80:81], v[32:33], -v[34:35]
	;; [unrolled: 7-line block ×4, first 2 shown]
	v_add_f64 v[6:7], v[6:7], v[112:113]
	v_add_f64 v[4:5], v[4:5], v[20:21]
	v_fmac_f64_e32 v[116:117], v[94:95], v[44:45]
	v_fma_f64 v[24:25], v[92:93], v[44:45], -v[46:47]
	v_add_f64 v[6:7], v[6:7], v[114:115]
	v_add_f64 v[4:5], v[4:5], v[22:23]
	;; [unrolled: 1-line block ×4, first 2 shown]
	s_waitcnt vmcnt(0)
	v_add_f64 v[4:5], v[48:49], -v[4:5]
	v_add_f64 v[6:7], v[50:51], -v[6:7]
	scratch_store_dwordx4 off, v[4:7], off offset:480
	s_and_saveexec_b64 s[0:1], vcc
	s_cbranch_execz .LBB40_203
; %bb.202:
	scratch_load_dwordx4 v[6:9], off, s42
	v_mov_b32_e32 v3, v2
	v_mov_b32_e32 v4, v2
	;; [unrolled: 1-line block ×3, first 2 shown]
	v_accvgpr_read_b32 v0, a83
	scratch_store_dwordx4 off, v[2:5], off offset:464
	s_waitcnt vmcnt(1)
	ds_write_b128 v0, v[6:9]
.LBB40_203:
	s_or_b64 exec, exec, s[0:1]
	s_waitcnt lgkmcnt(0)
	; wave barrier
	scratch_load_dwordx4 v[4:7], off, off offset:480
	scratch_load_dwordx4 v[8:11], off, off offset:496
	;; [unrolled: 1-line block ×12, first 2 shown]
	ds_read_b128 v[52:55], v2 offset:1120
	ds_read_b128 v[56:59], v2 offset:1136
	;; [unrolled: 1-line block ×4, first 2 shown]
	scratch_load_dwordx4 v[68:71], off, off offset:464
	ds_read_b128 v[72:75], v2 offset:1184
	ds_read_b128 v[76:79], v2 offset:1200
	;; [unrolled: 1-line block ×8, first 2 shown]
	v_cmp_lt_u32_e32 vcc, 27, v240
	s_waitcnt vmcnt(12) lgkmcnt(11)
	v_mul_f64 v[2:3], v[52:53], v[6:7]
	s_waitcnt vmcnt(11) lgkmcnt(10)
	v_mul_f64 v[104:105], v[56:57], v[10:11]
	v_fmac_f64_e32 v[2:3], v[54:55], v[4:5]
	s_waitcnt vmcnt(10) lgkmcnt(9)
	v_mul_f64 v[106:107], v[60:61], v[14:15]
	v_mul_f64 v[6:7], v[54:55], v[6:7]
	v_fmac_f64_e32 v[104:105], v[58:59], v[8:9]
	v_add_f64 v[2:3], v[2:3], 0
	s_waitcnt vmcnt(9) lgkmcnt(8)
	v_mul_f64 v[108:109], v[64:65], v[18:19]
	v_mul_f64 v[10:11], v[58:59], v[10:11]
	v_fmac_f64_e32 v[106:107], v[62:63], v[12:13]
	v_fma_f64 v[4:5], v[52:53], v[4:5], -v[6:7]
	v_add_f64 v[2:3], v[2:3], v[104:105]
	s_waitcnt vmcnt(8) lgkmcnt(7)
	v_mul_f64 v[110:111], v[72:73], v[22:23]
	v_mul_f64 v[14:15], v[62:63], v[14:15]
	v_fmac_f64_e32 v[108:109], v[66:67], v[16:17]
	v_fma_f64 v[6:7], v[56:57], v[8:9], -v[10:11]
	v_add_f64 v[4:5], v[4:5], 0
	v_add_f64 v[2:3], v[2:3], v[106:107]
	s_waitcnt vmcnt(7) lgkmcnt(6)
	v_mul_f64 v[112:113], v[76:77], v[26:27]
	v_mul_f64 v[18:19], v[66:67], v[18:19]
	v_fmac_f64_e32 v[110:111], v[74:75], v[20:21]
	v_fma_f64 v[8:9], v[60:61], v[12:13], -v[14:15]
	v_add_f64 v[4:5], v[4:5], v[6:7]
	;; [unrolled: 7-line block ×8, first 2 shown]
	v_add_f64 v[2:3], v[2:3], v[120:121]
	v_mul_f64 v[46:47], v[98:99], v[46:47]
	v_fmac_f64_e32 v[124:125], v[102:103], v[48:49]
	v_fma_f64 v[22:23], v[92:93], v[40:41], -v[42:43]
	v_add_f64 v[4:5], v[4:5], v[20:21]
	v_add_f64 v[2:3], v[2:3], v[122:123]
	;; [unrolled: 1-line block ×4, first 2 shown]
	v_fma_f64 v[2:3], v[96:97], v[44:45], -v[46:47]
	v_add_f64 v[2:3], v[4:5], v[2:3]
	v_mul_f64 v[4:5], v[102:103], v[50:51]
	v_fma_f64 v[4:5], v[100:101], v[48:49], -v[4:5]
	v_add_f64 v[2:3], v[2:3], v[4:5]
	s_waitcnt vmcnt(0)
	v_add_f64 v[2:3], v[68:69], -v[2:3]
	v_add_f64 v[4:5], v[70:71], -v[6:7]
	scratch_store_dwordx4 off, v[2:5], off offset:464
	s_and_saveexec_b64 s[0:1], vcc
	s_cbranch_execz .LBB40_205
; %bb.204:
	scratch_load_dwordx4 v[2:5], off, s41
	v_mov_b32_e32 v6, 0
	v_mov_b32_e32 v7, v6
	;; [unrolled: 1-line block ×4, first 2 shown]
	v_accvgpr_read_b32 v0, a83
	scratch_store_dwordx4 off, v[6:9], off offset:448
	s_waitcnt vmcnt(1)
	ds_write_b128 v0, v[2:5]
.LBB40_205:
	s_or_b64 exec, exec, s[0:1]
	s_waitcnt lgkmcnt(0)
	; wave barrier
	scratch_load_dwordx4 v[4:7], off, off offset:464
	scratch_load_dwordx4 v[8:11], off, off offset:480
	;; [unrolled: 1-line block ×14, first 2 shown]
	v_mov_b32_e32 v2, 0
	ds_read_b128 v[60:63], v2 offset:1104
	ds_read_b128 v[64:67], v2 offset:1120
	;; [unrolled: 1-line block ×13, first 2 shown]
	v_cmp_lt_u32_e32 vcc, 26, v240
	s_waitcnt vmcnt(13) lgkmcnt(12)
	v_mul_f64 v[112:113], v[60:61], v[6:7]
	v_mul_f64 v[6:7], v[62:63], v[6:7]
	s_waitcnt vmcnt(12) lgkmcnt(11)
	v_mul_f64 v[114:115], v[64:65], v[10:11]
	v_mul_f64 v[10:11], v[66:67], v[10:11]
	v_fmac_f64_e32 v[112:113], v[62:63], v[4:5]
	v_fma_f64 v[4:5], v[60:61], v[4:5], -v[6:7]
	s_waitcnt vmcnt(11) lgkmcnt(10)
	v_mul_f64 v[116:117], v[68:69], v[14:15]
	v_mul_f64 v[14:15], v[70:71], v[14:15]
	v_fma_f64 v[6:7], v[64:65], v[8:9], -v[10:11]
	v_add_f64 v[4:5], v[4:5], 0
	s_waitcnt vmcnt(10) lgkmcnt(9)
	v_mul_f64 v[118:119], v[72:73], v[18:19]
	v_mul_f64 v[18:19], v[74:75], v[18:19]
	v_fmac_f64_e32 v[114:115], v[66:67], v[8:9]
	v_fma_f64 v[8:9], v[68:69], v[12:13], -v[14:15]
	v_add_f64 v[4:5], v[4:5], v[6:7]
	s_waitcnt vmcnt(9) lgkmcnt(8)
	v_mul_f64 v[120:121], v[76:77], v[22:23]
	v_mul_f64 v[22:23], v[78:79], v[22:23]
	v_fma_f64 v[10:11], v[72:73], v[16:17], -v[18:19]
	v_add_f64 v[4:5], v[4:5], v[8:9]
	s_waitcnt vmcnt(8) lgkmcnt(7)
	v_mul_f64 v[122:123], v[80:81], v[26:27]
	v_mul_f64 v[26:27], v[82:83], v[26:27]
	v_fmac_f64_e32 v[116:117], v[70:71], v[12:13]
	v_fma_f64 v[12:13], v[76:77], v[20:21], -v[22:23]
	v_add_f64 v[22:23], v[112:113], 0
	v_add_f64 v[4:5], v[4:5], v[10:11]
	s_waitcnt vmcnt(7) lgkmcnt(6)
	v_mul_f64 v[124:125], v[84:85], v[30:31]
	v_mul_f64 v[30:31], v[86:87], v[30:31]
	v_fma_f64 v[14:15], v[80:81], v[24:25], -v[26:27]
	v_add_f64 v[22:23], v[22:23], v[114:115]
	v_add_f64 v[4:5], v[4:5], v[12:13]
	s_waitcnt vmcnt(6) lgkmcnt(5)
	v_mul_f64 v[126:127], v[88:89], v[34:35]
	v_mul_f64 v[34:35], v[90:91], v[34:35]
	v_fmac_f64_e32 v[118:119], v[74:75], v[16:17]
	v_fma_f64 v[16:17], v[84:85], v[28:29], -v[30:31]
	v_add_f64 v[6:7], v[22:23], v[116:117]
	v_add_f64 v[4:5], v[4:5], v[14:15]
	s_waitcnt vmcnt(5) lgkmcnt(4)
	v_mul_f64 v[128:129], v[92:93], v[38:39]
	v_mul_f64 v[38:39], v[94:95], v[38:39]
	v_fmac_f64_e32 v[120:121], v[78:79], v[20:21]
	v_fma_f64 v[18:19], v[88:89], v[32:33], -v[34:35]
	v_add_f64 v[6:7], v[6:7], v[118:119]
	v_add_f64 v[4:5], v[4:5], v[16:17]
	v_fmac_f64_e32 v[122:123], v[82:83], v[24:25]
	v_fma_f64 v[20:21], v[92:93], v[36:37], -v[38:39]
	v_add_f64 v[6:7], v[6:7], v[120:121]
	v_add_f64 v[4:5], v[4:5], v[18:19]
	s_waitcnt vmcnt(4) lgkmcnt(3)
	v_mul_f64 v[8:9], v[98:99], v[42:43]
	v_fmac_f64_e32 v[124:125], v[86:87], v[28:29]
	v_add_f64 v[6:7], v[6:7], v[122:123]
	v_add_f64 v[4:5], v[4:5], v[20:21]
	v_fma_f64 v[8:9], v[96:97], v[40:41], -v[8:9]
	v_fmac_f64_e32 v[126:127], v[90:91], v[32:33]
	v_add_f64 v[6:7], v[6:7], v[124:125]
	v_add_f64 v[4:5], v[4:5], v[8:9]
	s_waitcnt vmcnt(3) lgkmcnt(2)
	v_mul_f64 v[8:9], v[102:103], v[46:47]
	v_mul_f64 v[130:131], v[96:97], v[42:43]
	v_fmac_f64_e32 v[128:129], v[94:95], v[36:37]
	v_add_f64 v[6:7], v[6:7], v[126:127]
	v_fma_f64 v[8:9], v[100:101], v[44:45], -v[8:9]
	v_mul_f64 v[132:133], v[100:101], v[46:47]
	v_fmac_f64_e32 v[130:131], v[98:99], v[40:41]
	v_add_f64 v[6:7], v[6:7], v[128:129]
	v_add_f64 v[4:5], v[4:5], v[8:9]
	s_waitcnt vmcnt(2) lgkmcnt(1)
	v_mul_f64 v[8:9], v[106:107], v[50:51]
	v_mul_f64 v[134:135], v[104:105], v[50:51]
	v_fmac_f64_e32 v[132:133], v[102:103], v[44:45]
	v_add_f64 v[6:7], v[6:7], v[130:131]
	v_fma_f64 v[8:9], v[104:105], v[48:49], -v[8:9]
	s_waitcnt vmcnt(1) lgkmcnt(0)
	v_mul_f64 v[136:137], v[108:109], v[54:55]
	v_fmac_f64_e32 v[134:135], v[106:107], v[48:49]
	v_add_f64 v[6:7], v[6:7], v[132:133]
	v_add_f64 v[4:5], v[4:5], v[8:9]
	v_mul_f64 v[8:9], v[110:111], v[54:55]
	v_fmac_f64_e32 v[136:137], v[110:111], v[52:53]
	v_add_f64 v[6:7], v[6:7], v[134:135]
	v_fma_f64 v[8:9], v[108:109], v[52:53], -v[8:9]
	v_add_f64 v[6:7], v[6:7], v[136:137]
	v_add_f64 v[4:5], v[4:5], v[8:9]
	s_waitcnt vmcnt(0)
	v_add_f64 v[4:5], v[56:57], -v[4:5]
	v_add_f64 v[6:7], v[58:59], -v[6:7]
	scratch_store_dwordx4 off, v[4:7], off offset:448
	s_and_saveexec_b64 s[0:1], vcc
	s_cbranch_execz .LBB40_207
; %bb.206:
	scratch_load_dwordx4 v[6:9], off, s40
	v_mov_b32_e32 v3, v2
	v_mov_b32_e32 v4, v2
	;; [unrolled: 1-line block ×3, first 2 shown]
	v_accvgpr_read_b32 v0, a83
	scratch_store_dwordx4 off, v[2:5], off offset:432
	s_waitcnt vmcnt(1)
	ds_write_b128 v0, v[6:9]
.LBB40_207:
	s_or_b64 exec, exec, s[0:1]
	s_waitcnt lgkmcnt(0)
	; wave barrier
	scratch_load_dwordx4 v[4:7], off, off offset:448
	scratch_load_dwordx4 v[8:11], off, off offset:464
	;; [unrolled: 1-line block ×14, first 2 shown]
	ds_read_b128 v[60:63], v2 offset:1088
	ds_read_b128 v[64:67], v2 offset:1104
	;; [unrolled: 1-line block ×14, first 2 shown]
	scratch_load_dwordx4 v[116:119], off, off offset:432
	v_cmp_lt_u32_e32 vcc, 25, v240
	s_waitcnt vmcnt(14) lgkmcnt(13)
	v_mul_f64 v[2:3], v[60:61], v[6:7]
	s_waitcnt vmcnt(13) lgkmcnt(12)
	v_mul_f64 v[120:121], v[64:65], v[10:11]
	v_fmac_f64_e32 v[2:3], v[62:63], v[4:5]
	s_waitcnt vmcnt(12) lgkmcnt(11)
	v_mul_f64 v[122:123], v[68:69], v[14:15]
	v_fmac_f64_e32 v[120:121], v[66:67], v[8:9]
	v_add_f64 v[2:3], v[2:3], 0
	s_waitcnt vmcnt(11) lgkmcnt(10)
	v_mul_f64 v[124:125], v[72:73], v[18:19]
	v_fmac_f64_e32 v[122:123], v[70:71], v[12:13]
	v_add_f64 v[2:3], v[2:3], v[120:121]
	;; [unrolled: 4-line block ×4, first 2 shown]
	s_waitcnt vmcnt(8) lgkmcnt(7)
	v_mul_f64 v[130:131], v[84:85], v[30:31]
	v_mul_f64 v[6:7], v[62:63], v[6:7]
	v_fmac_f64_e32 v[128:129], v[82:83], v[24:25]
	v_add_f64 v[2:3], v[2:3], v[126:127]
	s_waitcnt vmcnt(7) lgkmcnt(6)
	v_mul_f64 v[132:133], v[88:89], v[34:35]
	v_mul_f64 v[10:11], v[66:67], v[10:11]
	v_fmac_f64_e32 v[130:131], v[86:87], v[28:29]
	v_fma_f64 v[4:5], v[60:61], v[4:5], -v[6:7]
	v_add_f64 v[2:3], v[2:3], v[128:129]
	s_waitcnt vmcnt(6) lgkmcnt(5)
	v_mul_f64 v[134:135], v[92:93], v[38:39]
	v_mul_f64 v[14:15], v[70:71], v[14:15]
	v_fmac_f64_e32 v[132:133], v[90:91], v[32:33]
	v_fma_f64 v[6:7], v[64:65], v[8:9], -v[10:11]
	v_add_f64 v[4:5], v[4:5], 0
	v_add_f64 v[2:3], v[2:3], v[130:131]
	s_waitcnt vmcnt(5) lgkmcnt(4)
	v_mul_f64 v[136:137], v[96:97], v[42:43]
	v_mul_f64 v[18:19], v[74:75], v[18:19]
	v_fmac_f64_e32 v[134:135], v[94:95], v[36:37]
	v_fma_f64 v[8:9], v[68:69], v[12:13], -v[14:15]
	v_add_f64 v[4:5], v[4:5], v[6:7]
	;; [unrolled: 7-line block ×6, first 2 shown]
	v_add_f64 v[2:3], v[2:3], v[140:141]
	v_fmac_f64_e32 v[144:145], v[114:115], v[56:57]
	v_fma_f64 v[18:19], v[88:89], v[32:33], -v[34:35]
	v_add_f64 v[4:5], v[4:5], v[16:17]
	v_add_f64 v[2:3], v[2:3], v[142:143]
	v_add_f64 v[6:7], v[2:3], v[144:145]
	v_add_f64 v[2:3], v[4:5], v[18:19]
	v_mul_f64 v[4:5], v[94:95], v[38:39]
	v_fma_f64 v[4:5], v[92:93], v[36:37], -v[4:5]
	v_add_f64 v[2:3], v[2:3], v[4:5]
	v_mul_f64 v[4:5], v[98:99], v[42:43]
	v_fma_f64 v[4:5], v[96:97], v[40:41], -v[4:5]
	v_add_f64 v[2:3], v[2:3], v[4:5]
	;; [unrolled: 3-line block ×6, first 2 shown]
	s_waitcnt vmcnt(0)
	v_add_f64 v[2:3], v[116:117], -v[2:3]
	v_add_f64 v[4:5], v[118:119], -v[6:7]
	scratch_store_dwordx4 off, v[2:5], off offset:432
	s_and_saveexec_b64 s[0:1], vcc
	s_cbranch_execz .LBB40_209
; %bb.208:
	scratch_load_dwordx4 v[2:5], off, s39
	v_mov_b32_e32 v6, 0
	v_mov_b32_e32 v7, v6
	;; [unrolled: 1-line block ×4, first 2 shown]
	v_accvgpr_read_b32 v0, a83
	scratch_store_dwordx4 off, v[6:9], off offset:416
	s_waitcnt vmcnt(1)
	ds_write_b128 v0, v[2:5]
.LBB40_209:
	s_or_b64 exec, exec, s[0:1]
	s_waitcnt lgkmcnt(0)
	; wave barrier
	scratch_load_dwordx4 v[4:7], off, off offset:432
	scratch_load_dwordx4 v[8:11], off, off offset:448
	scratch_load_dwordx4 v[12:15], off, off offset:464
	scratch_load_dwordx4 v[16:19], off, off offset:480
	scratch_load_dwordx4 v[20:23], off, off offset:496
	scratch_load_dwordx4 v[24:27], off, off offset:512
	scratch_load_dwordx4 v[28:31], off, off offset:528
	scratch_load_dwordx4 v[32:35], off, off offset:544
	scratch_load_dwordx4 v[36:39], off, off offset:560
	scratch_load_dwordx4 v[40:43], off, off offset:576
	scratch_load_dwordx4 v[44:47], off, off offset:592
	scratch_load_dwordx4 v[48:51], off, off offset:608
	scratch_load_dwordx4 v[52:55], off, off offset:624
	scratch_load_dwordx4 v[56:59], off, off offset:640
	scratch_load_dwordx4 v[60:63], off, off offset:656
	scratch_load_dwordx4 v[64:67], off, off offset:416
	v_mov_b32_e32 v2, 0
	ds_read_b128 v[68:71], v2 offset:1072
	ds_read_b128 v[72:75], v2 offset:1088
	;; [unrolled: 1-line block ×15, first 2 shown]
	v_cmp_lt_u32_e32 vcc, 24, v240
	s_waitcnt vmcnt(15) lgkmcnt(14)
	v_mul_f64 v[128:129], v[68:69], v[6:7]
	v_mul_f64 v[6:7], v[70:71], v[6:7]
	s_waitcnt vmcnt(14) lgkmcnt(13)
	v_mul_f64 v[130:131], v[72:73], v[10:11]
	v_mul_f64 v[10:11], v[74:75], v[10:11]
	v_fmac_f64_e32 v[128:129], v[70:71], v[4:5]
	v_fma_f64 v[4:5], v[68:69], v[4:5], -v[6:7]
	s_waitcnt vmcnt(13) lgkmcnt(12)
	v_mul_f64 v[132:133], v[76:77], v[14:15]
	v_mul_f64 v[14:15], v[78:79], v[14:15]
	v_fma_f64 v[6:7], v[72:73], v[8:9], -v[10:11]
	v_add_f64 v[4:5], v[4:5], 0
	s_waitcnt vmcnt(12) lgkmcnt(11)
	v_mul_f64 v[134:135], v[80:81], v[18:19]
	v_mul_f64 v[18:19], v[82:83], v[18:19]
	v_fmac_f64_e32 v[130:131], v[74:75], v[8:9]
	v_fma_f64 v[8:9], v[76:77], v[12:13], -v[14:15]
	v_add_f64 v[4:5], v[4:5], v[6:7]
	s_waitcnt vmcnt(11) lgkmcnt(10)
	v_mul_f64 v[136:137], v[84:85], v[22:23]
	v_mul_f64 v[22:23], v[86:87], v[22:23]
	v_fma_f64 v[10:11], v[80:81], v[16:17], -v[18:19]
	v_add_f64 v[4:5], v[4:5], v[8:9]
	s_waitcnt vmcnt(10) lgkmcnt(9)
	v_mul_f64 v[138:139], v[88:89], v[26:27]
	v_mul_f64 v[26:27], v[90:91], v[26:27]
	v_fmac_f64_e32 v[132:133], v[78:79], v[12:13]
	v_fma_f64 v[12:13], v[84:85], v[20:21], -v[22:23]
	v_add_f64 v[4:5], v[4:5], v[10:11]
	v_fma_f64 v[14:15], v[88:89], v[24:25], -v[26:27]
	v_add_f64 v[4:5], v[4:5], v[12:13]
	s_waitcnt vmcnt(9) lgkmcnt(8)
	v_mul_f64 v[8:9], v[94:95], v[30:31]
	v_add_f64 v[4:5], v[4:5], v[14:15]
	v_fma_f64 v[8:9], v[92:93], v[28:29], -v[8:9]
	v_add_f64 v[4:5], v[4:5], v[8:9]
	s_waitcnt vmcnt(8) lgkmcnt(7)
	v_mul_f64 v[8:9], v[98:99], v[34:35]
	v_fma_f64 v[8:9], v[96:97], v[32:33], -v[8:9]
	v_fmac_f64_e32 v[134:135], v[82:83], v[16:17]
	v_add_f64 v[16:17], v[128:129], 0
	v_add_f64 v[4:5], v[4:5], v[8:9]
	s_waitcnt vmcnt(7) lgkmcnt(6)
	v_mul_f64 v[8:9], v[102:103], v[38:39]
	v_add_f64 v[16:17], v[16:17], v[130:131]
	v_fma_f64 v[8:9], v[100:101], v[36:37], -v[8:9]
	v_add_f64 v[6:7], v[16:17], v[132:133]
	v_add_f64 v[4:5], v[4:5], v[8:9]
	s_waitcnt vmcnt(6) lgkmcnt(5)
	v_mul_f64 v[8:9], v[106:107], v[42:43]
	v_fmac_f64_e32 v[136:137], v[86:87], v[20:21]
	v_add_f64 v[6:7], v[6:7], v[134:135]
	v_fma_f64 v[8:9], v[104:105], v[40:41], -v[8:9]
	v_mul_f64 v[140:141], v[92:93], v[30:31]
	v_fmac_f64_e32 v[138:139], v[90:91], v[24:25]
	v_add_f64 v[6:7], v[6:7], v[136:137]
	v_add_f64 v[4:5], v[4:5], v[8:9]
	s_waitcnt vmcnt(5) lgkmcnt(4)
	v_mul_f64 v[8:9], v[110:111], v[46:47]
	v_mul_f64 v[142:143], v[96:97], v[34:35]
	v_fmac_f64_e32 v[140:141], v[94:95], v[28:29]
	v_add_f64 v[6:7], v[6:7], v[138:139]
	v_fma_f64 v[8:9], v[108:109], v[44:45], -v[8:9]
	v_mul_f64 v[144:145], v[100:101], v[38:39]
	v_fmac_f64_e32 v[142:143], v[98:99], v[32:33]
	v_add_f64 v[6:7], v[6:7], v[140:141]
	v_add_f64 v[4:5], v[4:5], v[8:9]
	s_waitcnt vmcnt(4) lgkmcnt(3)
	v_mul_f64 v[8:9], v[114:115], v[50:51]
	v_mul_f64 v[146:147], v[104:105], v[42:43]
	v_fmac_f64_e32 v[144:145], v[102:103], v[36:37]
	v_add_f64 v[6:7], v[6:7], v[142:143]
	v_fma_f64 v[8:9], v[112:113], v[48:49], -v[8:9]
	v_mul_f64 v[148:149], v[108:109], v[46:47]
	v_fmac_f64_e32 v[146:147], v[106:107], v[40:41]
	v_add_f64 v[6:7], v[6:7], v[144:145]
	v_add_f64 v[4:5], v[4:5], v[8:9]
	s_waitcnt vmcnt(3) lgkmcnt(2)
	v_mul_f64 v[8:9], v[118:119], v[54:55]
	v_mul_f64 v[150:151], v[112:113], v[50:51]
	v_fmac_f64_e32 v[148:149], v[110:111], v[44:45]
	v_add_f64 v[6:7], v[6:7], v[146:147]
	v_fma_f64 v[8:9], v[116:117], v[52:53], -v[8:9]
	v_mul_f64 v[152:153], v[116:117], v[54:55]
	v_fmac_f64_e32 v[150:151], v[114:115], v[48:49]
	v_add_f64 v[6:7], v[6:7], v[148:149]
	v_add_f64 v[4:5], v[4:5], v[8:9]
	s_waitcnt vmcnt(2) lgkmcnt(1)
	v_mul_f64 v[8:9], v[122:123], v[58:59]
	v_mul_f64 v[154:155], v[120:121], v[58:59]
	v_fmac_f64_e32 v[152:153], v[118:119], v[52:53]
	v_add_f64 v[6:7], v[6:7], v[150:151]
	v_fma_f64 v[8:9], v[120:121], v[56:57], -v[8:9]
	s_waitcnt vmcnt(1) lgkmcnt(0)
	v_mul_f64 v[156:157], v[124:125], v[62:63]
	v_fmac_f64_e32 v[154:155], v[122:123], v[56:57]
	v_add_f64 v[6:7], v[6:7], v[152:153]
	v_add_f64 v[4:5], v[4:5], v[8:9]
	v_mul_f64 v[8:9], v[126:127], v[62:63]
	v_fmac_f64_e32 v[156:157], v[126:127], v[60:61]
	v_add_f64 v[6:7], v[6:7], v[154:155]
	v_fma_f64 v[8:9], v[124:125], v[60:61], -v[8:9]
	v_add_f64 v[6:7], v[6:7], v[156:157]
	v_add_f64 v[4:5], v[4:5], v[8:9]
	s_waitcnt vmcnt(0)
	v_add_f64 v[4:5], v[64:65], -v[4:5]
	v_add_f64 v[6:7], v[66:67], -v[6:7]
	scratch_store_dwordx4 off, v[4:7], off offset:416
	s_and_saveexec_b64 s[0:1], vcc
	s_cbranch_execz .LBB40_211
; %bb.210:
	scratch_load_dwordx4 v[6:9], off, s38
	v_mov_b32_e32 v3, v2
	v_mov_b32_e32 v4, v2
	;; [unrolled: 1-line block ×3, first 2 shown]
	v_accvgpr_read_b32 v0, a83
	scratch_store_dwordx4 off, v[2:5], off offset:400
	s_waitcnt vmcnt(1)
	ds_write_b128 v0, v[6:9]
.LBB40_211:
	s_or_b64 exec, exec, s[0:1]
	s_waitcnt lgkmcnt(0)
	; wave barrier
	scratch_load_dwordx4 v[4:7], off, off offset:416
	scratch_load_dwordx4 v[8:11], off, off offset:432
	;; [unrolled: 1-line block ×16, first 2 shown]
	ds_read_b128 v[68:71], v2 offset:1056
	ds_read_b128 v[72:75], v2 offset:1072
	;; [unrolled: 1-line block ×16, first 2 shown]
	scratch_load_dwordx4 v[132:135], off, off offset:400
	v_cmp_lt_u32_e32 vcc, 23, v240
	s_waitcnt vmcnt(16) lgkmcnt(14)
	v_mul_f64 v[2:3], v[68:69], v[6:7]
	s_waitcnt vmcnt(15)
	v_mul_f64 v[136:137], v[72:73], v[10:11]
	v_fmac_f64_e32 v[2:3], v[70:71], v[4:5]
	s_waitcnt vmcnt(14) lgkmcnt(13)
	v_mul_f64 v[138:139], v[76:77], v[14:15]
	v_fmac_f64_e32 v[136:137], v[74:75], v[8:9]
	v_add_f64 v[2:3], v[2:3], 0
	s_waitcnt vmcnt(13) lgkmcnt(12)
	v_mul_f64 v[140:141], v[80:81], v[18:19]
	v_fmac_f64_e32 v[138:139], v[78:79], v[12:13]
	v_add_f64 v[2:3], v[2:3], v[136:137]
	;; [unrolled: 4-line block ×10, first 2 shown]
	s_waitcnt vmcnt(4) lgkmcnt(3)
	v_mul_f64 v[158:159], v[116:117], v[54:55]
	v_mul_f64 v[6:7], v[70:71], v[6:7]
	v_fmac_f64_e32 v[156:157], v[114:115], v[48:49]
	v_add_f64 v[2:3], v[2:3], v[154:155]
	s_waitcnt vmcnt(3) lgkmcnt(2)
	v_mul_f64 v[160:161], v[120:121], v[58:59]
	v_mul_f64 v[10:11], v[74:75], v[10:11]
	v_fmac_f64_e32 v[158:159], v[118:119], v[52:53]
	v_fma_f64 v[4:5], v[68:69], v[4:5], -v[6:7]
	v_add_f64 v[2:3], v[2:3], v[156:157]
	s_waitcnt vmcnt(2) lgkmcnt(1)
	v_mul_f64 v[162:163], v[124:125], v[62:63]
	v_mul_f64 v[14:15], v[78:79], v[14:15]
	v_fmac_f64_e32 v[160:161], v[122:123], v[56:57]
	v_fma_f64 v[6:7], v[72:73], v[8:9], -v[10:11]
	v_add_f64 v[4:5], v[4:5], 0
	v_add_f64 v[2:3], v[2:3], v[158:159]
	s_waitcnt vmcnt(1) lgkmcnt(0)
	v_mul_f64 v[164:165], v[128:129], v[66:67]
	v_mul_f64 v[18:19], v[82:83], v[18:19]
	v_fmac_f64_e32 v[162:163], v[126:127], v[60:61]
	v_fma_f64 v[8:9], v[76:77], v[12:13], -v[14:15]
	v_add_f64 v[4:5], v[4:5], v[6:7]
	v_add_f64 v[2:3], v[2:3], v[160:161]
	v_mul_f64 v[26:27], v[86:87], v[26:27]
	v_fmac_f64_e32 v[164:165], v[130:131], v[64:65]
	v_fma_f64 v[10:11], v[80:81], v[16:17], -v[18:19]
	v_add_f64 v[4:5], v[4:5], v[8:9]
	v_add_f64 v[2:3], v[2:3], v[162:163]
	v_fma_f64 v[12:13], v[84:85], v[24:25], -v[26:27]
	v_add_f64 v[4:5], v[4:5], v[10:11]
	v_add_f64 v[6:7], v[2:3], v[164:165]
	v_mul_f64 v[2:3], v[90:91], v[22:23]
	v_add_f64 v[4:5], v[4:5], v[12:13]
	v_fma_f64 v[2:3], v[88:89], v[20:21], -v[2:3]
	v_add_f64 v[2:3], v[4:5], v[2:3]
	v_mul_f64 v[4:5], v[94:95], v[30:31]
	v_fma_f64 v[4:5], v[92:93], v[28:29], -v[4:5]
	v_add_f64 v[2:3], v[2:3], v[4:5]
	v_mul_f64 v[4:5], v[98:99], v[34:35]
	;; [unrolled: 3-line block ×10, first 2 shown]
	v_fma_f64 v[4:5], v[128:129], v[64:65], -v[4:5]
	v_add_f64 v[2:3], v[2:3], v[4:5]
	s_waitcnt vmcnt(0)
	v_add_f64 v[2:3], v[132:133], -v[2:3]
	v_add_f64 v[4:5], v[134:135], -v[6:7]
	scratch_store_dwordx4 off, v[2:5], off offset:400
	s_and_saveexec_b64 s[0:1], vcc
	s_cbranch_execz .LBB40_213
; %bb.212:
	scratch_load_dwordx4 v[2:5], off, s37
	v_mov_b32_e32 v6, 0
	v_mov_b32_e32 v7, v6
	;; [unrolled: 1-line block ×4, first 2 shown]
	v_accvgpr_read_b32 v0, a83
	scratch_store_dwordx4 off, v[6:9], off offset:384
	s_waitcnt vmcnt(1)
	ds_write_b128 v0, v[2:5]
.LBB40_213:
	s_or_b64 exec, exec, s[0:1]
	v_mov_b32_e32 v2, 0
	s_waitcnt lgkmcnt(0)
	; wave barrier
	ds_read_b128 v[16:19], v2 offset:1040
	ds_read_b128 v[12:15], v2 offset:1056
	ds_read_b128 v[8:11], v2 offset:1072
	ds_read_b128 v[4:7], v2 offset:1088
	scratch_load_dwordx4 v[20:23], off, off offset:400
	scratch_load_dwordx4 v[40:43], off, off offset:464
	;; [unrolled: 1-line block ×11, first 2 shown]
	v_cmp_lt_u32_e32 vcc, 22, v240
	scratch_load_dwordx4 v[48:51], off, off offset:480
	scratch_load_dwordx4 v[56:59], off, off offset:496
	;; [unrolled: 1-line block ×3, first 2 shown]
	s_waitcnt vmcnt(13) lgkmcnt(3)
	v_mul_f64 v[24:25], v[16:17], v[22:23]
	v_fmac_f64_e32 v[24:25], v[18:19], v[20:21]
	v_add_f64 v[28:29], v[24:25], 0
	scratch_load_dwordx4 v[24:27], off, off offset:416
	v_mul_f64 v[18:19], v[18:19], v[22:23]
	v_fma_f64 v[16:17], v[16:17], v[20:21], -v[18:19]
	v_add_f64 v[16:17], v[16:17], 0
	s_waitcnt vmcnt(0) lgkmcnt(2)
	v_mul_f64 v[30:31], v[12:13], v[26:27]
	v_fmac_f64_e32 v[30:31], v[14:15], v[24:25]
	v_add_f64 v[32:33], v[28:29], v[30:31]
	scratch_load_dwordx4 v[28:31], off, off offset:432
	v_mul_f64 v[14:15], v[14:15], v[26:27]
	v_fma_f64 v[12:13], v[12:13], v[24:25], -v[14:15]
	v_add_f64 v[12:13], v[16:17], v[12:13]
	;; [unrolled: 8-line block ×3, first 2 shown]
	s_waitcnt vmcnt(0) lgkmcnt(0)
	v_mul_f64 v[38:39], v[4:5], v[34:35]
	v_fmac_f64_e32 v[38:39], v[6:7], v[32:33]
	v_add_f64 v[44:45], v[36:37], v[38:39]
	ds_read_b128 v[36:39], v2 offset:1104
	v_mul_f64 v[6:7], v[6:7], v[34:35]
	v_fma_f64 v[4:5], v[4:5], v[32:33], -v[6:7]
	v_add_f64 v[4:5], v[8:9], v[4:5]
	s_waitcnt lgkmcnt(0)
	v_mul_f64 v[46:47], v[36:37], v[42:43]
	v_fmac_f64_e32 v[46:47], v[38:39], v[40:41]
	v_add_f64 v[52:53], v[44:45], v[46:47]
	ds_read_b128 v[44:47], v2 offset:1120
	v_mul_f64 v[6:7], v[38:39], v[42:43]
	v_fma_f64 v[6:7], v[36:37], v[40:41], -v[6:7]
	v_add_f64 v[4:5], v[4:5], v[6:7]
	s_waitcnt lgkmcnt(0)
	;; [unrolled: 8-line block ×13, first 2 shown]
	v_mul_f64 v[6:7], v[136:137], v[140:141]
	v_fma_f64 v[6:7], v[134:135], v[138:139], -v[6:7]
	v_add_f64 v[8:9], v[4:5], v[6:7]
	scratch_load_dwordx4 v[4:7], off, off offset:384
	v_mul_f64 v[142:143], v[134:135], v[140:141]
	v_fmac_f64_e32 v[142:143], v[136:137], v[138:139]
	v_add_f64 v[72:73], v[72:73], v[142:143]
	s_waitcnt vmcnt(0)
	v_add_f64 v[4:5], v[4:5], -v[8:9]
	v_add_f64 v[6:7], v[6:7], -v[72:73]
	scratch_store_dwordx4 off, v[4:7], off offset:384
	s_and_saveexec_b64 s[0:1], vcc
	s_cbranch_execz .LBB40_215
; %bb.214:
	scratch_load_dwordx4 v[6:9], off, s36
	v_mov_b32_e32 v3, v2
	v_mov_b32_e32 v4, v2
	;; [unrolled: 1-line block ×3, first 2 shown]
	v_accvgpr_read_b32 v0, a83
	scratch_store_dwordx4 off, v[2:5], off offset:368
	s_waitcnt vmcnt(1)
	ds_write_b128 v0, v[6:9]
.LBB40_215:
	s_or_b64 exec, exec, s[0:1]
	s_waitcnt lgkmcnt(0)
	; wave barrier
	ds_read_b128 v[16:19], v2 offset:1024
	ds_read_b128 v[12:15], v2 offset:1040
	;; [unrolled: 1-line block ×4, first 2 shown]
	scratch_load_dwordx4 v[20:23], off, off offset:384
	scratch_load_dwordx4 v[40:43], off, off offset:448
	;; [unrolled: 1-line block ×12, first 2 shown]
	v_cmp_lt_u32_e32 vcc, 21, v240
	scratch_load_dwordx4 v[48:51], off, off offset:464
	scratch_load_dwordx4 v[56:59], off, off offset:480
	;; [unrolled: 1-line block ×3, first 2 shown]
	s_waitcnt vmcnt(14) lgkmcnt(3)
	v_mul_f64 v[24:25], v[16:17], v[22:23]
	v_fmac_f64_e32 v[24:25], v[18:19], v[20:21]
	v_add_f64 v[28:29], v[24:25], 0
	scratch_load_dwordx4 v[24:27], off, off offset:400
	s_waitcnt vmcnt(0) lgkmcnt(2)
	v_mul_f64 v[30:31], v[12:13], v[26:27]
	v_fmac_f64_e32 v[30:31], v[14:15], v[24:25]
	v_add_f64 v[32:33], v[28:29], v[30:31]
	scratch_load_dwordx4 v[28:31], off, off offset:416
	v_mul_f64 v[14:15], v[14:15], v[26:27]
	v_fma_f64 v[12:13], v[12:13], v[24:25], -v[14:15]
	s_waitcnt vmcnt(0) lgkmcnt(1)
	v_mul_f64 v[34:35], v[8:9], v[30:31]
	v_fmac_f64_e32 v[34:35], v[10:11], v[28:29]
	v_add_f64 v[36:37], v[32:33], v[34:35]
	scratch_load_dwordx4 v[32:35], off, off offset:432
	v_mul_f64 v[10:11], v[10:11], v[30:31]
	v_fma_f64 v[8:9], v[8:9], v[28:29], -v[10:11]
	s_waitcnt vmcnt(0) lgkmcnt(0)
	v_mul_f64 v[38:39], v[4:5], v[34:35]
	v_fmac_f64_e32 v[38:39], v[6:7], v[32:33]
	v_add_f64 v[44:45], v[36:37], v[38:39]
	ds_read_b128 v[36:39], v2 offset:1088
	v_mul_f64 v[6:7], v[6:7], v[34:35]
	v_fma_f64 v[4:5], v[4:5], v[32:33], -v[6:7]
	s_waitcnt lgkmcnt(0)
	v_mul_f64 v[46:47], v[36:37], v[42:43]
	v_fmac_f64_e32 v[46:47], v[38:39], v[40:41]
	v_add_f64 v[52:53], v[44:45], v[46:47]
	ds_read_b128 v[44:47], v2 offset:1104
	s_waitcnt lgkmcnt(0)
	v_mul_f64 v[54:55], v[44:45], v[50:51]
	v_fmac_f64_e32 v[54:55], v[46:47], v[48:49]
	v_add_f64 v[60:61], v[52:53], v[54:55]
	ds_read_b128 v[52:55], v2 offset:1120
	;; [unrolled: 5-line block ×13, first 2 shown]
	s_waitcnt lgkmcnt(0)
	v_mul_f64 v[2:3], v[142:143], v[148:149]
	v_fmac_f64_e32 v[2:3], v[144:145], v[146:147]
	v_add_f64 v[80:81], v[80:81], v[2:3]
	v_mul_f64 v[2:3], v[18:19], v[22:23]
	v_fma_f64 v[2:3], v[16:17], v[20:21], -v[2:3]
	v_add_f64 v[2:3], v[2:3], 0
	v_add_f64 v[2:3], v[2:3], v[12:13]
	;; [unrolled: 1-line block ×4, first 2 shown]
	v_mul_f64 v[4:5], v[38:39], v[42:43]
	v_fma_f64 v[4:5], v[36:37], v[40:41], -v[4:5]
	v_add_f64 v[2:3], v[2:3], v[4:5]
	v_mul_f64 v[4:5], v[46:47], v[50:51]
	v_fma_f64 v[4:5], v[44:45], v[48:49], -v[4:5]
	v_add_f64 v[2:3], v[2:3], v[4:5]
	;; [unrolled: 3-line block ×14, first 2 shown]
	scratch_load_dwordx4 v[2:5], off, off offset:368
	s_waitcnt vmcnt(0)
	v_add_f64 v[2:3], v[2:3], -v[6:7]
	v_add_f64 v[4:5], v[4:5], -v[80:81]
	scratch_store_dwordx4 off, v[2:5], off offset:368
	s_and_saveexec_b64 s[0:1], vcc
	s_cbranch_execz .LBB40_217
; %bb.216:
	scratch_load_dwordx4 v[2:5], off, s35
	v_mov_b32_e32 v6, 0
	v_mov_b32_e32 v7, v6
	;; [unrolled: 1-line block ×4, first 2 shown]
	v_accvgpr_read_b32 v0, a83
	scratch_store_dwordx4 off, v[6:9], off offset:352
	s_waitcnt vmcnt(1)
	ds_write_b128 v0, v[2:5]
.LBB40_217:
	s_or_b64 exec, exec, s[0:1]
	v_mov_b32_e32 v2, 0
	s_waitcnt lgkmcnt(0)
	; wave barrier
	ds_read_b128 v[16:19], v2 offset:1008
	ds_read_b128 v[12:15], v2 offset:1024
	;; [unrolled: 1-line block ×4, first 2 shown]
	scratch_load_dwordx4 v[20:23], off, off offset:368
	scratch_load_dwordx4 v[40:43], off, off offset:432
	;; [unrolled: 1-line block ×13, first 2 shown]
	v_cmp_lt_u32_e32 vcc, 20, v240
	scratch_load_dwordx4 v[48:51], off, off offset:448
	scratch_load_dwordx4 v[56:59], off, off offset:464
	;; [unrolled: 1-line block ×3, first 2 shown]
	s_waitcnt vmcnt(15) lgkmcnt(3)
	v_mul_f64 v[24:25], v[16:17], v[22:23]
	v_fmac_f64_e32 v[24:25], v[18:19], v[20:21]
	v_add_f64 v[28:29], v[24:25], 0
	scratch_load_dwordx4 v[24:27], off, off offset:384
	v_mul_f64 v[18:19], v[18:19], v[22:23]
	v_fma_f64 v[16:17], v[16:17], v[20:21], -v[18:19]
	v_add_f64 v[16:17], v[16:17], 0
	s_waitcnt vmcnt(0) lgkmcnt(2)
	v_mul_f64 v[30:31], v[12:13], v[26:27]
	v_fmac_f64_e32 v[30:31], v[14:15], v[24:25]
	v_add_f64 v[32:33], v[28:29], v[30:31]
	scratch_load_dwordx4 v[28:31], off, off offset:400
	v_mul_f64 v[14:15], v[14:15], v[26:27]
	v_fma_f64 v[12:13], v[12:13], v[24:25], -v[14:15]
	v_add_f64 v[12:13], v[16:17], v[12:13]
	s_waitcnt vmcnt(0) lgkmcnt(1)
	v_mul_f64 v[34:35], v[8:9], v[30:31]
	v_fmac_f64_e32 v[34:35], v[10:11], v[28:29]
	v_add_f64 v[36:37], v[32:33], v[34:35]
	scratch_load_dwordx4 v[32:35], off, off offset:416
	v_mul_f64 v[10:11], v[10:11], v[30:31]
	v_fma_f64 v[8:9], v[8:9], v[28:29], -v[10:11]
	v_add_f64 v[8:9], v[12:13], v[8:9]
	s_waitcnt vmcnt(0) lgkmcnt(0)
	v_mul_f64 v[38:39], v[4:5], v[34:35]
	v_fmac_f64_e32 v[38:39], v[6:7], v[32:33]
	v_add_f64 v[44:45], v[36:37], v[38:39]
	ds_read_b128 v[36:39], v2 offset:1072
	v_mul_f64 v[6:7], v[6:7], v[34:35]
	v_fma_f64 v[4:5], v[4:5], v[32:33], -v[6:7]
	v_add_f64 v[4:5], v[8:9], v[4:5]
	s_waitcnt lgkmcnt(0)
	v_mul_f64 v[46:47], v[36:37], v[42:43]
	v_fmac_f64_e32 v[46:47], v[38:39], v[40:41]
	v_add_f64 v[52:53], v[44:45], v[46:47]
	ds_read_b128 v[44:47], v2 offset:1088
	v_mul_f64 v[6:7], v[38:39], v[42:43]
	v_fma_f64 v[6:7], v[36:37], v[40:41], -v[6:7]
	v_add_f64 v[4:5], v[4:5], v[6:7]
	s_waitcnt lgkmcnt(0)
	;; [unrolled: 8-line block ×15, first 2 shown]
	v_mul_f64 v[6:7], v[152:153], v[156:157]
	v_fma_f64 v[6:7], v[150:151], v[154:155], -v[6:7]
	v_add_f64 v[8:9], v[4:5], v[6:7]
	scratch_load_dwordx4 v[4:7], off, off offset:352
	v_mul_f64 v[158:159], v[150:151], v[156:157]
	v_fmac_f64_e32 v[158:159], v[152:153], v[154:155]
	v_add_f64 v[88:89], v[88:89], v[158:159]
	s_waitcnt vmcnt(0)
	v_add_f64 v[4:5], v[4:5], -v[8:9]
	v_add_f64 v[6:7], v[6:7], -v[88:89]
	scratch_store_dwordx4 off, v[4:7], off offset:352
	s_and_saveexec_b64 s[0:1], vcc
	s_cbranch_execz .LBB40_219
; %bb.218:
	scratch_load_dwordx4 v[6:9], off, s34
	v_mov_b32_e32 v3, v2
	v_mov_b32_e32 v4, v2
	;; [unrolled: 1-line block ×3, first 2 shown]
	v_accvgpr_read_b32 v0, a83
	scratch_store_dwordx4 off, v[2:5], off offset:336
	s_waitcnt vmcnt(1)
	ds_write_b128 v0, v[6:9]
.LBB40_219:
	s_or_b64 exec, exec, s[0:1]
	s_waitcnt lgkmcnt(0)
	; wave barrier
	ds_read_b128 v[16:19], v2 offset:992
	ds_read_b128 v[12:15], v2 offset:1008
	;; [unrolled: 1-line block ×4, first 2 shown]
	scratch_load_dwordx4 v[20:23], off, off offset:352
	scratch_load_dwordx4 v[40:43], off, off offset:416
	;; [unrolled: 1-line block ×14, first 2 shown]
	v_cmp_lt_u32_e32 vcc, 19, v240
	scratch_load_dwordx4 v[48:51], off, off offset:432
	scratch_load_dwordx4 v[56:59], off, off offset:448
	;; [unrolled: 1-line block ×3, first 2 shown]
	s_waitcnt vmcnt(16) lgkmcnt(3)
	v_mul_f64 v[24:25], v[16:17], v[22:23]
	v_fmac_f64_e32 v[24:25], v[18:19], v[20:21]
	v_add_f64 v[28:29], v[24:25], 0
	scratch_load_dwordx4 v[24:27], off, off offset:368
	s_waitcnt vmcnt(0) lgkmcnt(2)
	v_mul_f64 v[30:31], v[12:13], v[26:27]
	v_fmac_f64_e32 v[30:31], v[14:15], v[24:25]
	v_add_f64 v[32:33], v[28:29], v[30:31]
	scratch_load_dwordx4 v[28:31], off, off offset:384
	v_mul_f64 v[14:15], v[14:15], v[26:27]
	v_fma_f64 v[12:13], v[12:13], v[24:25], -v[14:15]
	s_waitcnt vmcnt(0) lgkmcnt(1)
	v_mul_f64 v[34:35], v[8:9], v[30:31]
	v_fmac_f64_e32 v[34:35], v[10:11], v[28:29]
	v_add_f64 v[36:37], v[32:33], v[34:35]
	scratch_load_dwordx4 v[32:35], off, off offset:400
	v_mul_f64 v[10:11], v[10:11], v[30:31]
	v_fma_f64 v[8:9], v[8:9], v[28:29], -v[10:11]
	s_waitcnt vmcnt(0) lgkmcnt(0)
	v_mul_f64 v[38:39], v[4:5], v[34:35]
	v_fmac_f64_e32 v[38:39], v[6:7], v[32:33]
	v_add_f64 v[44:45], v[36:37], v[38:39]
	ds_read_b128 v[36:39], v2 offset:1056
	v_mul_f64 v[6:7], v[6:7], v[34:35]
	v_fma_f64 v[4:5], v[4:5], v[32:33], -v[6:7]
	s_waitcnt lgkmcnt(0)
	v_mul_f64 v[46:47], v[36:37], v[42:43]
	v_fmac_f64_e32 v[46:47], v[38:39], v[40:41]
	v_add_f64 v[52:53], v[44:45], v[46:47]
	ds_read_b128 v[44:47], v2 offset:1072
	s_waitcnt lgkmcnt(0)
	v_mul_f64 v[54:55], v[44:45], v[50:51]
	v_fmac_f64_e32 v[54:55], v[46:47], v[48:49]
	v_add_f64 v[60:61], v[52:53], v[54:55]
	ds_read_b128 v[52:55], v2 offset:1088
	;; [unrolled: 5-line block ×15, first 2 shown]
	s_waitcnt lgkmcnt(0)
	v_mul_f64 v[2:3], v[158:159], v[164:165]
	v_fmac_f64_e32 v[2:3], v[160:161], v[162:163]
	v_add_f64 v[96:97], v[96:97], v[2:3]
	v_mul_f64 v[2:3], v[18:19], v[22:23]
	v_fma_f64 v[2:3], v[16:17], v[20:21], -v[2:3]
	v_add_f64 v[2:3], v[2:3], 0
	v_add_f64 v[2:3], v[2:3], v[12:13]
	;; [unrolled: 1-line block ×4, first 2 shown]
	v_mul_f64 v[4:5], v[38:39], v[42:43]
	v_fma_f64 v[4:5], v[36:37], v[40:41], -v[4:5]
	v_add_f64 v[2:3], v[2:3], v[4:5]
	v_mul_f64 v[4:5], v[46:47], v[50:51]
	v_fma_f64 v[4:5], v[44:45], v[48:49], -v[4:5]
	v_add_f64 v[2:3], v[2:3], v[4:5]
	;; [unrolled: 3-line block ×16, first 2 shown]
	scratch_load_dwordx4 v[2:5], off, off offset:336
	s_waitcnt vmcnt(0)
	v_add_f64 v[2:3], v[2:3], -v[6:7]
	v_add_f64 v[4:5], v[4:5], -v[96:97]
	scratch_store_dwordx4 off, v[2:5], off offset:336
	s_and_saveexec_b64 s[0:1], vcc
	s_cbranch_execz .LBB40_221
; %bb.220:
	scratch_load_dwordx4 v[2:5], off, s33
	v_mov_b32_e32 v6, 0
	v_mov_b32_e32 v7, v6
	;; [unrolled: 1-line block ×4, first 2 shown]
	v_accvgpr_read_b32 v0, a83
	scratch_store_dwordx4 off, v[6:9], off offset:320
	s_waitcnt vmcnt(1)
	ds_write_b128 v0, v[2:5]
.LBB40_221:
	s_or_b64 exec, exec, s[0:1]
	v_mov_b32_e32 v2, 0
	s_waitcnt lgkmcnt(0)
	; wave barrier
	ds_read_b128 v[16:19], v2 offset:976
	ds_read_b128 v[12:15], v2 offset:992
	;; [unrolled: 1-line block ×4, first 2 shown]
	scratch_load_dwordx4 v[20:23], off, off offset:336
	scratch_load_dwordx4 v[40:43], off, off offset:400
	;; [unrolled: 1-line block ×15, first 2 shown]
	v_cmp_lt_u32_e32 vcc, 18, v240
	scratch_load_dwordx4 v[48:51], off, off offset:416
	scratch_load_dwordx4 v[56:59], off, off offset:432
	;; [unrolled: 1-line block ×3, first 2 shown]
	s_waitcnt vmcnt(17) lgkmcnt(3)
	v_mul_f64 v[24:25], v[16:17], v[22:23]
	v_fmac_f64_e32 v[24:25], v[18:19], v[20:21]
	v_add_f64 v[28:29], v[24:25], 0
	scratch_load_dwordx4 v[24:27], off, off offset:352
	v_mul_f64 v[18:19], v[18:19], v[22:23]
	v_fma_f64 v[16:17], v[16:17], v[20:21], -v[18:19]
	v_add_f64 v[16:17], v[16:17], 0
	s_waitcnt vmcnt(0) lgkmcnt(2)
	v_mul_f64 v[30:31], v[12:13], v[26:27]
	v_fmac_f64_e32 v[30:31], v[14:15], v[24:25]
	v_add_f64 v[32:33], v[28:29], v[30:31]
	scratch_load_dwordx4 v[28:31], off, off offset:368
	v_mul_f64 v[14:15], v[14:15], v[26:27]
	v_fma_f64 v[12:13], v[12:13], v[24:25], -v[14:15]
	v_add_f64 v[12:13], v[16:17], v[12:13]
	;; [unrolled: 8-line block ×3, first 2 shown]
	s_waitcnt vmcnt(0) lgkmcnt(0)
	v_mul_f64 v[38:39], v[4:5], v[34:35]
	v_fmac_f64_e32 v[38:39], v[6:7], v[32:33]
	v_add_f64 v[44:45], v[36:37], v[38:39]
	ds_read_b128 v[36:39], v2 offset:1040
	v_mul_f64 v[6:7], v[6:7], v[34:35]
	v_fma_f64 v[4:5], v[4:5], v[32:33], -v[6:7]
	v_add_f64 v[4:5], v[8:9], v[4:5]
	s_waitcnt lgkmcnt(0)
	v_mul_f64 v[46:47], v[36:37], v[42:43]
	v_fmac_f64_e32 v[46:47], v[38:39], v[40:41]
	v_add_f64 v[52:53], v[44:45], v[46:47]
	ds_read_b128 v[44:47], v2 offset:1056
	v_mul_f64 v[6:7], v[38:39], v[42:43]
	v_fma_f64 v[6:7], v[36:37], v[40:41], -v[6:7]
	v_add_f64 v[4:5], v[4:5], v[6:7]
	s_waitcnt lgkmcnt(0)
	;; [unrolled: 8-line block ×17, first 2 shown]
	v_mul_f64 v[6:7], v[168:169], v[172:173]
	v_fma_f64 v[6:7], v[166:167], v[170:171], -v[6:7]
	v_add_f64 v[8:9], v[4:5], v[6:7]
	scratch_load_dwordx4 v[4:7], off, off offset:320
	v_mul_f64 v[174:175], v[166:167], v[172:173]
	v_fmac_f64_e32 v[174:175], v[168:169], v[170:171]
	v_add_f64 v[104:105], v[104:105], v[174:175]
	s_waitcnt vmcnt(0)
	v_add_f64 v[4:5], v[4:5], -v[8:9]
	v_add_f64 v[6:7], v[6:7], -v[104:105]
	scratch_store_dwordx4 off, v[4:7], off offset:320
	s_and_saveexec_b64 s[0:1], vcc
	s_cbranch_execz .LBB40_223
; %bb.222:
	scratch_load_dwordx4 v[6:9], off, s31
	v_mov_b32_e32 v3, v2
	v_mov_b32_e32 v4, v2
	;; [unrolled: 1-line block ×3, first 2 shown]
	v_accvgpr_read_b32 v0, a83
	scratch_store_dwordx4 off, v[2:5], off offset:304
	s_waitcnt vmcnt(1)
	ds_write_b128 v0, v[6:9]
.LBB40_223:
	s_or_b64 exec, exec, s[0:1]
	s_waitcnt lgkmcnt(0)
	; wave barrier
	ds_read_b128 v[16:19], v2 offset:960
	ds_read_b128 v[12:15], v2 offset:976
	;; [unrolled: 1-line block ×4, first 2 shown]
	scratch_load_dwordx4 v[20:23], off, off offset:320
	scratch_load_dwordx4 v[40:43], off, off offset:384
	;; [unrolled: 1-line block ×16, first 2 shown]
	v_cmp_lt_u32_e32 vcc, 17, v240
	scratch_load_dwordx4 v[48:51], off, off offset:400
	scratch_load_dwordx4 v[56:59], off, off offset:416
	;; [unrolled: 1-line block ×3, first 2 shown]
	s_waitcnt vmcnt(18) lgkmcnt(3)
	v_mul_f64 v[24:25], v[16:17], v[22:23]
	v_fmac_f64_e32 v[24:25], v[18:19], v[20:21]
	v_add_f64 v[28:29], v[24:25], 0
	scratch_load_dwordx4 v[24:27], off, off offset:336
	s_waitcnt vmcnt(0) lgkmcnt(2)
	v_mul_f64 v[30:31], v[12:13], v[26:27]
	v_fmac_f64_e32 v[30:31], v[14:15], v[24:25]
	v_add_f64 v[32:33], v[28:29], v[30:31]
	scratch_load_dwordx4 v[28:31], off, off offset:352
	v_mul_f64 v[14:15], v[14:15], v[26:27]
	v_fma_f64 v[12:13], v[12:13], v[24:25], -v[14:15]
	s_waitcnt vmcnt(0) lgkmcnt(1)
	v_mul_f64 v[34:35], v[8:9], v[30:31]
	v_fmac_f64_e32 v[34:35], v[10:11], v[28:29]
	v_add_f64 v[36:37], v[32:33], v[34:35]
	scratch_load_dwordx4 v[32:35], off, off offset:368
	v_mul_f64 v[10:11], v[10:11], v[30:31]
	v_fma_f64 v[8:9], v[8:9], v[28:29], -v[10:11]
	s_waitcnt vmcnt(0) lgkmcnt(0)
	v_mul_f64 v[38:39], v[4:5], v[34:35]
	v_fmac_f64_e32 v[38:39], v[6:7], v[32:33]
	v_add_f64 v[44:45], v[36:37], v[38:39]
	ds_read_b128 v[36:39], v2 offset:1024
	v_mul_f64 v[6:7], v[6:7], v[34:35]
	v_fma_f64 v[4:5], v[4:5], v[32:33], -v[6:7]
	s_waitcnt lgkmcnt(0)
	v_mul_f64 v[46:47], v[36:37], v[42:43]
	v_fmac_f64_e32 v[46:47], v[38:39], v[40:41]
	v_add_f64 v[52:53], v[44:45], v[46:47]
	ds_read_b128 v[44:47], v2 offset:1040
	s_waitcnt lgkmcnt(0)
	v_mul_f64 v[54:55], v[44:45], v[50:51]
	v_fmac_f64_e32 v[54:55], v[46:47], v[48:49]
	v_add_f64 v[60:61], v[52:53], v[54:55]
	ds_read_b128 v[52:55], v2 offset:1056
	;; [unrolled: 5-line block ×17, first 2 shown]
	s_waitcnt lgkmcnt(0)
	v_mul_f64 v[2:3], v[174:175], v[180:181]
	v_fmac_f64_e32 v[2:3], v[176:177], v[178:179]
	v_add_f64 v[120:121], v[120:121], v[2:3]
	v_mul_f64 v[2:3], v[18:19], v[22:23]
	v_fma_f64 v[2:3], v[16:17], v[20:21], -v[2:3]
	v_add_f64 v[2:3], v[2:3], 0
	v_add_f64 v[2:3], v[2:3], v[12:13]
	;; [unrolled: 1-line block ×4, first 2 shown]
	v_mul_f64 v[4:5], v[38:39], v[42:43]
	v_fma_f64 v[4:5], v[36:37], v[40:41], -v[4:5]
	v_add_f64 v[2:3], v[2:3], v[4:5]
	v_mul_f64 v[4:5], v[46:47], v[50:51]
	v_fma_f64 v[4:5], v[44:45], v[48:49], -v[4:5]
	v_add_f64 v[2:3], v[2:3], v[4:5]
	;; [unrolled: 3-line block ×18, first 2 shown]
	scratch_load_dwordx4 v[2:5], off, off offset:304
	s_waitcnt vmcnt(0)
	v_add_f64 v[2:3], v[2:3], -v[6:7]
	v_add_f64 v[4:5], v[4:5], -v[120:121]
	scratch_store_dwordx4 off, v[2:5], off offset:304
	s_and_saveexec_b64 s[0:1], vcc
	s_cbranch_execz .LBB40_225
; %bb.224:
	scratch_load_dwordx4 v[2:5], off, s30
	v_mov_b32_e32 v6, 0
	v_mov_b32_e32 v7, v6
	;; [unrolled: 1-line block ×4, first 2 shown]
	v_accvgpr_read_b32 v0, a83
	scratch_store_dwordx4 off, v[6:9], off offset:288
	s_waitcnt vmcnt(1)
	ds_write_b128 v0, v[2:5]
.LBB40_225:
	s_or_b64 exec, exec, s[0:1]
	v_mov_b32_e32 v2, 0
	s_waitcnt lgkmcnt(0)
	; wave barrier
	ds_read_b128 v[16:19], v2 offset:944
	ds_read_b128 v[12:15], v2 offset:960
	;; [unrolled: 1-line block ×4, first 2 shown]
	scratch_load_dwordx4 v[20:23], off, off offset:304
	scratch_load_dwordx4 v[40:43], off, off offset:368
	;; [unrolled: 1-line block ×17, first 2 shown]
	v_cmp_lt_u32_e32 vcc, 16, v240
	scratch_load_dwordx4 v[48:51], off, off offset:384
	scratch_load_dwordx4 v[56:59], off, off offset:400
	;; [unrolled: 1-line block ×3, first 2 shown]
	s_waitcnt vmcnt(19) lgkmcnt(3)
	v_mul_f64 v[24:25], v[16:17], v[22:23]
	v_fmac_f64_e32 v[24:25], v[18:19], v[20:21]
	v_add_f64 v[28:29], v[24:25], 0
	scratch_load_dwordx4 v[24:27], off, off offset:320
	v_mul_f64 v[18:19], v[18:19], v[22:23]
	v_fma_f64 v[16:17], v[16:17], v[20:21], -v[18:19]
	v_add_f64 v[16:17], v[16:17], 0
	s_waitcnt vmcnt(0) lgkmcnt(2)
	v_mul_f64 v[30:31], v[12:13], v[26:27]
	v_fmac_f64_e32 v[30:31], v[14:15], v[24:25]
	v_add_f64 v[32:33], v[28:29], v[30:31]
	scratch_load_dwordx4 v[28:31], off, off offset:336
	v_mul_f64 v[14:15], v[14:15], v[26:27]
	v_fma_f64 v[12:13], v[12:13], v[24:25], -v[14:15]
	v_add_f64 v[12:13], v[16:17], v[12:13]
	;; [unrolled: 8-line block ×3, first 2 shown]
	s_waitcnt vmcnt(0) lgkmcnt(0)
	v_mul_f64 v[38:39], v[4:5], v[34:35]
	v_fmac_f64_e32 v[38:39], v[6:7], v[32:33]
	v_add_f64 v[44:45], v[36:37], v[38:39]
	ds_read_b128 v[36:39], v2 offset:1008
	v_mul_f64 v[6:7], v[6:7], v[34:35]
	v_fma_f64 v[4:5], v[4:5], v[32:33], -v[6:7]
	v_add_f64 v[4:5], v[8:9], v[4:5]
	s_waitcnt lgkmcnt(0)
	v_mul_f64 v[46:47], v[36:37], v[42:43]
	v_fmac_f64_e32 v[46:47], v[38:39], v[40:41]
	v_add_f64 v[52:53], v[44:45], v[46:47]
	ds_read_b128 v[44:47], v2 offset:1024
	v_mul_f64 v[6:7], v[38:39], v[42:43]
	v_fma_f64 v[6:7], v[36:37], v[40:41], -v[6:7]
	v_add_f64 v[4:5], v[4:5], v[6:7]
	s_waitcnt lgkmcnt(0)
	v_mul_f64 v[54:55], v[44:45], v[50:51]
	v_fmac_f64_e32 v[54:55], v[46:47], v[48:49]
	v_add_f64 v[60:61], v[52:53], v[54:55]
	ds_read_b128 v[52:55], v2 offset:1040
	v_mul_f64 v[6:7], v[46:47], v[50:51]
	v_fma_f64 v[6:7], v[44:45], v[48:49], -v[6:7]
	v_add_f64 v[4:5], v[4:5], v[6:7]
	s_waitcnt lgkmcnt(0)
	v_mul_f64 v[62:63], v[52:53], v[58:59]
	v_fmac_f64_e32 v[62:63], v[54:55], v[56:57]
	v_add_f64 v[68:69], v[60:61], v[62:63]
	ds_read_b128 v[60:63], v2 offset:1056
	v_mul_f64 v[6:7], v[54:55], v[58:59]
	v_fma_f64 v[6:7], v[52:53], v[56:57], -v[6:7]
	v_add_f64 v[4:5], v[4:5], v[6:7]
	s_waitcnt lgkmcnt(0)
	v_mul_f64 v[70:71], v[60:61], v[66:67]
	v_fmac_f64_e32 v[70:71], v[62:63], v[64:65]
	v_add_f64 v[76:77], v[68:69], v[70:71]
	ds_read_b128 v[68:71], v2 offset:1072
	v_mul_f64 v[6:7], v[62:63], v[66:67]
	v_fma_f64 v[6:7], v[60:61], v[64:65], -v[6:7]
	v_add_f64 v[4:5], v[4:5], v[6:7]
	s_waitcnt lgkmcnt(0)
	v_mul_f64 v[78:79], v[68:69], v[74:75]
	v_fmac_f64_e32 v[78:79], v[70:71], v[72:73]
	v_add_f64 v[84:85], v[76:77], v[78:79]
	ds_read_b128 v[76:79], v2 offset:1088
	v_mul_f64 v[6:7], v[70:71], v[74:75]
	v_fma_f64 v[6:7], v[68:69], v[72:73], -v[6:7]
	v_add_f64 v[4:5], v[4:5], v[6:7]
	s_waitcnt lgkmcnt(0)
	v_mul_f64 v[86:87], v[76:77], v[82:83]
	v_fmac_f64_e32 v[86:87], v[78:79], v[80:81]
	v_add_f64 v[92:93], v[84:85], v[86:87]
	ds_read_b128 v[84:87], v2 offset:1104
	v_mul_f64 v[6:7], v[78:79], v[82:83]
	v_fma_f64 v[6:7], v[76:77], v[80:81], -v[6:7]
	v_add_f64 v[4:5], v[4:5], v[6:7]
	s_waitcnt lgkmcnt(0)
	v_mul_f64 v[94:95], v[84:85], v[90:91]
	v_fmac_f64_e32 v[94:95], v[86:87], v[88:89]
	v_add_f64 v[100:101], v[92:93], v[94:95]
	ds_read_b128 v[92:95], v2 offset:1120
	v_mul_f64 v[6:7], v[86:87], v[90:91]
	v_fma_f64 v[6:7], v[84:85], v[88:89], -v[6:7]
	v_add_f64 v[4:5], v[4:5], v[6:7]
	s_waitcnt lgkmcnt(0)
	v_mul_f64 v[102:103], v[92:93], v[98:99]
	v_fmac_f64_e32 v[102:103], v[94:95], v[96:97]
	v_add_f64 v[108:109], v[100:101], v[102:103]
	ds_read_b128 v[100:103], v2 offset:1136
	v_mul_f64 v[6:7], v[94:95], v[98:99]
	v_fma_f64 v[6:7], v[92:93], v[96:97], -v[6:7]
	v_add_f64 v[4:5], v[4:5], v[6:7]
	s_waitcnt lgkmcnt(0)
	v_mul_f64 v[110:111], v[100:101], v[106:107]
	v_fmac_f64_e32 v[110:111], v[102:103], v[104:105]
	v_add_f64 v[116:117], v[108:109], v[110:111]
	ds_read_b128 v[108:111], v2 offset:1152
	v_mul_f64 v[6:7], v[102:103], v[106:107]
	v_fma_f64 v[6:7], v[100:101], v[104:105], -v[6:7]
	v_add_f64 v[4:5], v[4:5], v[6:7]
	s_waitcnt lgkmcnt(0)
	v_mul_f64 v[118:119], v[108:109], v[114:115]
	v_fmac_f64_e32 v[118:119], v[110:111], v[112:113]
	v_add_f64 v[124:125], v[116:117], v[118:119]
	ds_read_b128 v[116:119], v2 offset:1168
	v_mul_f64 v[6:7], v[110:111], v[114:115]
	v_fma_f64 v[6:7], v[108:109], v[112:113], -v[6:7]
	v_add_f64 v[4:5], v[4:5], v[6:7]
	s_waitcnt lgkmcnt(0)
	v_mul_f64 v[126:127], v[116:117], v[122:123]
	v_fmac_f64_e32 v[126:127], v[118:119], v[120:121]
	v_add_f64 v[128:129], v[124:125], v[126:127]
	ds_read_b128 v[124:127], v2 offset:1184
	v_mul_f64 v[6:7], v[118:119], v[122:123]
	v_fma_f64 v[6:7], v[116:117], v[120:121], -v[6:7]
	v_add_f64 v[4:5], v[4:5], v[6:7]
	s_waitcnt lgkmcnt(0)
	v_mul_f64 v[134:135], v[124:125], v[132:133]
	v_fmac_f64_e32 v[134:135], v[126:127], v[130:131]
	v_add_f64 v[128:129], v[128:129], v[134:135]
	ds_read_b128 v[134:137], v2 offset:1200
	v_mul_f64 v[6:7], v[126:127], v[132:133]
	v_fma_f64 v[6:7], v[124:125], v[130:131], -v[6:7]
	v_add_f64 v[4:5], v[4:5], v[6:7]
	s_waitcnt lgkmcnt(0)
	v_mul_f64 v[142:143], v[134:135], v[140:141]
	v_fmac_f64_e32 v[142:143], v[136:137], v[138:139]
	v_add_f64 v[128:129], v[128:129], v[142:143]
	ds_read_b128 v[142:145], v2 offset:1216
	v_mul_f64 v[6:7], v[136:137], v[140:141]
	v_fma_f64 v[6:7], v[134:135], v[138:139], -v[6:7]
	v_add_f64 v[4:5], v[4:5], v[6:7]
	s_waitcnt lgkmcnt(0)
	v_mul_f64 v[150:151], v[142:143], v[148:149]
	v_fmac_f64_e32 v[150:151], v[144:145], v[146:147]
	v_add_f64 v[128:129], v[128:129], v[150:151]
	ds_read_b128 v[150:153], v2 offset:1232
	v_mul_f64 v[6:7], v[144:145], v[148:149]
	v_fma_f64 v[6:7], v[142:143], v[146:147], -v[6:7]
	v_add_f64 v[4:5], v[4:5], v[6:7]
	s_waitcnt lgkmcnt(0)
	v_mul_f64 v[158:159], v[150:151], v[156:157]
	v_fmac_f64_e32 v[158:159], v[152:153], v[154:155]
	v_add_f64 v[128:129], v[128:129], v[158:159]
	ds_read_b128 v[158:161], v2 offset:1248
	v_mul_f64 v[6:7], v[152:153], v[156:157]
	v_fma_f64 v[6:7], v[150:151], v[154:155], -v[6:7]
	v_add_f64 v[4:5], v[4:5], v[6:7]
	s_waitcnt lgkmcnt(0)
	v_mul_f64 v[166:167], v[158:159], v[164:165]
	v_fmac_f64_e32 v[166:167], v[160:161], v[162:163]
	v_add_f64 v[128:129], v[128:129], v[166:167]
	ds_read_b128 v[166:169], v2 offset:1264
	v_mul_f64 v[6:7], v[160:161], v[164:165]
	v_fma_f64 v[6:7], v[158:159], v[162:163], -v[6:7]
	v_add_f64 v[4:5], v[4:5], v[6:7]
	s_waitcnt lgkmcnt(0)
	v_mul_f64 v[174:175], v[166:167], v[172:173]
	v_fmac_f64_e32 v[174:175], v[168:169], v[170:171]
	v_add_f64 v[128:129], v[128:129], v[174:175]
	ds_read_b128 v[174:177], v2 offset:1280
	v_mul_f64 v[6:7], v[168:169], v[172:173]
	v_fma_f64 v[6:7], v[166:167], v[170:171], -v[6:7]
	v_add_f64 v[4:5], v[4:5], v[6:7]
	s_waitcnt lgkmcnt(0)
	v_mul_f64 v[182:183], v[174:175], v[180:181]
	v_fmac_f64_e32 v[182:183], v[176:177], v[178:179]
	v_add_f64 v[128:129], v[128:129], v[182:183]
	ds_read_b128 v[182:185], v2 offset:1296
	v_mul_f64 v[6:7], v[176:177], v[180:181]
	v_fma_f64 v[6:7], v[174:175], v[178:179], -v[6:7]
	v_add_f64 v[4:5], v[4:5], v[6:7]
	s_waitcnt lgkmcnt(0)
	v_mul_f64 v[6:7], v[184:185], v[188:189]
	v_fma_f64 v[6:7], v[182:183], v[186:187], -v[6:7]
	v_add_f64 v[8:9], v[4:5], v[6:7]
	scratch_load_dwordx4 v[4:7], off, off offset:288
	v_mul_f64 v[190:191], v[182:183], v[188:189]
	v_fmac_f64_e32 v[190:191], v[184:185], v[186:187]
	v_add_f64 v[128:129], v[128:129], v[190:191]
	s_waitcnt vmcnt(0)
	v_add_f64 v[4:5], v[4:5], -v[8:9]
	v_add_f64 v[6:7], v[6:7], -v[128:129]
	scratch_store_dwordx4 off, v[4:7], off offset:288
	s_and_saveexec_b64 s[0:1], vcc
	s_cbranch_execz .LBB40_227
; %bb.226:
	scratch_load_dwordx4 v[6:9], off, s29
	v_mov_b32_e32 v3, v2
	v_mov_b32_e32 v4, v2
	;; [unrolled: 1-line block ×3, first 2 shown]
	v_accvgpr_read_b32 v0, a83
	scratch_store_dwordx4 off, v[2:5], off offset:272
	s_waitcnt vmcnt(1)
	ds_write_b128 v0, v[6:9]
.LBB40_227:
	s_or_b64 exec, exec, s[0:1]
	s_waitcnt lgkmcnt(0)
	; wave barrier
	ds_read_b128 v[16:19], v2 offset:928
	ds_read_b128 v[12:15], v2 offset:944
	;; [unrolled: 1-line block ×4, first 2 shown]
	scratch_load_dwordx4 v[20:23], off, off offset:288
	scratch_load_dwordx4 v[40:43], off, off offset:352
	;; [unrolled: 1-line block ×18, first 2 shown]
	v_cmp_lt_u32_e32 vcc, 15, v240
	scratch_load_dwordx4 v[48:51], off, off offset:368
	scratch_load_dwordx4 v[56:59], off, off offset:384
	;; [unrolled: 1-line block ×3, first 2 shown]
	s_waitcnt vmcnt(20) lgkmcnt(3)
	v_mul_f64 v[24:25], v[16:17], v[22:23]
	v_fmac_f64_e32 v[24:25], v[18:19], v[20:21]
	v_add_f64 v[28:29], v[24:25], 0
	scratch_load_dwordx4 v[24:27], off, off offset:304
	s_waitcnt vmcnt(0) lgkmcnt(2)
	v_mul_f64 v[30:31], v[12:13], v[26:27]
	v_fmac_f64_e32 v[30:31], v[14:15], v[24:25]
	v_add_f64 v[32:33], v[28:29], v[30:31]
	scratch_load_dwordx4 v[28:31], off, off offset:320
	v_mul_f64 v[14:15], v[14:15], v[26:27]
	v_fma_f64 v[12:13], v[12:13], v[24:25], -v[14:15]
	s_waitcnt vmcnt(0) lgkmcnt(1)
	v_mul_f64 v[34:35], v[8:9], v[30:31]
	v_fmac_f64_e32 v[34:35], v[10:11], v[28:29]
	v_add_f64 v[36:37], v[32:33], v[34:35]
	scratch_load_dwordx4 v[32:35], off, off offset:336
	v_mul_f64 v[10:11], v[10:11], v[30:31]
	v_fma_f64 v[8:9], v[8:9], v[28:29], -v[10:11]
	s_waitcnt vmcnt(0) lgkmcnt(0)
	v_mul_f64 v[38:39], v[4:5], v[34:35]
	v_fmac_f64_e32 v[38:39], v[6:7], v[32:33]
	v_add_f64 v[44:45], v[36:37], v[38:39]
	ds_read_b128 v[36:39], v2 offset:992
	v_mul_f64 v[6:7], v[6:7], v[34:35]
	v_fma_f64 v[4:5], v[4:5], v[32:33], -v[6:7]
	s_waitcnt lgkmcnt(0)
	v_mul_f64 v[46:47], v[36:37], v[42:43]
	v_fmac_f64_e32 v[46:47], v[38:39], v[40:41]
	v_add_f64 v[52:53], v[44:45], v[46:47]
	ds_read_b128 v[44:47], v2 offset:1008
	s_waitcnt lgkmcnt(0)
	v_mul_f64 v[54:55], v[44:45], v[50:51]
	v_fmac_f64_e32 v[54:55], v[46:47], v[48:49]
	v_add_f64 v[60:61], v[52:53], v[54:55]
	ds_read_b128 v[52:55], v2 offset:1024
	;; [unrolled: 5-line block ×19, first 2 shown]
	s_waitcnt lgkmcnt(0)
	v_mul_f64 v[2:3], v[190:191], v[196:197]
	v_fmac_f64_e32 v[2:3], v[192:193], v[194:195]
	v_add_f64 v[148:149], v[148:149], v[2:3]
	v_mul_f64 v[2:3], v[18:19], v[22:23]
	v_fma_f64 v[2:3], v[16:17], v[20:21], -v[2:3]
	v_add_f64 v[2:3], v[2:3], 0
	v_add_f64 v[2:3], v[2:3], v[12:13]
	;; [unrolled: 1-line block ×4, first 2 shown]
	v_mul_f64 v[4:5], v[38:39], v[42:43]
	v_fma_f64 v[4:5], v[36:37], v[40:41], -v[4:5]
	v_add_f64 v[2:3], v[2:3], v[4:5]
	v_mul_f64 v[4:5], v[46:47], v[50:51]
	v_fma_f64 v[4:5], v[44:45], v[48:49], -v[4:5]
	v_add_f64 v[2:3], v[2:3], v[4:5]
	;; [unrolled: 3-line block ×20, first 2 shown]
	scratch_load_dwordx4 v[2:5], off, off offset:272
	s_waitcnt vmcnt(0)
	v_add_f64 v[2:3], v[2:3], -v[6:7]
	v_add_f64 v[4:5], v[4:5], -v[148:149]
	scratch_store_dwordx4 off, v[2:5], off offset:272
	s_and_saveexec_b64 s[0:1], vcc
	s_cbranch_execz .LBB40_229
; %bb.228:
	scratch_load_dwordx4 v[2:5], off, s28
	v_mov_b32_e32 v6, 0
	v_mov_b32_e32 v7, v6
	;; [unrolled: 1-line block ×4, first 2 shown]
	v_accvgpr_read_b32 v0, a83
	scratch_store_dwordx4 off, v[6:9], off offset:256
	s_waitcnt vmcnt(1)
	ds_write_b128 v0, v[2:5]
.LBB40_229:
	s_or_b64 exec, exec, s[0:1]
	v_mov_b32_e32 v2, 0
	s_waitcnt lgkmcnt(0)
	; wave barrier
	ds_read_b128 v[16:19], v2 offset:912
	ds_read_b128 v[12:15], v2 offset:928
	;; [unrolled: 1-line block ×4, first 2 shown]
	scratch_load_dwordx4 v[20:23], off, off offset:272
	scratch_load_dwordx4 v[40:43], off, off offset:336
	;; [unrolled: 1-line block ×19, first 2 shown]
	v_cmp_lt_u32_e32 vcc, 14, v240
	scratch_load_dwordx4 v[48:51], off, off offset:352
	scratch_load_dwordx4 v[56:59], off, off offset:368
	;; [unrolled: 1-line block ×3, first 2 shown]
	s_waitcnt vmcnt(21) lgkmcnt(3)
	v_mul_f64 v[24:25], v[16:17], v[22:23]
	v_fmac_f64_e32 v[24:25], v[18:19], v[20:21]
	v_add_f64 v[28:29], v[24:25], 0
	scratch_load_dwordx4 v[24:27], off, off offset:288
	v_mul_f64 v[18:19], v[18:19], v[22:23]
	v_fma_f64 v[16:17], v[16:17], v[20:21], -v[18:19]
	v_add_f64 v[16:17], v[16:17], 0
	s_waitcnt vmcnt(0) lgkmcnt(2)
	v_mul_f64 v[30:31], v[12:13], v[26:27]
	v_fmac_f64_e32 v[30:31], v[14:15], v[24:25]
	v_add_f64 v[32:33], v[28:29], v[30:31]
	scratch_load_dwordx4 v[28:31], off, off offset:304
	v_mul_f64 v[14:15], v[14:15], v[26:27]
	v_fma_f64 v[12:13], v[12:13], v[24:25], -v[14:15]
	v_add_f64 v[12:13], v[16:17], v[12:13]
	;; [unrolled: 8-line block ×3, first 2 shown]
	s_waitcnt vmcnt(0) lgkmcnt(0)
	v_mul_f64 v[38:39], v[4:5], v[34:35]
	v_fmac_f64_e32 v[38:39], v[6:7], v[32:33]
	v_add_f64 v[44:45], v[36:37], v[38:39]
	ds_read_b128 v[36:39], v2 offset:976
	v_mul_f64 v[6:7], v[6:7], v[34:35]
	v_fma_f64 v[4:5], v[4:5], v[32:33], -v[6:7]
	v_add_f64 v[4:5], v[8:9], v[4:5]
	s_waitcnt lgkmcnt(0)
	v_mul_f64 v[46:47], v[36:37], v[42:43]
	v_fmac_f64_e32 v[46:47], v[38:39], v[40:41]
	v_add_f64 v[52:53], v[44:45], v[46:47]
	ds_read_b128 v[44:47], v2 offset:992
	v_mul_f64 v[6:7], v[38:39], v[42:43]
	v_fma_f64 v[6:7], v[36:37], v[40:41], -v[6:7]
	v_add_f64 v[4:5], v[4:5], v[6:7]
	s_waitcnt lgkmcnt(0)
	;; [unrolled: 8-line block ×21, first 2 shown]
	v_mul_f64 v[6:7], v[200:201], v[204:205]
	v_fma_f64 v[6:7], v[198:199], v[202:203], -v[6:7]
	v_add_f64 v[8:9], v[4:5], v[6:7]
	scratch_load_dwordx4 v[4:7], off, off offset:256
	v_mul_f64 v[206:207], v[198:199], v[204:205]
	v_fmac_f64_e32 v[206:207], v[200:201], v[202:203]
	v_add_f64 v[144:145], v[144:145], v[206:207]
	s_waitcnt vmcnt(0)
	v_add_f64 v[4:5], v[4:5], -v[8:9]
	v_add_f64 v[6:7], v[6:7], -v[144:145]
	scratch_store_dwordx4 off, v[4:7], off offset:256
	s_and_saveexec_b64 s[0:1], vcc
	s_cbranch_execz .LBB40_231
; %bb.230:
	scratch_load_dwordx4 v[6:9], off, s27
	v_mov_b32_e32 v3, v2
	v_mov_b32_e32 v4, v2
	;; [unrolled: 1-line block ×3, first 2 shown]
	v_accvgpr_read_b32 v0, a83
	scratch_store_dwordx4 off, v[2:5], off offset:240
	s_waitcnt vmcnt(1)
	ds_write_b128 v0, v[6:9]
.LBB40_231:
	s_or_b64 exec, exec, s[0:1]
	s_waitcnt lgkmcnt(0)
	; wave barrier
	ds_read_b128 v[16:19], v2 offset:896
	ds_read_b128 v[12:15], v2 offset:912
	;; [unrolled: 1-line block ×4, first 2 shown]
	scratch_load_dwordx4 v[20:23], off, off offset:256
	scratch_load_dwordx4 v[40:43], off, off offset:320
	scratch_load_dwordx4 v[72:75], off, off offset:384
	scratch_load_dwordx4 v[80:83], off, off offset:400
	scratch_load_dwordx4 v[88:91], off, off offset:416
	scratch_load_dwordx4 v[96:99], off, off offset:432
	scratch_load_dwordx4 v[104:107], off, off offset:448
	scratch_load_dwordx4 v[112:115], off, off offset:464
	scratch_load_dwordx4 v[120:123], off, off offset:480
	scratch_load_dwordx4 v[128:131], off, off offset:496
	scratch_load_dwordx4 v[136:139], off, off offset:512
	scratch_load_dwordx4 v[144:147], off, off offset:528
	scratch_load_dwordx4 v[152:155], off, off offset:544
	scratch_load_dwordx4 v[160:163], off, off offset:560
	scratch_load_dwordx4 v[170:173], off, off offset:576
	scratch_load_dwordx4 v[178:181], off, off offset:592
	scratch_load_dwordx4 v[186:189], off, off offset:608
	scratch_load_dwordx4 v[194:197], off, off offset:624
	scratch_load_dwordx4 v[202:205], off, off offset:640
	scratch_load_dwordx4 v[210:213], off, off offset:656
	v_cmp_lt_u32_e32 vcc, 13, v240
	scratch_load_dwordx4 v[48:51], off, off offset:336
	scratch_load_dwordx4 v[56:59], off, off offset:352
	;; [unrolled: 1-line block ×3, first 2 shown]
	s_waitcnt vmcnt(22) lgkmcnt(3)
	v_mul_f64 v[24:25], v[16:17], v[22:23]
	v_fmac_f64_e32 v[24:25], v[18:19], v[20:21]
	v_add_f64 v[28:29], v[24:25], 0
	scratch_load_dwordx4 v[24:27], off, off offset:272
	s_waitcnt vmcnt(0) lgkmcnt(2)
	v_mul_f64 v[30:31], v[12:13], v[26:27]
	v_fmac_f64_e32 v[30:31], v[14:15], v[24:25]
	v_add_f64 v[32:33], v[28:29], v[30:31]
	scratch_load_dwordx4 v[28:31], off, off offset:288
	v_mul_f64 v[14:15], v[14:15], v[26:27]
	v_fma_f64 v[12:13], v[12:13], v[24:25], -v[14:15]
	s_waitcnt vmcnt(0) lgkmcnt(1)
	v_mul_f64 v[34:35], v[8:9], v[30:31]
	v_fmac_f64_e32 v[34:35], v[10:11], v[28:29]
	v_add_f64 v[36:37], v[32:33], v[34:35]
	scratch_load_dwordx4 v[32:35], off, off offset:304
	v_mul_f64 v[10:11], v[10:11], v[30:31]
	v_fma_f64 v[8:9], v[8:9], v[28:29], -v[10:11]
	s_waitcnt vmcnt(0) lgkmcnt(0)
	v_mul_f64 v[38:39], v[4:5], v[34:35]
	v_fmac_f64_e32 v[38:39], v[6:7], v[32:33]
	v_add_f64 v[44:45], v[36:37], v[38:39]
	ds_read_b128 v[36:39], v2 offset:960
	v_mul_f64 v[6:7], v[6:7], v[34:35]
	v_fma_f64 v[4:5], v[4:5], v[32:33], -v[6:7]
	s_waitcnt lgkmcnt(0)
	v_mul_f64 v[46:47], v[36:37], v[42:43]
	v_fmac_f64_e32 v[46:47], v[38:39], v[40:41]
	v_add_f64 v[52:53], v[44:45], v[46:47]
	ds_read_b128 v[44:47], v2 offset:976
	s_waitcnt lgkmcnt(0)
	v_mul_f64 v[54:55], v[44:45], v[50:51]
	v_fmac_f64_e32 v[54:55], v[46:47], v[48:49]
	v_add_f64 v[60:61], v[52:53], v[54:55]
	ds_read_b128 v[52:55], v2 offset:992
	;; [unrolled: 5-line block ×21, first 2 shown]
	s_waitcnt lgkmcnt(0)
	v_mul_f64 v[2:3], v[206:207], v[212:213]
	v_fmac_f64_e32 v[2:3], v[208:209], v[210:211]
	v_add_f64 v[168:169], v[168:169], v[2:3]
	v_mul_f64 v[2:3], v[18:19], v[22:23]
	v_fma_f64 v[2:3], v[16:17], v[20:21], -v[2:3]
	v_add_f64 v[2:3], v[2:3], 0
	v_add_f64 v[2:3], v[2:3], v[12:13]
	;; [unrolled: 1-line block ×4, first 2 shown]
	v_mul_f64 v[4:5], v[38:39], v[42:43]
	v_fma_f64 v[4:5], v[36:37], v[40:41], -v[4:5]
	v_add_f64 v[2:3], v[2:3], v[4:5]
	v_mul_f64 v[4:5], v[46:47], v[50:51]
	v_fma_f64 v[4:5], v[44:45], v[48:49], -v[4:5]
	v_add_f64 v[2:3], v[2:3], v[4:5]
	;; [unrolled: 3-line block ×22, first 2 shown]
	scratch_load_dwordx4 v[2:5], off, off offset:240
	s_waitcnt vmcnt(0)
	v_add_f64 v[2:3], v[2:3], -v[6:7]
	v_add_f64 v[4:5], v[4:5], -v[168:169]
	scratch_store_dwordx4 off, v[2:5], off offset:240
	s_and_saveexec_b64 s[0:1], vcc
	s_cbranch_execz .LBB40_233
; %bb.232:
	scratch_load_dwordx4 v[2:5], off, s26
	v_mov_b32_e32 v6, 0
	v_mov_b32_e32 v7, v6
	;; [unrolled: 1-line block ×4, first 2 shown]
	v_accvgpr_read_b32 v0, a83
	scratch_store_dwordx4 off, v[6:9], off offset:224
	s_waitcnt vmcnt(1)
	ds_write_b128 v0, v[2:5]
.LBB40_233:
	s_or_b64 exec, exec, s[0:1]
	v_mov_b32_e32 v2, 0
	s_waitcnt lgkmcnt(0)
	; wave barrier
	ds_read_b128 v[16:19], v2 offset:880
	ds_read_b128 v[12:15], v2 offset:896
	;; [unrolled: 1-line block ×4, first 2 shown]
	scratch_load_dwordx4 v[20:23], off, off offset:240
	scratch_load_dwordx4 v[40:43], off, off offset:304
	;; [unrolled: 1-line block ×21, first 2 shown]
	v_cmp_lt_u32_e32 vcc, 12, v240
	scratch_load_dwordx4 v[48:51], off, off offset:320
	scratch_load_dwordx4 v[56:59], off, off offset:336
	;; [unrolled: 1-line block ×3, first 2 shown]
	s_waitcnt vmcnt(23) lgkmcnt(3)
	v_mul_f64 v[24:25], v[16:17], v[22:23]
	v_fmac_f64_e32 v[24:25], v[18:19], v[20:21]
	v_add_f64 v[28:29], v[24:25], 0
	scratch_load_dwordx4 v[24:27], off, off offset:256
	v_mul_f64 v[18:19], v[18:19], v[22:23]
	v_fma_f64 v[16:17], v[16:17], v[20:21], -v[18:19]
	v_add_f64 v[16:17], v[16:17], 0
	s_waitcnt vmcnt(0) lgkmcnt(2)
	v_mul_f64 v[30:31], v[12:13], v[26:27]
	v_fmac_f64_e32 v[30:31], v[14:15], v[24:25]
	v_add_f64 v[32:33], v[28:29], v[30:31]
	scratch_load_dwordx4 v[28:31], off, off offset:272
	v_mul_f64 v[14:15], v[14:15], v[26:27]
	v_fma_f64 v[12:13], v[12:13], v[24:25], -v[14:15]
	v_add_f64 v[12:13], v[16:17], v[12:13]
	;; [unrolled: 8-line block ×3, first 2 shown]
	s_waitcnt vmcnt(0) lgkmcnt(0)
	v_mul_f64 v[38:39], v[4:5], v[34:35]
	v_fmac_f64_e32 v[38:39], v[6:7], v[32:33]
	v_add_f64 v[44:45], v[36:37], v[38:39]
	ds_read_b128 v[36:39], v2 offset:944
	v_mul_f64 v[6:7], v[6:7], v[34:35]
	v_fma_f64 v[4:5], v[4:5], v[32:33], -v[6:7]
	v_add_f64 v[4:5], v[8:9], v[4:5]
	s_waitcnt lgkmcnt(0)
	v_mul_f64 v[46:47], v[36:37], v[42:43]
	v_fmac_f64_e32 v[46:47], v[38:39], v[40:41]
	v_add_f64 v[52:53], v[44:45], v[46:47]
	ds_read_b128 v[44:47], v2 offset:960
	v_mul_f64 v[6:7], v[38:39], v[42:43]
	v_fma_f64 v[6:7], v[36:37], v[40:41], -v[6:7]
	v_add_f64 v[4:5], v[4:5], v[6:7]
	s_waitcnt lgkmcnt(0)
	v_mul_f64 v[54:55], v[44:45], v[50:51]
	v_fmac_f64_e32 v[54:55], v[46:47], v[48:49]
	v_add_f64 v[60:61], v[52:53], v[54:55]
	ds_read_b128 v[52:55], v2 offset:976
	v_mul_f64 v[6:7], v[46:47], v[50:51]
	v_fma_f64 v[6:7], v[44:45], v[48:49], -v[6:7]
	v_add_f64 v[4:5], v[4:5], v[6:7]
	s_waitcnt lgkmcnt(0)
	v_mul_f64 v[62:63], v[52:53], v[58:59]
	v_fmac_f64_e32 v[62:63], v[54:55], v[56:57]
	v_add_f64 v[68:69], v[60:61], v[62:63]
	ds_read_b128 v[60:63], v2 offset:992
	v_mul_f64 v[6:7], v[54:55], v[58:59]
	v_fma_f64 v[6:7], v[52:53], v[56:57], -v[6:7]
	v_add_f64 v[4:5], v[4:5], v[6:7]
	s_waitcnt lgkmcnt(0)
	v_mul_f64 v[70:71], v[60:61], v[66:67]
	v_fmac_f64_e32 v[70:71], v[62:63], v[64:65]
	v_add_f64 v[76:77], v[68:69], v[70:71]
	ds_read_b128 v[68:71], v2 offset:1008
	v_mul_f64 v[6:7], v[62:63], v[66:67]
	v_fma_f64 v[6:7], v[60:61], v[64:65], -v[6:7]
	v_add_f64 v[4:5], v[4:5], v[6:7]
	s_waitcnt lgkmcnt(0)
	v_mul_f64 v[78:79], v[68:69], v[74:75]
	v_fmac_f64_e32 v[78:79], v[70:71], v[72:73]
	v_add_f64 v[84:85], v[76:77], v[78:79]
	ds_read_b128 v[76:79], v2 offset:1024
	v_mul_f64 v[6:7], v[70:71], v[74:75]
	v_fma_f64 v[6:7], v[68:69], v[72:73], -v[6:7]
	v_add_f64 v[4:5], v[4:5], v[6:7]
	s_waitcnt lgkmcnt(0)
	v_mul_f64 v[86:87], v[76:77], v[82:83]
	v_fmac_f64_e32 v[86:87], v[78:79], v[80:81]
	v_add_f64 v[92:93], v[84:85], v[86:87]
	ds_read_b128 v[84:87], v2 offset:1040
	v_mul_f64 v[6:7], v[78:79], v[82:83]
	v_fma_f64 v[6:7], v[76:77], v[80:81], -v[6:7]
	v_add_f64 v[4:5], v[4:5], v[6:7]
	s_waitcnt lgkmcnt(0)
	v_mul_f64 v[94:95], v[84:85], v[90:91]
	v_fmac_f64_e32 v[94:95], v[86:87], v[88:89]
	v_add_f64 v[100:101], v[92:93], v[94:95]
	ds_read_b128 v[92:95], v2 offset:1056
	v_mul_f64 v[6:7], v[86:87], v[90:91]
	v_fma_f64 v[6:7], v[84:85], v[88:89], -v[6:7]
	v_add_f64 v[4:5], v[4:5], v[6:7]
	s_waitcnt lgkmcnt(0)
	v_mul_f64 v[102:103], v[92:93], v[98:99]
	v_fmac_f64_e32 v[102:103], v[94:95], v[96:97]
	v_add_f64 v[108:109], v[100:101], v[102:103]
	ds_read_b128 v[100:103], v2 offset:1072
	v_mul_f64 v[6:7], v[94:95], v[98:99]
	v_fma_f64 v[6:7], v[92:93], v[96:97], -v[6:7]
	v_add_f64 v[4:5], v[4:5], v[6:7]
	s_waitcnt lgkmcnt(0)
	v_mul_f64 v[110:111], v[100:101], v[106:107]
	v_fmac_f64_e32 v[110:111], v[102:103], v[104:105]
	v_add_f64 v[116:117], v[108:109], v[110:111]
	ds_read_b128 v[108:111], v2 offset:1088
	v_mul_f64 v[6:7], v[102:103], v[106:107]
	v_fma_f64 v[6:7], v[100:101], v[104:105], -v[6:7]
	v_add_f64 v[4:5], v[4:5], v[6:7]
	s_waitcnt lgkmcnt(0)
	v_mul_f64 v[118:119], v[108:109], v[114:115]
	v_fmac_f64_e32 v[118:119], v[110:111], v[112:113]
	v_add_f64 v[124:125], v[116:117], v[118:119]
	ds_read_b128 v[116:119], v2 offset:1104
	v_mul_f64 v[6:7], v[110:111], v[114:115]
	v_fma_f64 v[6:7], v[108:109], v[112:113], -v[6:7]
	v_add_f64 v[4:5], v[4:5], v[6:7]
	s_waitcnt lgkmcnt(0)
	v_mul_f64 v[126:127], v[116:117], v[122:123]
	v_fmac_f64_e32 v[126:127], v[118:119], v[120:121]
	v_add_f64 v[132:133], v[124:125], v[126:127]
	ds_read_b128 v[124:127], v2 offset:1120
	v_mul_f64 v[6:7], v[118:119], v[122:123]
	v_fma_f64 v[6:7], v[116:117], v[120:121], -v[6:7]
	v_add_f64 v[4:5], v[4:5], v[6:7]
	s_waitcnt lgkmcnt(0)
	v_mul_f64 v[134:135], v[124:125], v[130:131]
	v_fmac_f64_e32 v[134:135], v[126:127], v[128:129]
	v_add_f64 v[140:141], v[132:133], v[134:135]
	ds_read_b128 v[132:135], v2 offset:1136
	v_mul_f64 v[6:7], v[126:127], v[130:131]
	v_fma_f64 v[6:7], v[124:125], v[128:129], -v[6:7]
	v_add_f64 v[4:5], v[4:5], v[6:7]
	s_waitcnt lgkmcnt(0)
	v_mul_f64 v[142:143], v[132:133], v[138:139]
	v_fmac_f64_e32 v[142:143], v[134:135], v[136:137]
	v_add_f64 v[148:149], v[140:141], v[142:143]
	ds_read_b128 v[140:143], v2 offset:1152
	v_mul_f64 v[6:7], v[134:135], v[138:139]
	v_fma_f64 v[6:7], v[132:133], v[136:137], -v[6:7]
	v_add_f64 v[4:5], v[4:5], v[6:7]
	s_waitcnt lgkmcnt(0)
	v_mul_f64 v[150:151], v[140:141], v[146:147]
	v_fmac_f64_e32 v[150:151], v[142:143], v[144:145]
	v_add_f64 v[156:157], v[148:149], v[150:151]
	ds_read_b128 v[148:151], v2 offset:1168
	v_mul_f64 v[6:7], v[142:143], v[146:147]
	v_fma_f64 v[6:7], v[140:141], v[144:145], -v[6:7]
	v_add_f64 v[4:5], v[4:5], v[6:7]
	s_waitcnt lgkmcnt(0)
	v_mul_f64 v[158:159], v[148:149], v[154:155]
	v_fmac_f64_e32 v[158:159], v[150:151], v[152:153]
	v_add_f64 v[160:161], v[156:157], v[158:159]
	ds_read_b128 v[156:159], v2 offset:1184
	v_mul_f64 v[6:7], v[150:151], v[154:155]
	v_fma_f64 v[6:7], v[148:149], v[152:153], -v[6:7]
	v_add_f64 v[4:5], v[4:5], v[6:7]
	s_waitcnt lgkmcnt(0)
	v_mul_f64 v[166:167], v[156:157], v[164:165]
	v_fmac_f64_e32 v[166:167], v[158:159], v[162:163]
	v_add_f64 v[160:161], v[160:161], v[166:167]
	ds_read_b128 v[166:169], v2 offset:1200
	v_mul_f64 v[6:7], v[158:159], v[164:165]
	v_fma_f64 v[6:7], v[156:157], v[162:163], -v[6:7]
	v_add_f64 v[4:5], v[4:5], v[6:7]
	s_waitcnt lgkmcnt(0)
	v_mul_f64 v[174:175], v[166:167], v[172:173]
	v_fmac_f64_e32 v[174:175], v[168:169], v[170:171]
	v_add_f64 v[160:161], v[160:161], v[174:175]
	ds_read_b128 v[174:177], v2 offset:1216
	v_mul_f64 v[6:7], v[168:169], v[172:173]
	v_fma_f64 v[6:7], v[166:167], v[170:171], -v[6:7]
	v_add_f64 v[4:5], v[4:5], v[6:7]
	s_waitcnt lgkmcnt(0)
	v_mul_f64 v[182:183], v[174:175], v[180:181]
	v_fmac_f64_e32 v[182:183], v[176:177], v[178:179]
	v_add_f64 v[160:161], v[160:161], v[182:183]
	ds_read_b128 v[182:185], v2 offset:1232
	v_mul_f64 v[6:7], v[176:177], v[180:181]
	v_fma_f64 v[6:7], v[174:175], v[178:179], -v[6:7]
	v_add_f64 v[4:5], v[4:5], v[6:7]
	s_waitcnt lgkmcnt(0)
	v_mul_f64 v[190:191], v[182:183], v[188:189]
	v_fmac_f64_e32 v[190:191], v[184:185], v[186:187]
	v_add_f64 v[160:161], v[160:161], v[190:191]
	ds_read_b128 v[190:193], v2 offset:1248
	v_mul_f64 v[6:7], v[184:185], v[188:189]
	v_fma_f64 v[6:7], v[182:183], v[186:187], -v[6:7]
	v_add_f64 v[4:5], v[4:5], v[6:7]
	s_waitcnt lgkmcnt(0)
	v_mul_f64 v[198:199], v[190:191], v[196:197]
	v_fmac_f64_e32 v[198:199], v[192:193], v[194:195]
	v_add_f64 v[160:161], v[160:161], v[198:199]
	ds_read_b128 v[198:201], v2 offset:1264
	v_mul_f64 v[6:7], v[192:193], v[196:197]
	v_fma_f64 v[6:7], v[190:191], v[194:195], -v[6:7]
	v_add_f64 v[4:5], v[4:5], v[6:7]
	s_waitcnt lgkmcnt(0)
	v_mul_f64 v[206:207], v[198:199], v[204:205]
	v_fmac_f64_e32 v[206:207], v[200:201], v[202:203]
	v_add_f64 v[160:161], v[160:161], v[206:207]
	ds_read_b128 v[206:209], v2 offset:1280
	v_mul_f64 v[6:7], v[200:201], v[204:205]
	v_fma_f64 v[6:7], v[198:199], v[202:203], -v[6:7]
	v_add_f64 v[4:5], v[4:5], v[6:7]
	s_waitcnt lgkmcnt(0)
	v_mul_f64 v[214:215], v[206:207], v[212:213]
	v_fmac_f64_e32 v[214:215], v[208:209], v[210:211]
	v_add_f64 v[160:161], v[160:161], v[214:215]
	ds_read_b128 v[214:217], v2 offset:1296
	v_mul_f64 v[6:7], v[208:209], v[212:213]
	v_fma_f64 v[6:7], v[206:207], v[210:211], -v[6:7]
	v_add_f64 v[4:5], v[4:5], v[6:7]
	s_waitcnt lgkmcnt(0)
	v_mul_f64 v[6:7], v[216:217], v[220:221]
	v_fma_f64 v[6:7], v[214:215], v[218:219], -v[6:7]
	v_add_f64 v[8:9], v[4:5], v[6:7]
	scratch_load_dwordx4 v[4:7], off, off offset:224
	v_mul_f64 v[222:223], v[214:215], v[220:221]
	v_fmac_f64_e32 v[222:223], v[216:217], v[218:219]
	v_add_f64 v[160:161], v[160:161], v[222:223]
	s_waitcnt vmcnt(0)
	v_add_f64 v[4:5], v[4:5], -v[8:9]
	v_add_f64 v[6:7], v[6:7], -v[160:161]
	scratch_store_dwordx4 off, v[4:7], off offset:224
	s_and_saveexec_b64 s[0:1], vcc
	s_cbranch_execz .LBB40_235
; %bb.234:
	scratch_load_dwordx4 v[6:9], off, s25
	v_mov_b32_e32 v3, v2
	v_mov_b32_e32 v4, v2
	v_mov_b32_e32 v5, v2
	v_accvgpr_read_b32 v0, a83
	scratch_store_dwordx4 off, v[2:5], off offset:208
	s_waitcnt vmcnt(1)
	ds_write_b128 v0, v[6:9]
.LBB40_235:
	s_or_b64 exec, exec, s[0:1]
	s_waitcnt lgkmcnt(0)
	; wave barrier
	ds_read_b128 v[16:19], v2 offset:864
	ds_read_b128 v[12:15], v2 offset:880
	;; [unrolled: 1-line block ×4, first 2 shown]
	scratch_load_dwordx4 v[20:23], off, off offset:224
	scratch_load_dwordx4 v[40:43], off, off offset:288
	;; [unrolled: 1-line block ×22, first 2 shown]
	v_cmp_lt_u32_e32 vcc, 11, v240
	scratch_load_dwordx4 v[48:51], off, off offset:304
	scratch_load_dwordx4 v[56:59], off, off offset:320
	;; [unrolled: 1-line block ×3, first 2 shown]
	s_waitcnt vmcnt(24) lgkmcnt(3)
	v_mul_f64 v[24:25], v[16:17], v[22:23]
	v_fmac_f64_e32 v[24:25], v[18:19], v[20:21]
	v_add_f64 v[28:29], v[24:25], 0
	scratch_load_dwordx4 v[24:27], off, off offset:240
	s_waitcnt vmcnt(0) lgkmcnt(2)
	v_mul_f64 v[30:31], v[12:13], v[26:27]
	v_fmac_f64_e32 v[30:31], v[14:15], v[24:25]
	v_add_f64 v[32:33], v[28:29], v[30:31]
	scratch_load_dwordx4 v[28:31], off, off offset:256
	v_mul_f64 v[14:15], v[14:15], v[26:27]
	v_fma_f64 v[12:13], v[12:13], v[24:25], -v[14:15]
	s_waitcnt vmcnt(0) lgkmcnt(1)
	v_mul_f64 v[34:35], v[8:9], v[30:31]
	v_fmac_f64_e32 v[34:35], v[10:11], v[28:29]
	v_add_f64 v[36:37], v[32:33], v[34:35]
	scratch_load_dwordx4 v[32:35], off, off offset:272
	v_mul_f64 v[10:11], v[10:11], v[30:31]
	v_fma_f64 v[8:9], v[8:9], v[28:29], -v[10:11]
	s_waitcnt vmcnt(0) lgkmcnt(0)
	v_mul_f64 v[38:39], v[4:5], v[34:35]
	v_fmac_f64_e32 v[38:39], v[6:7], v[32:33]
	v_add_f64 v[44:45], v[36:37], v[38:39]
	ds_read_b128 v[36:39], v2 offset:928
	v_mul_f64 v[6:7], v[6:7], v[34:35]
	v_fma_f64 v[4:5], v[4:5], v[32:33], -v[6:7]
	s_waitcnt lgkmcnt(0)
	v_mul_f64 v[46:47], v[36:37], v[42:43]
	v_fmac_f64_e32 v[46:47], v[38:39], v[40:41]
	v_add_f64 v[52:53], v[44:45], v[46:47]
	ds_read_b128 v[44:47], v2 offset:944
	s_waitcnt lgkmcnt(0)
	v_mul_f64 v[54:55], v[44:45], v[50:51]
	v_fmac_f64_e32 v[54:55], v[46:47], v[48:49]
	v_add_f64 v[60:61], v[52:53], v[54:55]
	ds_read_b128 v[52:55], v2 offset:960
	;; [unrolled: 5-line block ×23, first 2 shown]
	s_waitcnt lgkmcnt(0)
	v_mul_f64 v[2:3], v[222:223], v[228:229]
	v_fmac_f64_e32 v[2:3], v[224:225], v[226:227]
	v_add_f64 v[176:177], v[176:177], v[2:3]
	v_mul_f64 v[2:3], v[18:19], v[22:23]
	v_fma_f64 v[2:3], v[16:17], v[20:21], -v[2:3]
	v_add_f64 v[2:3], v[2:3], 0
	v_add_f64 v[2:3], v[2:3], v[12:13]
	;; [unrolled: 1-line block ×4, first 2 shown]
	v_mul_f64 v[4:5], v[38:39], v[42:43]
	v_fma_f64 v[4:5], v[36:37], v[40:41], -v[4:5]
	v_add_f64 v[2:3], v[2:3], v[4:5]
	v_mul_f64 v[4:5], v[46:47], v[50:51]
	v_fma_f64 v[4:5], v[44:45], v[48:49], -v[4:5]
	v_add_f64 v[2:3], v[2:3], v[4:5]
	;; [unrolled: 3-line block ×24, first 2 shown]
	scratch_load_dwordx4 v[2:5], off, off offset:208
	s_waitcnt vmcnt(0)
	v_add_f64 v[2:3], v[2:3], -v[6:7]
	v_add_f64 v[4:5], v[4:5], -v[176:177]
	scratch_store_dwordx4 off, v[2:5], off offset:208
	s_and_saveexec_b64 s[0:1], vcc
	s_cbranch_execz .LBB40_237
; %bb.236:
	scratch_load_dwordx4 v[2:5], off, s24
	v_mov_b32_e32 v6, 0
	v_mov_b32_e32 v7, v6
	;; [unrolled: 1-line block ×4, first 2 shown]
	v_accvgpr_read_b32 v0, a83
	scratch_store_dwordx4 off, v[6:9], off offset:192
	s_waitcnt vmcnt(1)
	ds_write_b128 v0, v[2:5]
.LBB40_237:
	s_or_b64 exec, exec, s[0:1]
	v_mov_b32_e32 v2, 0
	s_waitcnt lgkmcnt(0)
	; wave barrier
	ds_read_b128 v[16:19], v2 offset:848
	ds_read_b128 v[12:15], v2 offset:864
	;; [unrolled: 1-line block ×4, first 2 shown]
	scratch_load_dwordx4 v[20:23], off, off offset:208
	scratch_load_dwordx4 v[40:43], off, off offset:272
	;; [unrolled: 1-line block ×23, first 2 shown]
	v_cmp_lt_u32_e32 vcc, 10, v240
	scratch_load_dwordx4 v[48:51], off, off offset:288
	scratch_load_dwordx4 v[56:59], off, off offset:304
	;; [unrolled: 1-line block ×3, first 2 shown]
	s_waitcnt vmcnt(25) lgkmcnt(3)
	v_mul_f64 v[24:25], v[16:17], v[22:23]
	v_fmac_f64_e32 v[24:25], v[18:19], v[20:21]
	v_add_f64 v[28:29], v[24:25], 0
	scratch_load_dwordx4 v[24:27], off, off offset:224
	v_mul_f64 v[18:19], v[18:19], v[22:23]
	v_fma_f64 v[16:17], v[16:17], v[20:21], -v[18:19]
	v_add_f64 v[16:17], v[16:17], 0
	s_waitcnt vmcnt(0) lgkmcnt(2)
	v_mul_f64 v[30:31], v[12:13], v[26:27]
	v_fmac_f64_e32 v[30:31], v[14:15], v[24:25]
	v_add_f64 v[32:33], v[28:29], v[30:31]
	scratch_load_dwordx4 v[28:31], off, off offset:240
	v_mul_f64 v[14:15], v[14:15], v[26:27]
	v_fma_f64 v[12:13], v[12:13], v[24:25], -v[14:15]
	v_add_f64 v[12:13], v[16:17], v[12:13]
	;; [unrolled: 8-line block ×3, first 2 shown]
	s_waitcnt vmcnt(0) lgkmcnt(0)
	v_mul_f64 v[38:39], v[4:5], v[34:35]
	v_fmac_f64_e32 v[38:39], v[6:7], v[32:33]
	v_add_f64 v[44:45], v[36:37], v[38:39]
	ds_read_b128 v[36:39], v2 offset:912
	v_mul_f64 v[6:7], v[6:7], v[34:35]
	v_fma_f64 v[4:5], v[4:5], v[32:33], -v[6:7]
	v_add_f64 v[4:5], v[8:9], v[4:5]
	s_waitcnt lgkmcnt(0)
	v_mul_f64 v[46:47], v[36:37], v[42:43]
	v_fmac_f64_e32 v[46:47], v[38:39], v[40:41]
	v_add_f64 v[52:53], v[44:45], v[46:47]
	ds_read_b128 v[44:47], v2 offset:928
	v_mul_f64 v[6:7], v[38:39], v[42:43]
	v_fma_f64 v[6:7], v[36:37], v[40:41], -v[6:7]
	v_add_f64 v[4:5], v[4:5], v[6:7]
	s_waitcnt lgkmcnt(0)
	;; [unrolled: 8-line block ×25, first 2 shown]
	v_mul_f64 v[6:7], v[232:233], v[236:237]
	v_fma_f64 v[6:7], v[230:231], v[234:235], -v[6:7]
	v_add_f64 v[8:9], v[4:5], v[6:7]
	scratch_load_dwordx4 v[4:7], off, off offset:192
	v_mul_f64 v[238:239], v[230:231], v[236:237]
	v_fmac_f64_e32 v[238:239], v[232:233], v[234:235]
	v_add_f64 v[176:177], v[176:177], v[238:239]
	s_waitcnt vmcnt(0)
	v_add_f64 v[4:5], v[4:5], -v[8:9]
	v_add_f64 v[6:7], v[6:7], -v[176:177]
	scratch_store_dwordx4 off, v[4:7], off offset:192
	s_and_saveexec_b64 s[0:1], vcc
	s_cbranch_execz .LBB40_239
; %bb.238:
	scratch_load_dwordx4 v[6:9], off, s56
	v_mov_b32_e32 v3, v2
	v_mov_b32_e32 v4, v2
	;; [unrolled: 1-line block ×3, first 2 shown]
	v_accvgpr_read_b32 v0, a83
	scratch_store_dwordx4 off, v[2:5], off offset:176
	s_waitcnt vmcnt(1)
	ds_write_b128 v0, v[6:9]
.LBB40_239:
	s_or_b64 exec, exec, s[0:1]
	s_waitcnt lgkmcnt(0)
	; wave barrier
	ds_read_b128 v[16:19], v2 offset:832
	ds_read_b128 v[12:15], v2 offset:848
	;; [unrolled: 1-line block ×4, first 2 shown]
	scratch_load_dwordx4 v[20:23], off, off offset:192
	scratch_load_dwordx4 v[40:43], off, off offset:256
	;; [unrolled: 1-line block ×24, first 2 shown]
	v_cmp_lt_u32_e32 vcc, 9, v240
	scratch_load_dwordx4 v[48:51], off, off offset:272
	scratch_load_dwordx4 v[56:59], off, off offset:288
	;; [unrolled: 1-line block ×3, first 2 shown]
	ds_read_b128 v[242:245], v2 offset:1296
	s_waitcnt vmcnt(26) lgkmcnt(4)
	v_mul_f64 v[24:25], v[16:17], v[22:23]
	v_fmac_f64_e32 v[24:25], v[18:19], v[20:21]
	v_add_f64 v[28:29], v[24:25], 0
	scratch_load_dwordx4 v[24:27], off, off offset:208
	s_waitcnt vmcnt(0) lgkmcnt(3)
	v_mul_f64 v[30:31], v[12:13], v[26:27]
	v_fmac_f64_e32 v[30:31], v[14:15], v[24:25]
	v_add_f64 v[32:33], v[28:29], v[30:31]
	scratch_load_dwordx4 v[28:31], off, off offset:224
	v_mul_f64 v[14:15], v[14:15], v[26:27]
	v_fma_f64 v[12:13], v[12:13], v[24:25], -v[14:15]
	s_waitcnt vmcnt(0) lgkmcnt(2)
	v_mul_f64 v[34:35], v[8:9], v[30:31]
	v_fmac_f64_e32 v[34:35], v[10:11], v[28:29]
	v_add_f64 v[36:37], v[32:33], v[34:35]
	scratch_load_dwordx4 v[32:35], off, off offset:240
	v_mul_f64 v[10:11], v[10:11], v[30:31]
	v_fma_f64 v[8:9], v[8:9], v[28:29], -v[10:11]
	s_waitcnt vmcnt(0) lgkmcnt(1)
	v_mul_f64 v[38:39], v[4:5], v[34:35]
	v_fmac_f64_e32 v[38:39], v[6:7], v[32:33]
	v_add_f64 v[44:45], v[36:37], v[38:39]
	ds_read_b128 v[36:39], v2 offset:896
	v_mul_f64 v[6:7], v[6:7], v[34:35]
	v_fma_f64 v[4:5], v[4:5], v[32:33], -v[6:7]
	s_waitcnt lgkmcnt(0)
	v_mul_f64 v[46:47], v[36:37], v[42:43]
	v_fmac_f64_e32 v[46:47], v[38:39], v[40:41]
	v_add_f64 v[52:53], v[44:45], v[46:47]
	ds_read_b128 v[44:47], v2 offset:912
	s_waitcnt lgkmcnt(0)
	v_mul_f64 v[54:55], v[44:45], v[50:51]
	v_fmac_f64_e32 v[54:55], v[46:47], v[48:49]
	v_add_f64 v[60:61], v[52:53], v[54:55]
	ds_read_b128 v[52:55], v2 offset:928
	;; [unrolled: 5-line block ×24, first 2 shown]
	v_mul_f64 v[2:3], v[242:243], v[248:249]
	v_fmac_f64_e32 v[2:3], v[244:245], v[246:247]
	s_waitcnt lgkmcnt(0)
	v_mul_f64 v[238:239], v[230:231], v[236:237]
	v_fmac_f64_e32 v[238:239], v[232:233], v[234:235]
	v_add_f64 v[184:185], v[184:185], v[238:239]
	v_add_f64 v[184:185], v[184:185], v[2:3]
	v_mul_f64 v[2:3], v[18:19], v[22:23]
	v_fma_f64 v[2:3], v[16:17], v[20:21], -v[2:3]
	v_add_f64 v[2:3], v[2:3], 0
	v_add_f64 v[2:3], v[2:3], v[12:13]
	v_add_f64 v[2:3], v[2:3], v[8:9]
	v_add_f64 v[2:3], v[2:3], v[4:5]
	v_mul_f64 v[4:5], v[38:39], v[42:43]
	v_fma_f64 v[4:5], v[36:37], v[40:41], -v[4:5]
	v_add_f64 v[2:3], v[2:3], v[4:5]
	v_mul_f64 v[4:5], v[46:47], v[50:51]
	v_fma_f64 v[4:5], v[44:45], v[48:49], -v[4:5]
	v_add_f64 v[2:3], v[2:3], v[4:5]
	;; [unrolled: 3-line block ×26, first 2 shown]
	scratch_load_dwordx4 v[2:5], off, off offset:176
	s_waitcnt vmcnt(0)
	v_add_f64 v[2:3], v[2:3], -v[6:7]
	v_add_f64 v[4:5], v[4:5], -v[184:185]
	scratch_store_dwordx4 off, v[2:5], off offset:176
	s_and_saveexec_b64 s[0:1], vcc
	s_cbranch_execz .LBB40_241
; %bb.240:
	scratch_load_dwordx4 v[2:5], off, s23
	v_mov_b32_e32 v6, 0
	v_mov_b32_e32 v7, v6
	;; [unrolled: 1-line block ×4, first 2 shown]
	v_accvgpr_read_b32 v0, a83
	scratch_store_dwordx4 off, v[6:9], off offset:160
	s_waitcnt vmcnt(1)
	ds_write_b128 v0, v[2:5]
.LBB40_241:
	s_or_b64 exec, exec, s[0:1]
	s_waitcnt lgkmcnt(0)
	; wave barrier
	scratch_load_dwordx4 v[16:19], off, off offset:176
	scratch_load_dwordx4 v[12:15], off, off offset:192
	;; [unrolled: 1-line block ×32, first 2 shown]
	v_mov_b32_e32 v2, 0
	ds_read_b128 v[132:135], v2 offset:816
	ds_read_b128 v[136:139], v2 offset:832
	;; [unrolled: 1-line block ×17, first 2 shown]
	v_cmp_lt_u32_e32 vcc, 8, v240
	s_waitcnt vmcnt(31) lgkmcnt(14)
	v_mul_f64 v[200:201], v[132:133], v[18:19]
	s_waitcnt vmcnt(30)
	v_mul_f64 v[202:203], v[136:137], v[14:15]
	v_fmac_f64_e32 v[200:201], v[134:135], v[16:17]
	s_waitcnt vmcnt(29)
	v_mul_f64 v[204:205], v[140:141], v[10:11]
	v_fmac_f64_e32 v[202:203], v[138:139], v[12:13]
	v_add_f64 v[200:201], v[200:201], 0
	s_waitcnt vmcnt(28) lgkmcnt(13)
	v_mul_f64 v[206:207], v[144:145], v[6:7]
	v_fmac_f64_e32 v[204:205], v[142:143], v[8:9]
	v_add_f64 v[200:201], v[200:201], v[202:203]
	s_waitcnt vmcnt(27) lgkmcnt(12)
	;; [unrolled: 4-line block ×12, first 2 shown]
	v_mul_f64 v[228:229], v[188:189], v[62:63]
	v_fmac_f64_e32 v[226:227], v[186:187], v[56:57]
	v_add_f64 v[200:201], v[200:201], v[224:225]
	v_fmac_f64_e32 v[228:229], v[190:191], v[60:61]
	v_add_f64 v[200:201], v[200:201], v[226:227]
	s_waitcnt vmcnt(16) lgkmcnt(1)
	v_mul_f64 v[202:203], v[192:193], v[66:67]
	v_add_f64 v[200:201], v[200:201], v[228:229]
	v_fmac_f64_e32 v[202:203], v[194:195], v[64:65]
	s_waitcnt vmcnt(15) lgkmcnt(0)
	v_mul_f64 v[206:207], v[196:197], v[70:71]
	v_add_f64 v[204:205], v[200:201], v[202:203]
	ds_read_b128 v[200:203], v2 offset:1088
	v_fmac_f64_e32 v[206:207], v[198:199], v[68:69]
	v_add_f64 v[208:209], v[204:205], v[206:207]
	ds_read_b128 v[204:207], v2 offset:1104
	v_mul_f64 v[18:19], v[134:135], v[18:19]
	s_waitcnt vmcnt(14) lgkmcnt(1)
	v_mul_f64 v[210:211], v[200:201], v[74:75]
	v_fmac_f64_e32 v[210:211], v[202:203], v[72:73]
	v_add_f64 v[212:213], v[208:209], v[210:211]
	s_waitcnt vmcnt(13) lgkmcnt(0)
	v_mul_f64 v[214:215], v[204:205], v[78:79]
	ds_read_b128 v[208:211], v2 offset:1120
	v_fmac_f64_e32 v[214:215], v[206:207], v[76:77]
	v_add_f64 v[216:217], v[212:213], v[214:215]
	ds_read_b128 v[212:215], v2 offset:1136
	v_fma_f64 v[244:245], v[132:133], v[16:17], -v[18:19]
	s_waitcnt vmcnt(12) lgkmcnt(1)
	v_mul_f64 v[218:219], v[208:209], v[82:83]
	v_fmac_f64_e32 v[218:219], v[210:211], v[80:81]
	v_add_f64 v[220:221], v[216:217], v[218:219]
	s_waitcnt vmcnt(11) lgkmcnt(0)
	v_mul_f64 v[222:223], v[212:213], v[86:87]
	ds_read_b128 v[216:219], v2 offset:1152
	v_fmac_f64_e32 v[222:223], v[214:215], v[84:85]
	v_add_f64 v[224:225], v[220:221], v[222:223]
	ds_read_b128 v[220:223], v2 offset:1168
	ds_read_b128 v[16:19], v2 offset:1248
	s_waitcnt vmcnt(10) lgkmcnt(2)
	v_mul_f64 v[226:227], v[216:217], v[90:91]
	v_fmac_f64_e32 v[226:227], v[218:219], v[88:89]
	v_add_f64 v[228:229], v[224:225], v[226:227]
	s_waitcnt vmcnt(9) lgkmcnt(1)
	v_mul_f64 v[230:231], v[220:221], v[94:95]
	ds_read_b128 v[224:227], v2 offset:1184
	v_fmac_f64_e32 v[230:231], v[222:223], v[92:93]
	v_add_f64 v[232:233], v[228:229], v[230:231]
	ds_read_b128 v[228:231], v2 offset:1200
	v_mul_f64 v[14:15], v[138:139], v[14:15]
	s_waitcnt vmcnt(8) lgkmcnt(1)
	v_mul_f64 v[234:235], v[224:225], v[98:99]
	v_fmac_f64_e32 v[234:235], v[226:227], v[96:97]
	v_add_f64 v[236:237], v[232:233], v[234:235]
	s_waitcnt vmcnt(7) lgkmcnt(0)
	v_mul_f64 v[238:239], v[228:229], v[102:103]
	ds_read_b128 v[232:235], v2 offset:1216
	v_fmac_f64_e32 v[238:239], v[230:231], v[100:101]
	v_add_f64 v[242:243], v[236:237], v[238:239]
	ds_read_b128 v[236:239], v2 offset:1232
	v_fma_f64 v[136:137], v[136:137], v[12:13], -v[14:15]
	s_waitcnt vmcnt(6) lgkmcnt(1)
	v_mul_f64 v[132:133], v[232:233], v[106:107]
	v_fmac_f64_e32 v[132:133], v[234:235], v[104:105]
	v_add_f64 v[132:133], v[242:243], v[132:133]
	s_waitcnt vmcnt(5) lgkmcnt(0)
	v_mul_f64 v[134:135], v[236:237], v[110:111]
	v_fmac_f64_e32 v[134:135], v[238:239], v[108:109]
	v_add_f64 v[132:133], v[132:133], v[134:135]
	ds_read_b128 v[12:15], v2 offset:1264
	s_waitcnt vmcnt(4)
	v_mul_f64 v[134:135], v[16:17], v[114:115]
	v_fmac_f64_e32 v[134:135], v[18:19], v[112:113]
	v_add_f64 v[138:139], v[132:133], v[134:135]
	ds_read_b128 v[132:135], v2 offset:1280
	v_mul_f64 v[10:11], v[142:143], v[10:11]
	v_fma_f64 v[140:141], v[140:141], v[8:9], -v[10:11]
	ds_read_b128 v[8:11], v2 offset:1296
	s_waitcnt vmcnt(3) lgkmcnt(2)
	v_mul_f64 v[142:143], v[12:13], v[118:119]
	v_fmac_f64_e32 v[142:143], v[14:15], v[116:117]
	v_add_f64 v[138:139], v[138:139], v[142:143]
	s_waitcnt vmcnt(2) lgkmcnt(1)
	v_mul_f64 v[142:143], v[132:133], v[122:123]
	v_fmac_f64_e32 v[142:143], v[134:135], v[120:121]
	v_add_f64 v[138:139], v[138:139], v[142:143]
	;; [unrolled: 4-line block ×3, first 2 shown]
	v_add_f64 v[142:143], v[244:245], 0
	v_add_f64 v[136:137], v[142:143], v[136:137]
	v_mul_f64 v[6:7], v[146:147], v[6:7]
	v_add_f64 v[136:137], v[136:137], v[140:141]
	v_fma_f64 v[4:5], v[144:145], v[4:5], -v[6:7]
	v_mul_f64 v[6:7], v[150:151], v[22:23]
	v_add_f64 v[4:5], v[136:137], v[4:5]
	v_fma_f64 v[6:7], v[148:149], v[20:21], -v[6:7]
	v_add_f64 v[4:5], v[4:5], v[6:7]
	v_mul_f64 v[6:7], v[154:155], v[26:27]
	v_fma_f64 v[6:7], v[152:153], v[24:25], -v[6:7]
	v_add_f64 v[4:5], v[4:5], v[6:7]
	v_mul_f64 v[6:7], v[158:159], v[30:31]
	;; [unrolled: 3-line block ×26, first 2 shown]
	v_fma_f64 v[6:7], v[8:9], v[124:125], -v[6:7]
	v_add_f64 v[4:5], v[4:5], v[6:7]
	s_waitcnt vmcnt(0)
	v_add_f64 v[4:5], v[128:129], -v[4:5]
	v_add_f64 v[6:7], v[130:131], -v[138:139]
	scratch_store_dwordx4 off, v[4:7], off offset:160
	s_and_saveexec_b64 s[0:1], vcc
	s_cbranch_execz .LBB40_243
; %bb.242:
	scratch_load_dwordx4 v[6:9], off, s21
	v_mov_b32_e32 v3, v2
	v_mov_b32_e32 v4, v2
	;; [unrolled: 1-line block ×3, first 2 shown]
	v_accvgpr_read_b32 v0, a83
	scratch_store_dwordx4 off, v[2:5], off offset:144
	s_waitcnt vmcnt(1)
	ds_write_b128 v0, v[6:9]
.LBB40_243:
	s_or_b64 exec, exec, s[0:1]
	s_waitcnt lgkmcnt(0)
	; wave barrier
	scratch_load_dwordx4 v[140:143], off, off offset:160
	scratch_load_dwordx4 v[148:151], off, off offset:176
	;; [unrolled: 1-line block ×16, first 2 shown]
	ds_read_b128 v[188:191], v2 offset:800
	ds_read_b128 v[184:187], v2 offset:816
	scratch_load_dwordx4 v[56:59], off, off offset:416
	ds_read_b128 v[192:195], v2 offset:832
	ds_read_b128 v[68:71], v2 offset:848
	scratch_load_dwordx4 v[60:63], off, off offset:432
	ds_read_b128 v[88:91], v2 offset:864
	ds_read_b128 v[84:87], v2 offset:880
	;; [unrolled: 1-line block ×4, first 2 shown]
	scratch_load_dwordx4 v[64:67], off, off offset:448
	ds_read_b128 v[100:103], v2 offset:928
	ds_read_b128 v[96:99], v2 offset:944
	scratch_load_dwordx4 v[72:75], off, off offset:464
	ds_read_b128 v[116:119], v2 offset:960
	ds_read_b128 v[112:115], v2 offset:976
	;; [unrolled: 1-line block ×4, first 2 shown]
	scratch_load_dwordx4 v[92:95], off, off offset:480
	ds_read_b128 v[132:135], v2 offset:1024
	ds_read_b128 v[128:131], v2 offset:1040
	;; [unrolled: 1-line block ×3, first 2 shown]
	scratch_load_dwordx4 v[120:123], off, off offset:496
	scratch_load_dwordx4 v[136:139], off, off offset:512
	;; [unrolled: 1-line block ×11, first 2 shown]
	v_cmp_lt_u32_e32 vcc, 7, v240
	s_waitcnt vmcnt(31) lgkmcnt(14)
	v_mul_f64 v[200:201], v[188:189], v[142:143]
	s_waitcnt vmcnt(30)
	v_mul_f64 v[202:203], v[184:185], v[150:151]
	v_fmac_f64_e32 v[200:201], v[190:191], v[140:141]
	s_waitcnt vmcnt(29)
	v_mul_f64 v[204:205], v[192:193], v[154:155]
	v_fmac_f64_e32 v[202:203], v[186:187], v[148:149]
	v_add_f64 v[200:201], v[200:201], 0
	s_waitcnt vmcnt(28) lgkmcnt(13)
	v_mul_f64 v[206:207], v[68:69], v[6:7]
	v_fmac_f64_e32 v[204:205], v[194:195], v[152:153]
	v_add_f64 v[200:201], v[200:201], v[202:203]
	s_waitcnt vmcnt(27) lgkmcnt(12)
	;; [unrolled: 4-line block ×13, first 2 shown]
	v_mul_f64 v[230:231], v[128:129], v[54:55]
	v_fmac_f64_e32 v[228:229], v[134:135], v[48:49]
	v_add_f64 v[200:201], v[200:201], v[226:227]
	v_add_f64 v[200:201], v[200:201], v[228:229]
	v_fmac_f64_e32 v[230:231], v[130:131], v[52:53]
	v_add_f64 v[204:205], v[200:201], v[230:231]
	ds_read_b128 v[200:203], v2 offset:1072
	s_waitcnt vmcnt(15) lgkmcnt(1)
	v_mul_f64 v[206:207], v[124:125], v[58:59]
	v_fmac_f64_e32 v[206:207], v[126:127], v[56:57]
	v_add_f64 v[208:209], v[204:205], v[206:207]
	ds_read_b128 v[204:207], v2 offset:1088
	s_waitcnt vmcnt(14) lgkmcnt(1)
	v_mul_f64 v[210:211], v[200:201], v[62:63]
	;; [unrolled: 5-line block ×10, first 2 shown]
	v_fmac_f64_e32 v[244:245], v[234:235], v[160:161]
	v_mul_f64 v[142:143], v[190:191], v[142:143]
	v_add_f64 v[244:245], v[242:243], v[244:245]
	v_fma_f64 v[242:243], v[188:189], v[140:141], -v[142:143]
	ds_read_b128 v[140:143], v2 offset:1232
	s_waitcnt vmcnt(5) lgkmcnt(1)
	v_mul_f64 v[188:189], v[236:237], v[166:167]
	v_fmac_f64_e32 v[188:189], v[238:239], v[164:165]
	v_mul_f64 v[150:151], v[186:187], v[150:151]
	v_add_f64 v[188:189], v[244:245], v[188:189]
	v_fma_f64 v[244:245], v[184:185], v[148:149], -v[150:151]
	ds_read_b128 v[148:151], v2 offset:1248
	s_waitcnt vmcnt(4) lgkmcnt(1)
	v_mul_f64 v[184:185], v[140:141], v[170:171]
	v_fmac_f64_e32 v[184:185], v[142:143], v[168:169]
	v_add_f64 v[188:189], v[188:189], v[184:185]
	ds_read_b128 v[184:187], v2 offset:1264
	v_mul_f64 v[154:155], v[194:195], v[154:155]
	s_waitcnt vmcnt(3) lgkmcnt(1)
	v_mul_f64 v[190:191], v[148:149], v[174:175]
	v_fma_f64 v[248:249], v[192:193], v[152:153], -v[154:155]
	ds_read_b128 v[152:155], v2 offset:1280
	v_fmac_f64_e32 v[190:191], v[150:151], v[172:173]
	v_add_f64 v[246:247], v[188:189], v[190:191]
	ds_read_b128 v[188:191], v2 offset:1296
	s_waitcnt vmcnt(2) lgkmcnt(2)
	v_mul_f64 v[192:193], v[184:185], v[178:179]
	v_fmac_f64_e32 v[192:193], v[186:187], v[176:177]
	v_add_f64 v[2:3], v[246:247], v[192:193]
	s_waitcnt vmcnt(1) lgkmcnt(1)
	v_mul_f64 v[192:193], v[152:153], v[182:183]
	v_fmac_f64_e32 v[192:193], v[154:155], v[180:181]
	v_add_f64 v[2:3], v[2:3], v[192:193]
	;; [unrolled: 4-line block ×3, first 2 shown]
	scratch_load_dwordx4 v[192:195], off, off offset:144
	v_add_f64 v[242:243], v[242:243], 0
	v_add_f64 v[242:243], v[242:243], v[244:245]
	v_mul_f64 v[6:7], v[70:71], v[6:7]
	v_add_f64 v[242:243], v[242:243], v[248:249]
	v_fma_f64 v[4:5], v[68:69], v[4:5], -v[6:7]
	v_mul_f64 v[6:7], v[90:91], v[10:11]
	v_add_f64 v[4:5], v[242:243], v[4:5]
	v_fma_f64 v[6:7], v[88:89], v[8:9], -v[6:7]
	v_add_f64 v[4:5], v[4:5], v[6:7]
	v_mul_f64 v[6:7], v[86:87], v[14:15]
	v_fma_f64 v[6:7], v[84:85], v[12:13], -v[6:7]
	v_add_f64 v[4:5], v[4:5], v[6:7]
	v_mul_f64 v[6:7], v[82:83], v[18:19]
	;; [unrolled: 3-line block ×27, first 2 shown]
	v_fma_f64 v[6:7], v[188:189], v[196:197], -v[6:7]
	v_add_f64 v[4:5], v[4:5], v[6:7]
	s_waitcnt vmcnt(0)
	v_add_f64 v[4:5], v[192:193], -v[4:5]
	v_add_f64 v[6:7], v[194:195], -v[2:3]
	scratch_store_dwordx4 off, v[4:7], off offset:144
	s_and_saveexec_b64 s[0:1], vcc
	s_cbranch_execz .LBB40_245
; %bb.244:
	scratch_load_dwordx4 v[2:5], off, s55
	v_mov_b32_e32 v6, 0
	v_mov_b32_e32 v7, v6
	;; [unrolled: 1-line block ×4, first 2 shown]
	v_accvgpr_read_b32 v0, a83
	scratch_store_dwordx4 off, v[6:9], off offset:128
	s_waitcnt vmcnt(1)
	ds_write_b128 v0, v[2:5]
.LBB40_245:
	s_or_b64 exec, exec, s[0:1]
	s_waitcnt lgkmcnt(0)
	; wave barrier
	scratch_load_dwordx4 v[108:111], off, off offset:144
	scratch_load_dwordx4 v[116:119], off, off offset:160
	;; [unrolled: 1-line block ×33, first 2 shown]
	v_mov_b32_e32 v2, 0
	ds_read_b128 v[220:223], v2 offset:784
	ds_read_b128 v[224:227], v2 offset:800
	;; [unrolled: 1-line block ×16, first 2 shown]
	v_cmp_lt_u32_e32 vcc, 6, v240
	s_waitcnt vmcnt(32) lgkmcnt(14)
	v_mul_f64 v[180:181], v[220:221], v[110:111]
	s_waitcnt vmcnt(31)
	v_mul_f64 v[182:183], v[224:225], v[118:119]
	v_fmac_f64_e32 v[180:181], v[222:223], v[108:109]
	s_waitcnt vmcnt(30) lgkmcnt(13)
	v_mul_f64 v[184:185], v[234:235], v[122:123]
	v_fmac_f64_e32 v[182:183], v[226:227], v[116:117]
	v_add_f64 v[180:181], v[180:181], 0
	s_waitcnt vmcnt(29) lgkmcnt(12)
	v_mul_f64 v[186:187], v[242:243], v[126:127]
	v_fmac_f64_e32 v[184:185], v[236:237], v[120:121]
	v_add_f64 v[180:181], v[180:181], v[182:183]
	;; [unrolled: 4-line block ×13, first 2 shown]
	v_fmac_f64_e32 v[208:209], v[142:143], v[40:41]
	v_add_f64 v[180:181], v[180:181], v[206:207]
	v_add_f64 v[184:185], v[180:181], v[208:209]
	ds_read_b128 v[180:183], v2 offset:1040
	s_waitcnt vmcnt(17) lgkmcnt(1)
	v_mul_f64 v[186:187], v[136:137], v[46:47]
	v_fmac_f64_e32 v[186:187], v[138:139], v[44:45]
	v_add_f64 v[188:189], v[184:185], v[186:187]
	ds_read_b128 v[184:187], v2 offset:1056
	s_waitcnt vmcnt(16) lgkmcnt(1)
	v_mul_f64 v[190:191], v[180:181], v[50:51]
	v_fmac_f64_e32 v[190:191], v[182:183], v[48:49]
	;; [unrolled: 5-line block ×10, first 2 shown]
	v_mul_f64 v[110:111], v[222:223], v[110:111]
	v_add_f64 v[228:229], v[228:229], v[230:231]
	v_fma_f64 v[230:231], v[220:221], v[108:109], -v[110:111]
	ds_read_b128 v[108:111], v2 offset:1200
	s_waitcnt vmcnt(7) lgkmcnt(1)
	v_mul_f64 v[220:221], v[216:217], v[86:87]
	v_mul_f64 v[118:119], v[226:227], v[118:119]
	v_fmac_f64_e32 v[220:221], v[218:219], v[84:85]
	v_fma_f64 v[232:233], v[224:225], v[116:117], -v[118:119]
	ds_read_b128 v[116:119], v2 offset:1216
	s_waitcnt vmcnt(6) lgkmcnt(1)
	v_mul_f64 v[222:223], v[108:109], v[90:91]
	v_add_f64 v[220:221], v[228:229], v[220:221]
	v_fmac_f64_e32 v[222:223], v[110:111], v[88:89]
	v_add_f64 v[224:225], v[220:221], v[222:223]
	ds_read_b128 v[220:223], v2 offset:1232
	v_mul_f64 v[122:123], v[236:237], v[122:123]
	v_fma_f64 v[234:235], v[234:235], v[120:121], -v[122:123]
	ds_read_b128 v[120:123], v2 offset:1248
	s_waitcnt vmcnt(5) lgkmcnt(2)
	v_mul_f64 v[226:227], v[116:117], v[94:95]
	v_fmac_f64_e32 v[226:227], v[118:119], v[92:93]
	v_mul_f64 v[126:127], v[244:245], v[126:127]
	v_add_f64 v[224:225], v[224:225], v[226:227]
	s_waitcnt vmcnt(4) lgkmcnt(1)
	v_mul_f64 v[226:227], v[220:221], v[98:99]
	v_fma_f64 v[236:237], v[242:243], v[124:125], -v[126:127]
	ds_read_b128 v[124:127], v2 offset:1264
	v_fmac_f64_e32 v[226:227], v[222:223], v[96:97]
	v_add_f64 v[228:229], v[224:225], v[226:227]
	s_waitcnt vmcnt(3) lgkmcnt(1)
	v_mul_f64 v[238:239], v[120:121], v[102:103]
	ds_read_b128 v[224:227], v2 offset:1280
	v_fmac_f64_e32 v[238:239], v[122:123], v[100:101]
	v_mul_f64 v[130:131], v[248:249], v[130:131]
	v_add_f64 v[228:229], v[228:229], v[238:239]
	v_fma_f64 v[238:239], v[246:247], v[128:129], -v[130:131]
	ds_read_b128 v[128:131], v2 offset:1296
	s_waitcnt vmcnt(2) lgkmcnt(2)
	v_mul_f64 v[242:243], v[124:125], v[106:107]
	v_fmac_f64_e32 v[242:243], v[126:127], v[104:105]
	v_add_f64 v[228:229], v[228:229], v[242:243]
	s_waitcnt vmcnt(1) lgkmcnt(1)
	v_mul_f64 v[242:243], v[224:225], v[114:115]
	v_fmac_f64_e32 v[242:243], v[226:227], v[112:113]
	v_add_f64 v[228:229], v[228:229], v[242:243]
	s_waitcnt vmcnt(0) lgkmcnt(0)
	v_mul_f64 v[242:243], v[128:129], v[134:135]
	v_fmac_f64_e32 v[242:243], v[130:131], v[132:133]
	v_add_f64 v[228:229], v[228:229], v[242:243]
	scratch_load_dwordx4 v[242:245], off, off offset:128
	v_add_f64 v[230:231], v[230:231], 0
	v_add_f64 v[230:231], v[230:231], v[232:233]
	;; [unrolled: 1-line block ×4, first 2 shown]
	v_mul_f64 v[6:7], v[178:179], v[6:7]
	v_add_f64 v[230:231], v[230:231], v[238:239]
	v_fma_f64 v[4:5], v[176:177], v[4:5], -v[6:7]
	v_mul_f64 v[6:7], v[174:175], v[10:11]
	v_add_f64 v[4:5], v[230:231], v[4:5]
	v_fma_f64 v[6:7], v[172:173], v[8:9], -v[6:7]
	v_add_f64 v[4:5], v[4:5], v[6:7]
	v_mul_f64 v[6:7], v[170:171], v[14:15]
	v_fma_f64 v[6:7], v[168:169], v[12:13], -v[6:7]
	v_add_f64 v[4:5], v[4:5], v[6:7]
	v_mul_f64 v[6:7], v[166:167], v[18:19]
	;; [unrolled: 3-line block ×26, first 2 shown]
	v_fma_f64 v[6:7], v[128:129], v[132:133], -v[6:7]
	v_add_f64 v[4:5], v[4:5], v[6:7]
	s_waitcnt vmcnt(0)
	v_add_f64 v[4:5], v[242:243], -v[4:5]
	v_add_f64 v[6:7], v[244:245], -v[228:229]
	scratch_store_dwordx4 off, v[4:7], off offset:128
	s_and_saveexec_b64 s[0:1], vcc
	s_cbranch_execz .LBB40_247
; %bb.246:
	scratch_load_dwordx4 v[6:9], off, s22
	v_mov_b32_e32 v3, v2
	v_mov_b32_e32 v4, v2
	;; [unrolled: 1-line block ×3, first 2 shown]
	v_accvgpr_read_b32 v0, a83
	scratch_store_dwordx4 off, v[2:5], off offset:112
	s_waitcnt vmcnt(1)
	ds_write_b128 v0, v[6:9]
.LBB40_247:
	s_or_b64 exec, exec, s[0:1]
	s_waitcnt lgkmcnt(0)
	; wave barrier
	scratch_load_dwordx4 v[144:147], off, off offset:128
	scratch_load_dwordx4 v[152:155], off, off offset:144
	;; [unrolled: 1-line block ×16, first 2 shown]
	ds_read_b128 v[196:199], v2 offset:768
	ds_read_b128 v[188:191], v2 offset:784
	ds_read_b128 v[180:183], v2 offset:800
	scratch_load_dwordx4 v[48:51], off, off offset:384
	ds_read_b128 v[192:195], v2 offset:816
	ds_read_b128 v[184:187], v2 offset:832
	ds_read_b128 v[64:67], v2 offset:848
	scratch_load_dwordx4 v[52:55], off, off offset:400
	;; [unrolled: 4-line block ×5, first 2 shown]
	ds_read_b128 v[116:119], v2 offset:1008
	ds_read_b128 v[112:115], v2 offset:1024
	scratch_load_dwordx4 v[108:111], off, off offset:464
	scratch_load_dwordx4 v[120:123], off, off offset:480
	;; [unrolled: 1-line block ×12, first 2 shown]
	v_cmp_lt_u32_e32 vcc, 5, v240
	s_waitcnt vmcnt(32) lgkmcnt(14)
	v_mul_f64 v[204:205], v[196:197], v[146:147]
	s_waitcnt vmcnt(31)
	v_mul_f64 v[206:207], v[188:189], v[154:155]
	v_fmac_f64_e32 v[204:205], v[198:199], v[144:145]
	s_waitcnt vmcnt(30)
	v_mul_f64 v[208:209], v[180:181], v[158:159]
	v_fmac_f64_e32 v[206:207], v[190:191], v[152:153]
	v_add_f64 v[204:205], v[204:205], 0
	s_waitcnt vmcnt(29) lgkmcnt(13)
	v_mul_f64 v[210:211], v[192:193], v[162:163]
	v_fmac_f64_e32 v[208:209], v[182:183], v[156:157]
	v_add_f64 v[204:205], v[204:205], v[206:207]
	s_waitcnt vmcnt(28) lgkmcnt(12)
	;; [unrolled: 4-line block ×12, first 2 shown]
	v_mul_f64 v[232:233], v[96:97], v[42:43]
	v_fmac_f64_e32 v[230:231], v[102:103], v[36:37]
	v_add_f64 v[204:205], v[204:205], v[228:229]
	v_fmac_f64_e32 v[232:233], v[98:99], v[40:41]
	v_add_f64 v[204:205], v[204:205], v[230:231]
	s_waitcnt vmcnt(17) lgkmcnt(1)
	v_mul_f64 v[206:207], v[116:117], v[46:47]
	v_add_f64 v[204:205], v[204:205], v[232:233]
	v_fmac_f64_e32 v[206:207], v[118:119], v[44:45]
	s_waitcnt vmcnt(16) lgkmcnt(0)
	v_mul_f64 v[210:211], v[112:113], v[50:51]
	v_add_f64 v[208:209], v[204:205], v[206:207]
	ds_read_b128 v[204:207], v2 offset:1040
	v_fmac_f64_e32 v[210:211], v[114:115], v[48:49]
	v_add_f64 v[212:213], v[208:209], v[210:211]
	ds_read_b128 v[208:211], v2 offset:1056
	v_mul_f64 v[146:147], v[198:199], v[146:147]
	s_waitcnt vmcnt(15) lgkmcnt(1)
	v_mul_f64 v[214:215], v[204:205], v[54:55]
	v_fmac_f64_e32 v[214:215], v[206:207], v[52:53]
	v_add_f64 v[216:217], v[212:213], v[214:215]
	s_waitcnt vmcnt(14) lgkmcnt(0)
	v_mul_f64 v[218:219], v[208:209], v[58:59]
	ds_read_b128 v[212:215], v2 offset:1072
	v_fmac_f64_e32 v[218:219], v[210:211], v[56:57]
	v_add_f64 v[220:221], v[216:217], v[218:219]
	ds_read_b128 v[216:219], v2 offset:1088
	v_mul_f64 v[154:155], v[190:191], v[154:155]
	s_waitcnt vmcnt(13) lgkmcnt(1)
	v_mul_f64 v[222:223], v[212:213], v[62:63]
	v_fmac_f64_e32 v[222:223], v[214:215], v[60:61]
	v_add_f64 v[224:225], v[220:221], v[222:223]
	s_waitcnt vmcnt(12) lgkmcnt(0)
	v_mul_f64 v[226:227], v[216:217], v[94:95]
	ds_read_b128 v[220:223], v2 offset:1104
	v_fmac_f64_e32 v[226:227], v[218:219], v[92:93]
	v_add_f64 v[228:229], v[224:225], v[226:227]
	ds_read_b128 v[224:227], v2 offset:1120
	v_fma_f64 v[246:247], v[188:189], v[152:153], -v[154:155]
	s_waitcnt vmcnt(11) lgkmcnt(1)
	v_mul_f64 v[230:231], v[220:221], v[110:111]
	v_fmac_f64_e32 v[230:231], v[222:223], v[108:109]
	v_add_f64 v[232:233], v[228:229], v[230:231]
	s_waitcnt vmcnt(10) lgkmcnt(0)
	v_mul_f64 v[234:235], v[224:225], v[122:123]
	ds_read_b128 v[228:231], v2 offset:1136
	v_fmac_f64_e32 v[234:235], v[226:227], v[120:121]
	v_add_f64 v[236:237], v[232:233], v[234:235]
	ds_read_b128 v[232:235], v2 offset:1152
	ds_read_b128 v[152:155], v2 offset:1200
	s_waitcnt vmcnt(9) lgkmcnt(2)
	v_mul_f64 v[238:239], v[228:229], v[126:127]
	v_fmac_f64_e32 v[238:239], v[230:231], v[124:125]
	v_add_f64 v[242:243], v[236:237], v[238:239]
	s_waitcnt vmcnt(8) lgkmcnt(1)
	v_mul_f64 v[244:245], v[232:233], v[130:131]
	ds_read_b128 v[236:239], v2 offset:1168
	v_fmac_f64_e32 v[244:245], v[234:235], v[128:129]
	v_add_f64 v[242:243], v[242:243], v[244:245]
	v_fma_f64 v[244:245], v[196:197], v[144:145], -v[146:147]
	ds_read_b128 v[144:147], v2 offset:1184
	s_waitcnt vmcnt(7) lgkmcnt(1)
	v_mul_f64 v[196:197], v[236:237], v[134:135]
	v_fmac_f64_e32 v[196:197], v[238:239], v[132:133]
	v_add_f64 v[188:189], v[242:243], v[196:197]
	v_mul_f64 v[158:159], v[182:183], v[158:159]
	s_waitcnt vmcnt(6) lgkmcnt(0)
	v_mul_f64 v[190:191], v[144:145], v[138:139]
	v_fmac_f64_e32 v[190:191], v[146:147], v[136:137]
	v_add_f64 v[196:197], v[188:189], v[190:191]
	ds_read_b128 v[188:191], v2 offset:1216
	v_fma_f64 v[242:243], v[180:181], v[156:157], -v[158:159]
	ds_read_b128 v[156:159], v2 offset:1232
	s_waitcnt vmcnt(5)
	v_mul_f64 v[198:199], v[152:153], v[142:143]
	v_fmac_f64_e32 v[198:199], v[154:155], v[140:141]
	s_waitcnt vmcnt(4) lgkmcnt(1)
	v_mul_f64 v[180:181], v[188:189], v[150:151]
	v_add_f64 v[196:197], v[196:197], v[198:199]
	v_fmac_f64_e32 v[180:181], v[190:191], v[148:149]
	v_mul_f64 v[162:163], v[194:195], v[162:163]
	v_add_f64 v[198:199], v[196:197], v[180:181]
	v_fma_f64 v[196:197], v[192:193], v[160:161], -v[162:163]
	ds_read_b128 v[160:163], v2 offset:1248
	s_waitcnt vmcnt(3) lgkmcnt(1)
	v_mul_f64 v[192:193], v[156:157], v[166:167]
	ds_read_b128 v[180:183], v2 offset:1264
	v_fmac_f64_e32 v[192:193], v[158:159], v[164:165]
	v_mul_f64 v[170:171], v[186:187], v[170:171]
	v_add_f64 v[192:193], v[198:199], v[192:193]
	v_fma_f64 v[198:199], v[184:185], v[168:169], -v[170:171]
	ds_read_b128 v[168:171], v2 offset:1280
	s_waitcnt vmcnt(2) lgkmcnt(2)
	v_mul_f64 v[184:185], v[160:161], v[174:175]
	v_fmac_f64_e32 v[184:185], v[162:163], v[172:173]
	s_waitcnt vmcnt(1) lgkmcnt(1)
	v_mul_f64 v[186:187], v[180:181], v[178:179]
	v_add_f64 v[184:185], v[192:193], v[184:185]
	v_fmac_f64_e32 v[186:187], v[182:183], v[176:177]
	v_add_f64 v[184:185], v[184:185], v[186:187]
	s_waitcnt vmcnt(0) lgkmcnt(0)
	v_mul_f64 v[186:187], v[168:169], v[202:203]
	v_fmac_f64_e32 v[186:187], v[170:171], v[200:201]
	v_add_f64 v[248:249], v[184:185], v[186:187]
	scratch_load_dwordx4 v[184:187], off, off offset:656
	v_add_f64 v[244:245], v[244:245], 0
	v_add_f64 v[244:245], v[244:245], v[246:247]
	;; [unrolled: 1-line block ×3, first 2 shown]
	scratch_load_dwordx4 v[244:247], off, off offset:112
	v_add_f64 v[196:197], v[242:243], v[196:197]
	v_mul_f64 v[6:7], v[66:67], v[6:7]
	v_add_f64 v[196:197], v[196:197], v[198:199]
	v_fma_f64 v[4:5], v[64:65], v[4:5], -v[6:7]
	v_mul_f64 v[6:7], v[78:79], v[10:11]
	v_add_f64 v[4:5], v[196:197], v[4:5]
	v_fma_f64 v[6:7], v[76:77], v[8:9], -v[6:7]
	v_add_f64 v[4:5], v[4:5], v[6:7]
	v_mul_f64 v[6:7], v[74:75], v[14:15]
	v_fma_f64 v[6:7], v[72:73], v[12:13], -v[6:7]
	v_add_f64 v[4:5], v[4:5], v[6:7]
	v_mul_f64 v[6:7], v[70:71], v[18:19]
	;; [unrolled: 3-line block ×24, first 2 shown]
	ds_read_b128 v[192:195], v2 offset:1296
	v_fma_f64 v[6:7], v[160:161], v[172:173], -v[6:7]
	v_add_f64 v[4:5], v[4:5], v[6:7]
	v_mul_f64 v[6:7], v[182:183], v[178:179]
	v_fma_f64 v[6:7], v[180:181], v[176:177], -v[6:7]
	v_add_f64 v[4:5], v[4:5], v[6:7]
	v_mul_f64 v[6:7], v[170:171], v[202:203]
	v_fma_f64 v[6:7], v[168:169], v[200:201], -v[6:7]
	s_waitcnt vmcnt(1) lgkmcnt(0)
	v_mul_f64 v[2:3], v[192:193], v[186:187]
	v_add_f64 v[4:5], v[4:5], v[6:7]
	v_mul_f64 v[6:7], v[194:195], v[186:187]
	v_fmac_f64_e32 v[2:3], v[194:195], v[184:185]
	v_fma_f64 v[6:7], v[192:193], v[184:185], -v[6:7]
	v_add_f64 v[2:3], v[248:249], v[2:3]
	v_add_f64 v[4:5], v[4:5], v[6:7]
	s_waitcnt vmcnt(0)
	v_add_f64 v[4:5], v[244:245], -v[4:5]
	v_add_f64 v[6:7], v[246:247], -v[2:3]
	scratch_store_dwordx4 off, v[4:7], off offset:112
	s_and_saveexec_b64 s[0:1], vcc
	s_cbranch_execz .LBB40_249
; %bb.248:
	scratch_load_dwordx4 v[2:5], off, s20
	v_mov_b32_e32 v6, 0
	v_mov_b32_e32 v7, v6
	;; [unrolled: 1-line block ×4, first 2 shown]
	v_accvgpr_read_b32 v0, a83
	scratch_store_dwordx4 off, v[6:9], off offset:96
	s_waitcnt vmcnt(1)
	ds_write_b128 v0, v[2:5]
.LBB40_249:
	s_or_b64 exec, exec, s[0:1]
	s_waitcnt lgkmcnt(0)
	; wave barrier
	scratch_load_dwordx4 v[184:187], off, off offset:112
	scratch_load_dwordx4 v[188:191], off, off offset:128
	;; [unrolled: 1-line block ×32, first 2 shown]
	v_mov_b32_e32 v2, 0
	ds_read_b128 v[192:195], v2 offset:752
	ds_read_b128 v[204:207], v2 offset:768
	;; [unrolled: 1-line block ×16, first 2 shown]
	v_cmp_lt_u32_e32 vcc, 4, v240
	s_waitcnt vmcnt(31) lgkmcnt(14)
	v_mul_f64 v[104:105], v[192:193], v[186:187]
	s_waitcnt vmcnt(30)
	v_mul_f64 v[106:107], v[204:205], v[190:191]
	v_fmac_f64_e32 v[104:105], v[194:195], v[184:185]
	s_waitcnt vmcnt(29) lgkmcnt(13)
	v_mul_f64 v[112:113], v[216:217], v[198:199]
	v_fmac_f64_e32 v[106:107], v[206:207], v[188:189]
	v_add_f64 v[104:105], v[104:105], 0
	s_waitcnt vmcnt(28) lgkmcnt(12)
	v_mul_f64 v[114:115], v[224:225], v[202:203]
	v_fmac_f64_e32 v[112:113], v[218:219], v[196:197]
	v_add_f64 v[104:105], v[104:105], v[106:107]
	;; [unrolled: 4-line block ×10, first 2 shown]
	ds_read_b128 v[152:155], v2 offset:1008
	ds_read_b128 v[156:159], v2 offset:1024
	s_waitcnt vmcnt(19) lgkmcnt(5)
	v_mul_f64 v[164:165], v[124:125], v[26:27]
	v_fmac_f64_e32 v[162:163], v[134:135], v[20:21]
	v_add_f64 v[104:105], v[104:105], v[160:161]
	s_waitcnt vmcnt(18) lgkmcnt(4)
	v_mul_f64 v[166:167], v[120:121], v[30:31]
	v_fmac_f64_e32 v[164:165], v[126:127], v[24:25]
	v_add_f64 v[104:105], v[104:105], v[162:163]
	;; [unrolled: 4-line block ×4, first 2 shown]
	v_add_f64 v[112:113], v[104:105], v[168:169]
	v_fmac_f64_e32 v[170:171], v[110:111], v[36:37]
	scratch_load_dwordx4 v[104:107], off, off offset:624
	s_waitcnt vmcnt(16) lgkmcnt(1)
	v_mul_f64 v[114:115], v[152:153], v[42:43]
	v_add_f64 v[112:113], v[112:113], v[170:171]
	v_fmac_f64_e32 v[114:115], v[154:155], v[40:41]
	v_add_f64 v[128:129], v[112:113], v[114:115]
	scratch_load_dwordx4 v[112:115], off, off offset:640
	s_waitcnt vmcnt(16) lgkmcnt(0)
	v_mul_f64 v[130:131], v[156:157], v[46:47]
	v_fmac_f64_e32 v[130:131], v[158:159], v[44:45]
	v_add_f64 v[168:169], v[128:129], v[130:131]
	scratch_load_dwordx4 v[128:131], off, off offset:656
	ds_read_b128 v[160:163], v2 offset:1040
	ds_read_b128 v[164:167], v2 offset:1056
	v_mul_f64 v[186:187], v[194:195], v[186:187]
	v_fma_f64 v[250:251], v[192:193], v[184:185], -v[186:187]
	ds_read_b128 v[184:187], v2 offset:1136
	s_waitcnt vmcnt(16) lgkmcnt(2)
	v_mul_f64 v[170:171], v[160:161], v[50:51]
	v_fmac_f64_e32 v[170:171], v[162:163], v[48:49]
	s_waitcnt vmcnt(15) lgkmcnt(1)
	v_mul_f64 v[174:175], v[164:165], v[54:55]
	v_add_f64 v[172:173], v[168:169], v[170:171]
	ds_read_b128 v[168:171], v2 offset:1072
	v_fmac_f64_e32 v[174:175], v[166:167], v[52:53]
	v_add_f64 v[176:177], v[172:173], v[174:175]
	ds_read_b128 v[172:175], v2 offset:1088
	v_mul_f64 v[190:191], v[206:207], v[190:191]
	s_waitcnt vmcnt(14) lgkmcnt(1)
	v_mul_f64 v[178:179], v[168:169], v[58:59]
	v_fmac_f64_e32 v[178:179], v[170:171], v[56:57]
	v_add_f64 v[180:181], v[176:177], v[178:179]
	s_waitcnt vmcnt(13) lgkmcnt(0)
	v_mul_f64 v[182:183], v[172:173], v[62:63]
	ds_read_b128 v[176:179], v2 offset:1104
	v_fmac_f64_e32 v[182:183], v[174:175], v[60:61]
	v_add_f64 v[232:233], v[180:181], v[182:183]
	ds_read_b128 v[180:183], v2 offset:1120
	v_fma_f64 v[252:253], v[204:205], v[188:189], -v[190:191]
	s_waitcnt vmcnt(12) lgkmcnt(1)
	v_mul_f64 v[234:235], v[176:177], v[66:67]
	v_fmac_f64_e32 v[234:235], v[178:179], v[64:65]
	v_add_f64 v[232:233], v[232:233], v[234:235]
	s_waitcnt vmcnt(11) lgkmcnt(0)
	v_mul_f64 v[192:193], v[180:181], v[70:71]
	v_fmac_f64_e32 v[192:193], v[182:183], v[68:69]
	ds_read_b128 v[188:191], v2 offset:1152
	s_waitcnt vmcnt(10)
	v_mul_f64 v[194:195], v[184:185], v[74:75]
	v_add_f64 v[192:193], v[232:233], v[192:193]
	v_fmac_f64_e32 v[194:195], v[186:187], v[72:73]
	v_add_f64 v[204:205], v[192:193], v[194:195]
	ds_read_b128 v[192:195], v2 offset:1168
	v_mul_f64 v[198:199], v[218:219], v[198:199]
	v_fma_f64 v[254:255], v[216:217], v[196:197], -v[198:199]
	ds_read_b128 v[196:199], v2 offset:1184
	s_waitcnt vmcnt(9) lgkmcnt(2)
	v_mul_f64 v[206:207], v[188:189], v[78:79]
	v_fmac_f64_e32 v[206:207], v[190:191], v[76:77]
	v_add_f64 v[204:205], v[204:205], v[206:207]
	s_waitcnt vmcnt(8) lgkmcnt(1)
	v_mul_f64 v[206:207], v[192:193], v[82:83]
	v_fmac_f64_e32 v[206:207], v[194:195], v[80:81]
	v_mul_f64 v[202:203], v[226:227], v[202:203]
	v_add_f64 v[204:205], v[204:205], v[206:207]
	v_fma_f64 v[234:235], v[224:225], v[200:201], -v[202:203]
	ds_read_b128 v[200:203], v2 offset:1200
	s_waitcnt vmcnt(7) lgkmcnt(1)
	v_mul_f64 v[206:207], v[196:197], v[86:87]
	v_fmac_f64_e32 v[206:207], v[198:199], v[84:85]
	v_add_f64 v[216:217], v[204:205], v[206:207]
	ds_read_b128 v[204:207], v2 offset:1216
	v_mul_f64 v[210:211], v[230:231], v[210:211]
	v_fma_f64 v[236:237], v[228:229], v[208:209], -v[210:211]
	ds_read_b128 v[208:211], v2 offset:1232
	s_waitcnt vmcnt(6) lgkmcnt(2)
	v_mul_f64 v[218:219], v[200:201], v[90:91]
	v_fmac_f64_e32 v[218:219], v[202:203], v[88:89]
	v_add_f64 v[216:217], v[216:217], v[218:219]
	s_waitcnt vmcnt(5) lgkmcnt(1)
	v_mul_f64 v[218:219], v[204:205], v[94:95]
	v_fmac_f64_e32 v[218:219], v[206:207], v[92:93]
	v_mul_f64 v[214:215], v[244:245], v[214:215]
	v_fma_f64 v[238:239], v[242:243], v[212:213], -v[214:215]
	ds_read_b128 v[212:215], v2 offset:1248
	v_add_f64 v[216:217], v[216:217], v[218:219]
	s_waitcnt vmcnt(4) lgkmcnt(1)
	v_mul_f64 v[218:219], v[208:209], v[102:103]
	v_fmac_f64_e32 v[218:219], v[210:211], v[100:101]
	v_add_f64 v[224:225], v[216:217], v[218:219]
	ds_read_b128 v[216:219], v2 offset:1264
	v_mul_f64 v[222:223], v[248:249], v[222:223]
	v_fma_f64 v[242:243], v[246:247], v[220:221], -v[222:223]
	ds_read_b128 v[220:223], v2 offset:1280
	s_waitcnt vmcnt(3) lgkmcnt(2)
	v_mul_f64 v[226:227], v[212:213], v[98:99]
	v_fmac_f64_e32 v[226:227], v[214:215], v[96:97]
	v_add_f64 v[224:225], v[224:225], v[226:227]
	s_waitcnt vmcnt(2) lgkmcnt(1)
	v_mul_f64 v[226:227], v[216:217], v[106:107]
	v_fmac_f64_e32 v[226:227], v[218:219], v[104:105]
	v_add_f64 v[224:225], v[224:225], v[226:227]
	;; [unrolled: 4-line block ×3, first 2 shown]
	ds_read_b128 v[224:227], v2 offset:1296
	v_mul_f64 v[6:7], v[150:151], v[6:7]
	v_fma_f64 v[4:5], v[148:149], v[4:5], -v[6:7]
	v_mul_f64 v[6:7], v[146:147], v[10:11]
	v_fma_f64 v[6:7], v[144:145], v[8:9], -v[6:7]
	s_waitcnt vmcnt(0) lgkmcnt(0)
	v_mul_f64 v[230:231], v[224:225], v[130:131]
	v_fmac_f64_e32 v[230:231], v[226:227], v[128:129]
	v_add_f64 v[232:233], v[228:229], v[230:231]
	v_add_f64 v[228:229], v[250:251], 0
	;; [unrolled: 1-line block ×4, first 2 shown]
	scratch_load_dwordx4 v[228:231], off, off offset:96
	v_add_f64 v[234:235], v[244:245], v[234:235]
	v_add_f64 v[234:235], v[234:235], v[236:237]
	;; [unrolled: 1-line block ×6, first 2 shown]
	v_mul_f64 v[6:7], v[142:143], v[14:15]
	v_fma_f64 v[6:7], v[140:141], v[12:13], -v[6:7]
	v_add_f64 v[4:5], v[4:5], v[6:7]
	v_mul_f64 v[6:7], v[138:139], v[18:19]
	v_fma_f64 v[6:7], v[136:137], v[16:17], -v[6:7]
	v_add_f64 v[4:5], v[4:5], v[6:7]
	;; [unrolled: 3-line block ×26, first 2 shown]
	s_waitcnt vmcnt(0)
	v_add_f64 v[4:5], v[228:229], -v[4:5]
	v_add_f64 v[6:7], v[230:231], -v[232:233]
	scratch_store_dwordx4 off, v[4:7], off offset:96
	s_and_saveexec_b64 s[0:1], vcc
	s_cbranch_execz .LBB40_251
; %bb.250:
	scratch_load_dwordx4 v[6:9], off, s14
	v_mov_b32_e32 v3, v2
	v_mov_b32_e32 v4, v2
	v_mov_b32_e32 v5, v2
	v_accvgpr_read_b32 v0, a83
	scratch_store_dwordx4 off, v[2:5], off offset:80
	s_waitcnt vmcnt(1)
	ds_write_b128 v0, v[6:9]
.LBB40_251:
	s_or_b64 exec, exec, s[0:1]
	s_waitcnt lgkmcnt(0)
	; wave barrier
	scratch_load_dwordx4 v[140:143], off, off offset:96
	scratch_load_dwordx4 v[144:147], off, off offset:112
	scratch_load_dwordx4 v[148:151], off, off offset:128
	scratch_load_dwordx4 v[152:155], off, off offset:144
	scratch_load_dwordx4 v[156:159], off, off offset:160
	scratch_load_dwordx4 v[160:163], off, off offset:176
	scratch_load_dwordx4 v[164:167], off, off offset:192
	scratch_load_dwordx4 v[4:7], off, off offset:208
	scratch_load_dwordx4 v[8:11], off, off offset:224
	scratch_load_dwordx4 v[12:15], off, off offset:240
	scratch_load_dwordx4 v[16:19], off, off offset:256
	scratch_load_dwordx4 v[20:23], off, off offset:272
	scratch_load_dwordx4 v[24:27], off, off offset:288
	scratch_load_dwordx4 v[28:31], off, off offset:304
	scratch_load_dwordx4 v[32:35], off, off offset:320
	scratch_load_dwordx4 v[36:39], off, off offset:336
	ds_read_b128 v[208:211], v2 offset:736
	ds_read_b128 v[200:203], v2 offset:752
	;; [unrolled: 1-line block ×3, first 2 shown]
	scratch_load_dwordx4 v[40:43], off, off offset:352
	ds_read_b128 v[204:207], v2 offset:784
	ds_read_b128 v[192:195], v2 offset:800
	;; [unrolled: 1-line block ×3, first 2 shown]
	scratch_load_dwordx4 v[44:47], off, off offset:368
	ds_read_b128 v[196:199], v2 offset:832
	ds_read_b128 v[64:67], v2 offset:848
	;; [unrolled: 1-line block ×4, first 2 shown]
	scratch_load_dwordx4 v[48:51], off, off offset:384
	ds_read_b128 v[72:75], v2 offset:896
	ds_read_b128 v[68:71], v2 offset:912
	scratch_load_dwordx4 v[56:59], off, off offset:400
	ds_read_b128 v[92:95], v2 offset:928
	ds_read_b128 v[88:91], v2 offset:944
	;; [unrolled: 1-line block ×4, first 2 shown]
	scratch_load_dwordx4 v[76:79], off, off offset:416
	scratch_load_dwordx4 v[96:99], off, off offset:432
	;; [unrolled: 1-line block ×12, first 2 shown]
	ds_read_b128 v[168:171], v2 offset:992
	v_accvgpr_write_b32 a82, v240
	v_cmp_lt_u32_e32 vcc, 3, v240
	s_waitcnt vmcnt(31) lgkmcnt(14)
	v_mul_f64 v[172:173], v[208:209], v[142:143]
	s_waitcnt vmcnt(30)
	v_mul_f64 v[174:175], v[200:201], v[146:147]
	v_fmac_f64_e32 v[172:173], v[210:211], v[140:141]
	s_waitcnt vmcnt(29)
	v_mul_f64 v[176:177], v[188:189], v[150:151]
	v_fmac_f64_e32 v[174:175], v[202:203], v[144:145]
	v_add_f64 v[172:173], v[172:173], 0
	s_waitcnt vmcnt(28) lgkmcnt(13)
	v_mul_f64 v[178:179], v[204:205], v[154:155]
	v_fmac_f64_e32 v[176:177], v[190:191], v[148:149]
	v_add_f64 v[172:173], v[172:173], v[174:175]
	s_waitcnt vmcnt(27) lgkmcnt(12)
	;; [unrolled: 4-line block ×10, first 2 shown]
	v_mul_f64 v[224:225], v[92:93], v[26:27]
	v_fmac_f64_e32 v[222:223], v[70:71], v[20:21]
	v_add_f64 v[172:173], v[172:173], v[220:221]
	ds_read_b128 v[212:215], v2 offset:1008
	s_waitcnt vmcnt(18) lgkmcnt(4)
	v_mul_f64 v[226:227], v[88:89], v[30:31]
	v_fmac_f64_e32 v[224:225], v[94:95], v[24:25]
	v_add_f64 v[172:173], v[172:173], v[222:223]
	ds_read_b128 v[216:219], v2 offset:1024
	ds_read_b128 v[220:223], v2 offset:1040
	s_waitcnt vmcnt(17) lgkmcnt(5)
	v_mul_f64 v[228:229], v[84:85], v[34:35]
	v_fmac_f64_e32 v[226:227], v[90:91], v[28:29]
	v_add_f64 v[172:173], v[172:173], v[224:225]
	s_waitcnt vmcnt(16) lgkmcnt(4)
	v_mul_f64 v[230:231], v[80:81], v[38:39]
	v_fmac_f64_e32 v[228:229], v[86:87], v[32:33]
	v_add_f64 v[172:173], v[172:173], v[226:227]
	v_add_f64 v[176:177], v[172:173], v[228:229]
	v_fmac_f64_e32 v[230:231], v[82:83], v[36:37]
	s_waitcnt vmcnt(15) lgkmcnt(3)
	v_mul_f64 v[178:179], v[168:169], v[42:43]
	v_add_f64 v[176:177], v[176:177], v[230:231]
	v_fmac_f64_e32 v[178:179], v[170:171], v[40:41]
	s_waitcnt vmcnt(14) lgkmcnt(2)
	v_mul_f64 v[182:183], v[212:213], v[46:47]
	v_add_f64 v[180:181], v[176:177], v[178:179]
	v_fmac_f64_e32 v[182:183], v[214:215], v[44:45]
	s_waitcnt vmcnt(13) lgkmcnt(1)
	v_mul_f64 v[226:227], v[216:217], v[50:51]
	v_add_f64 v[224:225], v[180:181], v[182:183]
	v_fmac_f64_e32 v[226:227], v[218:219], v[48:49]
	v_add_f64 v[228:229], v[224:225], v[226:227]
	ds_read_b128 v[224:227], v2 offset:1056
	s_waitcnt vmcnt(12) lgkmcnt(1)
	v_mul_f64 v[230:231], v[220:221], v[58:59]
	v_fmac_f64_e32 v[230:231], v[222:223], v[56:57]
	v_add_f64 v[232:233], v[228:229], v[230:231]
	ds_read_b128 v[228:231], v2 offset:1072
	s_waitcnt vmcnt(11) lgkmcnt(1)
	v_mul_f64 v[234:235], v[224:225], v[78:79]
	;; [unrolled: 5-line block ×4, first 2 shown]
	v_fmac_f64_e32 v[244:245], v[234:235], v[100:101]
	v_mul_f64 v[142:143], v[210:211], v[142:143]
	v_add_f64 v[242:243], v[242:243], v[244:245]
	v_fma_f64 v[244:245], v[208:209], v[140:141], -v[142:143]
	ds_read_b128 v[140:143], v2 offset:1120
	s_waitcnt vmcnt(8) lgkmcnt(1)
	v_mul_f64 v[208:209], v[236:237], v[106:107]
	v_fmac_f64_e32 v[208:209], v[238:239], v[104:105]
	v_mul_f64 v[146:147], v[202:203], v[146:147]
	v_add_f64 v[208:209], v[242:243], v[208:209]
	v_fma_f64 v[242:243], v[200:201], v[144:145], -v[146:147]
	ds_read_b128 v[144:147], v2 offset:1136
	s_waitcnt vmcnt(7) lgkmcnt(1)
	v_mul_f64 v[200:201], v[140:141], v[110:111]
	scratch_load_dwordx4 v[172:175], off, off offset:608
	v_fmac_f64_e32 v[200:201], v[142:143], v[108:109]
	v_add_f64 v[208:209], v[208:209], v[200:201]
	ds_read_b128 v[200:203], v2 offset:1152
	v_mul_f64 v[150:151], v[190:191], v[150:151]
	scratch_load_dwordx4 v[176:179], off, off offset:624
	scratch_load_dwordx4 v[180:183], off, off offset:640
	v_fma_f64 v[246:247], v[188:189], v[148:149], -v[150:151]
	ds_read_b128 v[148:151], v2 offset:1168
	s_waitcnt vmcnt(9) lgkmcnt(2)
	v_mul_f64 v[210:211], v[144:145], v[114:115]
	v_fmac_f64_e32 v[210:211], v[146:147], v[112:113]
	s_waitcnt vmcnt(8) lgkmcnt(1)
	v_mul_f64 v[188:189], v[200:201], v[118:119]
	v_add_f64 v[208:209], v[208:209], v[210:211]
	v_fmac_f64_e32 v[188:189], v[202:203], v[116:117]
	v_mul_f64 v[154:155], v[206:207], v[154:155]
	s_waitcnt vmcnt(7) lgkmcnt(0)
	v_mul_f64 v[190:191], v[148:149], v[122:123]
	v_add_f64 v[188:189], v[208:209], v[188:189]
	v_fma_f64 v[248:249], v[204:205], v[152:153], -v[154:155]
	ds_read_b128 v[152:155], v2 offset:1184
	v_fmac_f64_e32 v[190:191], v[150:151], v[120:121]
	v_add_f64 v[204:205], v[188:189], v[190:191]
	ds_read_b128 v[188:191], v2 offset:1200
	v_mul_f64 v[158:159], v[194:195], v[158:159]
	s_waitcnt vmcnt(6) lgkmcnt(1)
	v_mul_f64 v[206:207], v[152:153], v[126:127]
	v_fmac_f64_e32 v[206:207], v[154:155], v[124:125]
	v_fma_f64 v[250:251], v[192:193], v[156:157], -v[158:159]
	s_waitcnt vmcnt(5) lgkmcnt(0)
	v_mul_f64 v[192:193], v[188:189], v[130:131]
	v_add_f64 v[204:205], v[204:205], v[206:207]
	v_fmac_f64_e32 v[192:193], v[190:191], v[128:129]
	v_mul_f64 v[162:163], v[186:187], v[162:163]
	v_fma_f64 v[208:209], v[184:185], v[160:161], -v[162:163]
	v_add_f64 v[184:185], v[204:205], v[192:193]
	scratch_load_dwordx4 v[204:207], off, off offset:656
	v_add_f64 v[244:245], v[244:245], 0
	v_add_f64 v[242:243], v[244:245], v[242:243]
	;; [unrolled: 1-line block ×3, first 2 shown]
	scratch_load_dwordx4 v[244:247], off, off offset:80
	v_add_f64 v[242:243], v[242:243], v[248:249]
	v_mul_f64 v[166:167], v[198:199], v[166:167]
	v_add_f64 v[242:243], v[242:243], v[250:251]
	v_fma_f64 v[210:211], v[196:197], v[164:165], -v[166:167]
	v_add_f64 v[208:209], v[242:243], v[208:209]
	v_mul_f64 v[6:7], v[66:67], v[6:7]
	v_add_f64 v[208:209], v[208:209], v[210:211]
	v_fma_f64 v[4:5], v[64:65], v[4:5], -v[6:7]
	v_mul_f64 v[6:7], v[62:63], v[10:11]
	v_add_f64 v[4:5], v[208:209], v[4:5]
	v_fma_f64 v[6:7], v[60:61], v[8:9], -v[6:7]
	v_add_f64 v[4:5], v[4:5], v[6:7]
	v_mul_f64 v[6:7], v[54:55], v[14:15]
	v_fma_f64 v[6:7], v[52:53], v[12:13], -v[6:7]
	v_add_f64 v[4:5], v[4:5], v[6:7]
	v_mul_f64 v[6:7], v[74:75], v[18:19]
	;; [unrolled: 3-line block ×12, first 2 shown]
	v_fma_f64 v[6:7], v[224:225], v[76:77], -v[6:7]
	ds_read_b128 v[156:159], v2 offset:1216
	ds_read_b128 v[160:163], v2 offset:1232
	v_add_f64 v[4:5], v[4:5], v[6:7]
	v_mul_f64 v[6:7], v[230:231], v[98:99]
	v_fma_f64 v[6:7], v[228:229], v[96:97], -v[6:7]
	v_add_f64 v[4:5], v[4:5], v[6:7]
	v_mul_f64 v[6:7], v[234:235], v[102:103]
	v_fma_f64 v[6:7], v[232:233], v[100:101], -v[6:7]
	v_add_f64 v[4:5], v[4:5], v[6:7]
	v_mul_f64 v[6:7], v[238:239], v[106:107]
	s_waitcnt vmcnt(6) lgkmcnt(1)
	v_mul_f64 v[186:187], v[156:157], v[138:139]
	v_fma_f64 v[6:7], v[236:237], v[104:105], -v[6:7]
	v_fmac_f64_e32 v[186:187], v[158:159], v[136:137]
	v_add_f64 v[4:5], v[4:5], v[6:7]
	v_mul_f64 v[6:7], v[142:143], v[110:111]
	v_add_f64 v[192:193], v[184:185], v[186:187]
	ds_read_b128 v[184:187], v2 offset:1248
	ds_read_b128 v[164:167], v2 offset:1264
	v_fma_f64 v[6:7], v[140:141], v[108:109], -v[6:7]
	v_add_f64 v[4:5], v[4:5], v[6:7]
	v_mul_f64 v[6:7], v[146:147], v[114:115]
	v_fma_f64 v[6:7], v[144:145], v[112:113], -v[6:7]
	s_waitcnt vmcnt(5) lgkmcnt(2)
	v_mul_f64 v[194:195], v[160:161], v[134:135]
	v_add_f64 v[4:5], v[4:5], v[6:7]
	v_mul_f64 v[6:7], v[202:203], v[118:119]
	v_fmac_f64_e32 v[194:195], v[162:163], v[132:133]
	v_fma_f64 v[6:7], v[200:201], v[116:117], -v[6:7]
	v_add_f64 v[192:193], v[192:193], v[194:195]
	s_waitcnt vmcnt(4) lgkmcnt(1)
	v_mul_f64 v[194:195], v[184:185], v[174:175]
	v_add_f64 v[4:5], v[4:5], v[6:7]
	v_mul_f64 v[6:7], v[150:151], v[122:123]
	v_fmac_f64_e32 v[194:195], v[186:187], v[172:173]
	v_fma_f64 v[6:7], v[148:149], v[120:121], -v[6:7]
	v_add_f64 v[192:193], v[192:193], v[194:195]
	;; [unrolled: 7-line block ×3, first 2 shown]
	ds_read_b128 v[192:195], v2 offset:1280
	v_add_f64 v[4:5], v[4:5], v[6:7]
	v_mul_f64 v[6:7], v[190:191], v[130:131]
	v_fma_f64 v[6:7], v[188:189], v[128:129], -v[6:7]
	v_add_f64 v[4:5], v[4:5], v[6:7]
	v_mul_f64 v[6:7], v[158:159], v[138:139]
	v_fma_f64 v[6:7], v[156:157], v[136:137], -v[6:7]
	v_add_f64 v[4:5], v[4:5], v[6:7]
	v_mul_f64 v[6:7], v[162:163], v[134:135]
	s_waitcnt vmcnt(2) lgkmcnt(0)
	v_mul_f64 v[198:199], v[192:193], v[182:183]
	v_fma_f64 v[6:7], v[160:161], v[132:133], -v[6:7]
	v_fmac_f64_e32 v[198:199], v[194:195], v[180:181]
	v_add_f64 v[4:5], v[4:5], v[6:7]
	v_mul_f64 v[6:7], v[186:187], v[174:175]
	v_add_f64 v[252:253], v[196:197], v[198:199]
	ds_read_b128 v[196:199], v2 offset:1296
	v_fma_f64 v[6:7], v[184:185], v[172:173], -v[6:7]
	v_add_f64 v[4:5], v[4:5], v[6:7]
	v_mul_f64 v[6:7], v[166:167], v[178:179]
	v_fma_f64 v[6:7], v[164:165], v[176:177], -v[6:7]
	v_add_f64 v[4:5], v[4:5], v[6:7]
	v_mul_f64 v[6:7], v[194:195], v[182:183]
	v_fma_f64 v[6:7], v[192:193], v[180:181], -v[6:7]
	s_waitcnt vmcnt(1) lgkmcnt(0)
	v_mul_f64 v[2:3], v[196:197], v[206:207]
	v_add_f64 v[4:5], v[4:5], v[6:7]
	v_mul_f64 v[6:7], v[198:199], v[206:207]
	v_fmac_f64_e32 v[2:3], v[198:199], v[204:205]
	v_fma_f64 v[6:7], v[196:197], v[204:205], -v[6:7]
	v_add_f64 v[2:3], v[252:253], v[2:3]
	v_add_f64 v[4:5], v[4:5], v[6:7]
	s_waitcnt vmcnt(0)
	v_add_f64 v[4:5], v[244:245], -v[4:5]
	v_add_f64 v[6:7], v[246:247], -v[2:3]
	scratch_store_dwordx4 off, v[4:7], off offset:80
	s_and_saveexec_b64 s[0:1], vcc
	s_cbranch_execz .LBB40_253
; %bb.252:
	scratch_load_dwordx4 v[2:5], off, s13
	v_mov_b32_e32 v6, 0
	v_mov_b32_e32 v7, v6
	;; [unrolled: 1-line block ×4, first 2 shown]
	v_accvgpr_read_b32 v0, a83
	scratch_store_dwordx4 off, v[6:9], off offset:64
	s_waitcnt vmcnt(1)
	ds_write_b128 v0, v[2:5]
.LBB40_253:
	s_or_b64 exec, exec, s[0:1]
	s_waitcnt lgkmcnt(0)
	; wave barrier
	scratch_load_dwordx4 v[168:171], off, off offset:80
	scratch_load_dwordx4 v[172:175], off, off offset:96
	;; [unrolled: 1-line block ×32, first 2 shown]
	v_mov_b32_e32 v2, 0
	ds_read_b128 v[176:179], v2 offset:720
	ds_read_b128 v[188:191], v2 offset:736
	;; [unrolled: 1-line block ×17, first 2 shown]
	v_accvgpr_read_b32 v0, a82
	v_cmp_lt_u32_e32 vcc, 2, v0
	s_waitcnt vmcnt(31) lgkmcnt(14)
	v_mul_f64 v[104:105], v[176:177], v[170:171]
	s_waitcnt vmcnt(30)
	v_mul_f64 v[106:107], v[188:189], v[174:175]
	v_fmac_f64_e32 v[104:105], v[178:179], v[168:169]
	s_waitcnt vmcnt(29)
	v_mul_f64 v[108:109], v[200:201], v[182:183]
	v_fmac_f64_e32 v[106:107], v[190:191], v[172:173]
	v_add_f64 v[104:105], v[104:105], 0
	s_waitcnt vmcnt(28) lgkmcnt(13)
	v_mul_f64 v[110:111], v[212:213], v[186:187]
	v_fmac_f64_e32 v[108:109], v[202:203], v[180:181]
	v_add_f64 v[104:105], v[104:105], v[106:107]
	s_waitcnt vmcnt(27) lgkmcnt(12)
	;; [unrolled: 4-line block ×12, first 2 shown]
	v_mul_f64 v[156:157], v[112:113], v[26:27]
	v_fmac_f64_e32 v[154:155], v[118:119], v[20:21]
	v_add_f64 v[104:105], v[104:105], v[152:153]
	v_fmac_f64_e32 v[156:157], v[114:115], v[24:25]
	v_add_f64 v[104:105], v[104:105], v[154:155]
	s_waitcnt vmcnt(16) lgkmcnt(1)
	v_mul_f64 v[106:107], v[100:101], v[30:31]
	v_add_f64 v[104:105], v[104:105], v[156:157]
	v_fmac_f64_e32 v[106:107], v[102:103], v[28:29]
	v_add_f64 v[108:109], v[104:105], v[106:107]
	ds_read_b128 v[144:147], v2 offset:992
	ds_read_b128 v[148:151], v2 offset:1008
	scratch_load_dwordx4 v[104:107], off, off offset:592
	s_waitcnt vmcnt(16) lgkmcnt(2)
	v_mul_f64 v[110:111], v[96:97], v[34:35]
	v_fmac_f64_e32 v[110:111], v[98:99], v[32:33]
	v_add_f64 v[120:121], v[108:109], v[110:111]
	scratch_load_dwordx4 v[108:111], off, off offset:608
	s_waitcnt vmcnt(16) lgkmcnt(1)
	v_mul_f64 v[122:123], v[144:145], v[38:39]
	v_fmac_f64_e32 v[122:123], v[146:147], v[36:37]
	v_add_f64 v[132:133], v[120:121], v[122:123]
	s_waitcnt vmcnt(15) lgkmcnt(0)
	v_mul_f64 v[134:135], v[148:149], v[42:43]
	scratch_load_dwordx4 v[120:123], off, off offset:624
	v_fmac_f64_e32 v[134:135], v[150:151], v[40:41]
	v_add_f64 v[160:161], v[132:133], v[134:135]
	scratch_load_dwordx4 v[132:135], off, off offset:640
	ds_read_b128 v[152:155], v2 offset:1024
	ds_read_b128 v[156:159], v2 offset:1040
	v_mul_f64 v[170:171], v[178:179], v[170:171]
	v_fma_f64 v[250:251], v[176:177], v[168:169], -v[170:171]
	ds_read_b128 v[168:171], v2 offset:1088
	s_waitcnt vmcnt(16) lgkmcnt(2)
	v_mul_f64 v[162:163], v[152:153], v[46:47]
	v_fmac_f64_e32 v[162:163], v[154:155], v[44:45]
	s_waitcnt vmcnt(15) lgkmcnt(1)
	v_mul_f64 v[166:167], v[156:157], v[50:51]
	v_add_f64 v[164:165], v[160:161], v[162:163]
	ds_read_b128 v[160:163], v2 offset:1056
	v_fmac_f64_e32 v[166:167], v[158:159], v[48:49]
	v_add_f64 v[232:233], v[164:165], v[166:167]
	ds_read_b128 v[164:167], v2 offset:1072
	v_mul_f64 v[174:175], v[190:191], v[174:175]
	s_waitcnt vmcnt(14) lgkmcnt(1)
	v_mul_f64 v[234:235], v[160:161], v[54:55]
	v_fmac_f64_e32 v[234:235], v[162:163], v[52:53]
	v_add_f64 v[232:233], v[232:233], v[234:235]
	s_waitcnt vmcnt(13) lgkmcnt(0)
	v_mul_f64 v[176:177], v[164:165], v[58:59]
	v_fmac_f64_e32 v[176:177], v[166:167], v[56:57]
	v_fma_f64 v[252:253], v[188:189], v[172:173], -v[174:175]
	ds_read_b128 v[172:175], v2 offset:1104
	s_waitcnt vmcnt(12)
	v_mul_f64 v[178:179], v[168:169], v[62:63]
	v_add_f64 v[176:177], v[232:233], v[176:177]
	v_fmac_f64_e32 v[178:179], v[170:171], v[60:61]
	v_add_f64 v[188:189], v[176:177], v[178:179]
	ds_read_b128 v[176:179], v2 offset:1120
	v_mul_f64 v[182:183], v[202:203], v[182:183]
	v_fma_f64 v[254:255], v[200:201], v[180:181], -v[182:183]
	ds_read_b128 v[180:183], v2 offset:1136
	s_waitcnt vmcnt(11) lgkmcnt(2)
	v_mul_f64 v[190:191], v[172:173], v[66:67]
	v_fmac_f64_e32 v[190:191], v[174:175], v[64:65]
	v_add_f64 v[188:189], v[188:189], v[190:191]
	s_waitcnt vmcnt(10) lgkmcnt(1)
	v_mul_f64 v[190:191], v[176:177], v[70:71]
	v_fmac_f64_e32 v[190:191], v[178:179], v[68:69]
	v_mul_f64 v[186:187], v[214:215], v[186:187]
	v_fma_f64 v[240:241], v[212:213], v[184:185], -v[186:187]
	ds_read_b128 v[184:187], v2 offset:1152
	v_add_f64 v[188:189], v[188:189], v[190:191]
	s_waitcnt vmcnt(9) lgkmcnt(1)
	v_mul_f64 v[190:191], v[180:181], v[74:75]
	v_fmac_f64_e32 v[190:191], v[182:183], v[72:73]
	v_add_f64 v[200:201], v[188:189], v[190:191]
	ds_read_b128 v[188:191], v2 offset:1168
	v_mul_f64 v[194:195], v[222:223], v[194:195]
	v_fma_f64 v[232:233], v[220:221], v[192:193], -v[194:195]
	ds_read_b128 v[192:195], v2 offset:1184
	s_waitcnt vmcnt(8) lgkmcnt(2)
	v_mul_f64 v[202:203], v[184:185], v[78:79]
	v_fmac_f64_e32 v[202:203], v[186:187], v[76:77]
	v_add_f64 v[200:201], v[200:201], v[202:203]
	s_waitcnt vmcnt(7) lgkmcnt(1)
	v_mul_f64 v[202:203], v[188:189], v[82:83]
	v_fmac_f64_e32 v[202:203], v[190:191], v[80:81]
	v_mul_f64 v[198:199], v[226:227], v[198:199]
	v_add_f64 v[200:201], v[200:201], v[202:203]
	v_fma_f64 v[234:235], v[224:225], v[196:197], -v[198:199]
	ds_read_b128 v[196:199], v2 offset:1200
	s_waitcnt vmcnt(6) lgkmcnt(1)
	v_mul_f64 v[202:203], v[192:193], v[86:87]
	v_fmac_f64_e32 v[202:203], v[194:195], v[84:85]
	v_add_f64 v[212:213], v[200:201], v[202:203]
	ds_read_b128 v[200:203], v2 offset:1216
	v_mul_f64 v[206:207], v[230:231], v[206:207]
	v_fma_f64 v[236:237], v[228:229], v[204:205], -v[206:207]
	ds_read_b128 v[204:207], v2 offset:1232
	s_waitcnt vmcnt(5) lgkmcnt(2)
	v_mul_f64 v[214:215], v[196:197], v[94:95]
	v_fmac_f64_e32 v[214:215], v[198:199], v[92:93]
	v_add_f64 v[212:213], v[212:213], v[214:215]
	s_waitcnt vmcnt(4) lgkmcnt(1)
	v_mul_f64 v[214:215], v[200:201], v[90:91]
	v_fmac_f64_e32 v[214:215], v[202:203], v[88:89]
	v_mul_f64 v[210:211], v[244:245], v[210:211]
	v_fma_f64 v[238:239], v[242:243], v[208:209], -v[210:211]
	ds_read_b128 v[208:211], v2 offset:1248
	v_add_f64 v[212:213], v[212:213], v[214:215]
	s_waitcnt vmcnt(3) lgkmcnt(1)
	v_mul_f64 v[214:215], v[204:205], v[106:107]
	v_fmac_f64_e32 v[214:215], v[206:207], v[104:105]
	v_add_f64 v[220:221], v[212:213], v[214:215]
	ds_read_b128 v[212:215], v2 offset:1264
	v_mul_f64 v[218:219], v[248:249], v[218:219]
	v_fma_f64 v[242:243], v[246:247], v[216:217], -v[218:219]
	ds_read_b128 v[216:219], v2 offset:1280
	ds_read_b128 v[224:227], v2 offset:1296
	s_waitcnt vmcnt(2) lgkmcnt(3)
	v_mul_f64 v[222:223], v[208:209], v[110:111]
	v_fmac_f64_e32 v[222:223], v[210:211], v[108:109]
	v_add_f64 v[220:221], v[220:221], v[222:223]
	s_waitcnt vmcnt(1) lgkmcnt(2)
	v_mul_f64 v[222:223], v[212:213], v[122:123]
	v_fmac_f64_e32 v[222:223], v[214:215], v[120:121]
	v_add_f64 v[220:221], v[220:221], v[222:223]
	s_waitcnt vmcnt(0) lgkmcnt(1)
	v_mul_f64 v[222:223], v[216:217], v[134:135]
	v_fmac_f64_e32 v[222:223], v[218:219], v[132:133]
	v_add_f64 v[228:229], v[220:221], v[222:223]
	scratch_load_dwordx4 v[220:223], off, off offset:656
	v_mul_f64 v[6:7], v[142:143], v[6:7]
	v_fma_f64 v[4:5], v[140:141], v[4:5], -v[6:7]
	v_mul_f64 v[6:7], v[138:139], v[10:11]
	v_fma_f64 v[6:7], v[136:137], v[8:9], -v[6:7]
	s_waitcnt vmcnt(0) lgkmcnt(0)
	v_mul_f64 v[230:231], v[224:225], v[222:223]
	v_fmac_f64_e32 v[230:231], v[226:227], v[220:221]
	v_add_f64 v[246:247], v[228:229], v[230:231]
	v_add_f64 v[228:229], v[250:251], 0
	;; [unrolled: 1-line block ×6, first 2 shown]
	scratch_load_dwordx4 v[228:231], off, off offset:64
	v_add_f64 v[232:233], v[244:245], v[234:235]
	v_add_f64 v[232:233], v[232:233], v[236:237]
	;; [unrolled: 1-line block ×6, first 2 shown]
	v_mul_f64 v[6:7], v[130:131], v[14:15]
	v_fma_f64 v[6:7], v[128:129], v[12:13], -v[6:7]
	v_add_f64 v[4:5], v[4:5], v[6:7]
	v_mul_f64 v[6:7], v[126:127], v[18:19]
	v_fma_f64 v[6:7], v[124:125], v[16:17], -v[6:7]
	v_add_f64 v[4:5], v[4:5], v[6:7]
	;; [unrolled: 3-line block ×26, first 2 shown]
	s_waitcnt vmcnt(0)
	v_add_f64 v[4:5], v[228:229], -v[4:5]
	v_add_f64 v[6:7], v[230:231], -v[246:247]
	scratch_store_dwordx4 off, v[4:7], off offset:64
	s_and_saveexec_b64 s[0:1], vcc
	s_cbranch_execz .LBB40_255
; %bb.254:
	scratch_load_dwordx4 v[6:9], off, s12
	v_mov_b32_e32 v3, v2
	v_mov_b32_e32 v4, v2
	;; [unrolled: 1-line block ×3, first 2 shown]
	v_accvgpr_read_b32 v0, a83
	scratch_store_dwordx4 off, v[2:5], off offset:48
	s_waitcnt vmcnt(1)
	ds_write_b128 v0, v[6:9]
.LBB40_255:
	s_or_b64 exec, exec, s[0:1]
	s_waitcnt lgkmcnt(0)
	; wave barrier
	scratch_load_dwordx4 v[168:171], off, off offset:64
	scratch_load_dwordx4 v[172:175], off, off offset:80
	;; [unrolled: 1-line block ×16, first 2 shown]
	ds_read_b128 v[232:235], v2 offset:704
	ds_read_b128 v[176:179], v2 offset:720
	scratch_load_dwordx4 v[32:35], off, off offset:320
	ds_read_b128 v[236:239], v2 offset:736
	ds_read_b128 v[188:191], v2 offset:752
	ds_read_b128 v[228:231], v2 offset:768
	ds_read_b128 v[200:203], v2 offset:784
	ds_read_b128 v[212:215], v2 offset:800
	scratch_load_dwordx4 v[36:39], off, off offset:336
	ds_read_b128 v[224:227], v2 offset:816
	ds_read_b128 v[220:223], v2 offset:832
	;; [unrolled: 1-line block ×3, first 2 shown]
	scratch_load_dwordx4 v[40:43], off, off offset:352
	ds_read_b128 v[64:67], v2 offset:864
	ds_read_b128 v[60:63], v2 offset:880
	;; [unrolled: 1-line block ×4, first 2 shown]
	scratch_load_dwordx4 v[48:51], off, off offset:368
	ds_read_b128 v[80:83], v2 offset:928
	ds_read_b128 v[72:75], v2 offset:944
	;; [unrolled: 1-line block ×3, first 2 shown]
	scratch_load_dwordx4 v[76:79], off, off offset:384
	scratch_load_dwordx4 v[84:87], off, off offset:400
	;; [unrolled: 1-line block ×12, first 2 shown]
	v_accvgpr_read_b32 v0, a82
	v_cmp_lt_u32_e32 vcc, 1, v0
	s_waitcnt vmcnt(31) lgkmcnt(14)
	v_mul_f64 v[128:129], v[232:233], v[170:171]
	s_waitcnt vmcnt(30)
	v_mul_f64 v[130:131], v[176:177], v[174:175]
	v_fmac_f64_e32 v[128:129], v[234:235], v[168:169]
	s_waitcnt vmcnt(29)
	v_mul_f64 v[132:133], v[236:237], v[182:183]
	v_fmac_f64_e32 v[130:131], v[178:179], v[172:173]
	v_add_f64 v[128:129], v[128:129], 0
	s_waitcnt vmcnt(28) lgkmcnt(13)
	v_mul_f64 v[134:135], v[188:189], v[186:187]
	v_fmac_f64_e32 v[132:133], v[238:239], v[180:181]
	v_add_f64 v[128:129], v[128:129], v[130:131]
	s_waitcnt vmcnt(27) lgkmcnt(12)
	;; [unrolled: 4-line block ×13, first 2 shown]
	v_mul_f64 v[158:159], v[72:73], v[30:31]
	v_fmac_f64_e32 v[156:157], v[82:83], v[24:25]
	v_add_f64 v[128:129], v[128:129], v[154:155]
	v_add_f64 v[128:129], v[128:129], v[156:157]
	v_fmac_f64_e32 v[158:159], v[74:75], v[28:29]
	v_add_f64 v[132:133], v[128:129], v[158:159]
	ds_read_b128 v[144:147], v2 offset:976
	ds_read_b128 v[148:151], v2 offset:992
	scratch_load_dwordx4 v[128:131], off, off offset:576
	s_waitcnt vmcnt(16) lgkmcnt(2)
	v_mul_f64 v[134:135], v[68:69], v[34:35]
	v_fmac_f64_e32 v[134:135], v[70:71], v[32:33]
	s_waitcnt vmcnt(15) lgkmcnt(1)
	v_mul_f64 v[138:139], v[144:145], v[38:39]
	v_add_f64 v[136:137], v[132:133], v[134:135]
	scratch_load_dwordx4 v[132:135], off, off offset:592
	v_fmac_f64_e32 v[138:139], v[146:147], v[36:37]
	v_add_f64 v[140:141], v[136:137], v[138:139]
	s_waitcnt vmcnt(15) lgkmcnt(0)
	v_mul_f64 v[142:143], v[148:149], v[42:43]
	scratch_load_dwordx4 v[136:139], off, off offset:608
	v_fmac_f64_e32 v[142:143], v[150:151], v[40:41]
	v_add_f64 v[160:161], v[140:141], v[142:143]
	scratch_load_dwordx4 v[140:143], off, off offset:624
	ds_read_b128 v[152:155], v2 offset:1008
	ds_read_b128 v[156:159], v2 offset:1024
	v_mul_f64 v[170:171], v[234:235], v[170:171]
	v_fma_f64 v[246:247], v[232:233], v[168:169], -v[170:171]
	ds_read_b128 v[168:171], v2 offset:1072
	s_waitcnt vmcnt(16) lgkmcnt(2)
	v_mul_f64 v[162:163], v[152:153], v[50:51]
	v_fmac_f64_e32 v[162:163], v[154:155], v[48:49]
	s_waitcnt vmcnt(15) lgkmcnt(1)
	v_mul_f64 v[166:167], v[156:157], v[78:79]
	v_add_f64 v[164:165], v[160:161], v[162:163]
	ds_read_b128 v[160:163], v2 offset:1040
	v_fmac_f64_e32 v[166:167], v[158:159], v[76:77]
	v_add_f64 v[240:241], v[164:165], v[166:167]
	ds_read_b128 v[164:167], v2 offset:1056
	v_mul_f64 v[174:175], v[178:179], v[174:175]
	s_waitcnt vmcnt(14) lgkmcnt(1)
	v_mul_f64 v[242:243], v[160:161], v[86:87]
	v_fmac_f64_e32 v[242:243], v[162:163], v[84:85]
	v_add_f64 v[240:241], v[240:241], v[242:243]
	s_waitcnt vmcnt(13) lgkmcnt(0)
	v_mul_f64 v[232:233], v[164:165], v[90:91]
	v_fmac_f64_e32 v[232:233], v[166:167], v[88:89]
	v_add_f64 v[232:233], v[240:241], v[232:233]
	v_fma_f64 v[240:241], v[176:177], v[172:173], -v[174:175]
	ds_read_b128 v[172:175], v2 offset:1088
	s_waitcnt vmcnt(12)
	v_mul_f64 v[176:177], v[168:169], v[94:95]
	v_fmac_f64_e32 v[176:177], v[170:171], v[92:93]
	v_add_f64 v[232:233], v[232:233], v[176:177]
	ds_read_b128 v[176:179], v2 offset:1104
	v_mul_f64 v[182:183], v[238:239], v[182:183]
	v_fma_f64 v[236:237], v[236:237], v[180:181], -v[182:183]
	ds_read_b128 v[180:183], v2 offset:1120
	s_waitcnt vmcnt(11) lgkmcnt(2)
	v_mul_f64 v[234:235], v[172:173], v[98:99]
	v_fmac_f64_e32 v[234:235], v[174:175], v[96:97]
	v_add_f64 v[232:233], v[232:233], v[234:235]
	s_waitcnt vmcnt(10) lgkmcnt(1)
	v_mul_f64 v[234:235], v[176:177], v[102:103]
	v_fmac_f64_e32 v[234:235], v[178:179], v[100:101]
	v_mul_f64 v[186:187], v[190:191], v[186:187]
	s_waitcnt vmcnt(9) lgkmcnt(0)
	v_mul_f64 v[190:191], v[180:181], v[106:107]
	v_fma_f64 v[238:239], v[188:189], v[184:185], -v[186:187]
	ds_read_b128 v[184:187], v2 offset:1136
	v_add_f64 v[188:189], v[232:233], v[234:235]
	v_fmac_f64_e32 v[190:191], v[182:183], v[104:105]
	v_add_f64 v[232:233], v[188:189], v[190:191]
	ds_read_b128 v[188:191], v2 offset:1152
	v_mul_f64 v[194:195], v[230:231], v[194:195]
	v_fma_f64 v[248:249], v[228:229], v[192:193], -v[194:195]
	ds_read_b128 v[192:195], v2 offset:1168
	s_waitcnt vmcnt(8) lgkmcnt(2)
	v_mul_f64 v[234:235], v[184:185], v[110:111]
	v_fmac_f64_e32 v[234:235], v[186:187], v[108:109]
	s_waitcnt vmcnt(7) lgkmcnt(1)
	v_mul_f64 v[228:229], v[188:189], v[114:115]
	v_mul_f64 v[198:199], v[202:203], v[198:199]
	v_add_f64 v[232:233], v[232:233], v[234:235]
	v_fmac_f64_e32 v[228:229], v[190:191], v[112:113]
	v_fma_f64 v[250:251], v[200:201], v[196:197], -v[198:199]
	ds_read_b128 v[196:199], v2 offset:1184
	s_waitcnt vmcnt(6) lgkmcnt(1)
	v_mul_f64 v[200:201], v[192:193], v[118:119]
	v_add_f64 v[228:229], v[232:233], v[228:229]
	v_fmac_f64_e32 v[200:201], v[194:195], v[116:117]
	v_add_f64 v[228:229], v[228:229], v[200:201]
	ds_read_b128 v[200:203], v2 offset:1200
	v_mul_f64 v[206:207], v[214:215], v[206:207]
	v_add_f64 v[246:247], v[246:247], 0
	v_fma_f64 v[252:253], v[212:213], v[204:205], -v[206:207]
	ds_read_b128 v[204:207], v2 offset:1216
	v_add_f64 v[240:241], v[246:247], v[240:241]
	v_add_f64 v[236:237], v[240:241], v[236:237]
	;; [unrolled: 1-line block ×3, first 2 shown]
	s_waitcnt vmcnt(5) lgkmcnt(2)
	v_mul_f64 v[230:231], v[196:197], v[126:127]
	v_add_f64 v[236:237], v[236:237], v[248:249]
	v_fmac_f64_e32 v[230:231], v[198:199], v[124:125]
	s_waitcnt vmcnt(4) lgkmcnt(1)
	v_mul_f64 v[212:213], v[200:201], v[122:123]
	v_add_f64 v[236:237], v[236:237], v[250:251]
	v_add_f64 v[228:229], v[228:229], v[230:231]
	v_fmac_f64_e32 v[212:213], v[202:203], v[120:121]
	v_mul_f64 v[210:211], v[226:227], v[210:211]
	v_add_f64 v[246:247], v[236:237], v[252:253]
	scratch_load_dwordx4 v[236:239], off, off offset:48
	s_waitcnt vmcnt(4) lgkmcnt(0)
	v_mul_f64 v[214:215], v[204:205], v[130:131]
	v_fma_f64 v[242:243], v[224:225], v[208:209], -v[210:211]
	ds_read_b128 v[208:211], v2 offset:1232
	v_add_f64 v[212:213], v[228:229], v[212:213]
	v_fmac_f64_e32 v[214:215], v[206:207], v[128:129]
	v_add_f64 v[224:225], v[212:213], v[214:215]
	ds_read_b128 v[212:215], v2 offset:1248
	v_mul_f64 v[218:219], v[222:223], v[218:219]
	v_fma_f64 v[244:245], v[220:221], v[216:217], -v[218:219]
	ds_read_b128 v[216:219], v2 offset:1264
	s_waitcnt vmcnt(3) lgkmcnt(2)
	v_mul_f64 v[220:221], v[208:209], v[134:135]
	v_fmac_f64_e32 v[220:221], v[210:211], v[132:133]
	s_waitcnt vmcnt(2) lgkmcnt(1)
	v_mul_f64 v[222:223], v[212:213], v[138:139]
	v_add_f64 v[220:221], v[224:225], v[220:221]
	v_fmac_f64_e32 v[222:223], v[214:215], v[136:137]
	v_add_f64 v[220:221], v[220:221], v[222:223]
	ds_read_b128 v[224:227], v2 offset:1280
	scratch_load_dwordx4 v[232:235], off, off offset:656
	s_waitcnt vmcnt(2) lgkmcnt(1)
	v_mul_f64 v[222:223], v[216:217], v[142:143]
	v_fmac_f64_e32 v[222:223], v[218:219], v[140:141]
	v_add_f64 v[228:229], v[220:221], v[222:223]
	scratch_load_dwordx4 v[220:223], off, off offset:640
	v_add_f64 v[240:241], v[246:247], v[242:243]
	v_mul_f64 v[6:7], v[46:47], v[6:7]
	v_add_f64 v[240:241], v[240:241], v[244:245]
	v_fma_f64 v[4:5], v[44:45], v[4:5], -v[6:7]
	v_mul_f64 v[6:7], v[66:67], v[10:11]
	v_add_f64 v[4:5], v[240:241], v[4:5]
	v_fma_f64 v[6:7], v[64:65], v[8:9], -v[6:7]
	v_add_f64 v[4:5], v[4:5], v[6:7]
	v_mul_f64 v[6:7], v[62:63], v[14:15]
	v_fma_f64 v[6:7], v[60:61], v[12:13], -v[6:7]
	v_add_f64 v[4:5], v[4:5], v[6:7]
	v_mul_f64 v[6:7], v[58:59], v[18:19]
	;; [unrolled: 3-line block ×24, first 2 shown]
	v_fma_f64 v[6:7], v[212:213], v[136:137], -v[6:7]
	s_waitcnt vmcnt(0) lgkmcnt(0)
	v_mul_f64 v[230:231], v[224:225], v[222:223]
	v_fmac_f64_e32 v[230:231], v[226:227], v[220:221]
	v_add_f64 v[254:255], v[228:229], v[230:231]
	ds_read_b128 v[228:231], v2 offset:1296
	v_add_f64 v[4:5], v[4:5], v[6:7]
	v_mul_f64 v[6:7], v[218:219], v[142:143]
	v_fma_f64 v[6:7], v[216:217], v[140:141], -v[6:7]
	v_add_f64 v[4:5], v[4:5], v[6:7]
	v_mul_f64 v[6:7], v[226:227], v[222:223]
	v_fma_f64 v[6:7], v[224:225], v[220:221], -v[6:7]
	s_waitcnt lgkmcnt(0)
	v_mul_f64 v[2:3], v[228:229], v[234:235]
	v_add_f64 v[4:5], v[4:5], v[6:7]
	v_mul_f64 v[6:7], v[230:231], v[234:235]
	v_fmac_f64_e32 v[2:3], v[230:231], v[232:233]
	v_fma_f64 v[6:7], v[228:229], v[232:233], -v[6:7]
	v_add_f64 v[2:3], v[254:255], v[2:3]
	v_add_f64 v[4:5], v[4:5], v[6:7]
	v_add_f64 v[4:5], v[236:237], -v[4:5]
	v_add_f64 v[6:7], v[238:239], -v[2:3]
	scratch_store_dwordx4 off, v[4:7], off offset:48
	s_and_saveexec_b64 s[0:1], vcc
	s_cbranch_execz .LBB40_257
; %bb.256:
	scratch_load_dwordx4 v[2:5], off, s15
	v_mov_b32_e32 v6, 0
	v_mov_b32_e32 v7, v6
	;; [unrolled: 1-line block ×4, first 2 shown]
	v_accvgpr_read_b32 v0, a83
	scratch_store_dwordx4 off, v[6:9], off offset:32
	s_waitcnt vmcnt(1)
	ds_write_b128 v0, v[2:5]
.LBB40_257:
	s_or_b64 exec, exec, s[0:1]
	s_waitcnt lgkmcnt(0)
	; wave barrier
	scratch_load_dwordx4 v[80:83], off, off offset:48
	scratch_load_dwordx4 v[84:87], off, off offset:64
	;; [unrolled: 1-line block ×31, first 2 shown]
	v_mov_b32_e32 v2, 0
	ds_read_b128 v[196:199], v2 offset:688
	ds_read_b128 v[200:203], v2 offset:704
	;; [unrolled: 1-line block ×20, first 2 shown]
	s_waitcnt vmcnt(30) lgkmcnt(14)
	v_mul_f64 v[140:141], v[196:197], v[82:83]
	s_waitcnt vmcnt(29)
	v_mul_f64 v[142:143], v[200:201], v[86:87]
	v_fmac_f64_e32 v[140:141], v[198:199], v[80:81]
	s_waitcnt vmcnt(28)
	v_mul_f64 v[152:153], v[204:205], v[90:91]
	v_fmac_f64_e32 v[142:143], v[202:203], v[84:85]
	v_add_f64 v[140:141], v[140:141], 0
	s_waitcnt vmcnt(27)
	v_mul_f64 v[154:155], v[208:209], v[94:95]
	v_fmac_f64_e32 v[152:153], v[206:207], v[88:89]
	v_add_f64 v[140:141], v[140:141], v[142:143]
	;; [unrolled: 4-line block ×4, first 2 shown]
	s_waitcnt vmcnt(24) lgkmcnt(13)
	v_mul_f64 v[164:165], v[220:221], v[106:107]
	v_fmac_f64_e32 v[162:163], v[218:219], v[100:101]
	v_add_f64 v[140:141], v[140:141], v[160:161]
	s_waitcnt vmcnt(23) lgkmcnt(12)
	v_mul_f64 v[166:167], v[224:225], v[110:111]
	v_fmac_f64_e32 v[164:165], v[222:223], v[104:105]
	v_add_f64 v[140:141], v[140:141], v[162:163]
	;; [unrolled: 4-line block ×8, first 2 shown]
	v_fmac_f64_e32 v[178:179], v[146:147], v[12:13]
	v_add_f64 v[140:141], v[140:141], v[176:177]
	v_add_f64 v[140:141], v[140:141], v[178:179]
	ds_read_b128 v[176:179], v2 offset:960
	s_waitcnt vmcnt(16) lgkmcnt(6)
	v_mul_f64 v[180:181], v[136:137], v[18:19]
	s_waitcnt vmcnt(15) lgkmcnt(5)
	v_mul_f64 v[182:183], v[132:133], v[22:23]
	v_fmac_f64_e32 v[180:181], v[138:139], v[16:17]
	v_add_f64 v[152:153], v[140:141], v[180:181]
	v_fmac_f64_e32 v[182:183], v[134:135], v[20:21]
	scratch_load_dwordx4 v[140:143], off, off offset:544
	s_waitcnt vmcnt(15) lgkmcnt(4)
	v_mul_f64 v[154:155], v[128:129], v[26:27]
	v_add_f64 v[152:153], v[152:153], v[182:183]
	v_fmac_f64_e32 v[154:155], v[130:131], v[24:25]
	v_add_f64 v[160:161], v[152:153], v[154:155]
	ds_read_b128 v[180:183], v2 offset:976
	s_waitcnt vmcnt(14) lgkmcnt(1)
	v_mul_f64 v[162:163], v[176:177], v[30:31]
	scratch_load_dwordx4 v[152:155], off, off offset:560
	v_fmac_f64_e32 v[162:163], v[178:179], v[28:29]
	v_add_f64 v[164:165], v[160:161], v[162:163]
	scratch_load_dwordx4 v[160:163], off, off offset:576
	s_waitcnt vmcnt(15) lgkmcnt(0)
	v_mul_f64 v[166:167], v[180:181], v[34:35]
	v_fmac_f64_e32 v[166:167], v[182:183], v[32:33]
	v_add_f64 v[168:169], v[164:165], v[166:167]
	s_waitcnt vmcnt(14)
	v_mul_f64 v[170:171], v[184:185], v[38:39]
	scratch_load_dwordx4 v[164:167], off, off offset:592
	v_fmac_f64_e32 v[170:171], v[186:187], v[36:37]
	v_add_f64 v[168:169], v[168:169], v[170:171]
	s_waitcnt vmcnt(14)
	v_mul_f64 v[170:171], v[188:189], v[42:43]
	scratch_load_dwordx4 v[172:175], off, off offset:608
	v_fmac_f64_e32 v[170:171], v[190:191], v[40:41]
	v_add_f64 v[232:233], v[168:169], v[170:171]
	scratch_load_dwordx4 v[168:171], off, off offset:624
	v_mul_f64 v[82:83], v[198:199], v[82:83]
	v_fma_f64 v[240:241], v[196:197], v[80:81], -v[82:83]
	ds_read_b128 v[196:199], v2 offset:1040
	s_waitcnt vmcnt(15)
	v_mul_f64 v[80:81], v[192:193], v[46:47]
	v_fmac_f64_e32 v[80:81], v[194:195], v[44:45]
	v_add_f64 v[232:233], v[232:233], v[80:81]
	v_mul_f64 v[80:81], v[202:203], v[86:87]
	v_fma_f64 v[250:251], v[200:201], v[84:85], -v[80:81]
	scratch_load_dwordx4 v[80:83], off, off offset:640
	ds_read_b128 v[84:87], v2 offset:1056
	v_mul_f64 v[90:91], v[206:207], v[90:91]
	v_fma_f64 v[252:253], v[204:205], v[88:89], -v[90:91]
	ds_read_b128 v[88:91], v2 offset:1072
	s_waitcnt vmcnt(15) lgkmcnt(2)
	v_mul_f64 v[200:201], v[196:197], v[50:51]
	v_fmac_f64_e32 v[200:201], v[198:199], v[48:49]
	s_waitcnt vmcnt(14) lgkmcnt(1)
	v_mul_f64 v[202:203], v[84:85], v[54:55]
	v_add_f64 v[200:201], v[232:233], v[200:201]
	v_fmac_f64_e32 v[202:203], v[86:87], v[52:53]
	v_mul_f64 v[94:95], v[210:211], v[94:95]
	v_fma_f64 v[254:255], v[208:209], v[92:93], -v[94:95]
	ds_read_b128 v[92:95], v2 offset:1088
	v_add_f64 v[200:201], v[200:201], v[202:203]
	s_waitcnt vmcnt(13) lgkmcnt(1)
	v_mul_f64 v[202:203], v[88:89], v[58:59]
	v_fmac_f64_e32 v[202:203], v[90:91], v[56:57]
	v_add_f64 v[204:205], v[200:201], v[202:203]
	ds_read_b128 v[200:203], v2 offset:1104
	v_mul_f64 v[98:99], v[214:215], v[98:99]
	v_fma_f64 v[232:233], v[212:213], v[96:97], -v[98:99]
	ds_read_b128 v[96:99], v2 offset:1120
	s_waitcnt vmcnt(12) lgkmcnt(2)
	v_mul_f64 v[206:207], v[92:93], v[62:63]
	v_fmac_f64_e32 v[206:207], v[94:95], v[60:61]
	v_add_f64 v[204:205], v[204:205], v[206:207]
	s_waitcnt vmcnt(11) lgkmcnt(1)
	v_mul_f64 v[206:207], v[200:201], v[66:67]
	v_fmac_f64_e32 v[206:207], v[202:203], v[64:65]
	v_mul_f64 v[102:103], v[218:219], v[102:103]
	v_add_f64 v[204:205], v[204:205], v[206:207]
	v_fma_f64 v[4:5], v[216:217], v[100:101], -v[102:103]
	ds_read_b128 v[100:103], v2 offset:1136
	s_waitcnt vmcnt(10) lgkmcnt(1)
	v_mul_f64 v[206:207], v[96:97], v[70:71]
	v_fmac_f64_e32 v[206:207], v[98:99], v[68:69]
	v_add_f64 v[208:209], v[204:205], v[206:207]
	ds_read_b128 v[204:207], v2 offset:1152
	v_mul_f64 v[106:107], v[222:223], v[106:107]
	v_fma_f64 v[0:1], v[220:221], v[104:105], -v[106:107]
	ds_read_b128 v[104:107], v2 offset:1168
	s_waitcnt vmcnt(9) lgkmcnt(2)
	v_mul_f64 v[210:211], v[100:101], v[74:75]
	v_fmac_f64_e32 v[210:211], v[102:103], v[72:73]
	v_add_f64 v[208:209], v[208:209], v[210:211]
	s_waitcnt vmcnt(8) lgkmcnt(1)
	v_mul_f64 v[210:211], v[204:205], v[78:79]
	v_fmac_f64_e32 v[210:211], v[206:207], v[76:77]
	v_mul_f64 v[6:7], v[226:227], v[110:111]
	v_fma_f64 v[6:7], v[224:225], v[108:109], -v[6:7]
	ds_read_b128 v[108:111], v2 offset:1184
	v_add_f64 v[208:209], v[208:209], v[210:211]
	s_waitcnt vmcnt(7) lgkmcnt(1)
	v_mul_f64 v[210:211], v[104:105], v[126:127]
	v_fmac_f64_e32 v[210:211], v[106:107], v[124:125]
	v_mul_f64 v[114:115], v[230:231], v[114:115]
	v_add_f64 v[212:213], v[208:209], v[210:211]
	ds_read_b128 v[208:211], v2 offset:1200
	v_fma_f64 v[112:113], v[228:229], v[112:113], -v[114:115]
	v_accvgpr_write_b32 a84, v112
	v_accvgpr_write_b32 a85, v113
	ds_read_b128 v[112:115], v2 offset:1216
	s_waitcnt vmcnt(6) lgkmcnt(2)
	v_mul_f64 v[214:215], v[108:109], v[142:143]
	v_fmac_f64_e32 v[214:215], v[110:111], v[140:141]
	v_add_f64 v[212:213], v[212:213], v[214:215]
	s_waitcnt vmcnt(5) lgkmcnt(1)
	v_mul_f64 v[214:215], v[208:209], v[154:155]
	v_fmac_f64_e32 v[214:215], v[210:211], v[152:153]
	v_mul_f64 v[118:119], v[244:245], v[118:119]
	v_add_f64 v[212:213], v[212:213], v[214:215]
	v_fma_f64 v[238:239], v[242:243], v[116:117], -v[118:119]
	ds_read_b128 v[116:119], v2 offset:1232
	s_waitcnt vmcnt(4) lgkmcnt(1)
	v_mul_f64 v[214:215], v[112:113], v[162:163]
	v_fmac_f64_e32 v[214:215], v[114:115], v[160:161]
	v_add_f64 v[216:217], v[212:213], v[214:215]
	ds_read_b128 v[212:215], v2 offset:1248
	v_mul_f64 v[122:123], v[248:249], v[122:123]
	v_fma_f64 v[242:243], v[246:247], v[120:121], -v[122:123]
	ds_read_b128 v[120:123], v2 offset:1264
	s_waitcnt vmcnt(3) lgkmcnt(2)
	v_mul_f64 v[218:219], v[116:117], v[166:167]
	v_fmac_f64_e32 v[218:219], v[118:119], v[164:165]
	v_add_f64 v[216:217], v[216:217], v[218:219]
	s_waitcnt vmcnt(2) lgkmcnt(1)
	v_mul_f64 v[218:219], v[212:213], v[174:175]
	v_fmac_f64_e32 v[218:219], v[214:215], v[172:173]
	v_add_f64 v[216:217], v[216:217], v[218:219]
	;; [unrolled: 4-line block ×3, first 2 shown]
	ds_read_b128 v[216:219], v2 offset:1280
	ds_read_b128 v[224:227], v2 offset:1296
	s_waitcnt vmcnt(0) lgkmcnt(1)
	v_mul_f64 v[222:223], v[216:217], v[82:83]
	v_fmac_f64_e32 v[222:223], v[218:219], v[80:81]
	v_add_f64 v[228:229], v[220:221], v[222:223]
	scratch_load_dwordx4 v[220:223], off, off offset:656
	s_waitcnt vmcnt(0) lgkmcnt(0)
	v_mul_f64 v[230:231], v[224:225], v[222:223]
	v_fmac_f64_e32 v[230:231], v[226:227], v[220:221]
	v_add_f64 v[246:247], v[228:229], v[230:231]
	v_add_f64 v[228:229], v[240:241], 0
	;; [unrolled: 1-line block ×7, first 2 shown]
	scratch_load_dwordx4 v[228:231], off, off offset:32
	v_add_f64 v[244:245], v[4:5], v[0:1]
	v_accvgpr_read_b32 v4, a84
	v_add_f64 v[0:1], v[244:245], v[6:7]
	v_accvgpr_read_b32 v5, a85
	v_add_f64 v[0:1], v[0:1], v[4:5]
	v_add_f64 v[0:1], v[0:1], v[238:239]
	v_mul_f64 v[4:5], v[158:159], v[236:237]
	v_add_f64 v[0:1], v[0:1], v[242:243]
	v_fma_f64 v[4:5], v[156:157], v[234:235], -v[4:5]
	v_add_f64 v[0:1], v[0:1], v[4:5]
	v_mul_f64 v[4:5], v[150:151], v[10:11]
	v_fma_f64 v[4:5], v[148:149], v[8:9], -v[4:5]
	v_add_f64 v[0:1], v[0:1], v[4:5]
	v_mul_f64 v[4:5], v[146:147], v[14:15]
	;; [unrolled: 3-line block ×27, first 2 shown]
	v_fma_f64 v[4:5], v[224:225], v[220:221], -v[4:5]
	v_add_f64 v[0:1], v[0:1], v[4:5]
	s_waitcnt vmcnt(0)
	v_add_f64 v[4:5], v[228:229], -v[0:1]
	v_accvgpr_read_b32 v0, a82
	v_add_f64 v[6:7], v[230:231], -v[246:247]
	v_cmp_ne_u32_e32 vcc, 0, v0
	scratch_store_dwordx4 off, v[4:7], off offset:32
	s_and_saveexec_b64 s[0:1], vcc
	s_cbranch_execz .LBB40_259
; %bb.258:
	scratch_load_dwordx4 v[6:9], off, off offset:16
	v_mov_b32_e32 v3, v2
	v_mov_b32_e32 v4, v2
	;; [unrolled: 1-line block ×3, first 2 shown]
	v_accvgpr_read_b32 v0, a83
	scratch_store_dwordx4 off, v[2:5], off offset:16
	s_waitcnt vmcnt(1)
	ds_write_b128 v0, v[6:9]
.LBB40_259:
	s_or_b64 exec, exec, s[0:1]
	s_waitcnt lgkmcnt(0)
	; wave barrier
	scratch_load_dwordx4 v[128:131], off, off offset:32
	scratch_load_dwordx4 v[132:135], off, off offset:48
	;; [unrolled: 1-line block ×16, first 2 shown]
	ds_read_b128 v[156:159], v2 offset:672
	ds_read_b128 v[160:163], v2 offset:688
	scratch_load_dwordx4 v[24:27], off, off offset:288
	ds_read_b128 v[228:231], v2 offset:704
	ds_read_b128 v[172:175], v2 offset:720
	scratch_load_dwordx4 v[28:31], off, off offset:304
	ds_read_b128 v[232:235], v2 offset:736
	ds_read_b128 v[184:187], v2 offset:752
	ds_read_b128 v[224:227], v2 offset:768
	ds_read_b128 v[196:199], v2 offset:784
	ds_read_b128 v[216:219], v2 offset:800
	ds_read_b128 v[208:211], v2 offset:816
	scratch_load_dwordx4 v[32:35], off, off offset:320
	ds_read_b128 v[220:223], v2 offset:832
	ds_read_b128 v[40:43], v2 offset:848
	scratch_load_dwordx4 v[36:39], off, off offset:336
	ds_read_b128 v[64:67], v2 offset:864
	ds_read_b128 v[60:63], v2 offset:880
	;; [unrolled: 1-line block ×5, first 2 shown]
	scratch_load_dwordx4 v[52:55], off, off offset:352
	scratch_load_dwordx4 v[68:71], off, off offset:368
	;; [unrolled: 1-line block ×11, first 2 shown]
	ds_read_b128 v[152:155], v2 offset:1008
	s_and_b64 vcc, exec, s[18:19]
	ds_read_b128 v[148:151], v2 offset:992
	s_waitcnt vmcnt(30) lgkmcnt(14)
	v_mul_f64 v[0:1], v[156:157], v[130:131]
	s_waitcnt vmcnt(29)
	v_mul_f64 v[108:109], v[160:161], v[134:135]
	v_fmac_f64_e32 v[0:1], v[158:159], v[128:129]
	s_waitcnt vmcnt(28)
	v_mul_f64 v[110:111], v[228:229], v[166:167]
	v_fmac_f64_e32 v[108:109], v[162:163], v[132:133]
	v_add_f64 v[0:1], v[0:1], 0
	s_waitcnt vmcnt(27)
	v_mul_f64 v[112:113], v[172:173], v[170:171]
	v_fmac_f64_e32 v[110:111], v[230:231], v[164:165]
	v_add_f64 v[0:1], v[0:1], v[108:109]
	;; [unrolled: 4-line block ×3, first 2 shown]
	s_waitcnt vmcnt(25) lgkmcnt(13)
	v_mul_f64 v[116:117], v[184:185], v[182:183]
	v_fmac_f64_e32 v[114:115], v[234:235], v[176:177]
	v_add_f64 v[0:1], v[0:1], v[112:113]
	s_waitcnt vmcnt(24) lgkmcnt(12)
	v_mul_f64 v[118:119], v[224:225], v[190:191]
	v_fmac_f64_e32 v[116:117], v[186:187], v[180:181]
	v_add_f64 v[0:1], v[0:1], v[114:115]
	;; [unrolled: 4-line block ×10, first 2 shown]
	ds_read_b128 v[136:139], v2 offset:944
	v_fmac_f64_e32 v[142:143], v[58:59], v[16:17]
	v_add_f64 v[0:1], v[0:1], v[140:141]
	s_waitcnt vmcnt(15) lgkmcnt(4)
	v_mul_f64 v[144:145], v[48:49], v[22:23]
	v_add_f64 v[0:1], v[0:1], v[142:143]
	ds_read_b128 v[140:143], v2 offset:960
	v_fmac_f64_e32 v[144:145], v[50:51], v[20:21]
	scratch_load_dwordx4 v[108:111], off, off offset:528
	s_waitcnt vmcnt(15) lgkmcnt(4)
	v_mul_f64 v[112:113], v[44:45], v[26:27]
	v_add_f64 v[0:1], v[0:1], v[144:145]
	v_fmac_f64_e32 v[112:113], v[46:47], v[24:25]
	ds_read_b128 v[144:147], v2 offset:976
	v_add_f64 v[0:1], v[0:1], v[112:113]
	s_waitcnt vmcnt(14) lgkmcnt(2)
	v_mul_f64 v[120:121], v[136:137], v[30:31]
	scratch_load_dwordx4 v[112:115], off, off offset:544
	v_fmac_f64_e32 v[120:121], v[138:139], v[28:29]
	scratch_load_dwordx4 v[116:119], off, off offset:560
	v_add_f64 v[0:1], v[0:1], v[120:121]
	s_waitcnt vmcnt(15) lgkmcnt(1)
	v_mul_f64 v[120:121], v[140:141], v[34:35]
	v_fmac_f64_e32 v[120:121], v[142:143], v[32:33]
	v_add_f64 v[0:1], v[0:1], v[120:121]
	s_waitcnt vmcnt(14) lgkmcnt(0)
	v_mul_f64 v[124:125], v[144:145], v[38:39]
	scratch_load_dwordx4 v[120:123], off, off offset:576
	v_fmac_f64_e32 v[124:125], v[146:147], v[36:37]
	v_add_f64 v[0:1], v[0:1], v[124:125]
	scratch_load_dwordx4 v[124:127], off, off offset:592
	v_mul_f64 v[130:131], v[158:159], v[130:131]
	v_fma_f64 v[240:241], v[156:157], v[128:129], -v[130:131]
	scratch_load_dwordx4 v[128:131], off, off offset:608
	v_mul_f64 v[134:135], v[162:163], v[134:135]
	v_fma_f64 v[244:245], v[160:161], v[132:133], -v[134:135]
	scratch_load_dwordx4 v[132:135], off, off offset:624
	ds_read_b128 v[156:159], v2 offset:1024
	s_waitcnt vmcnt(17)
	v_mul_f64 v[236:237], v[148:149], v[54:55]
	ds_read_b128 v[160:163], v2 offset:1040
	v_mul_f64 v[166:167], v[230:231], v[166:167]
	v_fmac_f64_e32 v[236:237], v[150:151], v[52:53]
	v_fma_f64 v[246:247], v[228:229], v[164:165], -v[166:167]
	ds_read_b128 v[164:167], v2 offset:1056
	v_add_f64 v[0:1], v[0:1], v[236:237]
	s_waitcnt vmcnt(16)
	v_mul_f64 v[236:237], v[152:153], v[70:71]
	v_fmac_f64_e32 v[236:237], v[154:155], v[68:69]
	v_add_f64 v[0:1], v[0:1], v[236:237]
	s_waitcnt vmcnt(15) lgkmcnt(2)
	v_mul_f64 v[236:237], v[156:157], v[74:75]
	v_fmac_f64_e32 v[236:237], v[158:159], v[72:73]
	s_waitcnt vmcnt(14) lgkmcnt(1)
	v_mul_f64 v[228:229], v[160:161], v[78:79]
	v_mul_f64 v[170:171], v[174:175], v[170:171]
	v_add_f64 v[0:1], v[0:1], v[236:237]
	v_fmac_f64_e32 v[228:229], v[162:163], v[76:77]
	v_fma_f64 v[248:249], v[172:173], v[168:169], -v[170:171]
	ds_read_b128 v[168:171], v2 offset:1072
	s_waitcnt vmcnt(13) lgkmcnt(1)
	v_mul_f64 v[172:173], v[164:165], v[82:83]
	v_add_f64 v[0:1], v[0:1], v[228:229]
	v_fmac_f64_e32 v[172:173], v[166:167], v[80:81]
	v_add_f64 v[0:1], v[0:1], v[172:173]
	ds_read_b128 v[172:175], v2 offset:1088
	v_mul_f64 v[178:179], v[234:235], v[178:179]
	v_fma_f64 v[232:233], v[232:233], v[176:177], -v[178:179]
	ds_read_b128 v[176:179], v2 offset:1104
	s_waitcnt vmcnt(12) lgkmcnt(2)
	v_mul_f64 v[228:229], v[168:169], v[86:87]
	v_fmac_f64_e32 v[228:229], v[170:171], v[84:85]
	v_add_f64 v[0:1], v[0:1], v[228:229]
	s_waitcnt vmcnt(11) lgkmcnt(1)
	v_mul_f64 v[228:229], v[172:173], v[90:91]
	v_mul_f64 v[182:183], v[186:187], v[182:183]
	v_fmac_f64_e32 v[228:229], v[174:175], v[88:89]
	v_fma_f64 v[234:235], v[184:185], v[180:181], -v[182:183]
	ds_read_b128 v[180:183], v2 offset:1120
	s_waitcnt vmcnt(10) lgkmcnt(1)
	v_mul_f64 v[184:185], v[176:177], v[94:95]
	v_add_f64 v[0:1], v[0:1], v[228:229]
	v_fmac_f64_e32 v[184:185], v[178:179], v[92:93]
	v_add_f64 v[0:1], v[0:1], v[184:185]
	ds_read_b128 v[184:187], v2 offset:1136
	v_mul_f64 v[190:191], v[226:227], v[190:191]
	v_fma_f64 v[250:251], v[224:225], v[188:189], -v[190:191]
	ds_read_b128 v[188:191], v2 offset:1152
	s_waitcnt vmcnt(9) lgkmcnt(2)
	v_mul_f64 v[228:229], v[180:181], v[98:99]
	v_fmac_f64_e32 v[228:229], v[182:183], v[96:97]
	s_waitcnt vmcnt(8) lgkmcnt(1)
	v_mul_f64 v[224:225], v[184:185], v[102:103]
	v_mul_f64 v[194:195], v[198:199], v[194:195]
	v_add_f64 v[0:1], v[0:1], v[228:229]
	v_fmac_f64_e32 v[224:225], v[186:187], v[100:101]
	v_fma_f64 v[252:253], v[196:197], v[192:193], -v[194:195]
	ds_read_b128 v[192:195], v2 offset:1168
	s_waitcnt vmcnt(7) lgkmcnt(1)
	v_mul_f64 v[196:197], v[188:189], v[106:107]
	v_add_f64 v[0:1], v[0:1], v[224:225]
	v_fmac_f64_e32 v[196:197], v[190:191], v[104:105]
	v_add_f64 v[0:1], v[0:1], v[196:197]
	ds_read_b128 v[196:199], v2 offset:1184
	v_mul_f64 v[202:203], v[218:219], v[202:203]
	v_fma_f64 v[254:255], v[216:217], v[200:201], -v[202:203]
	ds_read_b128 v[200:203], v2 offset:1200
	s_waitcnt vmcnt(6) lgkmcnt(2)
	v_mul_f64 v[216:217], v[192:193], v[110:111]
	v_mul_f64 v[206:207], v[210:211], v[206:207]
	v_fmac_f64_e32 v[216:217], v[194:195], v[108:109]
	v_fma_f64 v[204:205], v[208:209], v[204:205], -v[206:207]
	ds_read_b128 v[208:211], v2 offset:1216
	v_add_f64 v[0:1], v[0:1], v[216:217]
	s_waitcnt vmcnt(5) lgkmcnt(2)
	v_mul_f64 v[216:217], v[196:197], v[114:115]
	v_accvgpr_write_b32 a82, v204
	v_fmac_f64_e32 v[216:217], v[198:199], v[112:113]
	v_accvgpr_write_b32 a83, v205
	ds_read_b128 v[204:207], v2 offset:1232
	v_add_f64 v[0:1], v[0:1], v[216:217]
	s_waitcnt vmcnt(4) lgkmcnt(2)
	v_mul_f64 v[216:217], v[200:201], v[118:119]
	v_mul_f64 v[214:215], v[222:223], v[214:215]
	v_fmac_f64_e32 v[216:217], v[202:203], v[116:117]
	v_fma_f64 v[242:243], v[220:221], v[212:213], -v[214:215]
	ds_read_b128 v[212:215], v2 offset:1248
	v_add_f64 v[0:1], v[0:1], v[216:217]
	s_waitcnt vmcnt(3) lgkmcnt(2)
	v_mul_f64 v[216:217], v[208:209], v[122:123]
	v_fmac_f64_e32 v[216:217], v[210:211], v[120:121]
	v_add_f64 v[0:1], v[0:1], v[216:217]
	s_waitcnt vmcnt(2) lgkmcnt(1)
	v_mul_f64 v[216:217], v[204:205], v[126:127]
	v_fmac_f64_e32 v[216:217], v[206:207], v[124:125]
	;; [unrolled: 4-line block ×3, first 2 shown]
	v_add_f64 v[0:1], v[0:1], v[216:217]
	ds_read_b128 v[216:219], v2 offset:1264
	ds_read_b128 v[224:227], v2 offset:1280
	v_mul_f64 v[6:7], v[42:43], v[6:7]
	v_fma_f64 v[4:5], v[40:41], v[4:5], -v[6:7]
	v_mul_f64 v[6:7], v[66:67], v[10:11]
	s_waitcnt vmcnt(0) lgkmcnt(1)
	v_mul_f64 v[220:221], v[216:217], v[134:135]
	v_fmac_f64_e32 v[220:221], v[218:219], v[132:133]
	v_add_f64 v[0:1], v[0:1], v[220:221]
	scratch_load_dwordx4 v[220:223], off, off offset:640
	v_fma_f64 v[6:7], v[64:65], v[8:9], -v[6:7]
	s_waitcnt vmcnt(0) lgkmcnt(0)
	v_mul_f64 v[228:229], v[224:225], v[222:223]
	v_fmac_f64_e32 v[228:229], v[226:227], v[220:221]
	v_add_f64 v[236:237], v[0:1], v[228:229]
	scratch_load_dwordx4 v[228:231], off, off offset:656
	ds_read_b128 v[0:3], v2 offset:1296
	s_waitcnt vmcnt(0) lgkmcnt(0)
	v_mul_f64 v[238:239], v[0:1], v[230:231]
	v_fmac_f64_e32 v[238:239], v[2:3], v[228:229]
	v_add_f64 v[236:237], v[236:237], v[238:239]
	v_add_f64 v[238:239], v[240:241], 0
	;; [unrolled: 1-line block ×10, first 2 shown]
	scratch_load_dwordx4 v[232:235], off, off offset:16
	v_accvgpr_read_b32 v239, a83
	v_accvgpr_read_b32 v238, a82
	v_add_f64 v[238:239], v[244:245], v[238:239]
	v_add_f64 v[238:239], v[238:239], v[242:243]
	;; [unrolled: 1-line block ×4, first 2 shown]
	v_mul_f64 v[6:7], v[62:63], v[14:15]
	v_fma_f64 v[6:7], v[60:61], v[12:13], -v[6:7]
	v_add_f64 v[4:5], v[4:5], v[6:7]
	v_mul_f64 v[6:7], v[58:59], v[18:19]
	v_fma_f64 v[6:7], v[56:57], v[16:17], -v[6:7]
	v_add_f64 v[4:5], v[4:5], v[6:7]
	;; [unrolled: 3-line block ×25, first 2 shown]
	v_mul_f64 v[6:7], v[226:227], v[222:223]
	v_fma_f64 v[6:7], v[224:225], v[220:221], -v[6:7]
	v_mul_f64 v[2:3], v[2:3], v[230:231]
	v_add_f64 v[4:5], v[4:5], v[6:7]
	v_fma_f64 v[0:1], v[0:1], v[228:229], -v[2:3]
	v_add_f64 v[0:1], v[4:5], v[0:1]
	s_waitcnt vmcnt(0)
	v_add_f64 v[0:1], v[232:233], -v[0:1]
	v_add_f64 v[2:3], v[234:235], -v[236:237]
	scratch_store_dwordx4 off, v[0:3], off offset:16
	s_cbranch_vccz .LBB40_340
; %bb.260:
	s_nop 0
	v_mov_b32_e32 v0, 0
	global_load_dword v1, v0, s[16:17] offset:156
	s_waitcnt vmcnt(0)
	v_readfirstlane_b32 s0, v1
	s_add_i32 s0, s0, -1
	s_cmp_lg_u32 s0, 39
	s_cbranch_scc0 .LBB40_262
; %bb.261:
	s_lshl_b32 s0, s0, 4
	s_add_i32 s0, s0, 16
	scratch_load_dwordx4 v[2:5], off, s0
	scratch_load_dwordx4 v[6:9], off, s53
	s_waitcnt vmcnt(1)
	scratch_store_dwordx4 off, v[2:5], s53
	s_waitcnt vmcnt(1)
	scratch_store_dwordx4 off, v[6:9], s0
.LBB40_262:
	global_load_dword v0, v0, s[16:17] offset:152
	s_waitcnt vmcnt(0)
	v_readfirstlane_b32 s0, v0
	s_add_i32 s0, s0, -1
	s_cmp_eq_u32 s0, 38
	s_cbranch_scc1 .LBB40_264
; %bb.263:
	s_lshl_b32 s0, s0, 4
	s_add_i32 s0, s0, 16
	scratch_load_dwordx4 v[0:3], off, s0
	scratch_load_dwordx4 v[4:7], off, s52
	s_waitcnt vmcnt(1)
	scratch_store_dwordx4 off, v[0:3], s52
	s_waitcnt vmcnt(1)
	scratch_store_dwordx4 off, v[4:7], s0
.LBB40_264:
	v_mov_b32_e32 v0, 0
	global_load_dword v1, v0, s[16:17] offset:148
	s_waitcnt vmcnt(0)
	v_readfirstlane_b32 s0, v1
	s_add_i32 s0, s0, -1
	s_cmp_eq_u32 s0, 37
	s_cbranch_scc1 .LBB40_266
; %bb.265:
	s_lshl_b32 s0, s0, 4
	s_add_i32 s0, s0, 16
	scratch_load_dwordx4 v[2:5], off, s0
	scratch_load_dwordx4 v[6:9], off, s51
	s_waitcnt vmcnt(1)
	scratch_store_dwordx4 off, v[2:5], s51
	s_waitcnt vmcnt(1)
	scratch_store_dwordx4 off, v[6:9], s0
.LBB40_266:
	global_load_dword v0, v0, s[16:17] offset:144
	s_waitcnt vmcnt(0)
	v_readfirstlane_b32 s0, v0
	s_add_i32 s0, s0, -1
	s_cmp_eq_u32 s0, 36
	s_cbranch_scc1 .LBB40_268
; %bb.267:
	s_lshl_b32 s0, s0, 4
	s_add_i32 s0, s0, 16
	scratch_load_dwordx4 v[0:3], off, s0
	scratch_load_dwordx4 v[4:7], off, s50
	s_waitcnt vmcnt(1)
	scratch_store_dwordx4 off, v[0:3], s50
	s_waitcnt vmcnt(1)
	scratch_store_dwordx4 off, v[4:7], s0
.LBB40_268:
	v_mov_b32_e32 v0, 0
	global_load_dword v1, v0, s[16:17] offset:140
	s_waitcnt vmcnt(0)
	v_readfirstlane_b32 s0, v1
	s_add_i32 s0, s0, -1
	s_cmp_eq_u32 s0, 35
	s_cbranch_scc1 .LBB40_270
; %bb.269:
	s_lshl_b32 s0, s0, 4
	s_add_i32 s0, s0, 16
	scratch_load_dwordx4 v[2:5], off, s0
	scratch_load_dwordx4 v[6:9], off, s49
	s_waitcnt vmcnt(1)
	scratch_store_dwordx4 off, v[2:5], s49
	s_waitcnt vmcnt(1)
	scratch_store_dwordx4 off, v[6:9], s0
.LBB40_270:
	;; [unrolled: 33-line block ×19, first 2 shown]
	global_load_dword v0, v0, s[16:17]
	s_waitcnt vmcnt(0)
	v_readfirstlane_b32 s0, v0
	s_add_i32 s0, s0, -1
	s_cmp_eq_u32 s0, 0
	s_cbranch_scc1 .LBB40_340
; %bb.339:
	s_lshl_b32 s0, s0, 4
	s_add_i32 s0, s0, 16
	scratch_load_dwordx4 v[0:3], off, s0
	scratch_load_dwordx4 v[4:7], off, off offset:16
	s_waitcnt vmcnt(1)
	scratch_store_dwordx4 off, v[0:3], off offset:16
	s_waitcnt vmcnt(1)
	scratch_store_dwordx4 off, v[4:7], s0
.LBB40_340:
	scratch_load_dwordx4 v[0:3], off, off offset:16
	s_nop 0
	scratch_load_dwordx4 v[4:7], off, s15
	scratch_load_dwordx4 v[8:11], off, s12
	;; [unrolled: 1-line block ×10, first 2 shown]
                                        ; kill: killed $sgpr15
                                        ; kill: killed $sgpr55
                                        ; kill: killed $sgpr22
                                        ; kill: killed $sgpr20
                                        ; kill: killed $sgpr14
                                        ; kill: killed $sgpr56
                                        ; kill: killed $sgpr13
                                        ; kill: killed $sgpr23
                                        ; kill: killed $sgpr12
                                        ; kill: killed $sgpr21
	scratch_load_dwordx4 v[44:47], off, s24
	scratch_load_dwordx4 v[48:51], off, s25
	;; [unrolled: 1-line block ×30, first 2 shown]
	v_accvgpr_read_b32 v165, a1
	v_accvgpr_read_b32 v164, a0
	s_waitcnt vmcnt(40)
	global_store_dwordx4 v[164:165], v[0:3], off
	s_nop 1
	v_accvgpr_read_b32 v0, a2
	v_accvgpr_read_b32 v1, a3
	s_waitcnt vmcnt(40)
	global_store_dwordx4 v[0:1], v[4:7], off
	v_accvgpr_read_b32 v0, a4
	v_accvgpr_read_b32 v1, a5
	s_waitcnt vmcnt(40)
	global_store_dwordx4 v[0:1], v[8:11], off
	;; [unrolled: 4-line block ×40, first 2 shown]
	s_endpgm
	.section	.rodata,"a",@progbits
	.p2align	6, 0x0
	.amdhsa_kernel _ZN9rocsolver6v33100L18getri_kernel_smallILi41E19rocblas_complex_numIdEPS3_EEvT1_iilPiilS6_bb
		.amdhsa_group_segment_fixed_size 1320
		.amdhsa_private_segment_fixed_size 688
		.amdhsa_kernarg_size 60
		.amdhsa_user_sgpr_count 2
		.amdhsa_user_sgpr_dispatch_ptr 0
		.amdhsa_user_sgpr_queue_ptr 0
		.amdhsa_user_sgpr_kernarg_segment_ptr 1
		.amdhsa_user_sgpr_dispatch_id 0
		.amdhsa_user_sgpr_kernarg_preload_length 0
		.amdhsa_user_sgpr_kernarg_preload_offset 0
		.amdhsa_user_sgpr_private_segment_size 0
		.amdhsa_uses_dynamic_stack 0
		.amdhsa_enable_private_segment 1
		.amdhsa_system_sgpr_workgroup_id_x 1
		.amdhsa_system_sgpr_workgroup_id_y 0
		.amdhsa_system_sgpr_workgroup_id_z 0
		.amdhsa_system_sgpr_workgroup_info 0
		.amdhsa_system_vgpr_workitem_id 0
		.amdhsa_next_free_vgpr 342
		.amdhsa_next_free_sgpr 57
		.amdhsa_accum_offset 256
		.amdhsa_reserve_vcc 1
		.amdhsa_float_round_mode_32 0
		.amdhsa_float_round_mode_16_64 0
		.amdhsa_float_denorm_mode_32 3
		.amdhsa_float_denorm_mode_16_64 3
		.amdhsa_dx10_clamp 1
		.amdhsa_ieee_mode 1
		.amdhsa_fp16_overflow 0
		.amdhsa_tg_split 0
		.amdhsa_exception_fp_ieee_invalid_op 0
		.amdhsa_exception_fp_denorm_src 0
		.amdhsa_exception_fp_ieee_div_zero 0
		.amdhsa_exception_fp_ieee_overflow 0
		.amdhsa_exception_fp_ieee_underflow 0
		.amdhsa_exception_fp_ieee_inexact 0
		.amdhsa_exception_int_div_zero 0
	.end_amdhsa_kernel
	.section	.text._ZN9rocsolver6v33100L18getri_kernel_smallILi41E19rocblas_complex_numIdEPS3_EEvT1_iilPiilS6_bb,"axG",@progbits,_ZN9rocsolver6v33100L18getri_kernel_smallILi41E19rocblas_complex_numIdEPS3_EEvT1_iilPiilS6_bb,comdat
.Lfunc_end40:
	.size	_ZN9rocsolver6v33100L18getri_kernel_smallILi41E19rocblas_complex_numIdEPS3_EEvT1_iilPiilS6_bb, .Lfunc_end40-_ZN9rocsolver6v33100L18getri_kernel_smallILi41E19rocblas_complex_numIdEPS3_EEvT1_iilPiilS6_bb
                                        ; -- End function
	.set _ZN9rocsolver6v33100L18getri_kernel_smallILi41E19rocblas_complex_numIdEPS3_EEvT1_iilPiilS6_bb.num_vgpr, 256
	.set _ZN9rocsolver6v33100L18getri_kernel_smallILi41E19rocblas_complex_numIdEPS3_EEvT1_iilPiilS6_bb.num_agpr, 86
	.set _ZN9rocsolver6v33100L18getri_kernel_smallILi41E19rocblas_complex_numIdEPS3_EEvT1_iilPiilS6_bb.numbered_sgpr, 57
	.set _ZN9rocsolver6v33100L18getri_kernel_smallILi41E19rocblas_complex_numIdEPS3_EEvT1_iilPiilS6_bb.num_named_barrier, 0
	.set _ZN9rocsolver6v33100L18getri_kernel_smallILi41E19rocblas_complex_numIdEPS3_EEvT1_iilPiilS6_bb.private_seg_size, 688
	.set _ZN9rocsolver6v33100L18getri_kernel_smallILi41E19rocblas_complex_numIdEPS3_EEvT1_iilPiilS6_bb.uses_vcc, 1
	.set _ZN9rocsolver6v33100L18getri_kernel_smallILi41E19rocblas_complex_numIdEPS3_EEvT1_iilPiilS6_bb.uses_flat_scratch, 0
	.set _ZN9rocsolver6v33100L18getri_kernel_smallILi41E19rocblas_complex_numIdEPS3_EEvT1_iilPiilS6_bb.has_dyn_sized_stack, 0
	.set _ZN9rocsolver6v33100L18getri_kernel_smallILi41E19rocblas_complex_numIdEPS3_EEvT1_iilPiilS6_bb.has_recursion, 0
	.set _ZN9rocsolver6v33100L18getri_kernel_smallILi41E19rocblas_complex_numIdEPS3_EEvT1_iilPiilS6_bb.has_indirect_call, 0
	.section	.AMDGPU.csdata,"",@progbits
; Kernel info:
; codeLenInByte = 73528
; TotalNumSgprs: 63
; NumVgprs: 256
; NumAgprs: 86
; TotalNumVgprs: 342
; ScratchSize: 688
; MemoryBound: 0
; FloatMode: 240
; IeeeMode: 1
; LDSByteSize: 1320 bytes/workgroup (compile time only)
; SGPRBlocks: 7
; VGPRBlocks: 42
; NumSGPRsForWavesPerEU: 63
; NumVGPRsForWavesPerEU: 342
; AccumOffset: 256
; Occupancy: 1
; WaveLimiterHint : 1
; COMPUTE_PGM_RSRC2:SCRATCH_EN: 1
; COMPUTE_PGM_RSRC2:USER_SGPR: 2
; COMPUTE_PGM_RSRC2:TRAP_HANDLER: 0
; COMPUTE_PGM_RSRC2:TGID_X_EN: 1
; COMPUTE_PGM_RSRC2:TGID_Y_EN: 0
; COMPUTE_PGM_RSRC2:TGID_Z_EN: 0
; COMPUTE_PGM_RSRC2:TIDIG_COMP_CNT: 0
; COMPUTE_PGM_RSRC3_GFX90A:ACCUM_OFFSET: 63
; COMPUTE_PGM_RSRC3_GFX90A:TG_SPLIT: 0
	.section	.text._ZN9rocsolver6v33100L18getri_kernel_smallILi42E19rocblas_complex_numIdEPS3_EEvT1_iilPiilS6_bb,"axG",@progbits,_ZN9rocsolver6v33100L18getri_kernel_smallILi42E19rocblas_complex_numIdEPS3_EEvT1_iilPiilS6_bb,comdat
	.globl	_ZN9rocsolver6v33100L18getri_kernel_smallILi42E19rocblas_complex_numIdEPS3_EEvT1_iilPiilS6_bb ; -- Begin function _ZN9rocsolver6v33100L18getri_kernel_smallILi42E19rocblas_complex_numIdEPS3_EEvT1_iilPiilS6_bb
	.p2align	8
	.type	_ZN9rocsolver6v33100L18getri_kernel_smallILi42E19rocblas_complex_numIdEPS3_EEvT1_iilPiilS6_bb,@function
_ZN9rocsolver6v33100L18getri_kernel_smallILi42E19rocblas_complex_numIdEPS3_EEvT1_iilPiilS6_bb: ; @_ZN9rocsolver6v33100L18getri_kernel_smallILi42E19rocblas_complex_numIdEPS3_EEvT1_iilPiilS6_bb
; %bb.0:
	v_mov_b32_e32 v242, v0
	v_cmp_gt_u32_e32 vcc, 42, v242
	s_and_saveexec_b64 s[4:5], vcc
	s_cbranch_execz .LBB41_182
; %bb.1:
	s_load_dword s8, s[0:1], 0x38
	s_load_dwordx4 s[12:15], s[0:1], 0x10
	s_load_dwordx4 s[4:7], s[0:1], 0x28
                                        ; implicit-def: $sgpr16_sgpr17
	s_waitcnt lgkmcnt(0)
	s_bitcmp1_b32 s8, 8
	s_cselect_b64 s[18:19], -1, 0
	s_ashr_i32 s3, s2, 31
	s_bfe_u32 s8, s8, 0x10008
	s_cmp_eq_u32 s8, 0
	s_cbranch_scc1 .LBB41_3
; %bb.2:
	s_load_dword s8, s[0:1], 0x20
	s_mul_i32 s9, s4, s3
	s_mul_hi_u32 s10, s4, s2
	s_mul_i32 s5, s5, s2
	s_add_i32 s10, s10, s9
	s_add_i32 s5, s10, s5
	s_mul_i32 s4, s4, s2
	s_waitcnt lgkmcnt(0)
	s_ashr_i32 s9, s8, 31
	s_lshl_b64 s[4:5], s[4:5], 2
	s_add_u32 s10, s14, s4
	s_addc_u32 s11, s15, s5
	s_lshl_b64 s[4:5], s[8:9], 2
	s_add_u32 s16, s10, s4
	s_addc_u32 s17, s11, s5
.LBB41_3:
	s_load_dwordx4 s[8:11], s[0:1], 0x0
	s_load_dword s4, s[0:1], 0x38
	s_mul_i32 s5, s12, s3
	s_mul_hi_u32 s14, s12, s2
	s_add_i32 s5, s14, s5
	s_waitcnt lgkmcnt(0)
	s_ashr_i32 s1, s10, 31
	s_mov_b32 s0, s10
	s_mul_i32 s10, s13, s2
	s_add_i32 s13, s5, s10
	s_mul_i32 s12, s12, s2
	s_lshl_b64 s[12:13], s[12:13], 4
	s_add_u32 s5, s8, s12
	s_addc_u32 s8, s9, s13
	s_lshl_b64 s[0:1], s[0:1], 4
	s_add_u32 s0, s5, s0
	s_addc_u32 s1, s8, s1
	v_lshlrev_b32_e32 v66, 4, v242
	global_load_dwordx4 v[68:71], v66, s[0:1]
	v_mov_b32_e32 v67, 0
	s_add_i32 s5, s11, s11
	v_lshl_add_u64 v[0:1], s[0:1], 0, v[66:67]
	v_add_u32_e32 v2, s5, v242
	s_mov_b32 s8, s11
	s_ashr_i32 s9, s11, 31
	v_accvgpr_write_b32 a0, v0
	v_add_u32_e32 v10, s11, v2
	v_accvgpr_write_b32 a1, v1
	v_lshl_add_u64 v[0:1], s[8:9], 4, v[0:1]
	v_add_u32_e32 v12, s11, v10
	v_ashrrev_i32_e32 v3, 31, v2
	v_ashrrev_i32_e32 v11, 31, v10
	v_accvgpr_write_b32 a3, v1
	v_add_u32_e32 v18, s11, v12
	v_lshl_add_u64 v[6:7], v[2:3], 4, s[0:1]
	v_accvgpr_write_b32 a2, v0
	global_load_dwordx4 v[2:5], v[0:1], off
	v_lshl_add_u64 v[0:1], v[10:11], 4, s[0:1]
	v_add_u32_e32 v20, s11, v18
	v_accvgpr_write_b32 a4, v6
	v_ashrrev_i32_e32 v13, 31, v12
	v_ashrrev_i32_e32 v19, 31, v18
	v_accvgpr_write_b32 a7, v1
	v_add_u32_e32 v26, s11, v20
	v_accvgpr_write_b32 a5, v7
	global_load_dwordx4 v[6:9], v[6:7], off
	v_lshl_add_u64 v[14:15], v[12:13], 4, s[0:1]
	v_accvgpr_write_b32 a6, v0
	global_load_dwordx4 v[10:13], v[0:1], off
	v_lshl_add_u64 v[0:1], v[18:19], 4, s[0:1]
	v_add_u32_e32 v28, s11, v26
	v_accvgpr_write_b32 a8, v14
	v_ashrrev_i32_e32 v21, 31, v20
	v_ashrrev_i32_e32 v27, 31, v26
	v_accvgpr_write_b32 a11, v1
	v_add_u32_e32 v34, s11, v28
	v_accvgpr_write_b32 a9, v15
	global_load_dwordx4 v[14:17], v[14:15], off
	;; [unrolled: 12-line block ×6, first 2 shown]
	v_lshl_add_u64 v[54:55], v[52:53], 4, s[0:1]
	v_accvgpr_write_b32 a26, v0
	global_load_dwordx4 v[50:53], v[0:1], off
	v_lshl_add_u64 v[0:1], v[58:59], 4, s[0:1]
	v_add_u32_e32 v76, s11, v72
	v_accvgpr_write_b32 a28, v54
	v_ashrrev_i32_e32 v61, 31, v60
	v_ashrrev_i32_e32 v73, 31, v72
	v_accvgpr_write_b32 a31, v1
	v_ashrrev_i32_e32 v77, 31, v76
	v_accvgpr_write_b32 a29, v55
	global_load_dwordx4 v[54:57], v[54:55], off
	v_lshl_add_u64 v[62:63], v[60:61], 4, s[0:1]
	v_accvgpr_write_b32 a30, v0
	global_load_dwordx4 v[58:61], v[0:1], off
	v_lshl_add_u64 v[0:1], v[72:73], 4, s[0:1]
	v_lshl_add_u64 v[72:73], v[76:77], 4, s[0:1]
	v_add_u32_e32 v76, s11, v76
	v_add_u32_e32 v84, s11, v76
	v_ashrrev_i32_e32 v85, 31, v84
	v_lshl_add_u64 v[80:81], v[84:85], 4, s[0:1]
	v_add_u32_e32 v84, s11, v84
	v_add_u32_e32 v92, s11, v84
	v_ashrrev_i32_e32 v93, 31, v92
	;; [unrolled: 4-line block ×3, first 2 shown]
	v_lshl_add_u64 v[96:97], v[100:101], 4, s[0:1]
	v_add_u32_e32 v100, s11, v100
	v_accvgpr_write_b32 a32, v62
	v_add_u32_e32 v108, s11, v100
	v_accvgpr_write_b32 a33, v63
	global_load_dwordx4 v[62:65], v[62:63], off
	v_ashrrev_i32_e32 v109, 31, v108
	s_waitcnt vmcnt(16)
	scratch_store_dwordx4 off, v[68:71], off offset:16
	v_accvgpr_write_b32 a35, v1
	global_load_dwordx4 v[68:71], v[0:1], off
	v_accvgpr_write_b32 a36, v72
	v_ashrrev_i32_e32 v77, 31, v76
	v_lshl_add_u64 v[104:105], v[108:109], 4, s[0:1]
	v_add_u32_e32 v108, s11, v108
	v_accvgpr_write_b32 a34, v0
	v_accvgpr_write_b32 a37, v73
	global_load_dwordx4 v[72:75], v[72:73], off
	v_lshl_add_u64 v[0:1], v[76:77], 4, s[0:1]
	v_add_u32_e32 v116, s11, v108
	v_accvgpr_write_b32 a39, v1
	global_load_dwordx4 v[76:79], v[0:1], off
	v_accvgpr_write_b32 a40, v80
	v_ashrrev_i32_e32 v85, 31, v84
	v_ashrrev_i32_e32 v117, 31, v116
	v_accvgpr_write_b32 a38, v0
	v_accvgpr_write_b32 a41, v81
	global_load_dwordx4 v[80:83], v[80:81], off
	v_lshl_add_u64 v[0:1], v[84:85], 4, s[0:1]
	v_lshl_add_u64 v[112:113], v[116:117], 4, s[0:1]
	v_add_u32_e32 v116, s11, v116
	v_accvgpr_write_b32 a43, v1
	global_load_dwordx4 v[84:87], v[0:1], off
	v_accvgpr_write_b32 a44, v88
	v_ashrrev_i32_e32 v93, 31, v92
	v_add_u32_e32 v124, s11, v116
	v_accvgpr_write_b32 a42, v0
	v_accvgpr_write_b32 a45, v89
	global_load_dwordx4 v[88:91], v[88:89], off
	v_lshl_add_u64 v[0:1], v[92:93], 4, s[0:1]
	v_ashrrev_i32_e32 v125, 31, v124
	v_accvgpr_write_b32 a47, v1
	global_load_dwordx4 v[92:95], v[0:1], off
	v_accvgpr_write_b32 a48, v96
	v_ashrrev_i32_e32 v101, 31, v100
	v_lshl_add_u64 v[120:121], v[124:125], 4, s[0:1]
	v_add_u32_e32 v124, s11, v124
	v_accvgpr_write_b32 a46, v0
	v_accvgpr_write_b32 a49, v97
	global_load_dwordx4 v[96:99], v[96:97], off
	v_lshl_add_u64 v[0:1], v[100:101], 4, s[0:1]
	v_add_u32_e32 v132, s11, v124
	v_accvgpr_write_b32 a51, v1
	global_load_dwordx4 v[100:103], v[0:1], off
	v_accvgpr_write_b32 a52, v104
	v_ashrrev_i32_e32 v109, 31, v108
	v_ashrrev_i32_e32 v133, 31, v132
	v_accvgpr_write_b32 a50, v0
	v_accvgpr_write_b32 a53, v105
	global_load_dwordx4 v[104:107], v[104:105], off
	v_lshl_add_u64 v[0:1], v[108:109], 4, s[0:1]
	v_lshl_add_u64 v[128:129], v[132:133], 4, s[0:1]
	v_add_u32_e32 v132, s11, v132
	v_accvgpr_write_b32 a55, v1
	global_load_dwordx4 v[108:111], v[0:1], off
	v_accvgpr_write_b32 a56, v112
	v_ashrrev_i32_e32 v117, 31, v116
	v_add_u32_e32 v140, s11, v132
	v_accvgpr_write_b32 a54, v0
	v_accvgpr_write_b32 a57, v113
	global_load_dwordx4 v[112:115], v[112:113], off
	v_lshl_add_u64 v[0:1], v[116:117], 4, s[0:1]
	v_ashrrev_i32_e32 v141, 31, v140
	;; [unrolled: 32-line block ×3, first 2 shown]
	v_accvgpr_write_b32 a71, v1
	global_load_dwordx4 v[140:143], v[0:1], off
	v_accvgpr_write_b32 a72, v144
	v_ashrrev_i32_e32 v149, 31, v148
	v_lshl_add_u64 v[152:153], v[156:157], 4, s[0:1]
	v_add_u32_e32 v156, s11, v156
	v_accvgpr_write_b32 a70, v0
	v_accvgpr_write_b32 a73, v145
	global_load_dwordx4 v[144:147], v[144:145], off
	v_lshl_add_u64 v[0:1], v[148:149], 4, s[0:1]
	v_add_u32_e32 v164, s11, v156
	v_accvgpr_write_b32 a75, v1
	global_load_dwordx4 v[148:151], v[0:1], off
	v_accvgpr_write_b32 a76, v152
	v_ashrrev_i32_e32 v157, 31, v156
	v_ashrrev_i32_e32 v165, 31, v164
	v_accvgpr_write_b32 a74, v0
	v_accvgpr_write_b32 a77, v153
	global_load_dwordx4 v[152:155], v[152:153], off
	v_lshl_add_u64 v[0:1], v[156:157], 4, s[0:1]
	v_lshl_add_u64 v[160:161], v[164:165], 4, s[0:1]
	v_add_u32_e32 v164, s11, v164
	v_accvgpr_write_b32 a79, v1
	global_load_dwordx4 v[156:159], v[0:1], off
	v_accvgpr_write_b32 a80, v160
	v_ashrrev_i32_e32 v165, 31, v164
	v_accvgpr_write_b32 a78, v0
	v_accvgpr_write_b32 a81, v161
	global_load_dwordx4 v[160:163], v[160:161], off
	v_lshl_add_u64 v[0:1], v[164:165], 4, s[0:1]
	global_load_dwordx4 v[164:167], v[0:1], off
	s_movk_i32 s0, 0x50
	s_add_i32 s20, s0, 16
	s_movk_i32 s0, 0x60
	s_add_i32 s22, s0, 16
	;; [unrolled: 2-line block ×36, first 2 shown]
	s_movk_i32 s0, 0x290
	v_accvgpr_write_b32 a83, v1
	s_add_i32 s55, s0, 16
	v_accvgpr_write_b32 a82, v0
	s_mov_b32 s15, 32
	s_mov_b32 s12, 48
	;; [unrolled: 1-line block ×3, first 2 shown]
	s_movk_i32 s14, 0x50
	s_bitcmp0_b32 s4, 0
	s_mov_b64 s[4:5], -1
	s_waitcnt vmcnt(41)
	scratch_store_dwordx4 off, v[2:5], off offset:32
	s_waitcnt vmcnt(41)
	scratch_store_dwordx4 off, v[6:9], off offset:48
	;; [unrolled: 2-line block ×41, first 2 shown]
	s_cbranch_scc1 .LBB41_180
; %bb.4:
	v_cmp_eq_u32_e64 s[0:1], 0, v242
	s_and_saveexec_b64 s[4:5], s[0:1]
; %bb.5:
	v_mov_b32_e32 v0, 0
	ds_write_b32 v0, v0 offset:1344
; %bb.6:
	s_or_b64 exec, exec, s[4:5]
	s_waitcnt lgkmcnt(0)
	; wave barrier
	scratch_load_dwordx4 v[2:5], v66, off offset:16
	s_waitcnt vmcnt(0)
	v_cmp_eq_f64_e32 vcc, 0, v[2:3]
	v_cmp_eq_f64_e64 s[4:5], 0, v[4:5]
	s_and_b64 s[4:5], vcc, s[4:5]
	s_and_saveexec_b64 s[8:9], s[4:5]
	s_cbranch_execz .LBB41_10
; %bb.7:
	v_mov_b32_e32 v1, 0
	ds_read_b32 v0, v1 offset:1344
	v_add_u32_e32 v2, 1, v242
	s_waitcnt lgkmcnt(0)
	v_readfirstlane_b32 s4, v0
	s_cmp_eq_u32 s4, 0
	s_cselect_b64 s[10:11], -1, 0
	v_cmp_gt_i32_e32 vcc, s4, v2
	s_or_b64 s[10:11], s[10:11], vcc
	s_and_b64 exec, exec, s[10:11]
	s_cbranch_execz .LBB41_10
; %bb.8:
	s_mov_b64 s[10:11], 0
	v_mov_b32_e32 v3, s4
.LBB41_9:                               ; =>This Inner Loop Header: Depth=1
	ds_cmpst_rtn_b32 v3, v1, v3, v2 offset:1344
	s_waitcnt lgkmcnt(0)
	v_cmp_ne_u32_e32 vcc, 0, v3
	v_cmp_le_i32_e64 s[4:5], v3, v2
	s_and_b64 s[4:5], vcc, s[4:5]
	s_and_b64 s[4:5], exec, s[4:5]
	s_or_b64 s[10:11], s[4:5], s[10:11]
	s_andn2_b64 exec, exec, s[10:11]
	s_cbranch_execnz .LBB41_9
.LBB41_10:
	s_or_b64 exec, exec, s[8:9]
	v_mov_b32_e32 v2, 0
	; wave barrier
	ds_read_b32 v1, v2 offset:1344
	s_and_saveexec_b64 s[4:5], s[0:1]
	s_cbranch_execz .LBB41_12
; %bb.11:
	s_lshl_b64 s[8:9], s[2:3], 2
	s_add_u32 s8, s6, s8
	s_addc_u32 s9, s7, s9
	s_waitcnt lgkmcnt(0)
	global_store_dword v2, v1, s[8:9]
.LBB41_12:
	s_or_b64 exec, exec, s[4:5]
	s_waitcnt lgkmcnt(0)
	v_cmp_ne_u32_e32 vcc, 0, v1
	s_mov_b64 s[4:5], 0
	s_cbranch_vccnz .LBB41_180
; %bb.13:
	v_add_u32_e32 v14, 16, v66
	scratch_load_dwordx4 v[2:5], v14, off
                                        ; implicit-def: $vgpr6_vgpr7
                                        ; implicit-def: $vgpr10_vgpr11
	s_waitcnt vmcnt(0)
	v_cmp_ngt_f64_e64 s[4:5], |v[2:3]|, |v[4:5]|
	s_and_saveexec_b64 s[8:9], s[4:5]
	s_xor_b64 s[4:5], exec, s[8:9]
	s_cbranch_execz .LBB41_15
; %bb.14:
	v_div_scale_f64 v[6:7], s[8:9], v[4:5], v[4:5], v[2:3]
	v_rcp_f64_e32 v[8:9], v[6:7]
	v_div_scale_f64 v[10:11], vcc, v[2:3], v[4:5], v[2:3]
	v_fma_f64 v[12:13], -v[6:7], v[8:9], 1.0
	v_fmac_f64_e32 v[8:9], v[8:9], v[12:13]
	v_fma_f64 v[12:13], -v[6:7], v[8:9], 1.0
	v_fmac_f64_e32 v[8:9], v[8:9], v[12:13]
	v_mul_f64 v[12:13], v[10:11], v[8:9]
	v_fma_f64 v[6:7], -v[6:7], v[12:13], v[10:11]
	v_div_fmas_f64 v[6:7], v[6:7], v[8:9], v[12:13]
	v_div_fixup_f64 v[6:7], v[6:7], v[4:5], v[2:3]
	v_fmac_f64_e32 v[4:5], v[2:3], v[6:7]
	v_div_scale_f64 v[2:3], s[8:9], v[4:5], v[4:5], 1.0
	v_rcp_f64_e32 v[8:9], v[2:3]
	s_nop 0
	v_fma_f64 v[10:11], -v[2:3], v[8:9], 1.0
	v_fmac_f64_e32 v[8:9], v[8:9], v[10:11]
	v_fma_f64 v[10:11], -v[2:3], v[8:9], 1.0
	v_fmac_f64_e32 v[8:9], v[8:9], v[10:11]
	v_div_scale_f64 v[10:11], vcc, 1.0, v[4:5], 1.0
	v_mul_f64 v[12:13], v[10:11], v[8:9]
	v_fma_f64 v[2:3], -v[2:3], v[12:13], v[10:11]
	s_nop 1
	v_div_fmas_f64 v[2:3], v[2:3], v[8:9], v[12:13]
	v_div_fixup_f64 v[8:9], v[2:3], v[4:5], 1.0
	v_mul_f64 v[6:7], v[6:7], v[8:9]
	v_xor_b32_e32 v9, 0x80000000, v9
	v_xor_b32_e32 v11, 0x80000000, v7
	v_mov_b32_e32 v10, v6
                                        ; implicit-def: $vgpr2_vgpr3
.LBB41_15:
	s_andn2_saveexec_b64 s[4:5], s[4:5]
	s_cbranch_execz .LBB41_17
; %bb.16:
	v_div_scale_f64 v[6:7], s[8:9], v[2:3], v[2:3], v[4:5]
	v_rcp_f64_e32 v[8:9], v[6:7]
	v_div_scale_f64 v[10:11], vcc, v[4:5], v[2:3], v[4:5]
	v_fma_f64 v[12:13], -v[6:7], v[8:9], 1.0
	v_fmac_f64_e32 v[8:9], v[8:9], v[12:13]
	v_fma_f64 v[12:13], -v[6:7], v[8:9], 1.0
	v_fmac_f64_e32 v[8:9], v[8:9], v[12:13]
	v_mul_f64 v[12:13], v[10:11], v[8:9]
	v_fma_f64 v[6:7], -v[6:7], v[12:13], v[10:11]
	v_div_fmas_f64 v[6:7], v[6:7], v[8:9], v[12:13]
	v_div_fixup_f64 v[8:9], v[6:7], v[2:3], v[4:5]
	v_fmac_f64_e32 v[2:3], v[4:5], v[8:9]
	v_div_scale_f64 v[4:5], s[8:9], v[2:3], v[2:3], 1.0
	v_rcp_f64_e32 v[6:7], v[4:5]
	s_nop 0
	v_fma_f64 v[10:11], -v[4:5], v[6:7], 1.0
	v_fmac_f64_e32 v[6:7], v[6:7], v[10:11]
	v_fma_f64 v[10:11], -v[4:5], v[6:7], 1.0
	v_fmac_f64_e32 v[6:7], v[6:7], v[10:11]
	v_div_scale_f64 v[10:11], vcc, 1.0, v[2:3], 1.0
	v_mul_f64 v[12:13], v[10:11], v[6:7]
	v_fma_f64 v[4:5], -v[4:5], v[12:13], v[10:11]
	s_nop 1
	v_div_fmas_f64 v[4:5], v[4:5], v[6:7], v[12:13]
	v_div_fixup_f64 v[6:7], v[4:5], v[2:3], 1.0
	v_xor_b32_e32 v11, 0x80000000, v7
	v_mov_b32_e32 v10, v6
	v_mul_f64 v[8:9], v[8:9], -v[6:7]
.LBB41_17:
	s_or_b64 exec, exec, s[4:5]
	scratch_store_dwordx4 v14, v[6:9], off
	scratch_load_dwordx4 v[2:5], off, s15
	v_xor_b32_e32 v13, 0x80000000, v9
	v_mov_b32_e32 v12, v8
	v_add_u32_e32 v1, 0x2a0, v66
	ds_write_b128 v66, v[10:13]
	s_waitcnt vmcnt(0)
	ds_write_b128 v66, v[2:5] offset:672
	s_waitcnt lgkmcnt(0)
	; wave barrier
	s_and_saveexec_b64 s[4:5], s[0:1]
	s_cbranch_execz .LBB41_19
; %bb.18:
	scratch_load_dwordx4 v[2:5], v14, off
	ds_read_b128 v[6:9], v1
	v_mov_b32_e32 v0, 0
	ds_read_b128 v[10:13], v0 offset:16
	s_waitcnt vmcnt(0) lgkmcnt(1)
	v_mul_f64 v[16:17], v[8:9], v[4:5]
	v_mul_f64 v[4:5], v[6:7], v[4:5]
	v_fma_f64 v[6:7], v[6:7], v[2:3], -v[16:17]
	v_fmac_f64_e32 v[4:5], v[8:9], v[2:3]
	v_add_f64 v[2:3], v[6:7], 0
	v_add_f64 v[6:7], v[4:5], 0
	s_waitcnt lgkmcnt(0)
	v_mul_f64 v[8:9], v[6:7], v[12:13]
	v_mul_f64 v[4:5], v[2:3], v[12:13]
	v_fma_f64 v[2:3], v[2:3], v[10:11], -v[8:9]
	v_fmac_f64_e32 v[4:5], v[6:7], v[10:11]
	scratch_store_dwordx4 off, v[2:5], off offset:32
.LBB41_19:
	s_or_b64 exec, exec, s[4:5]
	; wave barrier
	scratch_load_dwordx4 v[2:5], off, s12
	v_cmp_gt_u32_e32 vcc, 2, v242
	s_waitcnt vmcnt(0)
	ds_write_b128 v1, v[2:5]
	s_waitcnt lgkmcnt(0)
	; wave barrier
	s_and_saveexec_b64 s[4:5], vcc
	s_cbranch_execz .LBB41_23
; %bb.20:
	scratch_load_dwordx4 v[2:5], v14, off
	ds_read_b128 v[6:9], v1
	s_waitcnt vmcnt(0) lgkmcnt(0)
	v_mul_f64 v[10:11], v[8:9], v[4:5]
	v_mul_f64 v[12:13], v[6:7], v[4:5]
	v_fma_f64 v[4:5], v[6:7], v[2:3], -v[10:11]
	v_fmac_f64_e32 v[12:13], v[8:9], v[2:3]
	v_add_f64 v[4:5], v[4:5], 0
	v_add_f64 v[2:3], v[12:13], 0
	s_and_saveexec_b64 s[8:9], s[0:1]
	s_cbranch_execz .LBB41_22
; %bb.21:
	scratch_load_dwordx4 v[6:9], off, off offset:32
	v_mov_b32_e32 v0, 0
	ds_read_b128 v[10:13], v0 offset:688
	s_waitcnt vmcnt(0) lgkmcnt(0)
	v_mul_f64 v[14:15], v[10:11], v[8:9]
	v_mul_f64 v[8:9], v[12:13], v[8:9]
	v_fmac_f64_e32 v[14:15], v[12:13], v[6:7]
	v_fma_f64 v[6:7], v[10:11], v[6:7], -v[8:9]
	v_add_f64 v[2:3], v[2:3], v[14:15]
	v_add_f64 v[4:5], v[4:5], v[6:7]
.LBB41_22:
	s_or_b64 exec, exec, s[8:9]
	v_mov_b32_e32 v0, 0
	ds_read_b128 v[6:9], v0 offset:32
	s_waitcnt lgkmcnt(0)
	v_mul_f64 v[12:13], v[2:3], v[8:9]
	v_mul_f64 v[10:11], v[4:5], v[8:9]
	v_fma_f64 v[8:9], v[4:5], v[6:7], -v[12:13]
	v_fmac_f64_e32 v[10:11], v[2:3], v[6:7]
	scratch_store_dwordx4 off, v[8:11], off offset:48
.LBB41_23:
	s_or_b64 exec, exec, s[4:5]
	; wave barrier
	scratch_load_dwordx4 v[2:5], off, s13
	v_cmp_gt_u32_e32 vcc, 3, v242
	v_add_u32_e32 v6, -1, v242
	s_waitcnt vmcnt(0)
	ds_write_b128 v1, v[2:5]
	s_waitcnt lgkmcnt(0)
	; wave barrier
	s_and_saveexec_b64 s[0:1], vcc
	s_cbranch_execz .LBB41_27
; %bb.24:
	v_add_u32_e32 v7, -1, v242
	v_add_u32_e32 v8, 0x2a0, v66
	v_add_u32_e32 v9, 16, v66
	v_mov_b64_e32 v[2:3], 0
	s_mov_b64 s[4:5], 0
	v_mov_b64_e32 v[4:5], 0
.LBB41_25:                              ; =>This Inner Loop Header: Depth=1
	scratch_load_dwordx4 v[10:13], v9, off
	ds_read_b128 v[14:17], v8
	v_add_u32_e32 v7, 1, v7
	v_cmp_lt_u32_e32 vcc, 1, v7
	v_add_u32_e32 v8, 16, v8
	v_add_u32_e32 v9, 16, v9
	s_or_b64 s[4:5], vcc, s[4:5]
	s_waitcnt vmcnt(0) lgkmcnt(0)
	v_mul_f64 v[18:19], v[16:17], v[12:13]
	v_mul_f64 v[12:13], v[14:15], v[12:13]
	v_fma_f64 v[14:15], v[14:15], v[10:11], -v[18:19]
	v_fmac_f64_e32 v[12:13], v[16:17], v[10:11]
	v_add_f64 v[4:5], v[4:5], v[14:15]
	v_add_f64 v[2:3], v[2:3], v[12:13]
	s_andn2_b64 exec, exec, s[4:5]
	s_cbranch_execnz .LBB41_25
; %bb.26:
	s_or_b64 exec, exec, s[4:5]
	v_mov_b32_e32 v0, 0
	ds_read_b128 v[8:11], v0 offset:48
	s_waitcnt lgkmcnt(0)
	v_mul_f64 v[14:15], v[2:3], v[10:11]
	v_mul_f64 v[12:13], v[4:5], v[10:11]
	v_fma_f64 v[10:11], v[4:5], v[8:9], -v[14:15]
	v_fmac_f64_e32 v[12:13], v[2:3], v[8:9]
	scratch_store_dwordx4 off, v[10:13], off offset:64
.LBB41_27:
	s_or_b64 exec, exec, s[0:1]
	; wave barrier
	scratch_load_dwordx4 v[2:5], off, s14
	v_cmp_gt_u32_e32 vcc, 4, v242
	s_waitcnt vmcnt(0)
	ds_write_b128 v1, v[2:5]
	s_waitcnt lgkmcnt(0)
	; wave barrier
	s_and_saveexec_b64 s[0:1], vcc
	s_cbranch_execz .LBB41_31
; %bb.28:
	v_add_u32_e32 v7, -1, v242
	v_add_u32_e32 v8, 0x2a0, v66
	v_add_u32_e32 v9, 16, v66
	v_mov_b64_e32 v[2:3], 0
	s_mov_b64 s[4:5], 0
	v_mov_b64_e32 v[4:5], 0
.LBB41_29:                              ; =>This Inner Loop Header: Depth=1
	scratch_load_dwordx4 v[10:13], v9, off
	ds_read_b128 v[14:17], v8
	v_add_u32_e32 v7, 1, v7
	v_cmp_lt_u32_e32 vcc, 2, v7
	v_add_u32_e32 v8, 16, v8
	v_add_u32_e32 v9, 16, v9
	s_or_b64 s[4:5], vcc, s[4:5]
	s_waitcnt vmcnt(0) lgkmcnt(0)
	v_mul_f64 v[18:19], v[16:17], v[12:13]
	v_mul_f64 v[12:13], v[14:15], v[12:13]
	v_fma_f64 v[14:15], v[14:15], v[10:11], -v[18:19]
	v_fmac_f64_e32 v[12:13], v[16:17], v[10:11]
	v_add_f64 v[4:5], v[4:5], v[14:15]
	v_add_f64 v[2:3], v[2:3], v[12:13]
	s_andn2_b64 exec, exec, s[4:5]
	s_cbranch_execnz .LBB41_29
; %bb.30:
	s_or_b64 exec, exec, s[4:5]
	v_mov_b32_e32 v0, 0
	ds_read_b128 v[8:11], v0 offset:64
	s_waitcnt lgkmcnt(0)
	v_mul_f64 v[14:15], v[2:3], v[10:11]
	v_mul_f64 v[12:13], v[4:5], v[10:11]
	v_fma_f64 v[10:11], v[4:5], v[8:9], -v[14:15]
	v_fmac_f64_e32 v[12:13], v[2:3], v[8:9]
	scratch_store_dwordx4 off, v[10:13], off offset:80
.LBB41_31:
	s_or_b64 exec, exec, s[0:1]
	; wave barrier
	scratch_load_dwordx4 v[2:5], off, s20
	v_cmp_gt_u32_e32 vcc, 5, v242
	;; [unrolled: 45-line block ×19, first 2 shown]
	s_waitcnt vmcnt(0)
	ds_write_b128 v1, v[2:5]
	s_waitcnt lgkmcnt(0)
	; wave barrier
	s_and_saveexec_b64 s[0:1], vcc
	s_cbranch_execz .LBB41_103
; %bb.100:
	v_add_u32_e32 v7, -1, v242
	v_add_u32_e32 v8, 0x2a0, v66
	v_add_u32_e32 v9, 16, v66
	v_mov_b64_e32 v[2:3], 0
	s_mov_b64 s[4:5], 0
	v_mov_b64_e32 v[4:5], 0
.LBB41_101:                             ; =>This Inner Loop Header: Depth=1
	scratch_load_dwordx4 v[10:13], v9, off
	ds_read_b128 v[14:17], v8
	v_add_u32_e32 v7, 1, v7
	v_cmp_lt_u32_e32 vcc, 20, v7
	v_add_u32_e32 v8, 16, v8
	v_add_u32_e32 v9, 16, v9
	s_or_b64 s[4:5], vcc, s[4:5]
	s_waitcnt vmcnt(0) lgkmcnt(0)
	v_mul_f64 v[18:19], v[16:17], v[12:13]
	v_mul_f64 v[12:13], v[14:15], v[12:13]
	v_fma_f64 v[14:15], v[14:15], v[10:11], -v[18:19]
	v_fmac_f64_e32 v[12:13], v[16:17], v[10:11]
	v_add_f64 v[4:5], v[4:5], v[14:15]
	v_add_f64 v[2:3], v[2:3], v[12:13]
	s_andn2_b64 exec, exec, s[4:5]
	s_cbranch_execnz .LBB41_101
; %bb.102:
	s_or_b64 exec, exec, s[4:5]
	v_mov_b32_e32 v0, 0
	ds_read_b128 v[8:11], v0 offset:352
	s_waitcnt lgkmcnt(0)
	v_mul_f64 v[14:15], v[2:3], v[10:11]
	v_mul_f64 v[12:13], v[4:5], v[10:11]
	v_fma_f64 v[10:11], v[4:5], v[8:9], -v[14:15]
	v_fmac_f64_e32 v[12:13], v[2:3], v[8:9]
	scratch_store_dwordx4 off, v[10:13], off offset:368
.LBB41_103:
	s_or_b64 exec, exec, s[0:1]
	; wave barrier
	scratch_load_dwordx4 v[2:5], off, s37
	v_cmp_gt_u32_e32 vcc, 23, v242
	s_waitcnt vmcnt(0)
	ds_write_b128 v1, v[2:5]
	s_waitcnt lgkmcnt(0)
	; wave barrier
	s_and_saveexec_b64 s[0:1], vcc
	s_cbranch_execz .LBB41_107
; %bb.104:
	v_add_u32_e32 v7, -1, v242
	v_add_u32_e32 v8, 0x2a0, v66
	v_add_u32_e32 v9, 16, v66
	v_mov_b64_e32 v[2:3], 0
	s_mov_b64 s[4:5], 0
	v_mov_b64_e32 v[4:5], 0
.LBB41_105:                             ; =>This Inner Loop Header: Depth=1
	scratch_load_dwordx4 v[10:13], v9, off
	ds_read_b128 v[14:17], v8
	v_add_u32_e32 v7, 1, v7
	v_cmp_lt_u32_e32 vcc, 21, v7
	v_add_u32_e32 v8, 16, v8
	v_add_u32_e32 v9, 16, v9
	s_or_b64 s[4:5], vcc, s[4:5]
	s_waitcnt vmcnt(0) lgkmcnt(0)
	v_mul_f64 v[18:19], v[16:17], v[12:13]
	v_mul_f64 v[12:13], v[14:15], v[12:13]
	v_fma_f64 v[14:15], v[14:15], v[10:11], -v[18:19]
	v_fmac_f64_e32 v[12:13], v[16:17], v[10:11]
	v_add_f64 v[4:5], v[4:5], v[14:15]
	v_add_f64 v[2:3], v[2:3], v[12:13]
	s_andn2_b64 exec, exec, s[4:5]
	s_cbranch_execnz .LBB41_105
; %bb.106:
	s_or_b64 exec, exec, s[4:5]
	v_mov_b32_e32 v0, 0
	ds_read_b128 v[8:11], v0 offset:368
	s_waitcnt lgkmcnt(0)
	v_mul_f64 v[14:15], v[2:3], v[10:11]
	v_mul_f64 v[12:13], v[4:5], v[10:11]
	v_fma_f64 v[10:11], v[4:5], v[8:9], -v[14:15]
	v_fmac_f64_e32 v[12:13], v[2:3], v[8:9]
	scratch_store_dwordx4 off, v[10:13], off offset:384
.LBB41_107:
	s_or_b64 exec, exec, s[0:1]
	; wave barrier
	scratch_load_dwordx4 v[2:5], off, s38
	v_cmp_gt_u32_e32 vcc, 24, v242
	;; [unrolled: 45-line block ×18, first 2 shown]
	s_waitcnt vmcnt(0)
	ds_write_b128 v1, v[2:5]
	s_waitcnt lgkmcnt(0)
	; wave barrier
	s_and_saveexec_b64 s[0:1], vcc
	s_cbranch_execz .LBB41_175
; %bb.172:
	v_add_u32_e32 v7, -1, v242
	v_add_u32_e32 v8, 0x2a0, v66
	v_add_u32_e32 v9, 16, v66
	v_mov_b64_e32 v[2:3], 0
	s_mov_b64 s[4:5], 0
	v_mov_b64_e32 v[4:5], 0
.LBB41_173:                             ; =>This Inner Loop Header: Depth=1
	scratch_load_dwordx4 v[10:13], v9, off
	ds_read_b128 v[14:17], v8
	v_add_u32_e32 v7, 1, v7
	v_cmp_lt_u32_e32 vcc, 38, v7
	v_add_u32_e32 v8, 16, v8
	v_add_u32_e32 v9, 16, v9
	s_or_b64 s[4:5], vcc, s[4:5]
	s_waitcnt vmcnt(0) lgkmcnt(0)
	v_mul_f64 v[18:19], v[16:17], v[12:13]
	v_mul_f64 v[12:13], v[14:15], v[12:13]
	v_fma_f64 v[14:15], v[14:15], v[10:11], -v[18:19]
	v_fmac_f64_e32 v[12:13], v[16:17], v[10:11]
	v_add_f64 v[4:5], v[4:5], v[14:15]
	v_add_f64 v[2:3], v[2:3], v[12:13]
	s_andn2_b64 exec, exec, s[4:5]
	s_cbranch_execnz .LBB41_173
; %bb.174:
	s_or_b64 exec, exec, s[4:5]
	v_mov_b32_e32 v0, 0
	ds_read_b128 v[8:11], v0 offset:640
	s_waitcnt lgkmcnt(0)
	v_mul_f64 v[14:15], v[2:3], v[10:11]
	v_mul_f64 v[12:13], v[4:5], v[10:11]
	v_fma_f64 v[10:11], v[4:5], v[8:9], -v[14:15]
	v_fmac_f64_e32 v[12:13], v[2:3], v[8:9]
	scratch_store_dwordx4 off, v[10:13], off offset:656
.LBB41_175:
	s_or_b64 exec, exec, s[0:1]
	; wave barrier
	scratch_load_dwordx4 v[2:5], off, s55
	v_cmp_ne_u32_e32 vcc, 41, v242
	s_waitcnt vmcnt(0)
	ds_write_b128 v1, v[2:5]
	s_waitcnt lgkmcnt(0)
	; wave barrier
	s_and_saveexec_b64 s[0:1], vcc
	s_cbranch_execz .LBB41_179
; %bb.176:
	v_add_u32_e32 v1, 0x2a0, v66
	v_add_u32_e32 v7, 16, v66
	v_mov_b64_e32 v[2:3], 0
	s_mov_b64 s[4:5], 0
	v_mov_b64_e32 v[4:5], 0
.LBB41_177:                             ; =>This Inner Loop Header: Depth=1
	scratch_load_dwordx4 v[8:11], v7, off
	ds_read_b128 v[12:15], v1
	v_add_u32_e32 v6, 1, v6
	v_cmp_lt_u32_e32 vcc, 39, v6
	v_add_u32_e32 v1, 16, v1
	v_add_u32_e32 v7, 16, v7
	s_or_b64 s[4:5], vcc, s[4:5]
	s_waitcnt vmcnt(0) lgkmcnt(0)
	v_mul_f64 v[16:17], v[14:15], v[10:11]
	v_mul_f64 v[10:11], v[12:13], v[10:11]
	v_fma_f64 v[12:13], v[12:13], v[8:9], -v[16:17]
	v_fmac_f64_e32 v[10:11], v[14:15], v[8:9]
	v_add_f64 v[4:5], v[4:5], v[12:13]
	v_add_f64 v[2:3], v[2:3], v[10:11]
	s_andn2_b64 exec, exec, s[4:5]
	s_cbranch_execnz .LBB41_177
; %bb.178:
	s_or_b64 exec, exec, s[4:5]
	v_mov_b32_e32 v0, 0
	ds_read_b128 v[6:9], v0 offset:656
	s_waitcnt lgkmcnt(0)
	v_mul_f64 v[12:13], v[2:3], v[8:9]
	v_mul_f64 v[10:11], v[4:5], v[8:9]
	v_fma_f64 v[8:9], v[4:5], v[6:7], -v[12:13]
	v_fmac_f64_e32 v[10:11], v[2:3], v[6:7]
	scratch_store_dwordx4 off, v[8:11], off offset:672
.LBB41_179:
	s_or_b64 exec, exec, s[0:1]
	s_mov_b64 s[4:5], -1
	; wave barrier
.LBB41_180:
	s_and_b64 vcc, exec, s[4:5]
	s_cbranch_vccz .LBB41_182
; %bb.181:
	s_lshl_b64 s[0:1], s[2:3], 2
	s_add_u32 s0, s6, s0
	s_addc_u32 s1, s7, s1
	v_mov_b32_e32 v0, 0
	global_load_dword v0, v0, s[0:1]
	s_waitcnt vmcnt(0)
	v_cmp_ne_u32_e32 vcc, 0, v0
	s_cbranch_vccz .LBB41_183
.LBB41_182:
	s_endpgm
.LBB41_183:
	v_mov_b32_e32 v0, 0x2a0
	v_lshl_add_u32 v0, v242, 4, v0
	v_accvgpr_write_b32 a85, v0
	v_cmp_eq_u32_e32 vcc, 41, v242
	s_and_saveexec_b64 s[0:1], vcc
	s_cbranch_execz .LBB41_185
; %bb.184:
	scratch_load_dwordx4 v[2:5], off, s54
	v_mov_b32_e32 v6, 0
	v_mov_b32_e32 v7, v6
	;; [unrolled: 1-line block ×4, first 2 shown]
	v_accvgpr_read_b32 v0, a85
	scratch_store_dwordx4 off, v[6:9], off offset:656
	s_waitcnt vmcnt(1)
	ds_write_b128 v0, v[2:5]
.LBB41_185:
	s_or_b64 exec, exec, s[0:1]
	s_waitcnt lgkmcnt(0)
	; wave barrier
	scratch_load_dwordx4 v[4:7], off, off offset:672
	scratch_load_dwordx4 v[8:11], off, off offset:656
	v_mov_b32_e32 v2, 0
	ds_read_b128 v[12:15], v2 offset:1328
	v_cmp_lt_u32_e32 vcc, 39, v242
	s_waitcnt vmcnt(1) lgkmcnt(0)
	v_mul_f64 v[16:17], v[12:13], v[6:7]
	v_mul_f64 v[6:7], v[14:15], v[6:7]
	v_fmac_f64_e32 v[16:17], v[14:15], v[4:5]
	v_fma_f64 v[4:5], v[12:13], v[4:5], -v[6:7]
	v_add_f64 v[6:7], v[16:17], 0
	v_add_f64 v[4:5], v[4:5], 0
	s_waitcnt vmcnt(0)
	v_add_f64 v[4:5], v[8:9], -v[4:5]
	v_add_f64 v[6:7], v[10:11], -v[6:7]
	scratch_store_dwordx4 off, v[4:7], off offset:656
	s_and_saveexec_b64 s[0:1], vcc
	s_cbranch_execz .LBB41_187
; %bb.186:
	scratch_load_dwordx4 v[6:9], off, s53
	v_mov_b32_e32 v3, v2
	v_mov_b32_e32 v4, v2
	v_mov_b32_e32 v5, v2
	v_accvgpr_read_b32 v0, a85
	scratch_store_dwordx4 off, v[2:5], off offset:640
	s_waitcnt vmcnt(1)
	ds_write_b128 v0, v[6:9]
.LBB41_187:
	s_or_b64 exec, exec, s[0:1]
	s_waitcnt lgkmcnt(0)
	; wave barrier
	scratch_load_dwordx4 v[4:7], off, off offset:656
	scratch_load_dwordx4 v[8:11], off, off offset:672
	;; [unrolled: 1-line block ×3, first 2 shown]
	ds_read_b128 v[16:19], v2 offset:1312
	ds_read_b128 v[20:23], v2 offset:1328
	v_cmp_lt_u32_e32 vcc, 38, v242
	s_waitcnt vmcnt(2) lgkmcnt(1)
	v_mul_f64 v[2:3], v[16:17], v[6:7]
	v_mul_f64 v[6:7], v[18:19], v[6:7]
	s_waitcnt vmcnt(1) lgkmcnt(0)
	v_mul_f64 v[24:25], v[20:21], v[10:11]
	v_mul_f64 v[10:11], v[22:23], v[10:11]
	v_fmac_f64_e32 v[2:3], v[18:19], v[4:5]
	v_fma_f64 v[4:5], v[16:17], v[4:5], -v[6:7]
	v_fmac_f64_e32 v[24:25], v[22:23], v[8:9]
	v_fma_f64 v[6:7], v[20:21], v[8:9], -v[10:11]
	v_add_f64 v[2:3], v[2:3], 0
	v_add_f64 v[4:5], v[4:5], 0
	;; [unrolled: 1-line block ×4, first 2 shown]
	s_waitcnt vmcnt(0)
	v_add_f64 v[2:3], v[12:13], -v[2:3]
	v_add_f64 v[4:5], v[14:15], -v[8:9]
	scratch_store_dwordx4 off, v[2:5], off offset:640
	s_and_saveexec_b64 s[0:1], vcc
	s_cbranch_execz .LBB41_189
; %bb.188:
	scratch_load_dwordx4 v[2:5], off, s52
	v_mov_b32_e32 v6, 0
	v_mov_b32_e32 v7, v6
	;; [unrolled: 1-line block ×4, first 2 shown]
	v_accvgpr_read_b32 v0, a85
	scratch_store_dwordx4 off, v[6:9], off offset:624
	s_waitcnt vmcnt(1)
	ds_write_b128 v0, v[2:5]
.LBB41_189:
	s_or_b64 exec, exec, s[0:1]
	s_waitcnt lgkmcnt(0)
	; wave barrier
	scratch_load_dwordx4 v[4:7], off, off offset:640
	scratch_load_dwordx4 v[8:11], off, off offset:656
	;; [unrolled: 1-line block ×4, first 2 shown]
	v_mov_b32_e32 v2, 0
	ds_read_b128 v[20:23], v2 offset:1296
	ds_read_b128 v[24:27], v2 offset:1312
	;; [unrolled: 1-line block ×3, first 2 shown]
	v_cmp_lt_u32_e32 vcc, 37, v242
	s_waitcnt vmcnt(3) lgkmcnt(2)
	v_mul_f64 v[32:33], v[20:21], v[6:7]
	v_mul_f64 v[6:7], v[22:23], v[6:7]
	s_waitcnt vmcnt(2) lgkmcnt(1)
	v_mul_f64 v[34:35], v[24:25], v[10:11]
	v_mul_f64 v[10:11], v[26:27], v[10:11]
	v_fmac_f64_e32 v[32:33], v[22:23], v[4:5]
	v_fma_f64 v[4:5], v[20:21], v[4:5], -v[6:7]
	s_waitcnt vmcnt(1) lgkmcnt(0)
	v_mul_f64 v[36:37], v[28:29], v[14:15]
	v_mul_f64 v[14:15], v[30:31], v[14:15]
	v_fmac_f64_e32 v[34:35], v[26:27], v[8:9]
	v_fma_f64 v[6:7], v[24:25], v[8:9], -v[10:11]
	v_add_f64 v[10:11], v[32:33], 0
	v_add_f64 v[4:5], v[4:5], 0
	v_fmac_f64_e32 v[36:37], v[30:31], v[12:13]
	v_fma_f64 v[8:9], v[28:29], v[12:13], -v[14:15]
	v_add_f64 v[10:11], v[10:11], v[34:35]
	v_add_f64 v[4:5], v[4:5], v[6:7]
	;; [unrolled: 1-line block ×4, first 2 shown]
	s_waitcnt vmcnt(0)
	v_add_f64 v[4:5], v[16:17], -v[4:5]
	v_add_f64 v[6:7], v[18:19], -v[6:7]
	scratch_store_dwordx4 off, v[4:7], off offset:624
	s_and_saveexec_b64 s[0:1], vcc
	s_cbranch_execz .LBB41_191
; %bb.190:
	scratch_load_dwordx4 v[6:9], off, s51
	v_mov_b32_e32 v3, v2
	v_mov_b32_e32 v4, v2
	;; [unrolled: 1-line block ×3, first 2 shown]
	v_accvgpr_read_b32 v0, a85
	scratch_store_dwordx4 off, v[2:5], off offset:608
	s_waitcnt vmcnt(1)
	ds_write_b128 v0, v[6:9]
.LBB41_191:
	s_or_b64 exec, exec, s[0:1]
	s_waitcnt lgkmcnt(0)
	; wave barrier
	ds_read_b128 v[4:7], v2 offset:1280
	ds_read_b128 v[8:11], v2 offset:1296
	;; [unrolled: 1-line block ×4, first 2 shown]
	scratch_load_dwordx4 v[20:23], off, off offset:624
	scratch_load_dwordx4 v[24:27], off, off offset:640
	v_cmp_lt_u32_e32 vcc, 36, v242
	s_waitcnt vmcnt(1) lgkmcnt(3)
	v_mul_f64 v[2:3], v[4:5], v[22:23]
	v_fmac_f64_e32 v[2:3], v[6:7], v[20:21]
	s_waitcnt vmcnt(0) lgkmcnt(2)
	v_mul_f64 v[28:29], v[8:9], v[26:27]
	v_add_f64 v[2:3], v[2:3], 0
	v_fmac_f64_e32 v[28:29], v[10:11], v[24:25]
	v_add_f64 v[2:3], v[2:3], v[28:29]
	scratch_load_dwordx4 v[28:31], off, off offset:656
	s_waitcnt vmcnt(0) lgkmcnt(1)
	v_mul_f64 v[32:33], v[12:13], v[30:31]
	v_fmac_f64_e32 v[32:33], v[14:15], v[28:29]
	v_add_f64 v[2:3], v[2:3], v[32:33]
	scratch_load_dwordx4 v[32:35], off, off offset:672
	s_waitcnt vmcnt(0) lgkmcnt(0)
	v_mul_f64 v[36:37], v[16:17], v[34:35]
	v_fmac_f64_e32 v[36:37], v[18:19], v[32:33]
	v_add_f64 v[36:37], v[2:3], v[36:37]
	v_mul_f64 v[2:3], v[6:7], v[22:23]
	v_fma_f64 v[2:3], v[4:5], v[20:21], -v[2:3]
	v_mul_f64 v[4:5], v[10:11], v[26:27]
	v_add_f64 v[2:3], v[2:3], 0
	v_fma_f64 v[4:5], v[8:9], v[24:25], -v[4:5]
	v_add_f64 v[2:3], v[2:3], v[4:5]
	v_mul_f64 v[4:5], v[14:15], v[30:31]
	v_fma_f64 v[4:5], v[12:13], v[28:29], -v[4:5]
	v_add_f64 v[2:3], v[2:3], v[4:5]
	v_mul_f64 v[4:5], v[18:19], v[34:35]
	v_fma_f64 v[4:5], v[16:17], v[32:33], -v[4:5]
	v_add_f64 v[6:7], v[2:3], v[4:5]
	scratch_load_dwordx4 v[2:5], off, off offset:608
	s_waitcnt vmcnt(0)
	v_add_f64 v[2:3], v[2:3], -v[6:7]
	v_add_f64 v[4:5], v[4:5], -v[36:37]
	scratch_store_dwordx4 off, v[2:5], off offset:608
	s_and_saveexec_b64 s[0:1], vcc
	s_cbranch_execz .LBB41_193
; %bb.192:
	scratch_load_dwordx4 v[2:5], off, s50
	v_mov_b32_e32 v6, 0
	v_mov_b32_e32 v7, v6
	;; [unrolled: 1-line block ×4, first 2 shown]
	v_accvgpr_read_b32 v0, a85
	scratch_store_dwordx4 off, v[6:9], off offset:592
	s_waitcnt vmcnt(1)
	ds_write_b128 v0, v[2:5]
.LBB41_193:
	s_or_b64 exec, exec, s[0:1]
	s_waitcnt lgkmcnt(0)
	; wave barrier
	scratch_load_dwordx4 v[4:7], off, off offset:608
	scratch_load_dwordx4 v[8:11], off, off offset:624
	;; [unrolled: 1-line block ×6, first 2 shown]
	v_mov_b32_e32 v2, 0
	ds_read_b128 v[28:31], v2 offset:1264
	ds_read_b128 v[32:35], v2 offset:1280
	;; [unrolled: 1-line block ×5, first 2 shown]
	v_cmp_lt_u32_e32 vcc, 35, v242
	s_waitcnt vmcnt(5) lgkmcnt(4)
	v_mul_f64 v[48:49], v[28:29], v[6:7]
	v_mul_f64 v[6:7], v[30:31], v[6:7]
	s_waitcnt vmcnt(4) lgkmcnt(3)
	v_mul_f64 v[50:51], v[32:33], v[10:11]
	s_waitcnt vmcnt(3) lgkmcnt(2)
	v_mul_f64 v[52:53], v[36:37], v[14:15]
	v_mul_f64 v[10:11], v[34:35], v[10:11]
	;; [unrolled: 1-line block ×3, first 2 shown]
	v_fmac_f64_e32 v[48:49], v[30:31], v[4:5]
	v_fma_f64 v[4:5], v[28:29], v[4:5], -v[6:7]
	v_fmac_f64_e32 v[50:51], v[34:35], v[8:9]
	v_fma_f64 v[6:7], v[32:33], v[8:9], -v[10:11]
	v_fma_f64 v[8:9], v[36:37], v[12:13], -v[14:15]
	v_add_f64 v[14:15], v[48:49], 0
	v_add_f64 v[4:5], v[4:5], 0
	s_waitcnt vmcnt(2) lgkmcnt(1)
	v_mul_f64 v[54:55], v[40:41], v[18:19]
	v_mul_f64 v[18:19], v[42:43], v[18:19]
	v_fmac_f64_e32 v[52:53], v[38:39], v[12:13]
	v_add_f64 v[14:15], v[14:15], v[50:51]
	v_add_f64 v[4:5], v[4:5], v[6:7]
	s_waitcnt vmcnt(1) lgkmcnt(0)
	v_mul_f64 v[56:57], v[44:45], v[22:23]
	v_mul_f64 v[22:23], v[46:47], v[22:23]
	v_fmac_f64_e32 v[54:55], v[42:43], v[16:17]
	v_fma_f64 v[10:11], v[40:41], v[16:17], -v[18:19]
	v_add_f64 v[6:7], v[14:15], v[52:53]
	v_add_f64 v[4:5], v[4:5], v[8:9]
	v_fmac_f64_e32 v[56:57], v[46:47], v[20:21]
	v_fma_f64 v[12:13], v[44:45], v[20:21], -v[22:23]
	v_add_f64 v[6:7], v[6:7], v[54:55]
	v_add_f64 v[4:5], v[4:5], v[10:11]
	;; [unrolled: 1-line block ×4, first 2 shown]
	s_waitcnt vmcnt(0)
	v_add_f64 v[4:5], v[24:25], -v[4:5]
	v_add_f64 v[6:7], v[26:27], -v[6:7]
	scratch_store_dwordx4 off, v[4:7], off offset:592
	s_and_saveexec_b64 s[0:1], vcc
	s_cbranch_execz .LBB41_195
; %bb.194:
	scratch_load_dwordx4 v[6:9], off, s49
	v_mov_b32_e32 v3, v2
	v_mov_b32_e32 v4, v2
	;; [unrolled: 1-line block ×3, first 2 shown]
	v_accvgpr_read_b32 v0, a85
	scratch_store_dwordx4 off, v[2:5], off offset:576
	s_waitcnt vmcnt(1)
	ds_write_b128 v0, v[6:9]
.LBB41_195:
	s_or_b64 exec, exec, s[0:1]
	s_waitcnt lgkmcnt(0)
	; wave barrier
	scratch_load_dwordx4 v[4:7], off, off offset:592
	scratch_load_dwordx4 v[8:11], off, off offset:608
	;; [unrolled: 1-line block ×7, first 2 shown]
	ds_read_b128 v[32:35], v2 offset:1248
	ds_read_b128 v[36:39], v2 offset:1264
	;; [unrolled: 1-line block ×6, first 2 shown]
	v_cmp_lt_u32_e32 vcc, 34, v242
	s_waitcnt vmcnt(6) lgkmcnt(5)
	v_mul_f64 v[2:3], v[32:33], v[6:7]
	v_mul_f64 v[6:7], v[34:35], v[6:7]
	s_waitcnt vmcnt(5) lgkmcnt(4)
	v_mul_f64 v[56:57], v[36:37], v[10:11]
	v_mul_f64 v[10:11], v[38:39], v[10:11]
	v_fmac_f64_e32 v[2:3], v[34:35], v[4:5]
	v_fma_f64 v[4:5], v[32:33], v[4:5], -v[6:7]
	s_waitcnt vmcnt(4) lgkmcnt(3)
	v_mul_f64 v[58:59], v[40:41], v[14:15]
	v_mul_f64 v[14:15], v[42:43], v[14:15]
	v_fmac_f64_e32 v[56:57], v[38:39], v[8:9]
	v_fma_f64 v[6:7], v[36:37], v[8:9], -v[10:11]
	v_add_f64 v[2:3], v[2:3], 0
	v_add_f64 v[4:5], v[4:5], 0
	s_waitcnt vmcnt(3) lgkmcnt(2)
	v_mul_f64 v[60:61], v[44:45], v[18:19]
	v_mul_f64 v[18:19], v[46:47], v[18:19]
	v_fmac_f64_e32 v[58:59], v[42:43], v[12:13]
	v_fma_f64 v[8:9], v[40:41], v[12:13], -v[14:15]
	v_add_f64 v[2:3], v[2:3], v[56:57]
	v_add_f64 v[4:5], v[4:5], v[6:7]
	;; [unrolled: 7-line block ×4, first 2 shown]
	v_fmac_f64_e32 v[64:65], v[54:55], v[24:25]
	v_fma_f64 v[14:15], v[52:53], v[24:25], -v[26:27]
	v_add_f64 v[2:3], v[2:3], v[62:63]
	v_add_f64 v[4:5], v[4:5], v[12:13]
	;; [unrolled: 1-line block ×4, first 2 shown]
	s_waitcnt vmcnt(0)
	v_add_f64 v[2:3], v[28:29], -v[2:3]
	v_add_f64 v[4:5], v[30:31], -v[6:7]
	scratch_store_dwordx4 off, v[2:5], off offset:576
	s_and_saveexec_b64 s[0:1], vcc
	s_cbranch_execz .LBB41_197
; %bb.196:
	scratch_load_dwordx4 v[2:5], off, s48
	v_mov_b32_e32 v6, 0
	v_mov_b32_e32 v7, v6
	;; [unrolled: 1-line block ×4, first 2 shown]
	v_accvgpr_read_b32 v0, a85
	scratch_store_dwordx4 off, v[6:9], off offset:560
	s_waitcnt vmcnt(1)
	ds_write_b128 v0, v[2:5]
.LBB41_197:
	s_or_b64 exec, exec, s[0:1]
	s_waitcnt lgkmcnt(0)
	; wave barrier
	scratch_load_dwordx4 v[4:7], off, off offset:576
	scratch_load_dwordx4 v[8:11], off, off offset:592
	;; [unrolled: 1-line block ×8, first 2 shown]
	v_mov_b32_e32 v2, 0
	ds_read_b128 v[36:39], v2 offset:1232
	ds_read_b128 v[40:43], v2 offset:1248
	;; [unrolled: 1-line block ×7, first 2 shown]
	v_cmp_lt_u32_e32 vcc, 33, v242
	s_waitcnt vmcnt(7) lgkmcnt(6)
	v_mul_f64 v[64:65], v[36:37], v[6:7]
	v_mul_f64 v[6:7], v[38:39], v[6:7]
	s_waitcnt vmcnt(6) lgkmcnt(5)
	v_mul_f64 v[66:67], v[40:41], v[10:11]
	s_waitcnt vmcnt(4) lgkmcnt(3)
	v_mul_f64 v[70:71], v[48:49], v[18:19]
	v_mul_f64 v[10:11], v[42:43], v[10:11]
	v_mul_f64 v[18:19], v[50:51], v[18:19]
	v_fmac_f64_e32 v[64:65], v[38:39], v[4:5]
	v_fma_f64 v[4:5], v[36:37], v[4:5], -v[6:7]
	v_mul_f64 v[68:69], v[44:45], v[14:15]
	v_mul_f64 v[14:15], v[46:47], v[14:15]
	v_fmac_f64_e32 v[66:67], v[42:43], v[8:9]
	v_fma_f64 v[6:7], v[40:41], v[8:9], -v[10:11]
	v_fma_f64 v[10:11], v[48:49], v[16:17], -v[18:19]
	v_add_f64 v[18:19], v[64:65], 0
	v_add_f64 v[4:5], v[4:5], 0
	v_fmac_f64_e32 v[68:69], v[46:47], v[12:13]
	v_fma_f64 v[8:9], v[44:45], v[12:13], -v[14:15]
	v_add_f64 v[18:19], v[18:19], v[66:67]
	v_add_f64 v[4:5], v[4:5], v[6:7]
	s_waitcnt vmcnt(3) lgkmcnt(2)
	v_mul_f64 v[72:73], v[52:53], v[22:23]
	v_mul_f64 v[22:23], v[54:55], v[22:23]
	v_fmac_f64_e32 v[70:71], v[50:51], v[16:17]
	v_add_f64 v[6:7], v[18:19], v[68:69]
	v_add_f64 v[4:5], v[4:5], v[8:9]
	s_waitcnt vmcnt(2) lgkmcnt(1)
	v_mul_f64 v[74:75], v[56:57], v[26:27]
	v_mul_f64 v[26:27], v[58:59], v[26:27]
	v_fmac_f64_e32 v[72:73], v[54:55], v[20:21]
	v_fma_f64 v[12:13], v[52:53], v[20:21], -v[22:23]
	v_add_f64 v[6:7], v[6:7], v[70:71]
	v_add_f64 v[4:5], v[4:5], v[10:11]
	s_waitcnt vmcnt(1) lgkmcnt(0)
	v_mul_f64 v[76:77], v[60:61], v[30:31]
	v_mul_f64 v[30:31], v[62:63], v[30:31]
	v_fmac_f64_e32 v[74:75], v[58:59], v[24:25]
	v_fma_f64 v[14:15], v[56:57], v[24:25], -v[26:27]
	v_add_f64 v[6:7], v[6:7], v[72:73]
	v_add_f64 v[4:5], v[4:5], v[12:13]
	v_fmac_f64_e32 v[76:77], v[62:63], v[28:29]
	v_fma_f64 v[16:17], v[60:61], v[28:29], -v[30:31]
	v_add_f64 v[6:7], v[6:7], v[74:75]
	v_add_f64 v[4:5], v[4:5], v[14:15]
	;; [unrolled: 1-line block ×4, first 2 shown]
	s_waitcnt vmcnt(0)
	v_add_f64 v[4:5], v[32:33], -v[4:5]
	v_add_f64 v[6:7], v[34:35], -v[6:7]
	scratch_store_dwordx4 off, v[4:7], off offset:560
	s_and_saveexec_b64 s[0:1], vcc
	s_cbranch_execz .LBB41_199
; %bb.198:
	scratch_load_dwordx4 v[6:9], off, s47
	v_mov_b32_e32 v3, v2
	v_mov_b32_e32 v4, v2
	;; [unrolled: 1-line block ×3, first 2 shown]
	v_accvgpr_read_b32 v0, a85
	scratch_store_dwordx4 off, v[2:5], off offset:544
	s_waitcnt vmcnt(1)
	ds_write_b128 v0, v[6:9]
.LBB41_199:
	s_or_b64 exec, exec, s[0:1]
	s_waitcnt lgkmcnt(0)
	; wave barrier
	ds_read_b128 v[4:7], v2 offset:1216
	ds_read_b128 v[8:11], v2 offset:1232
	;; [unrolled: 1-line block ×4, first 2 shown]
	scratch_load_dwordx4 v[20:23], off, off offset:560
	scratch_load_dwordx4 v[40:43], off, off offset:624
	v_cmp_lt_u32_e32 vcc, 32, v242
	scratch_load_dwordx4 v[48:51], off, off offset:640
	scratch_load_dwordx4 v[56:59], off, off offset:656
	scratch_load_dwordx4 v[64:67], off, off offset:672
	s_waitcnt vmcnt(4) lgkmcnt(3)
	v_mul_f64 v[24:25], v[4:5], v[22:23]
	v_fmac_f64_e32 v[24:25], v[6:7], v[20:21]
	v_add_f64 v[28:29], v[24:25], 0
	scratch_load_dwordx4 v[24:27], off, off offset:576
	s_waitcnt vmcnt(0) lgkmcnt(2)
	v_mul_f64 v[30:31], v[8:9], v[26:27]
	v_fmac_f64_e32 v[30:31], v[10:11], v[24:25]
	v_add_f64 v[32:33], v[28:29], v[30:31]
	scratch_load_dwordx4 v[28:31], off, off offset:592
	;; [unrolled: 5-line block ×3, first 2 shown]
	s_waitcnt vmcnt(0) lgkmcnt(0)
	v_mul_f64 v[38:39], v[16:17], v[34:35]
	v_fmac_f64_e32 v[38:39], v[18:19], v[32:33]
	v_add_f64 v[44:45], v[36:37], v[38:39]
	ds_read_b128 v[36:39], v2 offset:1280
	s_waitcnt lgkmcnt(0)
	v_mul_f64 v[46:47], v[36:37], v[42:43]
	v_fmac_f64_e32 v[46:47], v[38:39], v[40:41]
	v_add_f64 v[52:53], v[44:45], v[46:47]
	ds_read_b128 v[44:47], v2 offset:1296
	s_waitcnt lgkmcnt(0)
	;; [unrolled: 5-line block ×4, first 2 shown]
	v_mul_f64 v[2:3], v[60:61], v[66:67]
	v_fmac_f64_e32 v[2:3], v[62:63], v[64:65]
	v_add_f64 v[68:69], v[68:69], v[2:3]
	v_mul_f64 v[2:3], v[6:7], v[22:23]
	v_fma_f64 v[2:3], v[4:5], v[20:21], -v[2:3]
	v_mul_f64 v[4:5], v[10:11], v[26:27]
	v_add_f64 v[2:3], v[2:3], 0
	v_fma_f64 v[4:5], v[8:9], v[24:25], -v[4:5]
	v_add_f64 v[2:3], v[2:3], v[4:5]
	v_mul_f64 v[4:5], v[14:15], v[30:31]
	v_fma_f64 v[4:5], v[12:13], v[28:29], -v[4:5]
	v_add_f64 v[2:3], v[2:3], v[4:5]
	v_mul_f64 v[4:5], v[18:19], v[34:35]
	;; [unrolled: 3-line block ×6, first 2 shown]
	v_fma_f64 v[4:5], v[60:61], v[64:65], -v[4:5]
	v_add_f64 v[6:7], v[2:3], v[4:5]
	scratch_load_dwordx4 v[2:5], off, off offset:544
	s_waitcnt vmcnt(0)
	v_add_f64 v[2:3], v[2:3], -v[6:7]
	v_add_f64 v[4:5], v[4:5], -v[68:69]
	scratch_store_dwordx4 off, v[2:5], off offset:544
	s_and_saveexec_b64 s[0:1], vcc
	s_cbranch_execz .LBB41_201
; %bb.200:
	scratch_load_dwordx4 v[2:5], off, s46
	v_mov_b32_e32 v6, 0
	v_mov_b32_e32 v7, v6
	;; [unrolled: 1-line block ×4, first 2 shown]
	v_accvgpr_read_b32 v0, a85
	scratch_store_dwordx4 off, v[6:9], off offset:528
	s_waitcnt vmcnt(1)
	ds_write_b128 v0, v[2:5]
.LBB41_201:
	s_or_b64 exec, exec, s[0:1]
	v_mov_b32_e32 v2, 0
	s_waitcnt lgkmcnt(0)
	; wave barrier
	ds_read_b128 v[4:7], v2 offset:1200
	ds_read_b128 v[8:11], v2 offset:1216
	;; [unrolled: 1-line block ×4, first 2 shown]
	scratch_load_dwordx4 v[20:23], off, off offset:544
	scratch_load_dwordx4 v[40:43], off, off offset:608
	;; [unrolled: 1-line block ×3, first 2 shown]
	v_cmp_lt_u32_e32 vcc, 31, v242
	scratch_load_dwordx4 v[48:51], off, off offset:624
	scratch_load_dwordx4 v[56:59], off, off offset:640
	;; [unrolled: 1-line block ×3, first 2 shown]
	s_waitcnt vmcnt(5) lgkmcnt(3)
	v_mul_f64 v[24:25], v[4:5], v[22:23]
	v_fmac_f64_e32 v[24:25], v[6:7], v[20:21]
	v_add_f64 v[28:29], v[24:25], 0
	scratch_load_dwordx4 v[24:27], off, off offset:560
	v_mul_f64 v[6:7], v[6:7], v[22:23]
	v_fma_f64 v[4:5], v[4:5], v[20:21], -v[6:7]
	v_add_f64 v[4:5], v[4:5], 0
	s_waitcnt vmcnt(0) lgkmcnt(2)
	v_mul_f64 v[30:31], v[8:9], v[26:27]
	v_fmac_f64_e32 v[30:31], v[10:11], v[24:25]
	v_add_f64 v[32:33], v[28:29], v[30:31]
	scratch_load_dwordx4 v[28:31], off, off offset:576
	v_mul_f64 v[6:7], v[10:11], v[26:27]
	v_fma_f64 v[6:7], v[8:9], v[24:25], -v[6:7]
	v_add_f64 v[4:5], v[4:5], v[6:7]
	;; [unrolled: 8-line block ×3, first 2 shown]
	s_waitcnt vmcnt(0) lgkmcnt(0)
	v_mul_f64 v[38:39], v[16:17], v[34:35]
	v_fmac_f64_e32 v[38:39], v[18:19], v[32:33]
	v_add_f64 v[44:45], v[36:37], v[38:39]
	ds_read_b128 v[36:39], v2 offset:1264
	v_mul_f64 v[6:7], v[18:19], v[34:35]
	v_fma_f64 v[6:7], v[16:17], v[32:33], -v[6:7]
	v_add_f64 v[4:5], v[4:5], v[6:7]
	s_waitcnt lgkmcnt(0)
	v_mul_f64 v[46:47], v[36:37], v[42:43]
	v_fmac_f64_e32 v[46:47], v[38:39], v[40:41]
	v_add_f64 v[52:53], v[44:45], v[46:47]
	ds_read_b128 v[44:47], v2 offset:1280
	v_mul_f64 v[6:7], v[38:39], v[42:43]
	v_fma_f64 v[6:7], v[36:37], v[40:41], -v[6:7]
	v_add_f64 v[4:5], v[4:5], v[6:7]
	s_waitcnt lgkmcnt(0)
	;; [unrolled: 8-line block ×5, first 2 shown]
	v_mul_f64 v[6:7], v[70:71], v[74:75]
	v_fma_f64 v[6:7], v[68:69], v[72:73], -v[6:7]
	v_add_f64 v[8:9], v[4:5], v[6:7]
	scratch_load_dwordx4 v[4:7], off, off offset:528
	v_mul_f64 v[78:79], v[68:69], v[74:75]
	v_fmac_f64_e32 v[78:79], v[70:71], v[72:73]
	v_add_f64 v[76:77], v[76:77], v[78:79]
	s_waitcnt vmcnt(0)
	v_add_f64 v[4:5], v[4:5], -v[8:9]
	v_add_f64 v[6:7], v[6:7], -v[76:77]
	scratch_store_dwordx4 off, v[4:7], off offset:528
	s_and_saveexec_b64 s[0:1], vcc
	s_cbranch_execz .LBB41_203
; %bb.202:
	scratch_load_dwordx4 v[6:9], off, s45
	v_mov_b32_e32 v3, v2
	v_mov_b32_e32 v4, v2
	;; [unrolled: 1-line block ×3, first 2 shown]
	v_accvgpr_read_b32 v0, a85
	scratch_store_dwordx4 off, v[2:5], off offset:512
	s_waitcnt vmcnt(1)
	ds_write_b128 v0, v[6:9]
.LBB41_203:
	s_or_b64 exec, exec, s[0:1]
	s_waitcnt lgkmcnt(0)
	; wave barrier
	scratch_load_dwordx4 v[4:7], off, off offset:528
	scratch_load_dwordx4 v[8:11], off, off offset:544
	;; [unrolled: 1-line block ×11, first 2 shown]
	ds_read_b128 v[48:51], v2 offset:1184
	ds_read_b128 v[52:55], v2 offset:1200
	;; [unrolled: 1-line block ×10, first 2 shown]
	v_cmp_lt_u32_e32 vcc, 30, v242
	s_waitcnt vmcnt(10) lgkmcnt(9)
	v_mul_f64 v[2:3], v[48:49], v[6:7]
	v_mul_f64 v[6:7], v[50:51], v[6:7]
	s_waitcnt vmcnt(9) lgkmcnt(8)
	v_mul_f64 v[88:89], v[52:53], v[10:11]
	v_mul_f64 v[10:11], v[54:55], v[10:11]
	v_fmac_f64_e32 v[2:3], v[50:51], v[4:5]
	v_fma_f64 v[4:5], v[48:49], v[4:5], -v[6:7]
	s_waitcnt vmcnt(8) lgkmcnt(7)
	v_mul_f64 v[90:91], v[56:57], v[14:15]
	v_mul_f64 v[14:15], v[58:59], v[14:15]
	v_fmac_f64_e32 v[88:89], v[54:55], v[8:9]
	v_fma_f64 v[6:7], v[52:53], v[8:9], -v[10:11]
	v_add_f64 v[2:3], v[2:3], 0
	v_add_f64 v[4:5], v[4:5], 0
	s_waitcnt vmcnt(7) lgkmcnt(6)
	v_mul_f64 v[92:93], v[60:61], v[18:19]
	v_mul_f64 v[18:19], v[62:63], v[18:19]
	v_fmac_f64_e32 v[90:91], v[58:59], v[12:13]
	v_fma_f64 v[8:9], v[56:57], v[12:13], -v[14:15]
	v_add_f64 v[2:3], v[2:3], v[88:89]
	v_add_f64 v[4:5], v[4:5], v[6:7]
	;; [unrolled: 7-line block ×8, first 2 shown]
	v_fmac_f64_e32 v[104:105], v[86:87], v[40:41]
	v_fma_f64 v[22:23], v[84:85], v[40:41], -v[42:43]
	v_add_f64 v[2:3], v[2:3], v[102:103]
	v_add_f64 v[4:5], v[4:5], v[20:21]
	;; [unrolled: 1-line block ×4, first 2 shown]
	s_waitcnt vmcnt(0)
	v_add_f64 v[2:3], v[44:45], -v[2:3]
	v_add_f64 v[4:5], v[46:47], -v[6:7]
	scratch_store_dwordx4 off, v[2:5], off offset:512
	s_and_saveexec_b64 s[0:1], vcc
	s_cbranch_execz .LBB41_205
; %bb.204:
	scratch_load_dwordx4 v[2:5], off, s44
	v_mov_b32_e32 v6, 0
	v_mov_b32_e32 v7, v6
	;; [unrolled: 1-line block ×4, first 2 shown]
	v_accvgpr_read_b32 v0, a85
	scratch_store_dwordx4 off, v[6:9], off offset:496
	s_waitcnt vmcnt(1)
	ds_write_b128 v0, v[2:5]
.LBB41_205:
	s_or_b64 exec, exec, s[0:1]
	s_waitcnt lgkmcnt(0)
	; wave barrier
	scratch_load_dwordx4 v[4:7], off, off offset:512
	scratch_load_dwordx4 v[8:11], off, off offset:528
	;; [unrolled: 1-line block ×12, first 2 shown]
	v_mov_b32_e32 v2, 0
	ds_read_b128 v[52:55], v2 offset:1168
	ds_read_b128 v[56:59], v2 offset:1184
	ds_read_b128 v[60:63], v2 offset:1200
	ds_read_b128 v[64:67], v2 offset:1216
	ds_read_b128 v[68:71], v2 offset:1232
	ds_read_b128 v[72:75], v2 offset:1248
	ds_read_b128 v[76:79], v2 offset:1264
	ds_read_b128 v[80:83], v2 offset:1280
	ds_read_b128 v[84:87], v2 offset:1296
	ds_read_b128 v[88:91], v2 offset:1312
	ds_read_b128 v[92:95], v2 offset:1328
	v_cmp_lt_u32_e32 vcc, 29, v242
	s_waitcnt vmcnt(11) lgkmcnt(10)
	v_mul_f64 v[96:97], v[52:53], v[6:7]
	v_mul_f64 v[6:7], v[54:55], v[6:7]
	s_waitcnt vmcnt(10) lgkmcnt(9)
	v_mul_f64 v[98:99], v[56:57], v[10:11]
	s_waitcnt vmcnt(9) lgkmcnt(8)
	v_mul_f64 v[100:101], v[60:61], v[14:15]
	v_mul_f64 v[10:11], v[58:59], v[10:11]
	s_waitcnt vmcnt(6) lgkmcnt(5)
	v_mul_f64 v[106:107], v[72:73], v[26:27]
	v_mul_f64 v[14:15], v[62:63], v[14:15]
	;; [unrolled: 1-line block ×3, first 2 shown]
	v_fmac_f64_e32 v[96:97], v[54:55], v[4:5]
	v_fma_f64 v[4:5], v[52:53], v[4:5], -v[6:7]
	v_fmac_f64_e32 v[98:99], v[58:59], v[8:9]
	v_fma_f64 v[6:7], v[56:57], v[8:9], -v[10:11]
	v_fma_f64 v[8:9], v[60:61], v[12:13], -v[14:15]
	;; [unrolled: 1-line block ×3, first 2 shown]
	v_add_f64 v[26:27], v[96:97], 0
	v_add_f64 v[4:5], v[4:5], 0
	v_mul_f64 v[102:103], v[64:65], v[18:19]
	v_mul_f64 v[18:19], v[66:67], v[18:19]
	v_fmac_f64_e32 v[100:101], v[62:63], v[12:13]
	v_add_f64 v[26:27], v[26:27], v[98:99]
	v_add_f64 v[4:5], v[4:5], v[6:7]
	v_mul_f64 v[104:105], v[68:69], v[22:23]
	v_mul_f64 v[22:23], v[70:71], v[22:23]
	v_fmac_f64_e32 v[102:103], v[66:67], v[16:17]
	v_fma_f64 v[10:11], v[64:65], v[16:17], -v[18:19]
	v_add_f64 v[6:7], v[26:27], v[100:101]
	v_add_f64 v[4:5], v[4:5], v[8:9]
	v_fmac_f64_e32 v[104:105], v[70:71], v[20:21]
	v_fma_f64 v[12:13], v[68:69], v[20:21], -v[22:23]
	v_add_f64 v[6:7], v[6:7], v[102:103]
	v_add_f64 v[4:5], v[4:5], v[10:11]
	s_waitcnt vmcnt(5) lgkmcnt(4)
	v_mul_f64 v[108:109], v[76:77], v[30:31]
	v_mul_f64 v[30:31], v[78:79], v[30:31]
	v_fmac_f64_e32 v[106:107], v[74:75], v[24:25]
	v_add_f64 v[6:7], v[6:7], v[104:105]
	v_add_f64 v[4:5], v[4:5], v[12:13]
	s_waitcnt vmcnt(4) lgkmcnt(3)
	v_mul_f64 v[110:111], v[80:81], v[34:35]
	v_mul_f64 v[34:35], v[82:83], v[34:35]
	v_fmac_f64_e32 v[108:109], v[78:79], v[28:29]
	v_fma_f64 v[16:17], v[76:77], v[28:29], -v[30:31]
	v_add_f64 v[6:7], v[6:7], v[106:107]
	v_add_f64 v[4:5], v[4:5], v[14:15]
	s_waitcnt vmcnt(3) lgkmcnt(2)
	v_mul_f64 v[112:113], v[84:85], v[38:39]
	v_mul_f64 v[38:39], v[86:87], v[38:39]
	v_fmac_f64_e32 v[110:111], v[82:83], v[32:33]
	v_fma_f64 v[18:19], v[80:81], v[32:33], -v[34:35]
	;; [unrolled: 7-line block ×4, first 2 shown]
	v_add_f64 v[6:7], v[6:7], v[112:113]
	v_add_f64 v[4:5], v[4:5], v[20:21]
	v_fmac_f64_e32 v[116:117], v[94:95], v[44:45]
	v_fma_f64 v[24:25], v[92:93], v[44:45], -v[46:47]
	v_add_f64 v[6:7], v[6:7], v[114:115]
	v_add_f64 v[4:5], v[4:5], v[22:23]
	v_add_f64 v[6:7], v[6:7], v[116:117]
	v_add_f64 v[4:5], v[4:5], v[24:25]
	s_waitcnt vmcnt(0)
	v_add_f64 v[4:5], v[48:49], -v[4:5]
	v_add_f64 v[6:7], v[50:51], -v[6:7]
	scratch_store_dwordx4 off, v[4:7], off offset:496
	s_and_saveexec_b64 s[0:1], vcc
	s_cbranch_execz .LBB41_207
; %bb.206:
	scratch_load_dwordx4 v[6:9], off, s43
	v_mov_b32_e32 v3, v2
	v_mov_b32_e32 v4, v2
	;; [unrolled: 1-line block ×3, first 2 shown]
	v_accvgpr_read_b32 v0, a85
	scratch_store_dwordx4 off, v[2:5], off offset:480
	s_waitcnt vmcnt(1)
	ds_write_b128 v0, v[6:9]
.LBB41_207:
	s_or_b64 exec, exec, s[0:1]
	s_waitcnt lgkmcnt(0)
	; wave barrier
	scratch_load_dwordx4 v[4:7], off, off offset:496
	scratch_load_dwordx4 v[8:11], off, off offset:512
	;; [unrolled: 1-line block ×12, first 2 shown]
	ds_read_b128 v[52:55], v2 offset:1152
	ds_read_b128 v[56:59], v2 offset:1168
	;; [unrolled: 1-line block ×4, first 2 shown]
	scratch_load_dwordx4 v[68:71], off, off offset:480
	ds_read_b128 v[72:75], v2 offset:1216
	ds_read_b128 v[76:79], v2 offset:1232
	;; [unrolled: 1-line block ×8, first 2 shown]
	v_cmp_lt_u32_e32 vcc, 28, v242
	s_waitcnt vmcnt(12) lgkmcnt(11)
	v_mul_f64 v[2:3], v[52:53], v[6:7]
	s_waitcnt vmcnt(11) lgkmcnt(10)
	v_mul_f64 v[104:105], v[56:57], v[10:11]
	v_fmac_f64_e32 v[2:3], v[54:55], v[4:5]
	s_waitcnt vmcnt(10) lgkmcnt(9)
	v_mul_f64 v[106:107], v[60:61], v[14:15]
	v_mul_f64 v[6:7], v[54:55], v[6:7]
	v_fmac_f64_e32 v[104:105], v[58:59], v[8:9]
	v_add_f64 v[2:3], v[2:3], 0
	s_waitcnt vmcnt(9) lgkmcnt(8)
	v_mul_f64 v[108:109], v[64:65], v[18:19]
	v_mul_f64 v[10:11], v[58:59], v[10:11]
	v_fmac_f64_e32 v[106:107], v[62:63], v[12:13]
	v_fma_f64 v[4:5], v[52:53], v[4:5], -v[6:7]
	v_add_f64 v[2:3], v[2:3], v[104:105]
	s_waitcnt vmcnt(8) lgkmcnt(7)
	v_mul_f64 v[110:111], v[72:73], v[22:23]
	v_mul_f64 v[14:15], v[62:63], v[14:15]
	v_fmac_f64_e32 v[108:109], v[66:67], v[16:17]
	v_fma_f64 v[6:7], v[56:57], v[8:9], -v[10:11]
	v_add_f64 v[4:5], v[4:5], 0
	v_add_f64 v[2:3], v[2:3], v[106:107]
	s_waitcnt vmcnt(7) lgkmcnt(6)
	v_mul_f64 v[112:113], v[76:77], v[26:27]
	v_mul_f64 v[18:19], v[66:67], v[18:19]
	v_fmac_f64_e32 v[110:111], v[74:75], v[20:21]
	v_fma_f64 v[8:9], v[60:61], v[12:13], -v[14:15]
	v_add_f64 v[4:5], v[4:5], v[6:7]
	;; [unrolled: 7-line block ×8, first 2 shown]
	v_add_f64 v[2:3], v[2:3], v[120:121]
	v_mul_f64 v[46:47], v[98:99], v[46:47]
	v_fmac_f64_e32 v[124:125], v[102:103], v[48:49]
	v_fma_f64 v[22:23], v[92:93], v[40:41], -v[42:43]
	v_add_f64 v[4:5], v[4:5], v[20:21]
	v_add_f64 v[2:3], v[2:3], v[122:123]
	;; [unrolled: 1-line block ×4, first 2 shown]
	v_fma_f64 v[2:3], v[96:97], v[44:45], -v[46:47]
	v_add_f64 v[2:3], v[4:5], v[2:3]
	v_mul_f64 v[4:5], v[102:103], v[50:51]
	v_fma_f64 v[4:5], v[100:101], v[48:49], -v[4:5]
	v_add_f64 v[2:3], v[2:3], v[4:5]
	s_waitcnt vmcnt(0)
	v_add_f64 v[2:3], v[68:69], -v[2:3]
	v_add_f64 v[4:5], v[70:71], -v[6:7]
	scratch_store_dwordx4 off, v[2:5], off offset:480
	s_and_saveexec_b64 s[0:1], vcc
	s_cbranch_execz .LBB41_209
; %bb.208:
	scratch_load_dwordx4 v[2:5], off, s42
	v_mov_b32_e32 v6, 0
	v_mov_b32_e32 v7, v6
	;; [unrolled: 1-line block ×4, first 2 shown]
	v_accvgpr_read_b32 v0, a85
	scratch_store_dwordx4 off, v[6:9], off offset:464
	s_waitcnt vmcnt(1)
	ds_write_b128 v0, v[2:5]
.LBB41_209:
	s_or_b64 exec, exec, s[0:1]
	s_waitcnt lgkmcnt(0)
	; wave barrier
	scratch_load_dwordx4 v[4:7], off, off offset:480
	scratch_load_dwordx4 v[8:11], off, off offset:496
	;; [unrolled: 1-line block ×14, first 2 shown]
	v_mov_b32_e32 v2, 0
	ds_read_b128 v[60:63], v2 offset:1136
	ds_read_b128 v[64:67], v2 offset:1152
	;; [unrolled: 1-line block ×13, first 2 shown]
	v_cmp_lt_u32_e32 vcc, 27, v242
	s_waitcnt vmcnt(13) lgkmcnt(12)
	v_mul_f64 v[112:113], v[60:61], v[6:7]
	v_mul_f64 v[6:7], v[62:63], v[6:7]
	s_waitcnt vmcnt(12) lgkmcnt(11)
	v_mul_f64 v[114:115], v[64:65], v[10:11]
	v_mul_f64 v[10:11], v[66:67], v[10:11]
	v_fmac_f64_e32 v[112:113], v[62:63], v[4:5]
	v_fma_f64 v[4:5], v[60:61], v[4:5], -v[6:7]
	s_waitcnt vmcnt(11) lgkmcnt(10)
	v_mul_f64 v[116:117], v[68:69], v[14:15]
	v_mul_f64 v[14:15], v[70:71], v[14:15]
	v_fma_f64 v[6:7], v[64:65], v[8:9], -v[10:11]
	v_add_f64 v[4:5], v[4:5], 0
	s_waitcnt vmcnt(10) lgkmcnt(9)
	v_mul_f64 v[118:119], v[72:73], v[18:19]
	v_mul_f64 v[18:19], v[74:75], v[18:19]
	v_fmac_f64_e32 v[114:115], v[66:67], v[8:9]
	v_fma_f64 v[8:9], v[68:69], v[12:13], -v[14:15]
	v_add_f64 v[4:5], v[4:5], v[6:7]
	s_waitcnt vmcnt(9) lgkmcnt(8)
	v_mul_f64 v[120:121], v[76:77], v[22:23]
	v_mul_f64 v[22:23], v[78:79], v[22:23]
	v_fma_f64 v[10:11], v[72:73], v[16:17], -v[18:19]
	v_add_f64 v[4:5], v[4:5], v[8:9]
	s_waitcnt vmcnt(8) lgkmcnt(7)
	v_mul_f64 v[122:123], v[80:81], v[26:27]
	v_mul_f64 v[26:27], v[82:83], v[26:27]
	v_fmac_f64_e32 v[116:117], v[70:71], v[12:13]
	v_fma_f64 v[12:13], v[76:77], v[20:21], -v[22:23]
	v_add_f64 v[22:23], v[112:113], 0
	v_add_f64 v[4:5], v[4:5], v[10:11]
	s_waitcnt vmcnt(7) lgkmcnt(6)
	v_mul_f64 v[124:125], v[84:85], v[30:31]
	v_mul_f64 v[30:31], v[86:87], v[30:31]
	v_fma_f64 v[14:15], v[80:81], v[24:25], -v[26:27]
	v_add_f64 v[22:23], v[22:23], v[114:115]
	v_add_f64 v[4:5], v[4:5], v[12:13]
	s_waitcnt vmcnt(6) lgkmcnt(5)
	v_mul_f64 v[126:127], v[88:89], v[34:35]
	v_mul_f64 v[34:35], v[90:91], v[34:35]
	v_fmac_f64_e32 v[118:119], v[74:75], v[16:17]
	v_fma_f64 v[16:17], v[84:85], v[28:29], -v[30:31]
	v_add_f64 v[6:7], v[22:23], v[116:117]
	v_add_f64 v[4:5], v[4:5], v[14:15]
	s_waitcnt vmcnt(5) lgkmcnt(4)
	v_mul_f64 v[128:129], v[92:93], v[38:39]
	v_mul_f64 v[38:39], v[94:95], v[38:39]
	v_fmac_f64_e32 v[120:121], v[78:79], v[20:21]
	v_fma_f64 v[18:19], v[88:89], v[32:33], -v[34:35]
	v_add_f64 v[6:7], v[6:7], v[118:119]
	v_add_f64 v[4:5], v[4:5], v[16:17]
	v_fmac_f64_e32 v[122:123], v[82:83], v[24:25]
	v_fma_f64 v[20:21], v[92:93], v[36:37], -v[38:39]
	v_add_f64 v[6:7], v[6:7], v[120:121]
	v_add_f64 v[4:5], v[4:5], v[18:19]
	s_waitcnt vmcnt(4) lgkmcnt(3)
	v_mul_f64 v[8:9], v[98:99], v[42:43]
	v_fmac_f64_e32 v[124:125], v[86:87], v[28:29]
	v_add_f64 v[6:7], v[6:7], v[122:123]
	v_add_f64 v[4:5], v[4:5], v[20:21]
	v_fma_f64 v[8:9], v[96:97], v[40:41], -v[8:9]
	v_fmac_f64_e32 v[126:127], v[90:91], v[32:33]
	v_add_f64 v[6:7], v[6:7], v[124:125]
	v_add_f64 v[4:5], v[4:5], v[8:9]
	s_waitcnt vmcnt(3) lgkmcnt(2)
	v_mul_f64 v[8:9], v[102:103], v[46:47]
	v_mul_f64 v[130:131], v[96:97], v[42:43]
	v_fmac_f64_e32 v[128:129], v[94:95], v[36:37]
	v_add_f64 v[6:7], v[6:7], v[126:127]
	v_fma_f64 v[8:9], v[100:101], v[44:45], -v[8:9]
	v_mul_f64 v[132:133], v[100:101], v[46:47]
	v_fmac_f64_e32 v[130:131], v[98:99], v[40:41]
	v_add_f64 v[6:7], v[6:7], v[128:129]
	v_add_f64 v[4:5], v[4:5], v[8:9]
	s_waitcnt vmcnt(2) lgkmcnt(1)
	v_mul_f64 v[8:9], v[106:107], v[50:51]
	v_mul_f64 v[134:135], v[104:105], v[50:51]
	v_fmac_f64_e32 v[132:133], v[102:103], v[44:45]
	v_add_f64 v[6:7], v[6:7], v[130:131]
	v_fma_f64 v[8:9], v[104:105], v[48:49], -v[8:9]
	s_waitcnt vmcnt(1) lgkmcnt(0)
	v_mul_f64 v[136:137], v[108:109], v[54:55]
	v_fmac_f64_e32 v[134:135], v[106:107], v[48:49]
	v_add_f64 v[6:7], v[6:7], v[132:133]
	v_add_f64 v[4:5], v[4:5], v[8:9]
	v_mul_f64 v[8:9], v[110:111], v[54:55]
	v_fmac_f64_e32 v[136:137], v[110:111], v[52:53]
	v_add_f64 v[6:7], v[6:7], v[134:135]
	v_fma_f64 v[8:9], v[108:109], v[52:53], -v[8:9]
	v_add_f64 v[6:7], v[6:7], v[136:137]
	v_add_f64 v[4:5], v[4:5], v[8:9]
	s_waitcnt vmcnt(0)
	v_add_f64 v[4:5], v[56:57], -v[4:5]
	v_add_f64 v[6:7], v[58:59], -v[6:7]
	scratch_store_dwordx4 off, v[4:7], off offset:464
	s_and_saveexec_b64 s[0:1], vcc
	s_cbranch_execz .LBB41_211
; %bb.210:
	scratch_load_dwordx4 v[6:9], off, s41
	v_mov_b32_e32 v3, v2
	v_mov_b32_e32 v4, v2
	;; [unrolled: 1-line block ×3, first 2 shown]
	v_accvgpr_read_b32 v0, a85
	scratch_store_dwordx4 off, v[2:5], off offset:448
	s_waitcnt vmcnt(1)
	ds_write_b128 v0, v[6:9]
.LBB41_211:
	s_or_b64 exec, exec, s[0:1]
	s_waitcnt lgkmcnt(0)
	; wave barrier
	scratch_load_dwordx4 v[4:7], off, off offset:464
	scratch_load_dwordx4 v[8:11], off, off offset:480
	;; [unrolled: 1-line block ×14, first 2 shown]
	ds_read_b128 v[60:63], v2 offset:1120
	ds_read_b128 v[64:67], v2 offset:1136
	;; [unrolled: 1-line block ×14, first 2 shown]
	scratch_load_dwordx4 v[116:119], off, off offset:448
	v_cmp_lt_u32_e32 vcc, 26, v242
	s_waitcnt vmcnt(14) lgkmcnt(13)
	v_mul_f64 v[2:3], v[60:61], v[6:7]
	s_waitcnt vmcnt(13) lgkmcnt(12)
	v_mul_f64 v[120:121], v[64:65], v[10:11]
	v_fmac_f64_e32 v[2:3], v[62:63], v[4:5]
	s_waitcnt vmcnt(12) lgkmcnt(11)
	v_mul_f64 v[122:123], v[68:69], v[14:15]
	v_fmac_f64_e32 v[120:121], v[66:67], v[8:9]
	v_add_f64 v[2:3], v[2:3], 0
	s_waitcnt vmcnt(11) lgkmcnt(10)
	v_mul_f64 v[124:125], v[72:73], v[18:19]
	v_fmac_f64_e32 v[122:123], v[70:71], v[12:13]
	v_add_f64 v[2:3], v[2:3], v[120:121]
	s_waitcnt vmcnt(10) lgkmcnt(9)
	v_mul_f64 v[126:127], v[76:77], v[22:23]
	v_fmac_f64_e32 v[124:125], v[74:75], v[16:17]
	v_add_f64 v[2:3], v[2:3], v[122:123]
	s_waitcnt vmcnt(9) lgkmcnt(8)
	v_mul_f64 v[128:129], v[80:81], v[26:27]
	v_fmac_f64_e32 v[126:127], v[78:79], v[20:21]
	v_add_f64 v[2:3], v[2:3], v[124:125]
	s_waitcnt vmcnt(8) lgkmcnt(7)
	v_mul_f64 v[130:131], v[84:85], v[30:31]
	v_mul_f64 v[6:7], v[62:63], v[6:7]
	v_fmac_f64_e32 v[128:129], v[82:83], v[24:25]
	v_add_f64 v[2:3], v[2:3], v[126:127]
	s_waitcnt vmcnt(7) lgkmcnt(6)
	v_mul_f64 v[132:133], v[88:89], v[34:35]
	v_mul_f64 v[10:11], v[66:67], v[10:11]
	v_fmac_f64_e32 v[130:131], v[86:87], v[28:29]
	v_fma_f64 v[4:5], v[60:61], v[4:5], -v[6:7]
	v_add_f64 v[2:3], v[2:3], v[128:129]
	s_waitcnt vmcnt(6) lgkmcnt(5)
	v_mul_f64 v[134:135], v[92:93], v[38:39]
	v_mul_f64 v[14:15], v[70:71], v[14:15]
	v_fmac_f64_e32 v[132:133], v[90:91], v[32:33]
	v_fma_f64 v[6:7], v[64:65], v[8:9], -v[10:11]
	v_add_f64 v[4:5], v[4:5], 0
	v_add_f64 v[2:3], v[2:3], v[130:131]
	s_waitcnt vmcnt(5) lgkmcnt(4)
	v_mul_f64 v[136:137], v[96:97], v[42:43]
	v_mul_f64 v[18:19], v[74:75], v[18:19]
	v_fmac_f64_e32 v[134:135], v[94:95], v[36:37]
	v_fma_f64 v[8:9], v[68:69], v[12:13], -v[14:15]
	v_add_f64 v[4:5], v[4:5], v[6:7]
	;; [unrolled: 7-line block ×6, first 2 shown]
	v_add_f64 v[2:3], v[2:3], v[140:141]
	v_fmac_f64_e32 v[144:145], v[114:115], v[56:57]
	v_fma_f64 v[18:19], v[88:89], v[32:33], -v[34:35]
	v_add_f64 v[4:5], v[4:5], v[16:17]
	v_add_f64 v[2:3], v[2:3], v[142:143]
	;; [unrolled: 1-line block ×4, first 2 shown]
	v_mul_f64 v[4:5], v[94:95], v[38:39]
	v_fma_f64 v[4:5], v[92:93], v[36:37], -v[4:5]
	v_add_f64 v[2:3], v[2:3], v[4:5]
	v_mul_f64 v[4:5], v[98:99], v[42:43]
	v_fma_f64 v[4:5], v[96:97], v[40:41], -v[4:5]
	v_add_f64 v[2:3], v[2:3], v[4:5]
	v_mul_f64 v[4:5], v[102:103], v[46:47]
	v_fma_f64 v[4:5], v[100:101], v[44:45], -v[4:5]
	v_add_f64 v[2:3], v[2:3], v[4:5]
	v_mul_f64 v[4:5], v[106:107], v[50:51]
	v_fma_f64 v[4:5], v[104:105], v[48:49], -v[4:5]
	v_add_f64 v[2:3], v[2:3], v[4:5]
	v_mul_f64 v[4:5], v[110:111], v[54:55]
	v_fma_f64 v[4:5], v[108:109], v[52:53], -v[4:5]
	v_add_f64 v[2:3], v[2:3], v[4:5]
	v_mul_f64 v[4:5], v[114:115], v[58:59]
	v_fma_f64 v[4:5], v[112:113], v[56:57], -v[4:5]
	v_add_f64 v[2:3], v[2:3], v[4:5]
	s_waitcnt vmcnt(0)
	v_add_f64 v[2:3], v[116:117], -v[2:3]
	v_add_f64 v[4:5], v[118:119], -v[6:7]
	scratch_store_dwordx4 off, v[2:5], off offset:448
	s_and_saveexec_b64 s[0:1], vcc
	s_cbranch_execz .LBB41_213
; %bb.212:
	scratch_load_dwordx4 v[2:5], off, s40
	v_mov_b32_e32 v6, 0
	v_mov_b32_e32 v7, v6
	v_mov_b32_e32 v8, v6
	v_mov_b32_e32 v9, v6
	v_accvgpr_read_b32 v0, a85
	scratch_store_dwordx4 off, v[6:9], off offset:432
	s_waitcnt vmcnt(1)
	ds_write_b128 v0, v[2:5]
.LBB41_213:
	s_or_b64 exec, exec, s[0:1]
	s_waitcnt lgkmcnt(0)
	; wave barrier
	scratch_load_dwordx4 v[4:7], off, off offset:448
	scratch_load_dwordx4 v[8:11], off, off offset:464
	;; [unrolled: 1-line block ×16, first 2 shown]
	v_mov_b32_e32 v2, 0
	ds_read_b128 v[68:71], v2 offset:1104
	ds_read_b128 v[72:75], v2 offset:1120
	;; [unrolled: 1-line block ×15, first 2 shown]
	v_cmp_lt_u32_e32 vcc, 25, v242
	s_waitcnt vmcnt(15) lgkmcnt(14)
	v_mul_f64 v[128:129], v[68:69], v[6:7]
	v_mul_f64 v[6:7], v[70:71], v[6:7]
	s_waitcnt vmcnt(14) lgkmcnt(13)
	v_mul_f64 v[130:131], v[72:73], v[10:11]
	v_mul_f64 v[10:11], v[74:75], v[10:11]
	v_fmac_f64_e32 v[128:129], v[70:71], v[4:5]
	v_fma_f64 v[4:5], v[68:69], v[4:5], -v[6:7]
	s_waitcnt vmcnt(13) lgkmcnt(12)
	v_mul_f64 v[132:133], v[76:77], v[14:15]
	v_mul_f64 v[14:15], v[78:79], v[14:15]
	v_fma_f64 v[6:7], v[72:73], v[8:9], -v[10:11]
	v_add_f64 v[4:5], v[4:5], 0
	s_waitcnt vmcnt(12) lgkmcnt(11)
	v_mul_f64 v[134:135], v[80:81], v[18:19]
	v_mul_f64 v[18:19], v[82:83], v[18:19]
	v_fmac_f64_e32 v[130:131], v[74:75], v[8:9]
	v_fma_f64 v[8:9], v[76:77], v[12:13], -v[14:15]
	v_add_f64 v[4:5], v[4:5], v[6:7]
	s_waitcnt vmcnt(11) lgkmcnt(10)
	v_mul_f64 v[136:137], v[84:85], v[22:23]
	v_mul_f64 v[22:23], v[86:87], v[22:23]
	v_fma_f64 v[10:11], v[80:81], v[16:17], -v[18:19]
	v_add_f64 v[4:5], v[4:5], v[8:9]
	s_waitcnt vmcnt(10) lgkmcnt(9)
	v_mul_f64 v[138:139], v[88:89], v[26:27]
	v_mul_f64 v[26:27], v[90:91], v[26:27]
	v_fmac_f64_e32 v[132:133], v[78:79], v[12:13]
	v_fma_f64 v[12:13], v[84:85], v[20:21], -v[22:23]
	v_add_f64 v[4:5], v[4:5], v[10:11]
	v_fma_f64 v[14:15], v[88:89], v[24:25], -v[26:27]
	v_add_f64 v[4:5], v[4:5], v[12:13]
	s_waitcnt vmcnt(9) lgkmcnt(8)
	v_mul_f64 v[8:9], v[94:95], v[30:31]
	v_add_f64 v[4:5], v[4:5], v[14:15]
	v_fma_f64 v[8:9], v[92:93], v[28:29], -v[8:9]
	v_add_f64 v[4:5], v[4:5], v[8:9]
	s_waitcnt vmcnt(8) lgkmcnt(7)
	v_mul_f64 v[8:9], v[98:99], v[34:35]
	v_fma_f64 v[8:9], v[96:97], v[32:33], -v[8:9]
	v_fmac_f64_e32 v[134:135], v[82:83], v[16:17]
	v_add_f64 v[16:17], v[128:129], 0
	v_add_f64 v[4:5], v[4:5], v[8:9]
	s_waitcnt vmcnt(7) lgkmcnt(6)
	v_mul_f64 v[8:9], v[102:103], v[38:39]
	v_add_f64 v[16:17], v[16:17], v[130:131]
	v_fma_f64 v[8:9], v[100:101], v[36:37], -v[8:9]
	v_add_f64 v[6:7], v[16:17], v[132:133]
	v_add_f64 v[4:5], v[4:5], v[8:9]
	s_waitcnt vmcnt(6) lgkmcnt(5)
	v_mul_f64 v[8:9], v[106:107], v[42:43]
	v_fmac_f64_e32 v[136:137], v[86:87], v[20:21]
	v_add_f64 v[6:7], v[6:7], v[134:135]
	v_fma_f64 v[8:9], v[104:105], v[40:41], -v[8:9]
	v_mul_f64 v[140:141], v[92:93], v[30:31]
	v_fmac_f64_e32 v[138:139], v[90:91], v[24:25]
	v_add_f64 v[6:7], v[6:7], v[136:137]
	v_add_f64 v[4:5], v[4:5], v[8:9]
	s_waitcnt vmcnt(5) lgkmcnt(4)
	v_mul_f64 v[8:9], v[110:111], v[46:47]
	v_mul_f64 v[142:143], v[96:97], v[34:35]
	v_fmac_f64_e32 v[140:141], v[94:95], v[28:29]
	v_add_f64 v[6:7], v[6:7], v[138:139]
	v_fma_f64 v[8:9], v[108:109], v[44:45], -v[8:9]
	v_mul_f64 v[144:145], v[100:101], v[38:39]
	v_fmac_f64_e32 v[142:143], v[98:99], v[32:33]
	v_add_f64 v[6:7], v[6:7], v[140:141]
	v_add_f64 v[4:5], v[4:5], v[8:9]
	s_waitcnt vmcnt(4) lgkmcnt(3)
	v_mul_f64 v[8:9], v[114:115], v[50:51]
	;; [unrolled: 10-line block ×4, first 2 shown]
	v_mul_f64 v[154:155], v[120:121], v[58:59]
	v_fmac_f64_e32 v[152:153], v[118:119], v[52:53]
	v_add_f64 v[6:7], v[6:7], v[150:151]
	v_fma_f64 v[8:9], v[120:121], v[56:57], -v[8:9]
	s_waitcnt vmcnt(1) lgkmcnt(0)
	v_mul_f64 v[156:157], v[124:125], v[62:63]
	v_fmac_f64_e32 v[154:155], v[122:123], v[56:57]
	v_add_f64 v[6:7], v[6:7], v[152:153]
	v_add_f64 v[4:5], v[4:5], v[8:9]
	v_mul_f64 v[8:9], v[126:127], v[62:63]
	v_fmac_f64_e32 v[156:157], v[126:127], v[60:61]
	v_add_f64 v[6:7], v[6:7], v[154:155]
	v_fma_f64 v[8:9], v[124:125], v[60:61], -v[8:9]
	v_add_f64 v[6:7], v[6:7], v[156:157]
	v_add_f64 v[4:5], v[4:5], v[8:9]
	s_waitcnt vmcnt(0)
	v_add_f64 v[4:5], v[64:65], -v[4:5]
	v_add_f64 v[6:7], v[66:67], -v[6:7]
	scratch_store_dwordx4 off, v[4:7], off offset:432
	s_and_saveexec_b64 s[0:1], vcc
	s_cbranch_execz .LBB41_215
; %bb.214:
	scratch_load_dwordx4 v[6:9], off, s39
	v_mov_b32_e32 v3, v2
	v_mov_b32_e32 v4, v2
	;; [unrolled: 1-line block ×3, first 2 shown]
	v_accvgpr_read_b32 v0, a85
	scratch_store_dwordx4 off, v[2:5], off offset:416
	s_waitcnt vmcnt(1)
	ds_write_b128 v0, v[6:9]
.LBB41_215:
	s_or_b64 exec, exec, s[0:1]
	s_waitcnt lgkmcnt(0)
	; wave barrier
	scratch_load_dwordx4 v[4:7], off, off offset:432
	scratch_load_dwordx4 v[8:11], off, off offset:448
	scratch_load_dwordx4 v[12:15], off, off offset:464
	scratch_load_dwordx4 v[16:19], off, off offset:480
	scratch_load_dwordx4 v[24:27], off, off offset:496
	scratch_load_dwordx4 v[20:23], off, off offset:512
	scratch_load_dwordx4 v[28:31], off, off offset:528
	scratch_load_dwordx4 v[32:35], off, off offset:544
	scratch_load_dwordx4 v[36:39], off, off offset:560
	scratch_load_dwordx4 v[40:43], off, off offset:576
	scratch_load_dwordx4 v[44:47], off, off offset:592
	scratch_load_dwordx4 v[48:51], off, off offset:608
	scratch_load_dwordx4 v[52:55], off, off offset:624
	scratch_load_dwordx4 v[56:59], off, off offset:640
	scratch_load_dwordx4 v[60:63], off, off offset:656
	scratch_load_dwordx4 v[64:67], off, off offset:672
	ds_read_b128 v[68:71], v2 offset:1088
	ds_read_b128 v[72:75], v2 offset:1104
	;; [unrolled: 1-line block ×16, first 2 shown]
	scratch_load_dwordx4 v[132:135], off, off offset:416
	v_cmp_lt_u32_e32 vcc, 24, v242
	s_waitcnt vmcnt(16) lgkmcnt(14)
	v_mul_f64 v[2:3], v[68:69], v[6:7]
	s_waitcnt vmcnt(15)
	v_mul_f64 v[136:137], v[72:73], v[10:11]
	v_fmac_f64_e32 v[2:3], v[70:71], v[4:5]
	s_waitcnt vmcnt(14) lgkmcnt(13)
	v_mul_f64 v[138:139], v[76:77], v[14:15]
	v_fmac_f64_e32 v[136:137], v[74:75], v[8:9]
	v_add_f64 v[2:3], v[2:3], 0
	s_waitcnt vmcnt(13) lgkmcnt(12)
	v_mul_f64 v[140:141], v[80:81], v[18:19]
	v_fmac_f64_e32 v[138:139], v[78:79], v[12:13]
	v_add_f64 v[2:3], v[2:3], v[136:137]
	;; [unrolled: 4-line block ×10, first 2 shown]
	s_waitcnt vmcnt(4) lgkmcnt(3)
	v_mul_f64 v[158:159], v[116:117], v[54:55]
	v_mul_f64 v[6:7], v[70:71], v[6:7]
	v_fmac_f64_e32 v[156:157], v[114:115], v[48:49]
	v_add_f64 v[2:3], v[2:3], v[154:155]
	s_waitcnt vmcnt(3) lgkmcnt(2)
	v_mul_f64 v[160:161], v[120:121], v[58:59]
	v_mul_f64 v[10:11], v[74:75], v[10:11]
	v_fmac_f64_e32 v[158:159], v[118:119], v[52:53]
	v_fma_f64 v[4:5], v[68:69], v[4:5], -v[6:7]
	v_add_f64 v[2:3], v[2:3], v[156:157]
	s_waitcnt vmcnt(2) lgkmcnt(1)
	v_mul_f64 v[162:163], v[124:125], v[62:63]
	v_mul_f64 v[14:15], v[78:79], v[14:15]
	v_fmac_f64_e32 v[160:161], v[122:123], v[56:57]
	v_fma_f64 v[6:7], v[72:73], v[8:9], -v[10:11]
	v_add_f64 v[4:5], v[4:5], 0
	v_add_f64 v[2:3], v[2:3], v[158:159]
	s_waitcnt vmcnt(1) lgkmcnt(0)
	v_mul_f64 v[164:165], v[128:129], v[66:67]
	v_mul_f64 v[18:19], v[82:83], v[18:19]
	v_fmac_f64_e32 v[162:163], v[126:127], v[60:61]
	v_fma_f64 v[8:9], v[76:77], v[12:13], -v[14:15]
	v_add_f64 v[4:5], v[4:5], v[6:7]
	v_add_f64 v[2:3], v[2:3], v[160:161]
	v_mul_f64 v[26:27], v[86:87], v[26:27]
	v_fmac_f64_e32 v[164:165], v[130:131], v[64:65]
	v_fma_f64 v[10:11], v[80:81], v[16:17], -v[18:19]
	v_add_f64 v[4:5], v[4:5], v[8:9]
	v_add_f64 v[2:3], v[2:3], v[162:163]
	v_fma_f64 v[12:13], v[84:85], v[24:25], -v[26:27]
	v_add_f64 v[4:5], v[4:5], v[10:11]
	v_add_f64 v[6:7], v[2:3], v[164:165]
	v_mul_f64 v[2:3], v[90:91], v[22:23]
	v_add_f64 v[4:5], v[4:5], v[12:13]
	v_fma_f64 v[2:3], v[88:89], v[20:21], -v[2:3]
	v_add_f64 v[2:3], v[4:5], v[2:3]
	v_mul_f64 v[4:5], v[94:95], v[30:31]
	v_fma_f64 v[4:5], v[92:93], v[28:29], -v[4:5]
	v_add_f64 v[2:3], v[2:3], v[4:5]
	v_mul_f64 v[4:5], v[98:99], v[34:35]
	;; [unrolled: 3-line block ×10, first 2 shown]
	v_fma_f64 v[4:5], v[128:129], v[64:65], -v[4:5]
	v_add_f64 v[2:3], v[2:3], v[4:5]
	s_waitcnt vmcnt(0)
	v_add_f64 v[2:3], v[132:133], -v[2:3]
	v_add_f64 v[4:5], v[134:135], -v[6:7]
	scratch_store_dwordx4 off, v[2:5], off offset:416
	s_and_saveexec_b64 s[0:1], vcc
	s_cbranch_execz .LBB41_217
; %bb.216:
	scratch_load_dwordx4 v[2:5], off, s38
	v_mov_b32_e32 v6, 0
	v_mov_b32_e32 v7, v6
	;; [unrolled: 1-line block ×4, first 2 shown]
	v_accvgpr_read_b32 v0, a85
	scratch_store_dwordx4 off, v[6:9], off offset:400
	s_waitcnt vmcnt(1)
	ds_write_b128 v0, v[2:5]
.LBB41_217:
	s_or_b64 exec, exec, s[0:1]
	v_mov_b32_e32 v2, 0
	s_waitcnt lgkmcnt(0)
	; wave barrier
	ds_read_b128 v[16:19], v2 offset:1072
	ds_read_b128 v[12:15], v2 offset:1088
	;; [unrolled: 1-line block ×4, first 2 shown]
	scratch_load_dwordx4 v[20:23], off, off offset:416
	scratch_load_dwordx4 v[40:43], off, off offset:480
	;; [unrolled: 1-line block ×11, first 2 shown]
	v_cmp_lt_u32_e32 vcc, 23, v242
	scratch_load_dwordx4 v[48:51], off, off offset:496
	scratch_load_dwordx4 v[56:59], off, off offset:512
	scratch_load_dwordx4 v[64:67], off, off offset:528
	s_waitcnt vmcnt(13) lgkmcnt(3)
	v_mul_f64 v[24:25], v[16:17], v[22:23]
	v_fmac_f64_e32 v[24:25], v[18:19], v[20:21]
	v_add_f64 v[28:29], v[24:25], 0
	scratch_load_dwordx4 v[24:27], off, off offset:432
	v_mul_f64 v[18:19], v[18:19], v[22:23]
	v_fma_f64 v[16:17], v[16:17], v[20:21], -v[18:19]
	v_add_f64 v[16:17], v[16:17], 0
	s_waitcnt vmcnt(0) lgkmcnt(2)
	v_mul_f64 v[30:31], v[12:13], v[26:27]
	v_fmac_f64_e32 v[30:31], v[14:15], v[24:25]
	v_add_f64 v[32:33], v[28:29], v[30:31]
	scratch_load_dwordx4 v[28:31], off, off offset:448
	v_mul_f64 v[14:15], v[14:15], v[26:27]
	v_fma_f64 v[12:13], v[12:13], v[24:25], -v[14:15]
	v_add_f64 v[12:13], v[16:17], v[12:13]
	;; [unrolled: 8-line block ×3, first 2 shown]
	s_waitcnt vmcnt(0) lgkmcnt(0)
	v_mul_f64 v[38:39], v[4:5], v[34:35]
	v_fmac_f64_e32 v[38:39], v[6:7], v[32:33]
	v_add_f64 v[44:45], v[36:37], v[38:39]
	ds_read_b128 v[36:39], v2 offset:1136
	v_mul_f64 v[6:7], v[6:7], v[34:35]
	v_fma_f64 v[4:5], v[4:5], v[32:33], -v[6:7]
	v_add_f64 v[4:5], v[8:9], v[4:5]
	s_waitcnt lgkmcnt(0)
	v_mul_f64 v[46:47], v[36:37], v[42:43]
	v_fmac_f64_e32 v[46:47], v[38:39], v[40:41]
	v_add_f64 v[52:53], v[44:45], v[46:47]
	ds_read_b128 v[44:47], v2 offset:1152
	v_mul_f64 v[6:7], v[38:39], v[42:43]
	v_fma_f64 v[6:7], v[36:37], v[40:41], -v[6:7]
	v_add_f64 v[4:5], v[4:5], v[6:7]
	s_waitcnt lgkmcnt(0)
	;; [unrolled: 8-line block ×13, first 2 shown]
	v_mul_f64 v[6:7], v[136:137], v[140:141]
	v_fma_f64 v[6:7], v[134:135], v[138:139], -v[6:7]
	v_add_f64 v[8:9], v[4:5], v[6:7]
	scratch_load_dwordx4 v[4:7], off, off offset:400
	v_mul_f64 v[142:143], v[134:135], v[140:141]
	v_fmac_f64_e32 v[142:143], v[136:137], v[138:139]
	v_add_f64 v[72:73], v[72:73], v[142:143]
	s_waitcnt vmcnt(0)
	v_add_f64 v[4:5], v[4:5], -v[8:9]
	v_add_f64 v[6:7], v[6:7], -v[72:73]
	scratch_store_dwordx4 off, v[4:7], off offset:400
	s_and_saveexec_b64 s[0:1], vcc
	s_cbranch_execz .LBB41_219
; %bb.218:
	scratch_load_dwordx4 v[6:9], off, s37
	v_mov_b32_e32 v3, v2
	v_mov_b32_e32 v4, v2
	;; [unrolled: 1-line block ×3, first 2 shown]
	v_accvgpr_read_b32 v0, a85
	scratch_store_dwordx4 off, v[2:5], off offset:384
	s_waitcnt vmcnt(1)
	ds_write_b128 v0, v[6:9]
.LBB41_219:
	s_or_b64 exec, exec, s[0:1]
	s_waitcnt lgkmcnt(0)
	; wave barrier
	ds_read_b128 v[16:19], v2 offset:1056
	ds_read_b128 v[12:15], v2 offset:1072
	ds_read_b128 v[8:11], v2 offset:1088
	ds_read_b128 v[4:7], v2 offset:1104
	scratch_load_dwordx4 v[20:23], off, off offset:400
	scratch_load_dwordx4 v[40:43], off, off offset:464
	;; [unrolled: 1-line block ×12, first 2 shown]
	v_cmp_lt_u32_e32 vcc, 22, v242
	scratch_load_dwordx4 v[48:51], off, off offset:480
	scratch_load_dwordx4 v[56:59], off, off offset:496
	;; [unrolled: 1-line block ×3, first 2 shown]
	s_waitcnt vmcnt(14) lgkmcnt(3)
	v_mul_f64 v[24:25], v[16:17], v[22:23]
	v_fmac_f64_e32 v[24:25], v[18:19], v[20:21]
	v_add_f64 v[28:29], v[24:25], 0
	scratch_load_dwordx4 v[24:27], off, off offset:416
	s_waitcnt vmcnt(0) lgkmcnt(2)
	v_mul_f64 v[30:31], v[12:13], v[26:27]
	v_fmac_f64_e32 v[30:31], v[14:15], v[24:25]
	v_add_f64 v[32:33], v[28:29], v[30:31]
	scratch_load_dwordx4 v[28:31], off, off offset:432
	v_mul_f64 v[14:15], v[14:15], v[26:27]
	v_fma_f64 v[12:13], v[12:13], v[24:25], -v[14:15]
	s_waitcnt vmcnt(0) lgkmcnt(1)
	v_mul_f64 v[34:35], v[8:9], v[30:31]
	v_fmac_f64_e32 v[34:35], v[10:11], v[28:29]
	v_add_f64 v[36:37], v[32:33], v[34:35]
	scratch_load_dwordx4 v[32:35], off, off offset:448
	v_mul_f64 v[10:11], v[10:11], v[30:31]
	v_fma_f64 v[8:9], v[8:9], v[28:29], -v[10:11]
	s_waitcnt vmcnt(0) lgkmcnt(0)
	v_mul_f64 v[38:39], v[4:5], v[34:35]
	v_fmac_f64_e32 v[38:39], v[6:7], v[32:33]
	v_add_f64 v[44:45], v[36:37], v[38:39]
	ds_read_b128 v[36:39], v2 offset:1120
	v_mul_f64 v[6:7], v[6:7], v[34:35]
	v_fma_f64 v[4:5], v[4:5], v[32:33], -v[6:7]
	s_waitcnt lgkmcnt(0)
	v_mul_f64 v[46:47], v[36:37], v[42:43]
	v_fmac_f64_e32 v[46:47], v[38:39], v[40:41]
	v_add_f64 v[52:53], v[44:45], v[46:47]
	ds_read_b128 v[44:47], v2 offset:1136
	s_waitcnt lgkmcnt(0)
	v_mul_f64 v[54:55], v[44:45], v[50:51]
	v_fmac_f64_e32 v[54:55], v[46:47], v[48:49]
	v_add_f64 v[60:61], v[52:53], v[54:55]
	ds_read_b128 v[52:55], v2 offset:1152
	;; [unrolled: 5-line block ×13, first 2 shown]
	s_waitcnt lgkmcnt(0)
	v_mul_f64 v[2:3], v[142:143], v[148:149]
	v_fmac_f64_e32 v[2:3], v[144:145], v[146:147]
	v_add_f64 v[80:81], v[80:81], v[2:3]
	v_mul_f64 v[2:3], v[18:19], v[22:23]
	v_fma_f64 v[2:3], v[16:17], v[20:21], -v[2:3]
	v_add_f64 v[2:3], v[2:3], 0
	v_add_f64 v[2:3], v[2:3], v[12:13]
	;; [unrolled: 1-line block ×4, first 2 shown]
	v_mul_f64 v[4:5], v[38:39], v[42:43]
	v_fma_f64 v[4:5], v[36:37], v[40:41], -v[4:5]
	v_add_f64 v[2:3], v[2:3], v[4:5]
	v_mul_f64 v[4:5], v[46:47], v[50:51]
	v_fma_f64 v[4:5], v[44:45], v[48:49], -v[4:5]
	v_add_f64 v[2:3], v[2:3], v[4:5]
	;; [unrolled: 3-line block ×14, first 2 shown]
	scratch_load_dwordx4 v[2:5], off, off offset:384
	s_waitcnt vmcnt(0)
	v_add_f64 v[2:3], v[2:3], -v[6:7]
	v_add_f64 v[4:5], v[4:5], -v[80:81]
	scratch_store_dwordx4 off, v[2:5], off offset:384
	s_and_saveexec_b64 s[0:1], vcc
	s_cbranch_execz .LBB41_221
; %bb.220:
	scratch_load_dwordx4 v[2:5], off, s36
	v_mov_b32_e32 v6, 0
	v_mov_b32_e32 v7, v6
	;; [unrolled: 1-line block ×4, first 2 shown]
	v_accvgpr_read_b32 v0, a85
	scratch_store_dwordx4 off, v[6:9], off offset:368
	s_waitcnt vmcnt(1)
	ds_write_b128 v0, v[2:5]
.LBB41_221:
	s_or_b64 exec, exec, s[0:1]
	v_mov_b32_e32 v2, 0
	s_waitcnt lgkmcnt(0)
	; wave barrier
	ds_read_b128 v[16:19], v2 offset:1040
	ds_read_b128 v[12:15], v2 offset:1056
	;; [unrolled: 1-line block ×4, first 2 shown]
	scratch_load_dwordx4 v[20:23], off, off offset:384
	scratch_load_dwordx4 v[40:43], off, off offset:448
	;; [unrolled: 1-line block ×13, first 2 shown]
	v_cmp_lt_u32_e32 vcc, 21, v242
	scratch_load_dwordx4 v[48:51], off, off offset:464
	scratch_load_dwordx4 v[56:59], off, off offset:480
	;; [unrolled: 1-line block ×3, first 2 shown]
	s_waitcnt vmcnt(15) lgkmcnt(3)
	v_mul_f64 v[24:25], v[16:17], v[22:23]
	v_fmac_f64_e32 v[24:25], v[18:19], v[20:21]
	v_add_f64 v[28:29], v[24:25], 0
	scratch_load_dwordx4 v[24:27], off, off offset:400
	v_mul_f64 v[18:19], v[18:19], v[22:23]
	v_fma_f64 v[16:17], v[16:17], v[20:21], -v[18:19]
	v_add_f64 v[16:17], v[16:17], 0
	s_waitcnt vmcnt(0) lgkmcnt(2)
	v_mul_f64 v[30:31], v[12:13], v[26:27]
	v_fmac_f64_e32 v[30:31], v[14:15], v[24:25]
	v_add_f64 v[32:33], v[28:29], v[30:31]
	scratch_load_dwordx4 v[28:31], off, off offset:416
	v_mul_f64 v[14:15], v[14:15], v[26:27]
	v_fma_f64 v[12:13], v[12:13], v[24:25], -v[14:15]
	v_add_f64 v[12:13], v[16:17], v[12:13]
	;; [unrolled: 8-line block ×3, first 2 shown]
	s_waitcnt vmcnt(0) lgkmcnt(0)
	v_mul_f64 v[38:39], v[4:5], v[34:35]
	v_fmac_f64_e32 v[38:39], v[6:7], v[32:33]
	v_add_f64 v[44:45], v[36:37], v[38:39]
	ds_read_b128 v[36:39], v2 offset:1104
	v_mul_f64 v[6:7], v[6:7], v[34:35]
	v_fma_f64 v[4:5], v[4:5], v[32:33], -v[6:7]
	v_add_f64 v[4:5], v[8:9], v[4:5]
	s_waitcnt lgkmcnt(0)
	v_mul_f64 v[46:47], v[36:37], v[42:43]
	v_fmac_f64_e32 v[46:47], v[38:39], v[40:41]
	v_add_f64 v[52:53], v[44:45], v[46:47]
	ds_read_b128 v[44:47], v2 offset:1120
	v_mul_f64 v[6:7], v[38:39], v[42:43]
	v_fma_f64 v[6:7], v[36:37], v[40:41], -v[6:7]
	v_add_f64 v[4:5], v[4:5], v[6:7]
	s_waitcnt lgkmcnt(0)
	;; [unrolled: 8-line block ×15, first 2 shown]
	v_mul_f64 v[6:7], v[152:153], v[156:157]
	v_fma_f64 v[6:7], v[150:151], v[154:155], -v[6:7]
	v_add_f64 v[8:9], v[4:5], v[6:7]
	scratch_load_dwordx4 v[4:7], off, off offset:368
	v_mul_f64 v[158:159], v[150:151], v[156:157]
	v_fmac_f64_e32 v[158:159], v[152:153], v[154:155]
	v_add_f64 v[88:89], v[88:89], v[158:159]
	s_waitcnt vmcnt(0)
	v_add_f64 v[4:5], v[4:5], -v[8:9]
	v_add_f64 v[6:7], v[6:7], -v[88:89]
	scratch_store_dwordx4 off, v[4:7], off offset:368
	s_and_saveexec_b64 s[0:1], vcc
	s_cbranch_execz .LBB41_223
; %bb.222:
	scratch_load_dwordx4 v[6:9], off, s35
	v_mov_b32_e32 v3, v2
	v_mov_b32_e32 v4, v2
	;; [unrolled: 1-line block ×3, first 2 shown]
	v_accvgpr_read_b32 v0, a85
	scratch_store_dwordx4 off, v[2:5], off offset:352
	s_waitcnt vmcnt(1)
	ds_write_b128 v0, v[6:9]
.LBB41_223:
	s_or_b64 exec, exec, s[0:1]
	s_waitcnt lgkmcnt(0)
	; wave barrier
	ds_read_b128 v[16:19], v2 offset:1024
	ds_read_b128 v[12:15], v2 offset:1040
	;; [unrolled: 1-line block ×4, first 2 shown]
	scratch_load_dwordx4 v[20:23], off, off offset:368
	scratch_load_dwordx4 v[40:43], off, off offset:432
	;; [unrolled: 1-line block ×14, first 2 shown]
	v_cmp_lt_u32_e32 vcc, 20, v242
	scratch_load_dwordx4 v[48:51], off, off offset:448
	scratch_load_dwordx4 v[56:59], off, off offset:464
	;; [unrolled: 1-line block ×3, first 2 shown]
	s_waitcnt vmcnt(16) lgkmcnt(3)
	v_mul_f64 v[24:25], v[16:17], v[22:23]
	v_fmac_f64_e32 v[24:25], v[18:19], v[20:21]
	v_add_f64 v[28:29], v[24:25], 0
	scratch_load_dwordx4 v[24:27], off, off offset:384
	s_waitcnt vmcnt(0) lgkmcnt(2)
	v_mul_f64 v[30:31], v[12:13], v[26:27]
	v_fmac_f64_e32 v[30:31], v[14:15], v[24:25]
	v_add_f64 v[32:33], v[28:29], v[30:31]
	scratch_load_dwordx4 v[28:31], off, off offset:400
	v_mul_f64 v[14:15], v[14:15], v[26:27]
	v_fma_f64 v[12:13], v[12:13], v[24:25], -v[14:15]
	s_waitcnt vmcnt(0) lgkmcnt(1)
	v_mul_f64 v[34:35], v[8:9], v[30:31]
	v_fmac_f64_e32 v[34:35], v[10:11], v[28:29]
	v_add_f64 v[36:37], v[32:33], v[34:35]
	scratch_load_dwordx4 v[32:35], off, off offset:416
	v_mul_f64 v[10:11], v[10:11], v[30:31]
	v_fma_f64 v[8:9], v[8:9], v[28:29], -v[10:11]
	s_waitcnt vmcnt(0) lgkmcnt(0)
	v_mul_f64 v[38:39], v[4:5], v[34:35]
	v_fmac_f64_e32 v[38:39], v[6:7], v[32:33]
	v_add_f64 v[44:45], v[36:37], v[38:39]
	ds_read_b128 v[36:39], v2 offset:1088
	v_mul_f64 v[6:7], v[6:7], v[34:35]
	v_fma_f64 v[4:5], v[4:5], v[32:33], -v[6:7]
	s_waitcnt lgkmcnt(0)
	v_mul_f64 v[46:47], v[36:37], v[42:43]
	v_fmac_f64_e32 v[46:47], v[38:39], v[40:41]
	v_add_f64 v[52:53], v[44:45], v[46:47]
	ds_read_b128 v[44:47], v2 offset:1104
	s_waitcnt lgkmcnt(0)
	v_mul_f64 v[54:55], v[44:45], v[50:51]
	v_fmac_f64_e32 v[54:55], v[46:47], v[48:49]
	v_add_f64 v[60:61], v[52:53], v[54:55]
	ds_read_b128 v[52:55], v2 offset:1120
	;; [unrolled: 5-line block ×15, first 2 shown]
	s_waitcnt lgkmcnt(0)
	v_mul_f64 v[2:3], v[158:159], v[164:165]
	v_fmac_f64_e32 v[2:3], v[160:161], v[162:163]
	v_add_f64 v[96:97], v[96:97], v[2:3]
	v_mul_f64 v[2:3], v[18:19], v[22:23]
	v_fma_f64 v[2:3], v[16:17], v[20:21], -v[2:3]
	v_add_f64 v[2:3], v[2:3], 0
	v_add_f64 v[2:3], v[2:3], v[12:13]
	;; [unrolled: 1-line block ×4, first 2 shown]
	v_mul_f64 v[4:5], v[38:39], v[42:43]
	v_fma_f64 v[4:5], v[36:37], v[40:41], -v[4:5]
	v_add_f64 v[2:3], v[2:3], v[4:5]
	v_mul_f64 v[4:5], v[46:47], v[50:51]
	v_fma_f64 v[4:5], v[44:45], v[48:49], -v[4:5]
	v_add_f64 v[2:3], v[2:3], v[4:5]
	;; [unrolled: 3-line block ×16, first 2 shown]
	scratch_load_dwordx4 v[2:5], off, off offset:352
	s_waitcnt vmcnt(0)
	v_add_f64 v[2:3], v[2:3], -v[6:7]
	v_add_f64 v[4:5], v[4:5], -v[96:97]
	scratch_store_dwordx4 off, v[2:5], off offset:352
	s_and_saveexec_b64 s[0:1], vcc
	s_cbranch_execz .LBB41_225
; %bb.224:
	scratch_load_dwordx4 v[2:5], off, s34
	v_mov_b32_e32 v6, 0
	v_mov_b32_e32 v7, v6
	v_mov_b32_e32 v8, v6
	v_mov_b32_e32 v9, v6
	v_accvgpr_read_b32 v0, a85
	scratch_store_dwordx4 off, v[6:9], off offset:336
	s_waitcnt vmcnt(1)
	ds_write_b128 v0, v[2:5]
.LBB41_225:
	s_or_b64 exec, exec, s[0:1]
	v_mov_b32_e32 v2, 0
	s_waitcnt lgkmcnt(0)
	; wave barrier
	ds_read_b128 v[16:19], v2 offset:1008
	ds_read_b128 v[12:15], v2 offset:1024
	;; [unrolled: 1-line block ×4, first 2 shown]
	scratch_load_dwordx4 v[20:23], off, off offset:352
	scratch_load_dwordx4 v[40:43], off, off offset:416
	;; [unrolled: 1-line block ×15, first 2 shown]
	v_cmp_lt_u32_e32 vcc, 19, v242
	scratch_load_dwordx4 v[48:51], off, off offset:432
	scratch_load_dwordx4 v[56:59], off, off offset:448
	;; [unrolled: 1-line block ×3, first 2 shown]
	s_waitcnt vmcnt(17) lgkmcnt(3)
	v_mul_f64 v[24:25], v[16:17], v[22:23]
	v_fmac_f64_e32 v[24:25], v[18:19], v[20:21]
	v_add_f64 v[28:29], v[24:25], 0
	scratch_load_dwordx4 v[24:27], off, off offset:368
	v_mul_f64 v[18:19], v[18:19], v[22:23]
	v_fma_f64 v[16:17], v[16:17], v[20:21], -v[18:19]
	v_add_f64 v[16:17], v[16:17], 0
	s_waitcnt vmcnt(0) lgkmcnt(2)
	v_mul_f64 v[30:31], v[12:13], v[26:27]
	v_fmac_f64_e32 v[30:31], v[14:15], v[24:25]
	v_add_f64 v[32:33], v[28:29], v[30:31]
	scratch_load_dwordx4 v[28:31], off, off offset:384
	v_mul_f64 v[14:15], v[14:15], v[26:27]
	v_fma_f64 v[12:13], v[12:13], v[24:25], -v[14:15]
	v_add_f64 v[12:13], v[16:17], v[12:13]
	;; [unrolled: 8-line block ×3, first 2 shown]
	s_waitcnt vmcnt(0) lgkmcnt(0)
	v_mul_f64 v[38:39], v[4:5], v[34:35]
	v_fmac_f64_e32 v[38:39], v[6:7], v[32:33]
	v_add_f64 v[44:45], v[36:37], v[38:39]
	ds_read_b128 v[36:39], v2 offset:1072
	v_mul_f64 v[6:7], v[6:7], v[34:35]
	v_fma_f64 v[4:5], v[4:5], v[32:33], -v[6:7]
	v_add_f64 v[4:5], v[8:9], v[4:5]
	s_waitcnt lgkmcnt(0)
	v_mul_f64 v[46:47], v[36:37], v[42:43]
	v_fmac_f64_e32 v[46:47], v[38:39], v[40:41]
	v_add_f64 v[52:53], v[44:45], v[46:47]
	ds_read_b128 v[44:47], v2 offset:1088
	v_mul_f64 v[6:7], v[38:39], v[42:43]
	v_fma_f64 v[6:7], v[36:37], v[40:41], -v[6:7]
	v_add_f64 v[4:5], v[4:5], v[6:7]
	s_waitcnt lgkmcnt(0)
	;; [unrolled: 8-line block ×17, first 2 shown]
	v_mul_f64 v[6:7], v[168:169], v[172:173]
	v_fma_f64 v[6:7], v[166:167], v[170:171], -v[6:7]
	v_add_f64 v[8:9], v[4:5], v[6:7]
	scratch_load_dwordx4 v[4:7], off, off offset:336
	v_mul_f64 v[174:175], v[166:167], v[172:173]
	v_fmac_f64_e32 v[174:175], v[168:169], v[170:171]
	v_add_f64 v[104:105], v[104:105], v[174:175]
	s_waitcnt vmcnt(0)
	v_add_f64 v[4:5], v[4:5], -v[8:9]
	v_add_f64 v[6:7], v[6:7], -v[104:105]
	scratch_store_dwordx4 off, v[4:7], off offset:336
	s_and_saveexec_b64 s[0:1], vcc
	s_cbranch_execz .LBB41_227
; %bb.226:
	scratch_load_dwordx4 v[6:9], off, s33
	v_mov_b32_e32 v3, v2
	v_mov_b32_e32 v4, v2
	;; [unrolled: 1-line block ×3, first 2 shown]
	v_accvgpr_read_b32 v0, a85
	scratch_store_dwordx4 off, v[2:5], off offset:320
	s_waitcnt vmcnt(1)
	ds_write_b128 v0, v[6:9]
.LBB41_227:
	s_or_b64 exec, exec, s[0:1]
	s_waitcnt lgkmcnt(0)
	; wave barrier
	ds_read_b128 v[16:19], v2 offset:992
	ds_read_b128 v[12:15], v2 offset:1008
	;; [unrolled: 1-line block ×4, first 2 shown]
	scratch_load_dwordx4 v[20:23], off, off offset:336
	scratch_load_dwordx4 v[40:43], off, off offset:400
	;; [unrolled: 1-line block ×16, first 2 shown]
	v_cmp_lt_u32_e32 vcc, 18, v242
	scratch_load_dwordx4 v[48:51], off, off offset:416
	scratch_load_dwordx4 v[56:59], off, off offset:432
	;; [unrolled: 1-line block ×3, first 2 shown]
	s_waitcnt vmcnt(18) lgkmcnt(3)
	v_mul_f64 v[24:25], v[16:17], v[22:23]
	v_fmac_f64_e32 v[24:25], v[18:19], v[20:21]
	v_add_f64 v[28:29], v[24:25], 0
	scratch_load_dwordx4 v[24:27], off, off offset:352
	s_waitcnt vmcnt(0) lgkmcnt(2)
	v_mul_f64 v[30:31], v[12:13], v[26:27]
	v_fmac_f64_e32 v[30:31], v[14:15], v[24:25]
	v_add_f64 v[32:33], v[28:29], v[30:31]
	scratch_load_dwordx4 v[28:31], off, off offset:368
	v_mul_f64 v[14:15], v[14:15], v[26:27]
	v_fma_f64 v[12:13], v[12:13], v[24:25], -v[14:15]
	s_waitcnt vmcnt(0) lgkmcnt(1)
	v_mul_f64 v[34:35], v[8:9], v[30:31]
	v_fmac_f64_e32 v[34:35], v[10:11], v[28:29]
	v_add_f64 v[36:37], v[32:33], v[34:35]
	scratch_load_dwordx4 v[32:35], off, off offset:384
	v_mul_f64 v[10:11], v[10:11], v[30:31]
	v_fma_f64 v[8:9], v[8:9], v[28:29], -v[10:11]
	s_waitcnt vmcnt(0) lgkmcnt(0)
	v_mul_f64 v[38:39], v[4:5], v[34:35]
	v_fmac_f64_e32 v[38:39], v[6:7], v[32:33]
	v_add_f64 v[44:45], v[36:37], v[38:39]
	ds_read_b128 v[36:39], v2 offset:1056
	v_mul_f64 v[6:7], v[6:7], v[34:35]
	v_fma_f64 v[4:5], v[4:5], v[32:33], -v[6:7]
	s_waitcnt lgkmcnt(0)
	v_mul_f64 v[46:47], v[36:37], v[42:43]
	v_fmac_f64_e32 v[46:47], v[38:39], v[40:41]
	v_add_f64 v[52:53], v[44:45], v[46:47]
	ds_read_b128 v[44:47], v2 offset:1072
	s_waitcnt lgkmcnt(0)
	v_mul_f64 v[54:55], v[44:45], v[50:51]
	v_fmac_f64_e32 v[54:55], v[46:47], v[48:49]
	v_add_f64 v[60:61], v[52:53], v[54:55]
	ds_read_b128 v[52:55], v2 offset:1088
	;; [unrolled: 5-line block ×17, first 2 shown]
	s_waitcnt lgkmcnt(0)
	v_mul_f64 v[2:3], v[174:175], v[180:181]
	v_fmac_f64_e32 v[2:3], v[176:177], v[178:179]
	v_add_f64 v[120:121], v[120:121], v[2:3]
	v_mul_f64 v[2:3], v[18:19], v[22:23]
	v_fma_f64 v[2:3], v[16:17], v[20:21], -v[2:3]
	v_add_f64 v[2:3], v[2:3], 0
	v_add_f64 v[2:3], v[2:3], v[12:13]
	;; [unrolled: 1-line block ×4, first 2 shown]
	v_mul_f64 v[4:5], v[38:39], v[42:43]
	v_fma_f64 v[4:5], v[36:37], v[40:41], -v[4:5]
	v_add_f64 v[2:3], v[2:3], v[4:5]
	v_mul_f64 v[4:5], v[46:47], v[50:51]
	v_fma_f64 v[4:5], v[44:45], v[48:49], -v[4:5]
	v_add_f64 v[2:3], v[2:3], v[4:5]
	;; [unrolled: 3-line block ×18, first 2 shown]
	scratch_load_dwordx4 v[2:5], off, off offset:320
	s_waitcnt vmcnt(0)
	v_add_f64 v[2:3], v[2:3], -v[6:7]
	v_add_f64 v[4:5], v[4:5], -v[120:121]
	scratch_store_dwordx4 off, v[2:5], off offset:320
	s_and_saveexec_b64 s[0:1], vcc
	s_cbranch_execz .LBB41_229
; %bb.228:
	scratch_load_dwordx4 v[2:5], off, s31
	v_mov_b32_e32 v6, 0
	v_mov_b32_e32 v7, v6
	;; [unrolled: 1-line block ×4, first 2 shown]
	v_accvgpr_read_b32 v0, a85
	scratch_store_dwordx4 off, v[6:9], off offset:304
	s_waitcnt vmcnt(1)
	ds_write_b128 v0, v[2:5]
.LBB41_229:
	s_or_b64 exec, exec, s[0:1]
	v_mov_b32_e32 v2, 0
	s_waitcnt lgkmcnt(0)
	; wave barrier
	ds_read_b128 v[16:19], v2 offset:976
	ds_read_b128 v[12:15], v2 offset:992
	;; [unrolled: 1-line block ×4, first 2 shown]
	scratch_load_dwordx4 v[20:23], off, off offset:320
	scratch_load_dwordx4 v[40:43], off, off offset:384
	;; [unrolled: 1-line block ×17, first 2 shown]
	v_cmp_lt_u32_e32 vcc, 17, v242
	scratch_load_dwordx4 v[48:51], off, off offset:400
	scratch_load_dwordx4 v[56:59], off, off offset:416
	;; [unrolled: 1-line block ×3, first 2 shown]
	s_waitcnt vmcnt(19) lgkmcnt(3)
	v_mul_f64 v[24:25], v[16:17], v[22:23]
	v_fmac_f64_e32 v[24:25], v[18:19], v[20:21]
	v_add_f64 v[28:29], v[24:25], 0
	scratch_load_dwordx4 v[24:27], off, off offset:336
	v_mul_f64 v[18:19], v[18:19], v[22:23]
	v_fma_f64 v[16:17], v[16:17], v[20:21], -v[18:19]
	v_add_f64 v[16:17], v[16:17], 0
	s_waitcnt vmcnt(0) lgkmcnt(2)
	v_mul_f64 v[30:31], v[12:13], v[26:27]
	v_fmac_f64_e32 v[30:31], v[14:15], v[24:25]
	v_add_f64 v[32:33], v[28:29], v[30:31]
	scratch_load_dwordx4 v[28:31], off, off offset:352
	v_mul_f64 v[14:15], v[14:15], v[26:27]
	v_fma_f64 v[12:13], v[12:13], v[24:25], -v[14:15]
	v_add_f64 v[12:13], v[16:17], v[12:13]
	;; [unrolled: 8-line block ×3, first 2 shown]
	s_waitcnt vmcnt(0) lgkmcnt(0)
	v_mul_f64 v[38:39], v[4:5], v[34:35]
	v_fmac_f64_e32 v[38:39], v[6:7], v[32:33]
	v_add_f64 v[44:45], v[36:37], v[38:39]
	ds_read_b128 v[36:39], v2 offset:1040
	v_mul_f64 v[6:7], v[6:7], v[34:35]
	v_fma_f64 v[4:5], v[4:5], v[32:33], -v[6:7]
	v_add_f64 v[4:5], v[8:9], v[4:5]
	s_waitcnt lgkmcnt(0)
	v_mul_f64 v[46:47], v[36:37], v[42:43]
	v_fmac_f64_e32 v[46:47], v[38:39], v[40:41]
	v_add_f64 v[52:53], v[44:45], v[46:47]
	ds_read_b128 v[44:47], v2 offset:1056
	v_mul_f64 v[6:7], v[38:39], v[42:43]
	v_fma_f64 v[6:7], v[36:37], v[40:41], -v[6:7]
	v_add_f64 v[4:5], v[4:5], v[6:7]
	s_waitcnt lgkmcnt(0)
	;; [unrolled: 8-line block ×19, first 2 shown]
	v_mul_f64 v[6:7], v[184:185], v[188:189]
	v_fma_f64 v[6:7], v[182:183], v[186:187], -v[6:7]
	v_add_f64 v[8:9], v[4:5], v[6:7]
	scratch_load_dwordx4 v[4:7], off, off offset:304
	v_mul_f64 v[190:191], v[182:183], v[188:189]
	v_fmac_f64_e32 v[190:191], v[184:185], v[186:187]
	v_add_f64 v[128:129], v[128:129], v[190:191]
	s_waitcnt vmcnt(0)
	v_add_f64 v[4:5], v[4:5], -v[8:9]
	v_add_f64 v[6:7], v[6:7], -v[128:129]
	scratch_store_dwordx4 off, v[4:7], off offset:304
	s_and_saveexec_b64 s[0:1], vcc
	s_cbranch_execz .LBB41_231
; %bb.230:
	scratch_load_dwordx4 v[6:9], off, s30
	v_mov_b32_e32 v3, v2
	v_mov_b32_e32 v4, v2
	;; [unrolled: 1-line block ×3, first 2 shown]
	v_accvgpr_read_b32 v0, a85
	scratch_store_dwordx4 off, v[2:5], off offset:288
	s_waitcnt vmcnt(1)
	ds_write_b128 v0, v[6:9]
.LBB41_231:
	s_or_b64 exec, exec, s[0:1]
	s_waitcnt lgkmcnt(0)
	; wave barrier
	ds_read_b128 v[16:19], v2 offset:960
	ds_read_b128 v[12:15], v2 offset:976
	;; [unrolled: 1-line block ×4, first 2 shown]
	scratch_load_dwordx4 v[20:23], off, off offset:304
	scratch_load_dwordx4 v[40:43], off, off offset:368
	;; [unrolled: 1-line block ×18, first 2 shown]
	v_cmp_lt_u32_e32 vcc, 16, v242
	scratch_load_dwordx4 v[48:51], off, off offset:384
	scratch_load_dwordx4 v[56:59], off, off offset:400
	;; [unrolled: 1-line block ×3, first 2 shown]
	s_waitcnt vmcnt(20) lgkmcnt(3)
	v_mul_f64 v[24:25], v[16:17], v[22:23]
	v_fmac_f64_e32 v[24:25], v[18:19], v[20:21]
	v_add_f64 v[28:29], v[24:25], 0
	scratch_load_dwordx4 v[24:27], off, off offset:320
	s_waitcnt vmcnt(0) lgkmcnt(2)
	v_mul_f64 v[30:31], v[12:13], v[26:27]
	v_fmac_f64_e32 v[30:31], v[14:15], v[24:25]
	v_add_f64 v[32:33], v[28:29], v[30:31]
	scratch_load_dwordx4 v[28:31], off, off offset:336
	v_mul_f64 v[14:15], v[14:15], v[26:27]
	v_fma_f64 v[12:13], v[12:13], v[24:25], -v[14:15]
	s_waitcnt vmcnt(0) lgkmcnt(1)
	v_mul_f64 v[34:35], v[8:9], v[30:31]
	v_fmac_f64_e32 v[34:35], v[10:11], v[28:29]
	v_add_f64 v[36:37], v[32:33], v[34:35]
	scratch_load_dwordx4 v[32:35], off, off offset:352
	v_mul_f64 v[10:11], v[10:11], v[30:31]
	v_fma_f64 v[8:9], v[8:9], v[28:29], -v[10:11]
	s_waitcnt vmcnt(0) lgkmcnt(0)
	v_mul_f64 v[38:39], v[4:5], v[34:35]
	v_fmac_f64_e32 v[38:39], v[6:7], v[32:33]
	v_add_f64 v[44:45], v[36:37], v[38:39]
	ds_read_b128 v[36:39], v2 offset:1024
	v_mul_f64 v[6:7], v[6:7], v[34:35]
	v_fma_f64 v[4:5], v[4:5], v[32:33], -v[6:7]
	s_waitcnt lgkmcnt(0)
	v_mul_f64 v[46:47], v[36:37], v[42:43]
	v_fmac_f64_e32 v[46:47], v[38:39], v[40:41]
	v_add_f64 v[52:53], v[44:45], v[46:47]
	ds_read_b128 v[44:47], v2 offset:1040
	s_waitcnt lgkmcnt(0)
	v_mul_f64 v[54:55], v[44:45], v[50:51]
	v_fmac_f64_e32 v[54:55], v[46:47], v[48:49]
	v_add_f64 v[60:61], v[52:53], v[54:55]
	ds_read_b128 v[52:55], v2 offset:1056
	;; [unrolled: 5-line block ×19, first 2 shown]
	s_waitcnt lgkmcnt(0)
	v_mul_f64 v[2:3], v[190:191], v[196:197]
	v_fmac_f64_e32 v[2:3], v[192:193], v[194:195]
	v_add_f64 v[148:149], v[148:149], v[2:3]
	v_mul_f64 v[2:3], v[18:19], v[22:23]
	v_fma_f64 v[2:3], v[16:17], v[20:21], -v[2:3]
	v_add_f64 v[2:3], v[2:3], 0
	v_add_f64 v[2:3], v[2:3], v[12:13]
	;; [unrolled: 1-line block ×4, first 2 shown]
	v_mul_f64 v[4:5], v[38:39], v[42:43]
	v_fma_f64 v[4:5], v[36:37], v[40:41], -v[4:5]
	v_add_f64 v[2:3], v[2:3], v[4:5]
	v_mul_f64 v[4:5], v[46:47], v[50:51]
	v_fma_f64 v[4:5], v[44:45], v[48:49], -v[4:5]
	v_add_f64 v[2:3], v[2:3], v[4:5]
	;; [unrolled: 3-line block ×20, first 2 shown]
	scratch_load_dwordx4 v[2:5], off, off offset:288
	s_waitcnt vmcnt(0)
	v_add_f64 v[2:3], v[2:3], -v[6:7]
	v_add_f64 v[4:5], v[4:5], -v[148:149]
	scratch_store_dwordx4 off, v[2:5], off offset:288
	s_and_saveexec_b64 s[0:1], vcc
	s_cbranch_execz .LBB41_233
; %bb.232:
	scratch_load_dwordx4 v[2:5], off, s29
	v_mov_b32_e32 v6, 0
	v_mov_b32_e32 v7, v6
	;; [unrolled: 1-line block ×4, first 2 shown]
	v_accvgpr_read_b32 v0, a85
	scratch_store_dwordx4 off, v[6:9], off offset:272
	s_waitcnt vmcnt(1)
	ds_write_b128 v0, v[2:5]
.LBB41_233:
	s_or_b64 exec, exec, s[0:1]
	v_mov_b32_e32 v2, 0
	s_waitcnt lgkmcnt(0)
	; wave barrier
	ds_read_b128 v[16:19], v2 offset:944
	ds_read_b128 v[12:15], v2 offset:960
	;; [unrolled: 1-line block ×4, first 2 shown]
	scratch_load_dwordx4 v[20:23], off, off offset:288
	scratch_load_dwordx4 v[40:43], off, off offset:352
	;; [unrolled: 1-line block ×19, first 2 shown]
	v_cmp_lt_u32_e32 vcc, 15, v242
	scratch_load_dwordx4 v[48:51], off, off offset:368
	scratch_load_dwordx4 v[56:59], off, off offset:384
	;; [unrolled: 1-line block ×3, first 2 shown]
	s_waitcnt vmcnt(21) lgkmcnt(3)
	v_mul_f64 v[24:25], v[16:17], v[22:23]
	v_fmac_f64_e32 v[24:25], v[18:19], v[20:21]
	v_add_f64 v[28:29], v[24:25], 0
	scratch_load_dwordx4 v[24:27], off, off offset:304
	v_mul_f64 v[18:19], v[18:19], v[22:23]
	v_fma_f64 v[16:17], v[16:17], v[20:21], -v[18:19]
	v_add_f64 v[16:17], v[16:17], 0
	s_waitcnt vmcnt(0) lgkmcnt(2)
	v_mul_f64 v[30:31], v[12:13], v[26:27]
	v_fmac_f64_e32 v[30:31], v[14:15], v[24:25]
	v_add_f64 v[32:33], v[28:29], v[30:31]
	scratch_load_dwordx4 v[28:31], off, off offset:320
	v_mul_f64 v[14:15], v[14:15], v[26:27]
	v_fma_f64 v[12:13], v[12:13], v[24:25], -v[14:15]
	v_add_f64 v[12:13], v[16:17], v[12:13]
	;; [unrolled: 8-line block ×3, first 2 shown]
	s_waitcnt vmcnt(0) lgkmcnt(0)
	v_mul_f64 v[38:39], v[4:5], v[34:35]
	v_fmac_f64_e32 v[38:39], v[6:7], v[32:33]
	v_add_f64 v[44:45], v[36:37], v[38:39]
	ds_read_b128 v[36:39], v2 offset:1008
	v_mul_f64 v[6:7], v[6:7], v[34:35]
	v_fma_f64 v[4:5], v[4:5], v[32:33], -v[6:7]
	v_add_f64 v[4:5], v[8:9], v[4:5]
	s_waitcnt lgkmcnt(0)
	v_mul_f64 v[46:47], v[36:37], v[42:43]
	v_fmac_f64_e32 v[46:47], v[38:39], v[40:41]
	v_add_f64 v[52:53], v[44:45], v[46:47]
	ds_read_b128 v[44:47], v2 offset:1024
	v_mul_f64 v[6:7], v[38:39], v[42:43]
	v_fma_f64 v[6:7], v[36:37], v[40:41], -v[6:7]
	v_add_f64 v[4:5], v[4:5], v[6:7]
	s_waitcnt lgkmcnt(0)
	;; [unrolled: 8-line block ×21, first 2 shown]
	v_mul_f64 v[6:7], v[200:201], v[204:205]
	v_fma_f64 v[6:7], v[198:199], v[202:203], -v[6:7]
	v_add_f64 v[8:9], v[4:5], v[6:7]
	scratch_load_dwordx4 v[4:7], off, off offset:272
	v_mul_f64 v[206:207], v[198:199], v[204:205]
	v_fmac_f64_e32 v[206:207], v[200:201], v[202:203]
	v_add_f64 v[144:145], v[144:145], v[206:207]
	s_waitcnt vmcnt(0)
	v_add_f64 v[4:5], v[4:5], -v[8:9]
	v_add_f64 v[6:7], v[6:7], -v[144:145]
	scratch_store_dwordx4 off, v[4:7], off offset:272
	s_and_saveexec_b64 s[0:1], vcc
	s_cbranch_execz .LBB41_235
; %bb.234:
	scratch_load_dwordx4 v[6:9], off, s28
	v_mov_b32_e32 v3, v2
	v_mov_b32_e32 v4, v2
	;; [unrolled: 1-line block ×3, first 2 shown]
	v_accvgpr_read_b32 v0, a85
	scratch_store_dwordx4 off, v[2:5], off offset:256
	s_waitcnt vmcnt(1)
	ds_write_b128 v0, v[6:9]
.LBB41_235:
	s_or_b64 exec, exec, s[0:1]
	s_waitcnt lgkmcnt(0)
	; wave barrier
	ds_read_b128 v[16:19], v2 offset:928
	ds_read_b128 v[12:15], v2 offset:944
	;; [unrolled: 1-line block ×4, first 2 shown]
	scratch_load_dwordx4 v[20:23], off, off offset:272
	scratch_load_dwordx4 v[40:43], off, off offset:336
	;; [unrolled: 1-line block ×20, first 2 shown]
	v_cmp_lt_u32_e32 vcc, 14, v242
	scratch_load_dwordx4 v[48:51], off, off offset:352
	scratch_load_dwordx4 v[56:59], off, off offset:368
	;; [unrolled: 1-line block ×3, first 2 shown]
	s_waitcnt vmcnt(22) lgkmcnt(3)
	v_mul_f64 v[24:25], v[16:17], v[22:23]
	v_fmac_f64_e32 v[24:25], v[18:19], v[20:21]
	v_add_f64 v[28:29], v[24:25], 0
	scratch_load_dwordx4 v[24:27], off, off offset:288
	s_waitcnt vmcnt(0) lgkmcnt(2)
	v_mul_f64 v[30:31], v[12:13], v[26:27]
	v_fmac_f64_e32 v[30:31], v[14:15], v[24:25]
	v_add_f64 v[32:33], v[28:29], v[30:31]
	scratch_load_dwordx4 v[28:31], off, off offset:304
	v_mul_f64 v[14:15], v[14:15], v[26:27]
	v_fma_f64 v[12:13], v[12:13], v[24:25], -v[14:15]
	s_waitcnt vmcnt(0) lgkmcnt(1)
	v_mul_f64 v[34:35], v[8:9], v[30:31]
	v_fmac_f64_e32 v[34:35], v[10:11], v[28:29]
	v_add_f64 v[36:37], v[32:33], v[34:35]
	scratch_load_dwordx4 v[32:35], off, off offset:320
	v_mul_f64 v[10:11], v[10:11], v[30:31]
	v_fma_f64 v[8:9], v[8:9], v[28:29], -v[10:11]
	s_waitcnt vmcnt(0) lgkmcnt(0)
	v_mul_f64 v[38:39], v[4:5], v[34:35]
	v_fmac_f64_e32 v[38:39], v[6:7], v[32:33]
	v_add_f64 v[44:45], v[36:37], v[38:39]
	ds_read_b128 v[36:39], v2 offset:992
	v_mul_f64 v[6:7], v[6:7], v[34:35]
	v_fma_f64 v[4:5], v[4:5], v[32:33], -v[6:7]
	s_waitcnt lgkmcnt(0)
	v_mul_f64 v[46:47], v[36:37], v[42:43]
	v_fmac_f64_e32 v[46:47], v[38:39], v[40:41]
	v_add_f64 v[52:53], v[44:45], v[46:47]
	ds_read_b128 v[44:47], v2 offset:1008
	s_waitcnt lgkmcnt(0)
	v_mul_f64 v[54:55], v[44:45], v[50:51]
	v_fmac_f64_e32 v[54:55], v[46:47], v[48:49]
	v_add_f64 v[60:61], v[52:53], v[54:55]
	ds_read_b128 v[52:55], v2 offset:1024
	;; [unrolled: 5-line block ×21, first 2 shown]
	s_waitcnt lgkmcnt(0)
	v_mul_f64 v[2:3], v[206:207], v[212:213]
	v_fmac_f64_e32 v[2:3], v[208:209], v[210:211]
	v_add_f64 v[168:169], v[168:169], v[2:3]
	v_mul_f64 v[2:3], v[18:19], v[22:23]
	v_fma_f64 v[2:3], v[16:17], v[20:21], -v[2:3]
	v_add_f64 v[2:3], v[2:3], 0
	v_add_f64 v[2:3], v[2:3], v[12:13]
	;; [unrolled: 1-line block ×4, first 2 shown]
	v_mul_f64 v[4:5], v[38:39], v[42:43]
	v_fma_f64 v[4:5], v[36:37], v[40:41], -v[4:5]
	v_add_f64 v[2:3], v[2:3], v[4:5]
	v_mul_f64 v[4:5], v[46:47], v[50:51]
	v_fma_f64 v[4:5], v[44:45], v[48:49], -v[4:5]
	v_add_f64 v[2:3], v[2:3], v[4:5]
	;; [unrolled: 3-line block ×22, first 2 shown]
	scratch_load_dwordx4 v[2:5], off, off offset:256
	s_waitcnt vmcnt(0)
	v_add_f64 v[2:3], v[2:3], -v[6:7]
	v_add_f64 v[4:5], v[4:5], -v[168:169]
	scratch_store_dwordx4 off, v[2:5], off offset:256
	s_and_saveexec_b64 s[0:1], vcc
	s_cbranch_execz .LBB41_237
; %bb.236:
	scratch_load_dwordx4 v[2:5], off, s27
	v_mov_b32_e32 v6, 0
	v_mov_b32_e32 v7, v6
	;; [unrolled: 1-line block ×4, first 2 shown]
	v_accvgpr_read_b32 v0, a85
	scratch_store_dwordx4 off, v[6:9], off offset:240
	s_waitcnt vmcnt(1)
	ds_write_b128 v0, v[2:5]
.LBB41_237:
	s_or_b64 exec, exec, s[0:1]
	v_mov_b32_e32 v2, 0
	s_waitcnt lgkmcnt(0)
	; wave barrier
	ds_read_b128 v[16:19], v2 offset:912
	ds_read_b128 v[12:15], v2 offset:928
	;; [unrolled: 1-line block ×4, first 2 shown]
	scratch_load_dwordx4 v[20:23], off, off offset:256
	scratch_load_dwordx4 v[40:43], off, off offset:320
	;; [unrolled: 1-line block ×21, first 2 shown]
	v_cmp_lt_u32_e32 vcc, 13, v242
	scratch_load_dwordx4 v[48:51], off, off offset:336
	scratch_load_dwordx4 v[56:59], off, off offset:352
	;; [unrolled: 1-line block ×3, first 2 shown]
	s_waitcnt vmcnt(23) lgkmcnt(3)
	v_mul_f64 v[24:25], v[16:17], v[22:23]
	v_fmac_f64_e32 v[24:25], v[18:19], v[20:21]
	v_add_f64 v[28:29], v[24:25], 0
	scratch_load_dwordx4 v[24:27], off, off offset:272
	v_mul_f64 v[18:19], v[18:19], v[22:23]
	v_fma_f64 v[16:17], v[16:17], v[20:21], -v[18:19]
	v_add_f64 v[16:17], v[16:17], 0
	s_waitcnt vmcnt(0) lgkmcnt(2)
	v_mul_f64 v[30:31], v[12:13], v[26:27]
	v_fmac_f64_e32 v[30:31], v[14:15], v[24:25]
	v_add_f64 v[32:33], v[28:29], v[30:31]
	scratch_load_dwordx4 v[28:31], off, off offset:288
	v_mul_f64 v[14:15], v[14:15], v[26:27]
	v_fma_f64 v[12:13], v[12:13], v[24:25], -v[14:15]
	v_add_f64 v[12:13], v[16:17], v[12:13]
	;; [unrolled: 8-line block ×3, first 2 shown]
	s_waitcnt vmcnt(0) lgkmcnt(0)
	v_mul_f64 v[38:39], v[4:5], v[34:35]
	v_fmac_f64_e32 v[38:39], v[6:7], v[32:33]
	v_add_f64 v[44:45], v[36:37], v[38:39]
	ds_read_b128 v[36:39], v2 offset:976
	v_mul_f64 v[6:7], v[6:7], v[34:35]
	v_fma_f64 v[4:5], v[4:5], v[32:33], -v[6:7]
	v_add_f64 v[4:5], v[8:9], v[4:5]
	s_waitcnt lgkmcnt(0)
	v_mul_f64 v[46:47], v[36:37], v[42:43]
	v_fmac_f64_e32 v[46:47], v[38:39], v[40:41]
	v_add_f64 v[52:53], v[44:45], v[46:47]
	ds_read_b128 v[44:47], v2 offset:992
	v_mul_f64 v[6:7], v[38:39], v[42:43]
	v_fma_f64 v[6:7], v[36:37], v[40:41], -v[6:7]
	v_add_f64 v[4:5], v[4:5], v[6:7]
	s_waitcnt lgkmcnt(0)
	;; [unrolled: 8-line block ×23, first 2 shown]
	v_mul_f64 v[6:7], v[216:217], v[220:221]
	v_fma_f64 v[6:7], v[214:215], v[218:219], -v[6:7]
	v_add_f64 v[8:9], v[4:5], v[6:7]
	scratch_load_dwordx4 v[4:7], off, off offset:240
	v_mul_f64 v[222:223], v[214:215], v[220:221]
	v_fmac_f64_e32 v[222:223], v[216:217], v[218:219]
	v_add_f64 v[160:161], v[160:161], v[222:223]
	s_waitcnt vmcnt(0)
	v_add_f64 v[4:5], v[4:5], -v[8:9]
	v_add_f64 v[6:7], v[6:7], -v[160:161]
	scratch_store_dwordx4 off, v[4:7], off offset:240
	s_and_saveexec_b64 s[0:1], vcc
	s_cbranch_execz .LBB41_239
; %bb.238:
	scratch_load_dwordx4 v[6:9], off, s26
	v_mov_b32_e32 v3, v2
	v_mov_b32_e32 v4, v2
	;; [unrolled: 1-line block ×3, first 2 shown]
	v_accvgpr_read_b32 v0, a85
	scratch_store_dwordx4 off, v[2:5], off offset:224
	s_waitcnt vmcnt(1)
	ds_write_b128 v0, v[6:9]
.LBB41_239:
	s_or_b64 exec, exec, s[0:1]
	s_waitcnt lgkmcnt(0)
	; wave barrier
	ds_read_b128 v[16:19], v2 offset:896
	ds_read_b128 v[12:15], v2 offset:912
	;; [unrolled: 1-line block ×4, first 2 shown]
	scratch_load_dwordx4 v[20:23], off, off offset:240
	scratch_load_dwordx4 v[40:43], off, off offset:304
	;; [unrolled: 1-line block ×22, first 2 shown]
	v_cmp_lt_u32_e32 vcc, 12, v242
	scratch_load_dwordx4 v[48:51], off, off offset:320
	scratch_load_dwordx4 v[56:59], off, off offset:336
	;; [unrolled: 1-line block ×3, first 2 shown]
	s_waitcnt vmcnt(24) lgkmcnt(3)
	v_mul_f64 v[24:25], v[16:17], v[22:23]
	v_fmac_f64_e32 v[24:25], v[18:19], v[20:21]
	v_add_f64 v[28:29], v[24:25], 0
	scratch_load_dwordx4 v[24:27], off, off offset:256
	s_waitcnt vmcnt(0) lgkmcnt(2)
	v_mul_f64 v[30:31], v[12:13], v[26:27]
	v_fmac_f64_e32 v[30:31], v[14:15], v[24:25]
	v_add_f64 v[32:33], v[28:29], v[30:31]
	scratch_load_dwordx4 v[28:31], off, off offset:272
	v_mul_f64 v[14:15], v[14:15], v[26:27]
	v_fma_f64 v[12:13], v[12:13], v[24:25], -v[14:15]
	s_waitcnt vmcnt(0) lgkmcnt(1)
	v_mul_f64 v[34:35], v[8:9], v[30:31]
	v_fmac_f64_e32 v[34:35], v[10:11], v[28:29]
	v_add_f64 v[36:37], v[32:33], v[34:35]
	scratch_load_dwordx4 v[32:35], off, off offset:288
	v_mul_f64 v[10:11], v[10:11], v[30:31]
	v_fma_f64 v[8:9], v[8:9], v[28:29], -v[10:11]
	s_waitcnt vmcnt(0) lgkmcnt(0)
	v_mul_f64 v[38:39], v[4:5], v[34:35]
	v_fmac_f64_e32 v[38:39], v[6:7], v[32:33]
	v_add_f64 v[44:45], v[36:37], v[38:39]
	ds_read_b128 v[36:39], v2 offset:960
	v_mul_f64 v[6:7], v[6:7], v[34:35]
	v_fma_f64 v[4:5], v[4:5], v[32:33], -v[6:7]
	s_waitcnt lgkmcnt(0)
	v_mul_f64 v[46:47], v[36:37], v[42:43]
	v_fmac_f64_e32 v[46:47], v[38:39], v[40:41]
	v_add_f64 v[52:53], v[44:45], v[46:47]
	ds_read_b128 v[44:47], v2 offset:976
	s_waitcnt lgkmcnt(0)
	v_mul_f64 v[54:55], v[44:45], v[50:51]
	v_fmac_f64_e32 v[54:55], v[46:47], v[48:49]
	v_add_f64 v[60:61], v[52:53], v[54:55]
	ds_read_b128 v[52:55], v2 offset:992
	;; [unrolled: 5-line block ×23, first 2 shown]
	s_waitcnt lgkmcnt(0)
	v_mul_f64 v[2:3], v[222:223], v[228:229]
	v_fmac_f64_e32 v[2:3], v[224:225], v[226:227]
	v_add_f64 v[176:177], v[176:177], v[2:3]
	v_mul_f64 v[2:3], v[18:19], v[22:23]
	v_fma_f64 v[2:3], v[16:17], v[20:21], -v[2:3]
	v_add_f64 v[2:3], v[2:3], 0
	v_add_f64 v[2:3], v[2:3], v[12:13]
	;; [unrolled: 1-line block ×4, first 2 shown]
	v_mul_f64 v[4:5], v[38:39], v[42:43]
	v_fma_f64 v[4:5], v[36:37], v[40:41], -v[4:5]
	v_add_f64 v[2:3], v[2:3], v[4:5]
	v_mul_f64 v[4:5], v[46:47], v[50:51]
	v_fma_f64 v[4:5], v[44:45], v[48:49], -v[4:5]
	v_add_f64 v[2:3], v[2:3], v[4:5]
	;; [unrolled: 3-line block ×24, first 2 shown]
	scratch_load_dwordx4 v[2:5], off, off offset:224
	s_waitcnt vmcnt(0)
	v_add_f64 v[2:3], v[2:3], -v[6:7]
	v_add_f64 v[4:5], v[4:5], -v[176:177]
	scratch_store_dwordx4 off, v[2:5], off offset:224
	s_and_saveexec_b64 s[0:1], vcc
	s_cbranch_execz .LBB41_241
; %bb.240:
	scratch_load_dwordx4 v[2:5], off, s25
	v_mov_b32_e32 v6, 0
	v_mov_b32_e32 v7, v6
	;; [unrolled: 1-line block ×4, first 2 shown]
	v_accvgpr_read_b32 v0, a85
	scratch_store_dwordx4 off, v[6:9], off offset:208
	s_waitcnt vmcnt(1)
	ds_write_b128 v0, v[2:5]
.LBB41_241:
	s_or_b64 exec, exec, s[0:1]
	v_mov_b32_e32 v2, 0
	s_waitcnt lgkmcnt(0)
	; wave barrier
	ds_read_b128 v[16:19], v2 offset:880
	ds_read_b128 v[12:15], v2 offset:896
	;; [unrolled: 1-line block ×4, first 2 shown]
	scratch_load_dwordx4 v[20:23], off, off offset:224
	scratch_load_dwordx4 v[40:43], off, off offset:288
	;; [unrolled: 1-line block ×23, first 2 shown]
	v_cmp_lt_u32_e32 vcc, 11, v242
	scratch_load_dwordx4 v[48:51], off, off offset:304
	scratch_load_dwordx4 v[56:59], off, off offset:320
	;; [unrolled: 1-line block ×3, first 2 shown]
	s_waitcnt vmcnt(25) lgkmcnt(3)
	v_mul_f64 v[24:25], v[16:17], v[22:23]
	v_fmac_f64_e32 v[24:25], v[18:19], v[20:21]
	v_add_f64 v[28:29], v[24:25], 0
	scratch_load_dwordx4 v[24:27], off, off offset:240
	v_mul_f64 v[18:19], v[18:19], v[22:23]
	v_fma_f64 v[16:17], v[16:17], v[20:21], -v[18:19]
	v_add_f64 v[16:17], v[16:17], 0
	s_waitcnt vmcnt(0) lgkmcnt(2)
	v_mul_f64 v[30:31], v[12:13], v[26:27]
	v_fmac_f64_e32 v[30:31], v[14:15], v[24:25]
	v_add_f64 v[32:33], v[28:29], v[30:31]
	scratch_load_dwordx4 v[28:31], off, off offset:256
	v_mul_f64 v[14:15], v[14:15], v[26:27]
	v_fma_f64 v[12:13], v[12:13], v[24:25], -v[14:15]
	v_add_f64 v[12:13], v[16:17], v[12:13]
	;; [unrolled: 8-line block ×3, first 2 shown]
	s_waitcnt vmcnt(0) lgkmcnt(0)
	v_mul_f64 v[38:39], v[4:5], v[34:35]
	v_fmac_f64_e32 v[38:39], v[6:7], v[32:33]
	v_add_f64 v[44:45], v[36:37], v[38:39]
	ds_read_b128 v[36:39], v2 offset:944
	v_mul_f64 v[6:7], v[6:7], v[34:35]
	v_fma_f64 v[4:5], v[4:5], v[32:33], -v[6:7]
	v_add_f64 v[4:5], v[8:9], v[4:5]
	s_waitcnt lgkmcnt(0)
	v_mul_f64 v[46:47], v[36:37], v[42:43]
	v_fmac_f64_e32 v[46:47], v[38:39], v[40:41]
	v_add_f64 v[52:53], v[44:45], v[46:47]
	ds_read_b128 v[44:47], v2 offset:960
	v_mul_f64 v[6:7], v[38:39], v[42:43]
	v_fma_f64 v[6:7], v[36:37], v[40:41], -v[6:7]
	v_add_f64 v[4:5], v[4:5], v[6:7]
	s_waitcnt lgkmcnt(0)
	;; [unrolled: 8-line block ×25, first 2 shown]
	v_mul_f64 v[6:7], v[232:233], v[236:237]
	v_fma_f64 v[6:7], v[230:231], v[234:235], -v[6:7]
	v_add_f64 v[8:9], v[4:5], v[6:7]
	scratch_load_dwordx4 v[4:7], off, off offset:208
	v_mul_f64 v[238:239], v[230:231], v[236:237]
	v_fmac_f64_e32 v[238:239], v[232:233], v[234:235]
	v_add_f64 v[176:177], v[176:177], v[238:239]
	s_waitcnt vmcnt(0)
	v_add_f64 v[4:5], v[4:5], -v[8:9]
	v_add_f64 v[6:7], v[6:7], -v[176:177]
	scratch_store_dwordx4 off, v[4:7], off offset:208
	s_and_saveexec_b64 s[0:1], vcc
	s_cbranch_execz .LBB41_243
; %bb.242:
	scratch_load_dwordx4 v[6:9], off, s24
	v_mov_b32_e32 v3, v2
	v_mov_b32_e32 v4, v2
	;; [unrolled: 1-line block ×3, first 2 shown]
	v_accvgpr_read_b32 v0, a85
	scratch_store_dwordx4 off, v[2:5], off offset:192
	s_waitcnt vmcnt(1)
	ds_write_b128 v0, v[6:9]
.LBB41_243:
	s_or_b64 exec, exec, s[0:1]
	s_waitcnt lgkmcnt(0)
	; wave barrier
	ds_read_b128 v[16:19], v2 offset:864
	ds_read_b128 v[12:15], v2 offset:880
	ds_read_b128 v[8:11], v2 offset:896
	ds_read_b128 v[4:7], v2 offset:912
	scratch_load_dwordx4 v[20:23], off, off offset:208
	scratch_load_dwordx4 v[40:43], off, off offset:272
	;; [unrolled: 1-line block ×24, first 2 shown]
	v_cmp_lt_u32_e32 vcc, 10, v242
	scratch_load_dwordx4 v[48:51], off, off offset:288
	scratch_load_dwordx4 v[56:59], off, off offset:304
	scratch_load_dwordx4 v[64:67], off, off offset:320
	ds_read_b128 v[244:247], v2 offset:1328
	s_waitcnt vmcnt(26) lgkmcnt(4)
	v_mul_f64 v[24:25], v[16:17], v[22:23]
	v_fmac_f64_e32 v[24:25], v[18:19], v[20:21]
	v_add_f64 v[28:29], v[24:25], 0
	scratch_load_dwordx4 v[24:27], off, off offset:224
	s_waitcnt vmcnt(0) lgkmcnt(3)
	v_mul_f64 v[30:31], v[12:13], v[26:27]
	v_fmac_f64_e32 v[30:31], v[14:15], v[24:25]
	v_add_f64 v[32:33], v[28:29], v[30:31]
	scratch_load_dwordx4 v[28:31], off, off offset:240
	v_mul_f64 v[14:15], v[14:15], v[26:27]
	v_fma_f64 v[12:13], v[12:13], v[24:25], -v[14:15]
	s_waitcnt vmcnt(0) lgkmcnt(2)
	v_mul_f64 v[34:35], v[8:9], v[30:31]
	v_fmac_f64_e32 v[34:35], v[10:11], v[28:29]
	v_add_f64 v[36:37], v[32:33], v[34:35]
	scratch_load_dwordx4 v[32:35], off, off offset:256
	v_mul_f64 v[10:11], v[10:11], v[30:31]
	v_fma_f64 v[8:9], v[8:9], v[28:29], -v[10:11]
	s_waitcnt vmcnt(0) lgkmcnt(1)
	v_mul_f64 v[38:39], v[4:5], v[34:35]
	v_fmac_f64_e32 v[38:39], v[6:7], v[32:33]
	v_add_f64 v[44:45], v[36:37], v[38:39]
	ds_read_b128 v[36:39], v2 offset:928
	v_mul_f64 v[6:7], v[6:7], v[34:35]
	v_fma_f64 v[4:5], v[4:5], v[32:33], -v[6:7]
	s_waitcnt lgkmcnt(0)
	v_mul_f64 v[46:47], v[36:37], v[42:43]
	v_fmac_f64_e32 v[46:47], v[38:39], v[40:41]
	v_add_f64 v[52:53], v[44:45], v[46:47]
	ds_read_b128 v[44:47], v2 offset:944
	s_waitcnt lgkmcnt(0)
	v_mul_f64 v[54:55], v[44:45], v[50:51]
	v_fmac_f64_e32 v[54:55], v[46:47], v[48:49]
	v_add_f64 v[60:61], v[52:53], v[54:55]
	ds_read_b128 v[52:55], v2 offset:960
	;; [unrolled: 5-line block ×24, first 2 shown]
	v_mul_f64 v[2:3], v[244:245], v[250:251]
	v_fmac_f64_e32 v[2:3], v[246:247], v[248:249]
	s_waitcnt lgkmcnt(0)
	v_mul_f64 v[238:239], v[230:231], v[236:237]
	v_fmac_f64_e32 v[238:239], v[232:233], v[234:235]
	v_add_f64 v[184:185], v[184:185], v[238:239]
	v_add_f64 v[184:185], v[184:185], v[2:3]
	v_mul_f64 v[2:3], v[18:19], v[22:23]
	v_fma_f64 v[2:3], v[16:17], v[20:21], -v[2:3]
	v_add_f64 v[2:3], v[2:3], 0
	v_add_f64 v[2:3], v[2:3], v[12:13]
	;; [unrolled: 1-line block ×4, first 2 shown]
	v_mul_f64 v[4:5], v[38:39], v[42:43]
	v_fma_f64 v[4:5], v[36:37], v[40:41], -v[4:5]
	v_add_f64 v[2:3], v[2:3], v[4:5]
	v_mul_f64 v[4:5], v[46:47], v[50:51]
	v_fma_f64 v[4:5], v[44:45], v[48:49], -v[4:5]
	v_add_f64 v[2:3], v[2:3], v[4:5]
	;; [unrolled: 3-line block ×26, first 2 shown]
	scratch_load_dwordx4 v[2:5], off, off offset:192
	s_waitcnt vmcnt(0)
	v_add_f64 v[2:3], v[2:3], -v[6:7]
	v_add_f64 v[4:5], v[4:5], -v[184:185]
	scratch_store_dwordx4 off, v[2:5], off offset:192
	s_and_saveexec_b64 s[0:1], vcc
	s_cbranch_execz .LBB41_245
; %bb.244:
	scratch_load_dwordx4 v[2:5], off, s57
	v_mov_b32_e32 v6, 0
	v_mov_b32_e32 v7, v6
	;; [unrolled: 1-line block ×4, first 2 shown]
	v_accvgpr_read_b32 v0, a85
	scratch_store_dwordx4 off, v[6:9], off offset:176
	s_waitcnt vmcnt(1)
	ds_write_b128 v0, v[2:5]
.LBB41_245:
	s_or_b64 exec, exec, s[0:1]
	s_waitcnt lgkmcnt(0)
	; wave barrier
	scratch_load_dwordx4 v[16:19], off, off offset:192
	scratch_load_dwordx4 v[12:15], off, off offset:208
	;; [unrolled: 1-line block ×32, first 2 shown]
	v_mov_b32_e32 v2, 0
	ds_read_b128 v[132:135], v2 offset:848
	ds_read_b128 v[136:139], v2 offset:864
	;; [unrolled: 1-line block ×17, first 2 shown]
	v_cmp_lt_u32_e32 vcc, 9, v242
	s_waitcnt vmcnt(31) lgkmcnt(14)
	v_mul_f64 v[200:201], v[132:133], v[18:19]
	s_waitcnt vmcnt(30)
	v_mul_f64 v[202:203], v[136:137], v[14:15]
	v_fmac_f64_e32 v[200:201], v[134:135], v[16:17]
	s_waitcnt vmcnt(29)
	v_mul_f64 v[204:205], v[140:141], v[10:11]
	v_fmac_f64_e32 v[202:203], v[138:139], v[12:13]
	v_add_f64 v[200:201], v[200:201], 0
	s_waitcnt vmcnt(28) lgkmcnt(13)
	v_mul_f64 v[206:207], v[144:145], v[6:7]
	v_fmac_f64_e32 v[204:205], v[142:143], v[8:9]
	v_add_f64 v[200:201], v[200:201], v[202:203]
	s_waitcnt vmcnt(27) lgkmcnt(12)
	;; [unrolled: 4-line block ×12, first 2 shown]
	v_mul_f64 v[228:229], v[188:189], v[62:63]
	v_fmac_f64_e32 v[226:227], v[186:187], v[56:57]
	v_add_f64 v[200:201], v[200:201], v[224:225]
	v_fmac_f64_e32 v[228:229], v[190:191], v[60:61]
	v_add_f64 v[200:201], v[200:201], v[226:227]
	s_waitcnt vmcnt(16) lgkmcnt(1)
	v_mul_f64 v[202:203], v[192:193], v[66:67]
	v_add_f64 v[200:201], v[200:201], v[228:229]
	v_fmac_f64_e32 v[202:203], v[194:195], v[64:65]
	s_waitcnt vmcnt(15) lgkmcnt(0)
	v_mul_f64 v[206:207], v[196:197], v[70:71]
	v_add_f64 v[204:205], v[200:201], v[202:203]
	ds_read_b128 v[200:203], v2 offset:1120
	v_fmac_f64_e32 v[206:207], v[198:199], v[68:69]
	v_add_f64 v[208:209], v[204:205], v[206:207]
	ds_read_b128 v[204:207], v2 offset:1136
	v_mul_f64 v[18:19], v[134:135], v[18:19]
	s_waitcnt vmcnt(14) lgkmcnt(1)
	v_mul_f64 v[210:211], v[200:201], v[74:75]
	v_fmac_f64_e32 v[210:211], v[202:203], v[72:73]
	v_add_f64 v[212:213], v[208:209], v[210:211]
	s_waitcnt vmcnt(13) lgkmcnt(0)
	v_mul_f64 v[214:215], v[204:205], v[78:79]
	ds_read_b128 v[208:211], v2 offset:1152
	v_fmac_f64_e32 v[214:215], v[206:207], v[76:77]
	v_add_f64 v[216:217], v[212:213], v[214:215]
	ds_read_b128 v[212:215], v2 offset:1168
	v_fma_f64 v[246:247], v[132:133], v[16:17], -v[18:19]
	s_waitcnt vmcnt(12) lgkmcnt(1)
	v_mul_f64 v[218:219], v[208:209], v[82:83]
	v_fmac_f64_e32 v[218:219], v[210:211], v[80:81]
	v_add_f64 v[220:221], v[216:217], v[218:219]
	s_waitcnt vmcnt(11) lgkmcnt(0)
	v_mul_f64 v[222:223], v[212:213], v[86:87]
	ds_read_b128 v[216:219], v2 offset:1184
	v_fmac_f64_e32 v[222:223], v[214:215], v[84:85]
	v_add_f64 v[224:225], v[220:221], v[222:223]
	ds_read_b128 v[220:223], v2 offset:1200
	ds_read_b128 v[16:19], v2 offset:1280
	s_waitcnt vmcnt(10) lgkmcnt(2)
	v_mul_f64 v[226:227], v[216:217], v[90:91]
	v_fmac_f64_e32 v[226:227], v[218:219], v[88:89]
	v_add_f64 v[228:229], v[224:225], v[226:227]
	s_waitcnt vmcnt(9) lgkmcnt(1)
	v_mul_f64 v[230:231], v[220:221], v[94:95]
	ds_read_b128 v[224:227], v2 offset:1216
	v_fmac_f64_e32 v[230:231], v[222:223], v[92:93]
	v_add_f64 v[232:233], v[228:229], v[230:231]
	ds_read_b128 v[228:231], v2 offset:1232
	v_mul_f64 v[14:15], v[138:139], v[14:15]
	s_waitcnt vmcnt(8) lgkmcnt(1)
	v_mul_f64 v[234:235], v[224:225], v[98:99]
	v_fmac_f64_e32 v[234:235], v[226:227], v[96:97]
	v_add_f64 v[236:237], v[232:233], v[234:235]
	s_waitcnt vmcnt(7) lgkmcnt(0)
	v_mul_f64 v[238:239], v[228:229], v[102:103]
	ds_read_b128 v[232:235], v2 offset:1248
	v_fmac_f64_e32 v[238:239], v[230:231], v[100:101]
	v_add_f64 v[244:245], v[236:237], v[238:239]
	ds_read_b128 v[236:239], v2 offset:1264
	v_fma_f64 v[136:137], v[136:137], v[12:13], -v[14:15]
	s_waitcnt vmcnt(6) lgkmcnt(1)
	v_mul_f64 v[132:133], v[232:233], v[106:107]
	v_fmac_f64_e32 v[132:133], v[234:235], v[104:105]
	v_add_f64 v[132:133], v[244:245], v[132:133]
	s_waitcnt vmcnt(5) lgkmcnt(0)
	v_mul_f64 v[134:135], v[236:237], v[110:111]
	v_fmac_f64_e32 v[134:135], v[238:239], v[108:109]
	v_add_f64 v[132:133], v[132:133], v[134:135]
	ds_read_b128 v[12:15], v2 offset:1296
	s_waitcnt vmcnt(4)
	v_mul_f64 v[134:135], v[16:17], v[114:115]
	v_fmac_f64_e32 v[134:135], v[18:19], v[112:113]
	v_add_f64 v[138:139], v[132:133], v[134:135]
	ds_read_b128 v[132:135], v2 offset:1312
	v_mul_f64 v[10:11], v[142:143], v[10:11]
	v_fma_f64 v[140:141], v[140:141], v[8:9], -v[10:11]
	ds_read_b128 v[8:11], v2 offset:1328
	s_waitcnt vmcnt(3) lgkmcnt(2)
	v_mul_f64 v[142:143], v[12:13], v[118:119]
	v_fmac_f64_e32 v[142:143], v[14:15], v[116:117]
	v_add_f64 v[138:139], v[138:139], v[142:143]
	s_waitcnt vmcnt(2) lgkmcnt(1)
	v_mul_f64 v[142:143], v[132:133], v[122:123]
	v_fmac_f64_e32 v[142:143], v[134:135], v[120:121]
	v_add_f64 v[138:139], v[138:139], v[142:143]
	;; [unrolled: 4-line block ×3, first 2 shown]
	v_add_f64 v[142:143], v[246:247], 0
	v_add_f64 v[136:137], v[142:143], v[136:137]
	v_mul_f64 v[6:7], v[146:147], v[6:7]
	v_add_f64 v[136:137], v[136:137], v[140:141]
	v_fma_f64 v[4:5], v[144:145], v[4:5], -v[6:7]
	v_mul_f64 v[6:7], v[150:151], v[22:23]
	v_add_f64 v[4:5], v[136:137], v[4:5]
	v_fma_f64 v[6:7], v[148:149], v[20:21], -v[6:7]
	v_add_f64 v[4:5], v[4:5], v[6:7]
	v_mul_f64 v[6:7], v[154:155], v[26:27]
	v_fma_f64 v[6:7], v[152:153], v[24:25], -v[6:7]
	v_add_f64 v[4:5], v[4:5], v[6:7]
	v_mul_f64 v[6:7], v[158:159], v[30:31]
	;; [unrolled: 3-line block ×26, first 2 shown]
	v_fma_f64 v[6:7], v[8:9], v[124:125], -v[6:7]
	v_add_f64 v[4:5], v[4:5], v[6:7]
	s_waitcnt vmcnt(0)
	v_add_f64 v[4:5], v[128:129], -v[4:5]
	v_add_f64 v[6:7], v[130:131], -v[138:139]
	scratch_store_dwordx4 off, v[4:7], off offset:176
	s_and_saveexec_b64 s[0:1], vcc
	s_cbranch_execz .LBB41_247
; %bb.246:
	scratch_load_dwordx4 v[6:9], off, s23
	v_mov_b32_e32 v3, v2
	v_mov_b32_e32 v4, v2
	;; [unrolled: 1-line block ×3, first 2 shown]
	v_accvgpr_read_b32 v0, a85
	scratch_store_dwordx4 off, v[2:5], off offset:160
	s_waitcnt vmcnt(1)
	ds_write_b128 v0, v[6:9]
.LBB41_247:
	s_or_b64 exec, exec, s[0:1]
	s_waitcnt lgkmcnt(0)
	; wave barrier
	scratch_load_dwordx4 v[140:143], off, off offset:176
	scratch_load_dwordx4 v[148:151], off, off offset:192
	;; [unrolled: 1-line block ×16, first 2 shown]
	ds_read_b128 v[188:191], v2 offset:832
	ds_read_b128 v[184:187], v2 offset:848
	scratch_load_dwordx4 v[56:59], off, off offset:432
	ds_read_b128 v[192:195], v2 offset:864
	ds_read_b128 v[68:71], v2 offset:880
	scratch_load_dwordx4 v[60:63], off, off offset:448
	ds_read_b128 v[88:91], v2 offset:896
	ds_read_b128 v[84:87], v2 offset:912
	;; [unrolled: 1-line block ×4, first 2 shown]
	scratch_load_dwordx4 v[64:67], off, off offset:464
	ds_read_b128 v[100:103], v2 offset:960
	ds_read_b128 v[96:99], v2 offset:976
	scratch_load_dwordx4 v[72:75], off, off offset:480
	ds_read_b128 v[116:119], v2 offset:992
	ds_read_b128 v[112:115], v2 offset:1008
	;; [unrolled: 1-line block ×4, first 2 shown]
	scratch_load_dwordx4 v[92:95], off, off offset:496
	ds_read_b128 v[132:135], v2 offset:1056
	ds_read_b128 v[128:131], v2 offset:1072
	;; [unrolled: 1-line block ×3, first 2 shown]
	scratch_load_dwordx4 v[120:123], off, off offset:512
	scratch_load_dwordx4 v[136:139], off, off offset:528
	;; [unrolled: 1-line block ×11, first 2 shown]
	v_cmp_lt_u32_e32 vcc, 8, v242
	s_waitcnt vmcnt(31) lgkmcnt(14)
	v_mul_f64 v[200:201], v[188:189], v[142:143]
	s_waitcnt vmcnt(30)
	v_mul_f64 v[202:203], v[184:185], v[150:151]
	v_fmac_f64_e32 v[200:201], v[190:191], v[140:141]
	s_waitcnt vmcnt(29)
	v_mul_f64 v[204:205], v[192:193], v[154:155]
	v_fmac_f64_e32 v[202:203], v[186:187], v[148:149]
	v_add_f64 v[200:201], v[200:201], 0
	s_waitcnt vmcnt(28) lgkmcnt(13)
	v_mul_f64 v[206:207], v[68:69], v[6:7]
	v_fmac_f64_e32 v[204:205], v[194:195], v[152:153]
	v_add_f64 v[200:201], v[200:201], v[202:203]
	s_waitcnt vmcnt(27) lgkmcnt(12)
	;; [unrolled: 4-line block ×13, first 2 shown]
	v_mul_f64 v[230:231], v[128:129], v[54:55]
	v_fmac_f64_e32 v[228:229], v[134:135], v[48:49]
	v_add_f64 v[200:201], v[200:201], v[226:227]
	v_add_f64 v[200:201], v[200:201], v[228:229]
	v_fmac_f64_e32 v[230:231], v[130:131], v[52:53]
	v_add_f64 v[204:205], v[200:201], v[230:231]
	ds_read_b128 v[200:203], v2 offset:1104
	s_waitcnt vmcnt(15) lgkmcnt(1)
	v_mul_f64 v[206:207], v[124:125], v[58:59]
	v_fmac_f64_e32 v[206:207], v[126:127], v[56:57]
	v_add_f64 v[208:209], v[204:205], v[206:207]
	ds_read_b128 v[204:207], v2 offset:1120
	s_waitcnt vmcnt(14) lgkmcnt(1)
	v_mul_f64 v[210:211], v[200:201], v[62:63]
	v_fmac_f64_e32 v[210:211], v[202:203], v[60:61]
	v_add_f64 v[212:213], v[208:209], v[210:211]
	ds_read_b128 v[208:211], v2 offset:1136
	s_waitcnt vmcnt(13) lgkmcnt(1)
	v_mul_f64 v[214:215], v[204:205], v[66:67]
	v_fmac_f64_e32 v[214:215], v[206:207], v[64:65]
	v_add_f64 v[216:217], v[212:213], v[214:215]
	ds_read_b128 v[212:215], v2 offset:1152
	s_waitcnt vmcnt(12) lgkmcnt(1)
	v_mul_f64 v[218:219], v[208:209], v[74:75]
	v_fmac_f64_e32 v[218:219], v[210:211], v[72:73]
	v_add_f64 v[220:221], v[216:217], v[218:219]
	ds_read_b128 v[216:219], v2 offset:1168
	s_waitcnt vmcnt(11) lgkmcnt(1)
	v_mul_f64 v[222:223], v[212:213], v[94:95]
	v_fmac_f64_e32 v[222:223], v[214:215], v[92:93]
	v_add_f64 v[224:225], v[220:221], v[222:223]
	ds_read_b128 v[220:223], v2 offset:1184
	s_waitcnt vmcnt(10) lgkmcnt(1)
	v_mul_f64 v[226:227], v[216:217], v[122:123]
	v_fmac_f64_e32 v[226:227], v[218:219], v[120:121]
	v_add_f64 v[228:229], v[224:225], v[226:227]
	ds_read_b128 v[224:227], v2 offset:1200
	s_waitcnt vmcnt(9) lgkmcnt(1)
	v_mul_f64 v[230:231], v[220:221], v[138:139]
	v_fmac_f64_e32 v[230:231], v[222:223], v[136:137]
	v_add_f64 v[232:233], v[228:229], v[230:231]
	ds_read_b128 v[228:231], v2 offset:1216
	s_waitcnt vmcnt(8) lgkmcnt(1)
	v_mul_f64 v[234:235], v[224:225], v[146:147]
	v_fmac_f64_e32 v[234:235], v[226:227], v[144:145]
	v_add_f64 v[236:237], v[232:233], v[234:235]
	ds_read_b128 v[232:235], v2 offset:1232
	s_waitcnt vmcnt(7) lgkmcnt(1)
	v_mul_f64 v[238:239], v[228:229], v[158:159]
	v_fmac_f64_e32 v[238:239], v[230:231], v[156:157]
	v_add_f64 v[244:245], v[236:237], v[238:239]
	ds_read_b128 v[236:239], v2 offset:1248
	s_waitcnt vmcnt(6) lgkmcnt(1)
	v_mul_f64 v[246:247], v[232:233], v[162:163]
	v_fmac_f64_e32 v[246:247], v[234:235], v[160:161]
	v_mul_f64 v[142:143], v[190:191], v[142:143]
	v_add_f64 v[246:247], v[244:245], v[246:247]
	v_fma_f64 v[244:245], v[188:189], v[140:141], -v[142:143]
	ds_read_b128 v[140:143], v2 offset:1264
	s_waitcnt vmcnt(5) lgkmcnt(1)
	v_mul_f64 v[188:189], v[236:237], v[166:167]
	v_fmac_f64_e32 v[188:189], v[238:239], v[164:165]
	v_mul_f64 v[150:151], v[186:187], v[150:151]
	v_add_f64 v[188:189], v[246:247], v[188:189]
	v_fma_f64 v[246:247], v[184:185], v[148:149], -v[150:151]
	ds_read_b128 v[148:151], v2 offset:1280
	s_waitcnt vmcnt(4) lgkmcnt(1)
	v_mul_f64 v[184:185], v[140:141], v[170:171]
	v_fmac_f64_e32 v[184:185], v[142:143], v[168:169]
	v_add_f64 v[188:189], v[188:189], v[184:185]
	ds_read_b128 v[184:187], v2 offset:1296
	v_mul_f64 v[154:155], v[194:195], v[154:155]
	s_waitcnt vmcnt(3) lgkmcnt(1)
	v_mul_f64 v[190:191], v[148:149], v[174:175]
	v_fma_f64 v[250:251], v[192:193], v[152:153], -v[154:155]
	ds_read_b128 v[152:155], v2 offset:1312
	v_fmac_f64_e32 v[190:191], v[150:151], v[172:173]
	v_add_f64 v[248:249], v[188:189], v[190:191]
	ds_read_b128 v[188:191], v2 offset:1328
	s_waitcnt vmcnt(2) lgkmcnt(2)
	v_mul_f64 v[192:193], v[184:185], v[178:179]
	v_fmac_f64_e32 v[192:193], v[186:187], v[176:177]
	v_add_f64 v[2:3], v[248:249], v[192:193]
	s_waitcnt vmcnt(1) lgkmcnt(1)
	v_mul_f64 v[192:193], v[152:153], v[182:183]
	v_fmac_f64_e32 v[192:193], v[154:155], v[180:181]
	v_add_f64 v[2:3], v[2:3], v[192:193]
	;; [unrolled: 4-line block ×3, first 2 shown]
	scratch_load_dwordx4 v[192:195], off, off offset:160
	v_add_f64 v[244:245], v[244:245], 0
	v_add_f64 v[244:245], v[244:245], v[246:247]
	v_mul_f64 v[6:7], v[70:71], v[6:7]
	v_add_f64 v[244:245], v[244:245], v[250:251]
	v_fma_f64 v[4:5], v[68:69], v[4:5], -v[6:7]
	v_mul_f64 v[6:7], v[90:91], v[10:11]
	v_add_f64 v[4:5], v[244:245], v[4:5]
	v_fma_f64 v[6:7], v[88:89], v[8:9], -v[6:7]
	v_add_f64 v[4:5], v[4:5], v[6:7]
	v_mul_f64 v[6:7], v[86:87], v[14:15]
	v_fma_f64 v[6:7], v[84:85], v[12:13], -v[6:7]
	v_add_f64 v[4:5], v[4:5], v[6:7]
	v_mul_f64 v[6:7], v[82:83], v[18:19]
	;; [unrolled: 3-line block ×27, first 2 shown]
	v_fma_f64 v[6:7], v[188:189], v[196:197], -v[6:7]
	v_add_f64 v[4:5], v[4:5], v[6:7]
	s_waitcnt vmcnt(0)
	v_add_f64 v[4:5], v[192:193], -v[4:5]
	v_add_f64 v[6:7], v[194:195], -v[2:3]
	scratch_store_dwordx4 off, v[4:7], off offset:160
	s_and_saveexec_b64 s[0:1], vcc
	s_cbranch_execz .LBB41_249
; %bb.248:
	scratch_load_dwordx4 v[2:5], off, s21
	v_mov_b32_e32 v6, 0
	v_mov_b32_e32 v7, v6
	;; [unrolled: 1-line block ×4, first 2 shown]
	v_accvgpr_read_b32 v0, a85
	scratch_store_dwordx4 off, v[6:9], off offset:144
	s_waitcnt vmcnt(1)
	ds_write_b128 v0, v[2:5]
.LBB41_249:
	s_or_b64 exec, exec, s[0:1]
	s_waitcnt lgkmcnt(0)
	; wave barrier
	scratch_load_dwordx4 v[108:111], off, off offset:160
	scratch_load_dwordx4 v[116:119], off, off offset:176
	;; [unrolled: 1-line block ×33, first 2 shown]
	v_mov_b32_e32 v2, 0
	ds_read_b128 v[220:223], v2 offset:816
	ds_read_b128 v[224:227], v2 offset:832
	;; [unrolled: 1-line block ×16, first 2 shown]
	v_cmp_lt_u32_e32 vcc, 7, v242
	s_waitcnt vmcnt(32) lgkmcnt(14)
	v_mul_f64 v[180:181], v[220:221], v[110:111]
	s_waitcnt vmcnt(31)
	v_mul_f64 v[182:183], v[224:225], v[118:119]
	v_fmac_f64_e32 v[180:181], v[222:223], v[108:109]
	s_waitcnt vmcnt(30) lgkmcnt(13)
	v_mul_f64 v[184:185], v[234:235], v[122:123]
	v_fmac_f64_e32 v[182:183], v[226:227], v[116:117]
	v_add_f64 v[180:181], v[180:181], 0
	s_waitcnt vmcnt(29) lgkmcnt(12)
	v_mul_f64 v[186:187], v[244:245], v[126:127]
	v_fmac_f64_e32 v[184:185], v[236:237], v[120:121]
	v_add_f64 v[180:181], v[180:181], v[182:183]
	;; [unrolled: 4-line block ×13, first 2 shown]
	v_fmac_f64_e32 v[208:209], v[142:143], v[40:41]
	v_add_f64 v[180:181], v[180:181], v[206:207]
	v_add_f64 v[184:185], v[180:181], v[208:209]
	ds_read_b128 v[180:183], v2 offset:1072
	s_waitcnt vmcnt(17) lgkmcnt(1)
	v_mul_f64 v[186:187], v[136:137], v[46:47]
	v_fmac_f64_e32 v[186:187], v[138:139], v[44:45]
	v_add_f64 v[188:189], v[184:185], v[186:187]
	ds_read_b128 v[184:187], v2 offset:1088
	s_waitcnt vmcnt(16) lgkmcnt(1)
	v_mul_f64 v[190:191], v[180:181], v[50:51]
	v_fmac_f64_e32 v[190:191], v[182:183], v[48:49]
	;; [unrolled: 5-line block ×10, first 2 shown]
	v_mul_f64 v[110:111], v[222:223], v[110:111]
	v_add_f64 v[228:229], v[228:229], v[230:231]
	v_fma_f64 v[230:231], v[220:221], v[108:109], -v[110:111]
	ds_read_b128 v[108:111], v2 offset:1232
	s_waitcnt vmcnt(7) lgkmcnt(1)
	v_mul_f64 v[220:221], v[216:217], v[86:87]
	v_mul_f64 v[118:119], v[226:227], v[118:119]
	v_fmac_f64_e32 v[220:221], v[218:219], v[84:85]
	v_fma_f64 v[232:233], v[224:225], v[116:117], -v[118:119]
	ds_read_b128 v[116:119], v2 offset:1248
	s_waitcnt vmcnt(6) lgkmcnt(1)
	v_mul_f64 v[222:223], v[108:109], v[90:91]
	v_add_f64 v[220:221], v[228:229], v[220:221]
	v_fmac_f64_e32 v[222:223], v[110:111], v[88:89]
	v_add_f64 v[224:225], v[220:221], v[222:223]
	ds_read_b128 v[220:223], v2 offset:1264
	v_mul_f64 v[122:123], v[236:237], v[122:123]
	v_fma_f64 v[234:235], v[234:235], v[120:121], -v[122:123]
	ds_read_b128 v[120:123], v2 offset:1280
	s_waitcnt vmcnt(5) lgkmcnt(2)
	v_mul_f64 v[226:227], v[116:117], v[94:95]
	v_fmac_f64_e32 v[226:227], v[118:119], v[92:93]
	v_mul_f64 v[126:127], v[246:247], v[126:127]
	v_add_f64 v[224:225], v[224:225], v[226:227]
	s_waitcnt vmcnt(4) lgkmcnt(1)
	v_mul_f64 v[226:227], v[220:221], v[98:99]
	v_fma_f64 v[236:237], v[244:245], v[124:125], -v[126:127]
	ds_read_b128 v[124:127], v2 offset:1296
	v_fmac_f64_e32 v[226:227], v[222:223], v[96:97]
	v_add_f64 v[228:229], v[224:225], v[226:227]
	s_waitcnt vmcnt(3) lgkmcnt(1)
	v_mul_f64 v[238:239], v[120:121], v[102:103]
	ds_read_b128 v[224:227], v2 offset:1312
	v_fmac_f64_e32 v[238:239], v[122:123], v[100:101]
	v_mul_f64 v[130:131], v[250:251], v[130:131]
	v_add_f64 v[228:229], v[228:229], v[238:239]
	v_fma_f64 v[238:239], v[248:249], v[128:129], -v[130:131]
	ds_read_b128 v[128:131], v2 offset:1328
	s_waitcnt vmcnt(2) lgkmcnt(2)
	v_mul_f64 v[244:245], v[124:125], v[106:107]
	v_fmac_f64_e32 v[244:245], v[126:127], v[104:105]
	v_add_f64 v[228:229], v[228:229], v[244:245]
	s_waitcnt vmcnt(1) lgkmcnt(1)
	v_mul_f64 v[244:245], v[224:225], v[114:115]
	v_fmac_f64_e32 v[244:245], v[226:227], v[112:113]
	v_add_f64 v[228:229], v[228:229], v[244:245]
	;; [unrolled: 4-line block ×3, first 2 shown]
	scratch_load_dwordx4 v[244:247], off, off offset:144
	v_add_f64 v[230:231], v[230:231], 0
	v_add_f64 v[230:231], v[230:231], v[232:233]
	;; [unrolled: 1-line block ×4, first 2 shown]
	v_mul_f64 v[6:7], v[178:179], v[6:7]
	v_add_f64 v[230:231], v[230:231], v[238:239]
	v_fma_f64 v[4:5], v[176:177], v[4:5], -v[6:7]
	v_mul_f64 v[6:7], v[174:175], v[10:11]
	v_add_f64 v[4:5], v[230:231], v[4:5]
	v_fma_f64 v[6:7], v[172:173], v[8:9], -v[6:7]
	v_add_f64 v[4:5], v[4:5], v[6:7]
	v_mul_f64 v[6:7], v[170:171], v[14:15]
	v_fma_f64 v[6:7], v[168:169], v[12:13], -v[6:7]
	v_add_f64 v[4:5], v[4:5], v[6:7]
	v_mul_f64 v[6:7], v[166:167], v[18:19]
	;; [unrolled: 3-line block ×26, first 2 shown]
	v_fma_f64 v[6:7], v[128:129], v[132:133], -v[6:7]
	v_add_f64 v[4:5], v[4:5], v[6:7]
	s_waitcnt vmcnt(0)
	v_add_f64 v[4:5], v[244:245], -v[4:5]
	v_add_f64 v[6:7], v[246:247], -v[228:229]
	scratch_store_dwordx4 off, v[4:7], off offset:144
	s_and_saveexec_b64 s[0:1], vcc
	s_cbranch_execz .LBB41_251
; %bb.250:
	scratch_load_dwordx4 v[6:9], off, s56
	v_mov_b32_e32 v3, v2
	v_mov_b32_e32 v4, v2
	;; [unrolled: 1-line block ×3, first 2 shown]
	v_accvgpr_read_b32 v0, a85
	scratch_store_dwordx4 off, v[2:5], off offset:128
	s_waitcnt vmcnt(1)
	ds_write_b128 v0, v[6:9]
.LBB41_251:
	s_or_b64 exec, exec, s[0:1]
	s_waitcnt lgkmcnt(0)
	; wave barrier
	scratch_load_dwordx4 v[144:147], off, off offset:144
	scratch_load_dwordx4 v[152:155], off, off offset:160
	;; [unrolled: 1-line block ×16, first 2 shown]
	ds_read_b128 v[196:199], v2 offset:800
	ds_read_b128 v[188:191], v2 offset:816
	ds_read_b128 v[180:183], v2 offset:832
	scratch_load_dwordx4 v[48:51], off, off offset:400
	ds_read_b128 v[192:195], v2 offset:848
	ds_read_b128 v[184:187], v2 offset:864
	ds_read_b128 v[64:67], v2 offset:880
	scratch_load_dwordx4 v[52:55], off, off offset:416
	;; [unrolled: 4-line block ×5, first 2 shown]
	ds_read_b128 v[116:119], v2 offset:1040
	ds_read_b128 v[112:115], v2 offset:1056
	scratch_load_dwordx4 v[108:111], off, off offset:480
	scratch_load_dwordx4 v[120:123], off, off offset:496
	;; [unrolled: 1-line block ×12, first 2 shown]
	v_cmp_lt_u32_e32 vcc, 6, v242
	s_waitcnt vmcnt(32) lgkmcnt(14)
	v_mul_f64 v[204:205], v[196:197], v[146:147]
	s_waitcnt vmcnt(31)
	v_mul_f64 v[206:207], v[188:189], v[154:155]
	v_fmac_f64_e32 v[204:205], v[198:199], v[144:145]
	s_waitcnt vmcnt(30)
	v_mul_f64 v[208:209], v[180:181], v[158:159]
	v_fmac_f64_e32 v[206:207], v[190:191], v[152:153]
	v_add_f64 v[204:205], v[204:205], 0
	s_waitcnt vmcnt(29) lgkmcnt(13)
	v_mul_f64 v[210:211], v[192:193], v[162:163]
	v_fmac_f64_e32 v[208:209], v[182:183], v[156:157]
	v_add_f64 v[204:205], v[204:205], v[206:207]
	s_waitcnt vmcnt(28) lgkmcnt(12)
	;; [unrolled: 4-line block ×12, first 2 shown]
	v_mul_f64 v[232:233], v[96:97], v[42:43]
	v_fmac_f64_e32 v[230:231], v[102:103], v[36:37]
	v_add_f64 v[204:205], v[204:205], v[228:229]
	v_fmac_f64_e32 v[232:233], v[98:99], v[40:41]
	v_add_f64 v[204:205], v[204:205], v[230:231]
	s_waitcnt vmcnt(17) lgkmcnt(1)
	v_mul_f64 v[206:207], v[116:117], v[46:47]
	v_add_f64 v[204:205], v[204:205], v[232:233]
	v_fmac_f64_e32 v[206:207], v[118:119], v[44:45]
	s_waitcnt vmcnt(16) lgkmcnt(0)
	v_mul_f64 v[210:211], v[112:113], v[50:51]
	v_add_f64 v[208:209], v[204:205], v[206:207]
	ds_read_b128 v[204:207], v2 offset:1072
	v_fmac_f64_e32 v[210:211], v[114:115], v[48:49]
	v_add_f64 v[212:213], v[208:209], v[210:211]
	ds_read_b128 v[208:211], v2 offset:1088
	v_mul_f64 v[146:147], v[198:199], v[146:147]
	s_waitcnt vmcnt(15) lgkmcnt(1)
	v_mul_f64 v[214:215], v[204:205], v[54:55]
	v_fmac_f64_e32 v[214:215], v[206:207], v[52:53]
	v_add_f64 v[216:217], v[212:213], v[214:215]
	s_waitcnt vmcnt(14) lgkmcnt(0)
	v_mul_f64 v[218:219], v[208:209], v[58:59]
	ds_read_b128 v[212:215], v2 offset:1104
	v_fmac_f64_e32 v[218:219], v[210:211], v[56:57]
	v_add_f64 v[220:221], v[216:217], v[218:219]
	ds_read_b128 v[216:219], v2 offset:1120
	v_mul_f64 v[154:155], v[190:191], v[154:155]
	s_waitcnt vmcnt(13) lgkmcnt(1)
	v_mul_f64 v[222:223], v[212:213], v[62:63]
	v_fmac_f64_e32 v[222:223], v[214:215], v[60:61]
	v_add_f64 v[224:225], v[220:221], v[222:223]
	s_waitcnt vmcnt(12) lgkmcnt(0)
	v_mul_f64 v[226:227], v[216:217], v[94:95]
	ds_read_b128 v[220:223], v2 offset:1136
	v_fmac_f64_e32 v[226:227], v[218:219], v[92:93]
	v_add_f64 v[228:229], v[224:225], v[226:227]
	ds_read_b128 v[224:227], v2 offset:1152
	v_fma_f64 v[248:249], v[188:189], v[152:153], -v[154:155]
	s_waitcnt vmcnt(11) lgkmcnt(1)
	v_mul_f64 v[230:231], v[220:221], v[110:111]
	v_fmac_f64_e32 v[230:231], v[222:223], v[108:109]
	v_add_f64 v[232:233], v[228:229], v[230:231]
	s_waitcnt vmcnt(10) lgkmcnt(0)
	v_mul_f64 v[234:235], v[224:225], v[122:123]
	ds_read_b128 v[228:231], v2 offset:1168
	v_fmac_f64_e32 v[234:235], v[226:227], v[120:121]
	v_add_f64 v[236:237], v[232:233], v[234:235]
	ds_read_b128 v[232:235], v2 offset:1184
	ds_read_b128 v[152:155], v2 offset:1232
	s_waitcnt vmcnt(9) lgkmcnt(2)
	v_mul_f64 v[238:239], v[228:229], v[126:127]
	v_fmac_f64_e32 v[238:239], v[230:231], v[124:125]
	v_add_f64 v[244:245], v[236:237], v[238:239]
	s_waitcnt vmcnt(8) lgkmcnt(1)
	v_mul_f64 v[246:247], v[232:233], v[130:131]
	ds_read_b128 v[236:239], v2 offset:1200
	v_fmac_f64_e32 v[246:247], v[234:235], v[128:129]
	v_add_f64 v[244:245], v[244:245], v[246:247]
	v_fma_f64 v[246:247], v[196:197], v[144:145], -v[146:147]
	ds_read_b128 v[144:147], v2 offset:1216
	s_waitcnt vmcnt(7) lgkmcnt(1)
	v_mul_f64 v[196:197], v[236:237], v[134:135]
	v_fmac_f64_e32 v[196:197], v[238:239], v[132:133]
	v_add_f64 v[188:189], v[244:245], v[196:197]
	v_mul_f64 v[158:159], v[182:183], v[158:159]
	s_waitcnt vmcnt(6) lgkmcnt(0)
	v_mul_f64 v[190:191], v[144:145], v[138:139]
	v_fmac_f64_e32 v[190:191], v[146:147], v[136:137]
	v_add_f64 v[196:197], v[188:189], v[190:191]
	ds_read_b128 v[188:191], v2 offset:1248
	v_fma_f64 v[244:245], v[180:181], v[156:157], -v[158:159]
	ds_read_b128 v[156:159], v2 offset:1264
	s_waitcnt vmcnt(5)
	v_mul_f64 v[198:199], v[152:153], v[142:143]
	v_fmac_f64_e32 v[198:199], v[154:155], v[140:141]
	s_waitcnt vmcnt(4) lgkmcnt(1)
	v_mul_f64 v[180:181], v[188:189], v[150:151]
	v_add_f64 v[196:197], v[196:197], v[198:199]
	v_fmac_f64_e32 v[180:181], v[190:191], v[148:149]
	v_mul_f64 v[162:163], v[194:195], v[162:163]
	v_add_f64 v[198:199], v[196:197], v[180:181]
	v_fma_f64 v[196:197], v[192:193], v[160:161], -v[162:163]
	ds_read_b128 v[160:163], v2 offset:1280
	s_waitcnt vmcnt(3) lgkmcnt(1)
	v_mul_f64 v[192:193], v[156:157], v[166:167]
	ds_read_b128 v[180:183], v2 offset:1296
	v_fmac_f64_e32 v[192:193], v[158:159], v[164:165]
	v_mul_f64 v[170:171], v[186:187], v[170:171]
	v_add_f64 v[192:193], v[198:199], v[192:193]
	v_fma_f64 v[198:199], v[184:185], v[168:169], -v[170:171]
	ds_read_b128 v[168:171], v2 offset:1312
	s_waitcnt vmcnt(2) lgkmcnt(2)
	v_mul_f64 v[184:185], v[160:161], v[174:175]
	v_fmac_f64_e32 v[184:185], v[162:163], v[172:173]
	s_waitcnt vmcnt(1) lgkmcnt(1)
	v_mul_f64 v[186:187], v[180:181], v[178:179]
	v_add_f64 v[184:185], v[192:193], v[184:185]
	v_fmac_f64_e32 v[186:187], v[182:183], v[176:177]
	v_add_f64 v[184:185], v[184:185], v[186:187]
	s_waitcnt vmcnt(0) lgkmcnt(0)
	v_mul_f64 v[186:187], v[168:169], v[202:203]
	v_fmac_f64_e32 v[186:187], v[170:171], v[200:201]
	v_add_f64 v[250:251], v[184:185], v[186:187]
	scratch_load_dwordx4 v[184:187], off, off offset:672
	v_add_f64 v[246:247], v[246:247], 0
	v_add_f64 v[246:247], v[246:247], v[248:249]
	;; [unrolled: 1-line block ×3, first 2 shown]
	scratch_load_dwordx4 v[246:249], off, off offset:128
	v_add_f64 v[196:197], v[244:245], v[196:197]
	v_mul_f64 v[6:7], v[66:67], v[6:7]
	v_add_f64 v[196:197], v[196:197], v[198:199]
	v_fma_f64 v[4:5], v[64:65], v[4:5], -v[6:7]
	v_mul_f64 v[6:7], v[78:79], v[10:11]
	v_add_f64 v[4:5], v[196:197], v[4:5]
	v_fma_f64 v[6:7], v[76:77], v[8:9], -v[6:7]
	v_add_f64 v[4:5], v[4:5], v[6:7]
	v_mul_f64 v[6:7], v[74:75], v[14:15]
	v_fma_f64 v[6:7], v[72:73], v[12:13], -v[6:7]
	v_add_f64 v[4:5], v[4:5], v[6:7]
	v_mul_f64 v[6:7], v[70:71], v[18:19]
	;; [unrolled: 3-line block ×24, first 2 shown]
	ds_read_b128 v[192:195], v2 offset:1328
	v_fma_f64 v[6:7], v[160:161], v[172:173], -v[6:7]
	v_add_f64 v[4:5], v[4:5], v[6:7]
	v_mul_f64 v[6:7], v[182:183], v[178:179]
	v_fma_f64 v[6:7], v[180:181], v[176:177], -v[6:7]
	v_add_f64 v[4:5], v[4:5], v[6:7]
	v_mul_f64 v[6:7], v[170:171], v[202:203]
	v_fma_f64 v[6:7], v[168:169], v[200:201], -v[6:7]
	s_waitcnt vmcnt(1) lgkmcnt(0)
	v_mul_f64 v[2:3], v[192:193], v[186:187]
	v_add_f64 v[4:5], v[4:5], v[6:7]
	v_mul_f64 v[6:7], v[194:195], v[186:187]
	v_fmac_f64_e32 v[2:3], v[194:195], v[184:185]
	v_fma_f64 v[6:7], v[192:193], v[184:185], -v[6:7]
	v_add_f64 v[2:3], v[250:251], v[2:3]
	v_add_f64 v[4:5], v[4:5], v[6:7]
	s_waitcnt vmcnt(0)
	v_add_f64 v[4:5], v[246:247], -v[4:5]
	v_add_f64 v[6:7], v[248:249], -v[2:3]
	scratch_store_dwordx4 off, v[4:7], off offset:128
	s_and_saveexec_b64 s[0:1], vcc
	s_cbranch_execz .LBB41_253
; %bb.252:
	scratch_load_dwordx4 v[2:5], off, s22
	v_mov_b32_e32 v6, 0
	v_mov_b32_e32 v7, v6
	;; [unrolled: 1-line block ×4, first 2 shown]
	v_accvgpr_read_b32 v0, a85
	scratch_store_dwordx4 off, v[6:9], off offset:112
	s_waitcnt vmcnt(1)
	ds_write_b128 v0, v[2:5]
.LBB41_253:
	s_or_b64 exec, exec, s[0:1]
	s_waitcnt lgkmcnt(0)
	; wave barrier
	scratch_load_dwordx4 v[184:187], off, off offset:128
	scratch_load_dwordx4 v[188:191], off, off offset:144
	;; [unrolled: 1-line block ×32, first 2 shown]
	v_mov_b32_e32 v2, 0
	ds_read_b128 v[192:195], v2 offset:784
	ds_read_b128 v[204:207], v2 offset:800
	;; [unrolled: 1-line block ×16, first 2 shown]
	v_cmp_lt_u32_e32 vcc, 5, v242
	s_waitcnt vmcnt(31) lgkmcnt(14)
	v_mul_f64 v[104:105], v[192:193], v[186:187]
	s_waitcnt vmcnt(30)
	v_mul_f64 v[106:107], v[204:205], v[190:191]
	v_fmac_f64_e32 v[104:105], v[194:195], v[184:185]
	s_waitcnt vmcnt(29) lgkmcnt(13)
	v_mul_f64 v[112:113], v[216:217], v[198:199]
	v_fmac_f64_e32 v[106:107], v[206:207], v[188:189]
	v_add_f64 v[104:105], v[104:105], 0
	s_waitcnt vmcnt(28) lgkmcnt(12)
	v_mul_f64 v[114:115], v[224:225], v[202:203]
	v_fmac_f64_e32 v[112:113], v[218:219], v[196:197]
	v_add_f64 v[104:105], v[104:105], v[106:107]
	s_waitcnt vmcnt(27) lgkmcnt(11)
	v_mul_f64 v[128:129], v[228:229], v[210:211]
	v_fmac_f64_e32 v[114:115], v[226:227], v[200:201]
	v_add_f64 v[104:105], v[104:105], v[112:113]
	s_waitcnt vmcnt(26) lgkmcnt(10)
	v_mul_f64 v[130:131], v[244:245], v[214:215]
	v_fmac_f64_e32 v[128:129], v[230:231], v[208:209]
	v_add_f64 v[104:105], v[104:105], v[114:115]
	s_waitcnt vmcnt(25) lgkmcnt(9)
	v_mul_f64 v[152:153], v[248:249], v[222:223]
	v_fmac_f64_e32 v[130:131], v[246:247], v[212:213]
	v_add_f64 v[104:105], v[104:105], v[128:129]
	s_waitcnt vmcnt(24) lgkmcnt(8)
	v_mul_f64 v[154:155], v[148:149], v[6:7]
	v_fmac_f64_e32 v[152:153], v[250:251], v[220:221]
	v_add_f64 v[104:105], v[104:105], v[130:131]
	s_waitcnt vmcnt(23) lgkmcnt(7)
	v_mul_f64 v[156:157], v[144:145], v[10:11]
	v_fmac_f64_e32 v[154:155], v[150:151], v[4:5]
	v_add_f64 v[104:105], v[104:105], v[152:153]
	s_waitcnt vmcnt(22) lgkmcnt(6)
	v_mul_f64 v[158:159], v[140:141], v[14:15]
	v_fmac_f64_e32 v[156:157], v[146:147], v[8:9]
	v_add_f64 v[104:105], v[104:105], v[154:155]
	s_waitcnt vmcnt(21) lgkmcnt(5)
	v_mul_f64 v[160:161], v[136:137], v[18:19]
	v_fmac_f64_e32 v[158:159], v[142:143], v[12:13]
	v_add_f64 v[104:105], v[104:105], v[156:157]
	s_waitcnt vmcnt(20) lgkmcnt(4)
	v_mul_f64 v[162:163], v[132:133], v[22:23]
	v_fmac_f64_e32 v[160:161], v[138:139], v[16:17]
	v_add_f64 v[104:105], v[104:105], v[158:159]
	ds_read_b128 v[152:155], v2 offset:1040
	ds_read_b128 v[156:159], v2 offset:1056
	s_waitcnt vmcnt(19) lgkmcnt(5)
	v_mul_f64 v[164:165], v[124:125], v[26:27]
	v_fmac_f64_e32 v[162:163], v[134:135], v[20:21]
	v_add_f64 v[104:105], v[104:105], v[160:161]
	s_waitcnt vmcnt(18) lgkmcnt(4)
	v_mul_f64 v[166:167], v[120:121], v[30:31]
	v_fmac_f64_e32 v[164:165], v[126:127], v[24:25]
	v_add_f64 v[104:105], v[104:105], v[162:163]
	;; [unrolled: 4-line block ×4, first 2 shown]
	v_add_f64 v[112:113], v[104:105], v[168:169]
	v_fmac_f64_e32 v[170:171], v[110:111], v[36:37]
	scratch_load_dwordx4 v[104:107], off, off offset:640
	s_waitcnt vmcnt(16) lgkmcnt(1)
	v_mul_f64 v[114:115], v[152:153], v[42:43]
	v_add_f64 v[112:113], v[112:113], v[170:171]
	v_fmac_f64_e32 v[114:115], v[154:155], v[40:41]
	v_add_f64 v[128:129], v[112:113], v[114:115]
	scratch_load_dwordx4 v[112:115], off, off offset:656
	s_waitcnt vmcnt(16) lgkmcnt(0)
	v_mul_f64 v[130:131], v[156:157], v[46:47]
	v_fmac_f64_e32 v[130:131], v[158:159], v[44:45]
	v_add_f64 v[168:169], v[128:129], v[130:131]
	scratch_load_dwordx4 v[128:131], off, off offset:672
	ds_read_b128 v[160:163], v2 offset:1072
	ds_read_b128 v[164:167], v2 offset:1088
	v_mul_f64 v[186:187], v[194:195], v[186:187]
	v_fma_f64 v[252:253], v[192:193], v[184:185], -v[186:187]
	ds_read_b128 v[184:187], v2 offset:1168
	s_waitcnt vmcnt(16) lgkmcnt(2)
	v_mul_f64 v[170:171], v[160:161], v[50:51]
	v_fmac_f64_e32 v[170:171], v[162:163], v[48:49]
	s_waitcnt vmcnt(15) lgkmcnt(1)
	v_mul_f64 v[174:175], v[164:165], v[54:55]
	v_add_f64 v[172:173], v[168:169], v[170:171]
	ds_read_b128 v[168:171], v2 offset:1104
	v_fmac_f64_e32 v[174:175], v[166:167], v[52:53]
	v_add_f64 v[176:177], v[172:173], v[174:175]
	ds_read_b128 v[172:175], v2 offset:1120
	v_mul_f64 v[190:191], v[206:207], v[190:191]
	s_waitcnt vmcnt(14) lgkmcnt(1)
	v_mul_f64 v[178:179], v[168:169], v[58:59]
	v_fmac_f64_e32 v[178:179], v[170:171], v[56:57]
	v_add_f64 v[180:181], v[176:177], v[178:179]
	s_waitcnt vmcnt(13) lgkmcnt(0)
	v_mul_f64 v[182:183], v[172:173], v[62:63]
	ds_read_b128 v[176:179], v2 offset:1136
	v_fmac_f64_e32 v[182:183], v[174:175], v[60:61]
	v_add_f64 v[232:233], v[180:181], v[182:183]
	ds_read_b128 v[180:183], v2 offset:1152
	v_fma_f64 v[254:255], v[204:205], v[188:189], -v[190:191]
	s_waitcnt vmcnt(12) lgkmcnt(1)
	v_mul_f64 v[234:235], v[176:177], v[66:67]
	v_fmac_f64_e32 v[234:235], v[178:179], v[64:65]
	v_add_f64 v[232:233], v[232:233], v[234:235]
	s_waitcnt vmcnt(11) lgkmcnt(0)
	v_mul_f64 v[192:193], v[180:181], v[70:71]
	v_fmac_f64_e32 v[192:193], v[182:183], v[68:69]
	ds_read_b128 v[188:191], v2 offset:1184
	s_waitcnt vmcnt(10)
	v_mul_f64 v[194:195], v[184:185], v[74:75]
	v_add_f64 v[192:193], v[232:233], v[192:193]
	v_fmac_f64_e32 v[194:195], v[186:187], v[72:73]
	v_add_f64 v[204:205], v[192:193], v[194:195]
	ds_read_b128 v[192:195], v2 offset:1200
	v_mul_f64 v[198:199], v[218:219], v[198:199]
	v_fma_f64 v[240:241], v[216:217], v[196:197], -v[198:199]
	ds_read_b128 v[196:199], v2 offset:1216
	s_waitcnt vmcnt(9) lgkmcnt(2)
	v_mul_f64 v[206:207], v[188:189], v[78:79]
	v_fmac_f64_e32 v[206:207], v[190:191], v[76:77]
	v_add_f64 v[204:205], v[204:205], v[206:207]
	s_waitcnt vmcnt(8) lgkmcnt(1)
	v_mul_f64 v[206:207], v[192:193], v[82:83]
	v_fmac_f64_e32 v[206:207], v[194:195], v[80:81]
	v_mul_f64 v[202:203], v[226:227], v[202:203]
	v_add_f64 v[204:205], v[204:205], v[206:207]
	v_fma_f64 v[234:235], v[224:225], v[200:201], -v[202:203]
	ds_read_b128 v[200:203], v2 offset:1232
	s_waitcnt vmcnt(7) lgkmcnt(1)
	v_mul_f64 v[206:207], v[196:197], v[86:87]
	v_fmac_f64_e32 v[206:207], v[198:199], v[84:85]
	v_add_f64 v[216:217], v[204:205], v[206:207]
	ds_read_b128 v[204:207], v2 offset:1248
	v_mul_f64 v[210:211], v[230:231], v[210:211]
	v_fma_f64 v[236:237], v[228:229], v[208:209], -v[210:211]
	ds_read_b128 v[208:211], v2 offset:1264
	s_waitcnt vmcnt(6) lgkmcnt(2)
	v_mul_f64 v[218:219], v[200:201], v[90:91]
	v_fmac_f64_e32 v[218:219], v[202:203], v[88:89]
	v_add_f64 v[216:217], v[216:217], v[218:219]
	s_waitcnt vmcnt(5) lgkmcnt(1)
	v_mul_f64 v[218:219], v[204:205], v[94:95]
	v_fmac_f64_e32 v[218:219], v[206:207], v[92:93]
	v_mul_f64 v[214:215], v[246:247], v[214:215]
	v_fma_f64 v[238:239], v[244:245], v[212:213], -v[214:215]
	ds_read_b128 v[212:215], v2 offset:1280
	v_add_f64 v[216:217], v[216:217], v[218:219]
	s_waitcnt vmcnt(4) lgkmcnt(1)
	v_mul_f64 v[218:219], v[208:209], v[102:103]
	v_fmac_f64_e32 v[218:219], v[210:211], v[100:101]
	v_add_f64 v[224:225], v[216:217], v[218:219]
	ds_read_b128 v[216:219], v2 offset:1296
	v_mul_f64 v[222:223], v[250:251], v[222:223]
	v_fma_f64 v[244:245], v[248:249], v[220:221], -v[222:223]
	ds_read_b128 v[220:223], v2 offset:1312
	s_waitcnt vmcnt(3) lgkmcnt(2)
	v_mul_f64 v[226:227], v[212:213], v[98:99]
	v_fmac_f64_e32 v[226:227], v[214:215], v[96:97]
	v_add_f64 v[224:225], v[224:225], v[226:227]
	s_waitcnt vmcnt(2) lgkmcnt(1)
	v_mul_f64 v[226:227], v[216:217], v[106:107]
	v_fmac_f64_e32 v[226:227], v[218:219], v[104:105]
	v_add_f64 v[224:225], v[224:225], v[226:227]
	;; [unrolled: 4-line block ×3, first 2 shown]
	ds_read_b128 v[224:227], v2 offset:1328
	v_mul_f64 v[6:7], v[150:151], v[6:7]
	v_fma_f64 v[4:5], v[148:149], v[4:5], -v[6:7]
	v_mul_f64 v[6:7], v[146:147], v[10:11]
	v_fma_f64 v[6:7], v[144:145], v[8:9], -v[6:7]
	s_waitcnt vmcnt(0) lgkmcnt(0)
	v_mul_f64 v[230:231], v[224:225], v[130:131]
	v_fmac_f64_e32 v[230:231], v[226:227], v[128:129]
	v_add_f64 v[232:233], v[228:229], v[230:231]
	v_add_f64 v[228:229], v[252:253], 0
	;; [unrolled: 1-line block ×4, first 2 shown]
	scratch_load_dwordx4 v[228:231], off, off offset:112
	v_add_f64 v[234:235], v[246:247], v[234:235]
	v_add_f64 v[234:235], v[234:235], v[236:237]
	;; [unrolled: 1-line block ×6, first 2 shown]
	v_mul_f64 v[6:7], v[142:143], v[14:15]
	v_fma_f64 v[6:7], v[140:141], v[12:13], -v[6:7]
	v_add_f64 v[4:5], v[4:5], v[6:7]
	v_mul_f64 v[6:7], v[138:139], v[18:19]
	v_fma_f64 v[6:7], v[136:137], v[16:17], -v[6:7]
	v_add_f64 v[4:5], v[4:5], v[6:7]
	;; [unrolled: 3-line block ×26, first 2 shown]
	s_waitcnt vmcnt(0)
	v_add_f64 v[4:5], v[228:229], -v[4:5]
	v_add_f64 v[6:7], v[230:231], -v[232:233]
	scratch_store_dwordx4 off, v[4:7], off offset:112
	s_and_saveexec_b64 s[0:1], vcc
	s_cbranch_execz .LBB41_255
; %bb.254:
	scratch_load_dwordx4 v[6:9], off, s20
	v_mov_b32_e32 v3, v2
	v_mov_b32_e32 v4, v2
	;; [unrolled: 1-line block ×3, first 2 shown]
	v_accvgpr_read_b32 v0, a85
	scratch_store_dwordx4 off, v[2:5], off offset:96
	s_waitcnt vmcnt(1)
	ds_write_b128 v0, v[6:9]
.LBB41_255:
	s_or_b64 exec, exec, s[0:1]
	s_waitcnt lgkmcnt(0)
	; wave barrier
	scratch_load_dwordx4 v[140:143], off, off offset:112
	scratch_load_dwordx4 v[144:147], off, off offset:128
	;; [unrolled: 1-line block ×16, first 2 shown]
	ds_read_b128 v[208:211], v2 offset:768
	ds_read_b128 v[200:203], v2 offset:784
	;; [unrolled: 1-line block ×3, first 2 shown]
	scratch_load_dwordx4 v[40:43], off, off offset:368
	ds_read_b128 v[204:207], v2 offset:816
	ds_read_b128 v[192:195], v2 offset:832
	;; [unrolled: 1-line block ×3, first 2 shown]
	scratch_load_dwordx4 v[44:47], off, off offset:384
	ds_read_b128 v[196:199], v2 offset:864
	ds_read_b128 v[64:67], v2 offset:880
	;; [unrolled: 1-line block ×4, first 2 shown]
	scratch_load_dwordx4 v[48:51], off, off offset:400
	ds_read_b128 v[72:75], v2 offset:928
	ds_read_b128 v[68:71], v2 offset:944
	scratch_load_dwordx4 v[56:59], off, off offset:416
	ds_read_b128 v[92:95], v2 offset:960
	ds_read_b128 v[88:91], v2 offset:976
	;; [unrolled: 1-line block ×4, first 2 shown]
	scratch_load_dwordx4 v[76:79], off, off offset:432
	scratch_load_dwordx4 v[96:99], off, off offset:448
	;; [unrolled: 1-line block ×12, first 2 shown]
	ds_read_b128 v[168:171], v2 offset:1024
	v_accvgpr_write_b32 a84, v242
	v_cmp_lt_u32_e32 vcc, 4, v242
	s_waitcnt vmcnt(31) lgkmcnt(14)
	v_mul_f64 v[172:173], v[208:209], v[142:143]
	s_waitcnt vmcnt(30)
	v_mul_f64 v[174:175], v[200:201], v[146:147]
	v_fmac_f64_e32 v[172:173], v[210:211], v[140:141]
	s_waitcnt vmcnt(29)
	v_mul_f64 v[176:177], v[188:189], v[150:151]
	v_fmac_f64_e32 v[174:175], v[202:203], v[144:145]
	v_add_f64 v[172:173], v[172:173], 0
	s_waitcnt vmcnt(28) lgkmcnt(13)
	v_mul_f64 v[178:179], v[204:205], v[154:155]
	v_fmac_f64_e32 v[176:177], v[190:191], v[148:149]
	v_add_f64 v[172:173], v[172:173], v[174:175]
	s_waitcnt vmcnt(27) lgkmcnt(12)
	;; [unrolled: 4-line block ×10, first 2 shown]
	v_mul_f64 v[224:225], v[92:93], v[26:27]
	v_fmac_f64_e32 v[222:223], v[70:71], v[20:21]
	v_add_f64 v[172:173], v[172:173], v[220:221]
	ds_read_b128 v[212:215], v2 offset:1040
	s_waitcnt vmcnt(18) lgkmcnt(4)
	v_mul_f64 v[226:227], v[88:89], v[30:31]
	v_fmac_f64_e32 v[224:225], v[94:95], v[24:25]
	v_add_f64 v[172:173], v[172:173], v[222:223]
	ds_read_b128 v[216:219], v2 offset:1056
	ds_read_b128 v[220:223], v2 offset:1072
	s_waitcnt vmcnt(17) lgkmcnt(5)
	v_mul_f64 v[228:229], v[84:85], v[34:35]
	v_fmac_f64_e32 v[226:227], v[90:91], v[28:29]
	v_add_f64 v[172:173], v[172:173], v[224:225]
	s_waitcnt vmcnt(16) lgkmcnt(4)
	v_mul_f64 v[230:231], v[80:81], v[38:39]
	v_fmac_f64_e32 v[228:229], v[86:87], v[32:33]
	v_add_f64 v[172:173], v[172:173], v[226:227]
	v_add_f64 v[176:177], v[172:173], v[228:229]
	v_fmac_f64_e32 v[230:231], v[82:83], v[36:37]
	s_waitcnt vmcnt(15) lgkmcnt(3)
	v_mul_f64 v[178:179], v[168:169], v[42:43]
	v_add_f64 v[176:177], v[176:177], v[230:231]
	v_fmac_f64_e32 v[178:179], v[170:171], v[40:41]
	s_waitcnt vmcnt(14) lgkmcnt(2)
	v_mul_f64 v[182:183], v[212:213], v[46:47]
	;; [unrolled: 4-line block ×3, first 2 shown]
	v_add_f64 v[224:225], v[180:181], v[182:183]
	v_fmac_f64_e32 v[226:227], v[218:219], v[48:49]
	v_add_f64 v[228:229], v[224:225], v[226:227]
	ds_read_b128 v[224:227], v2 offset:1088
	s_waitcnt vmcnt(12) lgkmcnt(1)
	v_mul_f64 v[230:231], v[220:221], v[58:59]
	v_fmac_f64_e32 v[230:231], v[222:223], v[56:57]
	v_add_f64 v[232:233], v[228:229], v[230:231]
	ds_read_b128 v[228:231], v2 offset:1104
	s_waitcnt vmcnt(11) lgkmcnt(1)
	v_mul_f64 v[234:235], v[224:225], v[78:79]
	;; [unrolled: 5-line block ×4, first 2 shown]
	v_fmac_f64_e32 v[244:245], v[234:235], v[100:101]
	v_mul_f64 v[142:143], v[210:211], v[142:143]
	v_add_f64 v[240:241], v[240:241], v[244:245]
	v_fma_f64 v[244:245], v[208:209], v[140:141], -v[142:143]
	ds_read_b128 v[140:143], v2 offset:1152
	s_waitcnt vmcnt(8) lgkmcnt(1)
	v_mul_f64 v[208:209], v[236:237], v[106:107]
	v_fmac_f64_e32 v[208:209], v[238:239], v[104:105]
	v_mul_f64 v[146:147], v[202:203], v[146:147]
	v_add_f64 v[208:209], v[240:241], v[208:209]
	v_fma_f64 v[240:241], v[200:201], v[144:145], -v[146:147]
	ds_read_b128 v[144:147], v2 offset:1168
	s_waitcnt vmcnt(7) lgkmcnt(1)
	v_mul_f64 v[200:201], v[140:141], v[110:111]
	scratch_load_dwordx4 v[172:175], off, off offset:624
	v_fmac_f64_e32 v[200:201], v[142:143], v[108:109]
	v_add_f64 v[208:209], v[208:209], v[200:201]
	ds_read_b128 v[200:203], v2 offset:1184
	v_mul_f64 v[150:151], v[190:191], v[150:151]
	scratch_load_dwordx4 v[176:179], off, off offset:640
	scratch_load_dwordx4 v[180:183], off, off offset:656
	v_fma_f64 v[246:247], v[188:189], v[148:149], -v[150:151]
	ds_read_b128 v[148:151], v2 offset:1200
	s_waitcnt vmcnt(9) lgkmcnt(2)
	v_mul_f64 v[210:211], v[144:145], v[114:115]
	v_fmac_f64_e32 v[210:211], v[146:147], v[112:113]
	s_waitcnt vmcnt(8) lgkmcnt(1)
	v_mul_f64 v[188:189], v[200:201], v[118:119]
	v_add_f64 v[208:209], v[208:209], v[210:211]
	v_fmac_f64_e32 v[188:189], v[202:203], v[116:117]
	v_mul_f64 v[154:155], v[206:207], v[154:155]
	s_waitcnt vmcnt(7) lgkmcnt(0)
	v_mul_f64 v[190:191], v[148:149], v[122:123]
	v_add_f64 v[188:189], v[208:209], v[188:189]
	v_fma_f64 v[248:249], v[204:205], v[152:153], -v[154:155]
	ds_read_b128 v[152:155], v2 offset:1216
	v_fmac_f64_e32 v[190:191], v[150:151], v[120:121]
	v_add_f64 v[204:205], v[188:189], v[190:191]
	ds_read_b128 v[188:191], v2 offset:1232
	v_mul_f64 v[158:159], v[194:195], v[158:159]
	s_waitcnt vmcnt(6) lgkmcnt(1)
	v_mul_f64 v[206:207], v[152:153], v[126:127]
	v_fmac_f64_e32 v[206:207], v[154:155], v[124:125]
	v_fma_f64 v[250:251], v[192:193], v[156:157], -v[158:159]
	s_waitcnt vmcnt(5) lgkmcnt(0)
	v_mul_f64 v[192:193], v[188:189], v[130:131]
	v_add_f64 v[204:205], v[204:205], v[206:207]
	v_fmac_f64_e32 v[192:193], v[190:191], v[128:129]
	v_mul_f64 v[162:163], v[186:187], v[162:163]
	v_fma_f64 v[208:209], v[184:185], v[160:161], -v[162:163]
	v_add_f64 v[184:185], v[204:205], v[192:193]
	scratch_load_dwordx4 v[204:207], off, off offset:672
	v_add_f64 v[244:245], v[244:245], 0
	v_add_f64 v[240:241], v[244:245], v[240:241]
	;; [unrolled: 1-line block ×4, first 2 shown]
	scratch_load_dwordx4 v[246:249], off, off offset:96
	v_mul_f64 v[166:167], v[198:199], v[166:167]
	v_add_f64 v[244:245], v[240:241], v[250:251]
	v_fma_f64 v[210:211], v[196:197], v[164:165], -v[166:167]
	v_add_f64 v[208:209], v[244:245], v[208:209]
	v_mul_f64 v[6:7], v[66:67], v[6:7]
	v_add_f64 v[208:209], v[208:209], v[210:211]
	v_fma_f64 v[4:5], v[64:65], v[4:5], -v[6:7]
	v_mul_f64 v[6:7], v[62:63], v[10:11]
	v_add_f64 v[4:5], v[208:209], v[4:5]
	v_fma_f64 v[6:7], v[60:61], v[8:9], -v[6:7]
	v_add_f64 v[4:5], v[4:5], v[6:7]
	v_mul_f64 v[6:7], v[54:55], v[14:15]
	v_fma_f64 v[6:7], v[52:53], v[12:13], -v[6:7]
	v_add_f64 v[4:5], v[4:5], v[6:7]
	v_mul_f64 v[6:7], v[74:75], v[18:19]
	;; [unrolled: 3-line block ×12, first 2 shown]
	v_fma_f64 v[6:7], v[224:225], v[76:77], -v[6:7]
	ds_read_b128 v[156:159], v2 offset:1248
	ds_read_b128 v[160:163], v2 offset:1264
	v_add_f64 v[4:5], v[4:5], v[6:7]
	v_mul_f64 v[6:7], v[230:231], v[98:99]
	v_fma_f64 v[6:7], v[228:229], v[96:97], -v[6:7]
	v_add_f64 v[4:5], v[4:5], v[6:7]
	v_mul_f64 v[6:7], v[234:235], v[102:103]
	v_fma_f64 v[6:7], v[232:233], v[100:101], -v[6:7]
	v_add_f64 v[4:5], v[4:5], v[6:7]
	v_mul_f64 v[6:7], v[238:239], v[106:107]
	s_waitcnt vmcnt(6) lgkmcnt(1)
	v_mul_f64 v[186:187], v[156:157], v[138:139]
	v_fma_f64 v[6:7], v[236:237], v[104:105], -v[6:7]
	v_fmac_f64_e32 v[186:187], v[158:159], v[136:137]
	v_add_f64 v[4:5], v[4:5], v[6:7]
	v_mul_f64 v[6:7], v[142:143], v[110:111]
	v_add_f64 v[192:193], v[184:185], v[186:187]
	ds_read_b128 v[184:187], v2 offset:1280
	ds_read_b128 v[164:167], v2 offset:1296
	v_fma_f64 v[6:7], v[140:141], v[108:109], -v[6:7]
	v_add_f64 v[4:5], v[4:5], v[6:7]
	v_mul_f64 v[6:7], v[146:147], v[114:115]
	v_fma_f64 v[6:7], v[144:145], v[112:113], -v[6:7]
	s_waitcnt vmcnt(5) lgkmcnt(2)
	v_mul_f64 v[194:195], v[160:161], v[134:135]
	v_add_f64 v[4:5], v[4:5], v[6:7]
	v_mul_f64 v[6:7], v[202:203], v[118:119]
	v_fmac_f64_e32 v[194:195], v[162:163], v[132:133]
	v_fma_f64 v[6:7], v[200:201], v[116:117], -v[6:7]
	v_add_f64 v[192:193], v[192:193], v[194:195]
	s_waitcnt vmcnt(4) lgkmcnt(1)
	v_mul_f64 v[194:195], v[184:185], v[174:175]
	v_add_f64 v[4:5], v[4:5], v[6:7]
	v_mul_f64 v[6:7], v[150:151], v[122:123]
	v_fmac_f64_e32 v[194:195], v[186:187], v[172:173]
	v_fma_f64 v[6:7], v[148:149], v[120:121], -v[6:7]
	v_add_f64 v[192:193], v[192:193], v[194:195]
	;; [unrolled: 7-line block ×3, first 2 shown]
	ds_read_b128 v[192:195], v2 offset:1312
	v_add_f64 v[4:5], v[4:5], v[6:7]
	v_mul_f64 v[6:7], v[190:191], v[130:131]
	v_fma_f64 v[6:7], v[188:189], v[128:129], -v[6:7]
	v_add_f64 v[4:5], v[4:5], v[6:7]
	v_mul_f64 v[6:7], v[158:159], v[138:139]
	v_fma_f64 v[6:7], v[156:157], v[136:137], -v[6:7]
	v_add_f64 v[4:5], v[4:5], v[6:7]
	v_mul_f64 v[6:7], v[162:163], v[134:135]
	s_waitcnt vmcnt(2) lgkmcnt(0)
	v_mul_f64 v[198:199], v[192:193], v[182:183]
	v_fma_f64 v[6:7], v[160:161], v[132:133], -v[6:7]
	v_fmac_f64_e32 v[198:199], v[194:195], v[180:181]
	v_add_f64 v[4:5], v[4:5], v[6:7]
	v_mul_f64 v[6:7], v[186:187], v[174:175]
	v_add_f64 v[252:253], v[196:197], v[198:199]
	ds_read_b128 v[196:199], v2 offset:1328
	v_fma_f64 v[6:7], v[184:185], v[172:173], -v[6:7]
	v_add_f64 v[4:5], v[4:5], v[6:7]
	v_mul_f64 v[6:7], v[166:167], v[178:179]
	v_fma_f64 v[6:7], v[164:165], v[176:177], -v[6:7]
	v_add_f64 v[4:5], v[4:5], v[6:7]
	v_mul_f64 v[6:7], v[194:195], v[182:183]
	v_fma_f64 v[6:7], v[192:193], v[180:181], -v[6:7]
	s_waitcnt vmcnt(1) lgkmcnt(0)
	v_mul_f64 v[2:3], v[196:197], v[206:207]
	v_add_f64 v[4:5], v[4:5], v[6:7]
	v_mul_f64 v[6:7], v[198:199], v[206:207]
	v_fmac_f64_e32 v[2:3], v[198:199], v[204:205]
	v_fma_f64 v[6:7], v[196:197], v[204:205], -v[6:7]
	v_add_f64 v[2:3], v[252:253], v[2:3]
	v_add_f64 v[4:5], v[4:5], v[6:7]
	s_waitcnt vmcnt(0)
	v_add_f64 v[4:5], v[246:247], -v[4:5]
	v_add_f64 v[6:7], v[248:249], -v[2:3]
	scratch_store_dwordx4 off, v[4:7], off offset:96
	s_and_saveexec_b64 s[0:1], vcc
	s_cbranch_execz .LBB41_257
; %bb.256:
	scratch_load_dwordx4 v[2:5], off, s14
	v_mov_b32_e32 v6, 0
	v_mov_b32_e32 v7, v6
	;; [unrolled: 1-line block ×4, first 2 shown]
	v_accvgpr_read_b32 v0, a85
	scratch_store_dwordx4 off, v[6:9], off offset:80
	s_waitcnt vmcnt(1)
	ds_write_b128 v0, v[2:5]
.LBB41_257:
	s_or_b64 exec, exec, s[0:1]
	s_waitcnt lgkmcnt(0)
	; wave barrier
	scratch_load_dwordx4 v[168:171], off, off offset:96
	scratch_load_dwordx4 v[172:175], off, off offset:112
	;; [unrolled: 1-line block ×32, first 2 shown]
	v_mov_b32_e32 v2, 0
	ds_read_b128 v[176:179], v2 offset:752
	ds_read_b128 v[188:191], v2 offset:768
	;; [unrolled: 1-line block ×17, first 2 shown]
	v_accvgpr_read_b32 v0, a84
	v_cmp_lt_u32_e32 vcc, 3, v0
	s_waitcnt vmcnt(31) lgkmcnt(14)
	v_mul_f64 v[104:105], v[176:177], v[170:171]
	s_waitcnt vmcnt(30)
	v_mul_f64 v[106:107], v[188:189], v[174:175]
	v_fmac_f64_e32 v[104:105], v[178:179], v[168:169]
	s_waitcnt vmcnt(29)
	v_mul_f64 v[108:109], v[200:201], v[182:183]
	v_fmac_f64_e32 v[106:107], v[190:191], v[172:173]
	v_add_f64 v[104:105], v[104:105], 0
	s_waitcnt vmcnt(28) lgkmcnt(13)
	v_mul_f64 v[110:111], v[212:213], v[186:187]
	v_fmac_f64_e32 v[108:109], v[202:203], v[180:181]
	v_add_f64 v[104:105], v[104:105], v[106:107]
	s_waitcnt vmcnt(27) lgkmcnt(12)
	;; [unrolled: 4-line block ×12, first 2 shown]
	v_mul_f64 v[156:157], v[112:113], v[26:27]
	v_fmac_f64_e32 v[154:155], v[118:119], v[20:21]
	v_add_f64 v[104:105], v[104:105], v[152:153]
	v_fmac_f64_e32 v[156:157], v[114:115], v[24:25]
	v_add_f64 v[104:105], v[104:105], v[154:155]
	s_waitcnt vmcnt(16) lgkmcnt(1)
	v_mul_f64 v[106:107], v[100:101], v[30:31]
	v_add_f64 v[104:105], v[104:105], v[156:157]
	v_fmac_f64_e32 v[106:107], v[102:103], v[28:29]
	v_add_f64 v[108:109], v[104:105], v[106:107]
	ds_read_b128 v[144:147], v2 offset:1024
	ds_read_b128 v[148:151], v2 offset:1040
	scratch_load_dwordx4 v[104:107], off, off offset:608
	s_waitcnt vmcnt(16) lgkmcnt(2)
	v_mul_f64 v[110:111], v[96:97], v[34:35]
	v_fmac_f64_e32 v[110:111], v[98:99], v[32:33]
	v_add_f64 v[120:121], v[108:109], v[110:111]
	scratch_load_dwordx4 v[108:111], off, off offset:624
	s_waitcnt vmcnt(16) lgkmcnt(1)
	v_mul_f64 v[122:123], v[144:145], v[38:39]
	v_fmac_f64_e32 v[122:123], v[146:147], v[36:37]
	v_add_f64 v[132:133], v[120:121], v[122:123]
	s_waitcnt vmcnt(15) lgkmcnt(0)
	v_mul_f64 v[134:135], v[148:149], v[42:43]
	scratch_load_dwordx4 v[120:123], off, off offset:640
	v_fmac_f64_e32 v[134:135], v[150:151], v[40:41]
	v_add_f64 v[160:161], v[132:133], v[134:135]
	scratch_load_dwordx4 v[132:135], off, off offset:656
	ds_read_b128 v[152:155], v2 offset:1056
	ds_read_b128 v[156:159], v2 offset:1072
	v_mul_f64 v[170:171], v[178:179], v[170:171]
	v_fma_f64 v[240:241], v[176:177], v[168:169], -v[170:171]
	ds_read_b128 v[168:171], v2 offset:1120
	s_waitcnt vmcnt(16) lgkmcnt(2)
	v_mul_f64 v[162:163], v[152:153], v[46:47]
	v_fmac_f64_e32 v[162:163], v[154:155], v[44:45]
	s_waitcnt vmcnt(15) lgkmcnt(1)
	v_mul_f64 v[166:167], v[156:157], v[50:51]
	v_add_f64 v[164:165], v[160:161], v[162:163]
	ds_read_b128 v[160:163], v2 offset:1088
	v_fmac_f64_e32 v[166:167], v[158:159], v[48:49]
	v_add_f64 v[232:233], v[164:165], v[166:167]
	ds_read_b128 v[164:167], v2 offset:1104
	v_mul_f64 v[174:175], v[190:191], v[174:175]
	s_waitcnt vmcnt(14) lgkmcnt(1)
	v_mul_f64 v[234:235], v[160:161], v[54:55]
	v_fmac_f64_e32 v[234:235], v[162:163], v[52:53]
	v_add_f64 v[232:233], v[232:233], v[234:235]
	s_waitcnt vmcnt(13) lgkmcnt(0)
	v_mul_f64 v[176:177], v[164:165], v[58:59]
	v_fmac_f64_e32 v[176:177], v[166:167], v[56:57]
	v_fma_f64 v[252:253], v[188:189], v[172:173], -v[174:175]
	ds_read_b128 v[172:175], v2 offset:1136
	s_waitcnt vmcnt(12)
	v_mul_f64 v[178:179], v[168:169], v[62:63]
	v_add_f64 v[176:177], v[232:233], v[176:177]
	v_fmac_f64_e32 v[178:179], v[170:171], v[60:61]
	v_add_f64 v[188:189], v[176:177], v[178:179]
	ds_read_b128 v[176:179], v2 offset:1152
	v_mul_f64 v[182:183], v[202:203], v[182:183]
	v_fma_f64 v[254:255], v[200:201], v[180:181], -v[182:183]
	ds_read_b128 v[180:183], v2 offset:1168
	s_waitcnt vmcnt(11) lgkmcnt(2)
	v_mul_f64 v[190:191], v[172:173], v[66:67]
	v_fmac_f64_e32 v[190:191], v[174:175], v[64:65]
	v_add_f64 v[188:189], v[188:189], v[190:191]
	s_waitcnt vmcnt(10) lgkmcnt(1)
	v_mul_f64 v[190:191], v[176:177], v[70:71]
	v_fmac_f64_e32 v[190:191], v[178:179], v[68:69]
	v_mul_f64 v[186:187], v[214:215], v[186:187]
	v_fma_f64 v[242:243], v[212:213], v[184:185], -v[186:187]
	ds_read_b128 v[184:187], v2 offset:1184
	v_add_f64 v[188:189], v[188:189], v[190:191]
	s_waitcnt vmcnt(9) lgkmcnt(1)
	v_mul_f64 v[190:191], v[180:181], v[74:75]
	v_fmac_f64_e32 v[190:191], v[182:183], v[72:73]
	v_add_f64 v[200:201], v[188:189], v[190:191]
	ds_read_b128 v[188:191], v2 offset:1200
	v_mul_f64 v[194:195], v[222:223], v[194:195]
	v_fma_f64 v[232:233], v[220:221], v[192:193], -v[194:195]
	ds_read_b128 v[192:195], v2 offset:1216
	s_waitcnt vmcnt(8) lgkmcnt(2)
	v_mul_f64 v[202:203], v[184:185], v[78:79]
	v_fmac_f64_e32 v[202:203], v[186:187], v[76:77]
	v_add_f64 v[200:201], v[200:201], v[202:203]
	s_waitcnt vmcnt(7) lgkmcnt(1)
	v_mul_f64 v[202:203], v[188:189], v[82:83]
	v_fmac_f64_e32 v[202:203], v[190:191], v[80:81]
	v_mul_f64 v[198:199], v[226:227], v[198:199]
	v_add_f64 v[200:201], v[200:201], v[202:203]
	v_fma_f64 v[234:235], v[224:225], v[196:197], -v[198:199]
	ds_read_b128 v[196:199], v2 offset:1232
	s_waitcnt vmcnt(6) lgkmcnt(1)
	v_mul_f64 v[202:203], v[192:193], v[86:87]
	v_fmac_f64_e32 v[202:203], v[194:195], v[84:85]
	v_add_f64 v[212:213], v[200:201], v[202:203]
	ds_read_b128 v[200:203], v2 offset:1248
	v_mul_f64 v[206:207], v[230:231], v[206:207]
	v_fma_f64 v[236:237], v[228:229], v[204:205], -v[206:207]
	ds_read_b128 v[204:207], v2 offset:1264
	s_waitcnt vmcnt(5) lgkmcnt(2)
	v_mul_f64 v[214:215], v[196:197], v[94:95]
	v_fmac_f64_e32 v[214:215], v[198:199], v[92:93]
	v_add_f64 v[212:213], v[212:213], v[214:215]
	s_waitcnt vmcnt(4) lgkmcnt(1)
	v_mul_f64 v[214:215], v[200:201], v[90:91]
	v_fmac_f64_e32 v[214:215], v[202:203], v[88:89]
	v_mul_f64 v[210:211], v[246:247], v[210:211]
	v_fma_f64 v[238:239], v[244:245], v[208:209], -v[210:211]
	ds_read_b128 v[208:211], v2 offset:1280
	v_add_f64 v[212:213], v[212:213], v[214:215]
	s_waitcnt vmcnt(3) lgkmcnt(1)
	v_mul_f64 v[214:215], v[204:205], v[106:107]
	v_fmac_f64_e32 v[214:215], v[206:207], v[104:105]
	v_add_f64 v[220:221], v[212:213], v[214:215]
	ds_read_b128 v[212:215], v2 offset:1296
	v_mul_f64 v[218:219], v[250:251], v[218:219]
	v_fma_f64 v[244:245], v[248:249], v[216:217], -v[218:219]
	ds_read_b128 v[216:219], v2 offset:1312
	ds_read_b128 v[224:227], v2 offset:1328
	s_waitcnt vmcnt(2) lgkmcnt(3)
	v_mul_f64 v[222:223], v[208:209], v[110:111]
	v_fmac_f64_e32 v[222:223], v[210:211], v[108:109]
	v_add_f64 v[220:221], v[220:221], v[222:223]
	s_waitcnt vmcnt(1) lgkmcnt(2)
	v_mul_f64 v[222:223], v[212:213], v[122:123]
	v_fmac_f64_e32 v[222:223], v[214:215], v[120:121]
	v_add_f64 v[220:221], v[220:221], v[222:223]
	;; [unrolled: 4-line block ×3, first 2 shown]
	scratch_load_dwordx4 v[220:223], off, off offset:672
	v_mul_f64 v[6:7], v[142:143], v[6:7]
	v_fma_f64 v[4:5], v[140:141], v[4:5], -v[6:7]
	v_mul_f64 v[6:7], v[138:139], v[10:11]
	v_fma_f64 v[6:7], v[136:137], v[8:9], -v[6:7]
	s_waitcnt vmcnt(0) lgkmcnt(0)
	v_mul_f64 v[230:231], v[224:225], v[222:223]
	v_fmac_f64_e32 v[230:231], v[226:227], v[220:221]
	v_add_f64 v[248:249], v[228:229], v[230:231]
	v_add_f64 v[228:229], v[240:241], 0
	;; [unrolled: 1-line block ×6, first 2 shown]
	scratch_load_dwordx4 v[228:231], off, off offset:80
	v_add_f64 v[232:233], v[246:247], v[234:235]
	v_add_f64 v[232:233], v[232:233], v[236:237]
	;; [unrolled: 1-line block ×6, first 2 shown]
	v_mul_f64 v[6:7], v[130:131], v[14:15]
	v_fma_f64 v[6:7], v[128:129], v[12:13], -v[6:7]
	v_add_f64 v[4:5], v[4:5], v[6:7]
	v_mul_f64 v[6:7], v[126:127], v[18:19]
	v_fma_f64 v[6:7], v[124:125], v[16:17], -v[6:7]
	v_add_f64 v[4:5], v[4:5], v[6:7]
	;; [unrolled: 3-line block ×26, first 2 shown]
	s_waitcnt vmcnt(0)
	v_add_f64 v[4:5], v[228:229], -v[4:5]
	v_add_f64 v[6:7], v[230:231], -v[248:249]
	scratch_store_dwordx4 off, v[4:7], off offset:80
	s_and_saveexec_b64 s[0:1], vcc
	s_cbranch_execz .LBB41_259
; %bb.258:
	scratch_load_dwordx4 v[6:9], off, s13
	v_mov_b32_e32 v3, v2
	v_mov_b32_e32 v4, v2
	;; [unrolled: 1-line block ×3, first 2 shown]
	v_accvgpr_read_b32 v0, a85
	scratch_store_dwordx4 off, v[2:5], off offset:64
	s_waitcnt vmcnt(1)
	ds_write_b128 v0, v[6:9]
.LBB41_259:
	s_or_b64 exec, exec, s[0:1]
	s_waitcnt lgkmcnt(0)
	; wave barrier
	scratch_load_dwordx4 v[168:171], off, off offset:80
	scratch_load_dwordx4 v[172:175], off, off offset:96
	;; [unrolled: 1-line block ×16, first 2 shown]
	ds_read_b128 v[232:235], v2 offset:736
	ds_read_b128 v[176:179], v2 offset:752
	scratch_load_dwordx4 v[32:35], off, off offset:336
	ds_read_b128 v[236:239], v2 offset:768
	ds_read_b128 v[188:191], v2 offset:784
	;; [unrolled: 1-line block ×5, first 2 shown]
	scratch_load_dwordx4 v[36:39], off, off offset:352
	ds_read_b128 v[224:227], v2 offset:848
	ds_read_b128 v[220:223], v2 offset:864
	;; [unrolled: 1-line block ×3, first 2 shown]
	scratch_load_dwordx4 v[40:43], off, off offset:368
	ds_read_b128 v[64:67], v2 offset:896
	ds_read_b128 v[60:63], v2 offset:912
	ds_read_b128 v[56:59], v2 offset:928
	ds_read_b128 v[52:55], v2 offset:944
	scratch_load_dwordx4 v[48:51], off, off offset:384
	ds_read_b128 v[80:83], v2 offset:960
	ds_read_b128 v[72:75], v2 offset:976
	;; [unrolled: 1-line block ×3, first 2 shown]
	scratch_load_dwordx4 v[76:79], off, off offset:400
	scratch_load_dwordx4 v[84:87], off, off offset:416
	;; [unrolled: 1-line block ×12, first 2 shown]
	v_accvgpr_read_b32 v0, a84
	v_cmp_lt_u32_e32 vcc, 2, v0
	s_waitcnt vmcnt(31) lgkmcnt(14)
	v_mul_f64 v[128:129], v[232:233], v[170:171]
	s_waitcnt vmcnt(30)
	v_mul_f64 v[130:131], v[176:177], v[174:175]
	v_fmac_f64_e32 v[128:129], v[234:235], v[168:169]
	s_waitcnt vmcnt(29)
	v_mul_f64 v[132:133], v[236:237], v[182:183]
	v_fmac_f64_e32 v[130:131], v[178:179], v[172:173]
	v_add_f64 v[128:129], v[128:129], 0
	s_waitcnt vmcnt(28) lgkmcnt(13)
	v_mul_f64 v[134:135], v[188:189], v[186:187]
	v_fmac_f64_e32 v[132:133], v[238:239], v[180:181]
	v_add_f64 v[128:129], v[128:129], v[130:131]
	s_waitcnt vmcnt(27) lgkmcnt(12)
	;; [unrolled: 4-line block ×13, first 2 shown]
	v_mul_f64 v[158:159], v[72:73], v[30:31]
	v_fmac_f64_e32 v[156:157], v[82:83], v[24:25]
	v_add_f64 v[128:129], v[128:129], v[154:155]
	v_add_f64 v[128:129], v[128:129], v[156:157]
	v_fmac_f64_e32 v[158:159], v[74:75], v[28:29]
	v_add_f64 v[132:133], v[128:129], v[158:159]
	ds_read_b128 v[144:147], v2 offset:1008
	ds_read_b128 v[148:151], v2 offset:1024
	scratch_load_dwordx4 v[128:131], off, off offset:592
	s_waitcnt vmcnt(16) lgkmcnt(2)
	v_mul_f64 v[134:135], v[68:69], v[34:35]
	v_fmac_f64_e32 v[134:135], v[70:71], v[32:33]
	s_waitcnt vmcnt(15) lgkmcnt(1)
	v_mul_f64 v[138:139], v[144:145], v[38:39]
	v_add_f64 v[136:137], v[132:133], v[134:135]
	scratch_load_dwordx4 v[132:135], off, off offset:608
	v_fmac_f64_e32 v[138:139], v[146:147], v[36:37]
	v_add_f64 v[140:141], v[136:137], v[138:139]
	s_waitcnt vmcnt(15) lgkmcnt(0)
	v_mul_f64 v[142:143], v[148:149], v[42:43]
	scratch_load_dwordx4 v[136:139], off, off offset:624
	v_fmac_f64_e32 v[142:143], v[150:151], v[40:41]
	v_add_f64 v[160:161], v[140:141], v[142:143]
	scratch_load_dwordx4 v[140:143], off, off offset:640
	ds_read_b128 v[152:155], v2 offset:1040
	ds_read_b128 v[156:159], v2 offset:1056
	v_mul_f64 v[170:171], v[234:235], v[170:171]
	v_mul_f64 v[174:175], v[178:179], v[174:175]
	;; [unrolled: 1-line block ×3, first 2 shown]
	s_waitcnt vmcnt(16) lgkmcnt(1)
	v_mul_f64 v[162:163], v[152:153], v[50:51]
	v_fmac_f64_e32 v[162:163], v[154:155], v[48:49]
	v_add_f64 v[164:165], v[160:161], v[162:163]
	ds_read_b128 v[160:163], v2 offset:1072
	s_waitcnt vmcnt(15) lgkmcnt(1)
	v_mul_f64 v[166:167], v[156:157], v[78:79]
	v_fmac_f64_e32 v[166:167], v[158:159], v[76:77]
	v_add_f64 v[240:241], v[164:165], v[166:167]
	ds_read_b128 v[164:167], v2 offset:1088
	s_waitcnt vmcnt(14) lgkmcnt(1)
	v_mul_f64 v[242:243], v[160:161], v[86:87]
	v_fmac_f64_e32 v[242:243], v[162:163], v[84:85]
	v_add_f64 v[240:241], v[240:241], v[242:243]
	v_fma_f64 v[242:243], v[232:233], v[168:169], -v[170:171]
	ds_read_b128 v[168:171], v2 offset:1104
	s_waitcnt vmcnt(13) lgkmcnt(1)
	v_mul_f64 v[232:233], v[164:165], v[90:91]
	v_fmac_f64_e32 v[232:233], v[166:167], v[88:89]
	v_add_f64 v[232:233], v[240:241], v[232:233]
	v_fma_f64 v[240:241], v[176:177], v[172:173], -v[174:175]
	ds_read_b128 v[172:175], v2 offset:1120
	s_waitcnt vmcnt(12) lgkmcnt(1)
	v_mul_f64 v[176:177], v[168:169], v[94:95]
	v_fmac_f64_e32 v[176:177], v[170:171], v[92:93]
	v_add_f64 v[232:233], v[232:233], v[176:177]
	ds_read_b128 v[176:179], v2 offset:1136
	v_fma_f64 v[236:237], v[236:237], v[180:181], -v[182:183]
	ds_read_b128 v[180:183], v2 offset:1152
	s_waitcnt vmcnt(11) lgkmcnt(2)
	v_mul_f64 v[234:235], v[172:173], v[98:99]
	v_fmac_f64_e32 v[234:235], v[174:175], v[96:97]
	v_add_f64 v[232:233], v[232:233], v[234:235]
	s_waitcnt vmcnt(10) lgkmcnt(1)
	v_mul_f64 v[234:235], v[176:177], v[102:103]
	v_fmac_f64_e32 v[234:235], v[178:179], v[100:101]
	v_mul_f64 v[186:187], v[190:191], v[186:187]
	s_waitcnt vmcnt(9) lgkmcnt(0)
	v_mul_f64 v[190:191], v[180:181], v[106:107]
	v_fma_f64 v[238:239], v[188:189], v[184:185], -v[186:187]
	ds_read_b128 v[184:187], v2 offset:1168
	v_add_f64 v[188:189], v[232:233], v[234:235]
	v_fmac_f64_e32 v[190:191], v[182:183], v[104:105]
	v_add_f64 v[232:233], v[188:189], v[190:191]
	ds_read_b128 v[188:191], v2 offset:1184
	v_mul_f64 v[194:195], v[230:231], v[194:195]
	v_fma_f64 v[248:249], v[228:229], v[192:193], -v[194:195]
	ds_read_b128 v[192:195], v2 offset:1200
	s_waitcnt vmcnt(8) lgkmcnt(2)
	v_mul_f64 v[234:235], v[184:185], v[110:111]
	v_fmac_f64_e32 v[234:235], v[186:187], v[108:109]
	s_waitcnt vmcnt(7) lgkmcnt(1)
	v_mul_f64 v[228:229], v[188:189], v[114:115]
	v_mul_f64 v[198:199], v[202:203], v[198:199]
	v_add_f64 v[232:233], v[232:233], v[234:235]
	v_fmac_f64_e32 v[228:229], v[190:191], v[112:113]
	v_fma_f64 v[250:251], v[200:201], v[196:197], -v[198:199]
	ds_read_b128 v[196:199], v2 offset:1216
	s_waitcnt vmcnt(6) lgkmcnt(1)
	v_mul_f64 v[200:201], v[192:193], v[118:119]
	v_add_f64 v[228:229], v[232:233], v[228:229]
	v_fmac_f64_e32 v[200:201], v[194:195], v[116:117]
	v_add_f64 v[228:229], v[228:229], v[200:201]
	ds_read_b128 v[200:203], v2 offset:1232
	v_mul_f64 v[206:207], v[214:215], v[206:207]
	v_add_f64 v[242:243], v[242:243], 0
	v_fma_f64 v[252:253], v[212:213], v[204:205], -v[206:207]
	ds_read_b128 v[204:207], v2 offset:1248
	v_add_f64 v[240:241], v[242:243], v[240:241]
	v_add_f64 v[236:237], v[240:241], v[236:237]
	;; [unrolled: 1-line block ×3, first 2 shown]
	s_waitcnt vmcnt(5) lgkmcnt(2)
	v_mul_f64 v[230:231], v[196:197], v[126:127]
	v_add_f64 v[236:237], v[236:237], v[248:249]
	v_fmac_f64_e32 v[230:231], v[198:199], v[124:125]
	s_waitcnt vmcnt(4) lgkmcnt(1)
	v_mul_f64 v[212:213], v[200:201], v[122:123]
	v_add_f64 v[236:237], v[236:237], v[250:251]
	v_add_f64 v[228:229], v[228:229], v[230:231]
	v_fmac_f64_e32 v[212:213], v[202:203], v[120:121]
	v_mul_f64 v[210:211], v[226:227], v[210:211]
	v_add_f64 v[248:249], v[236:237], v[252:253]
	scratch_load_dwordx4 v[236:239], off, off offset:64
	s_waitcnt vmcnt(4) lgkmcnt(0)
	v_mul_f64 v[214:215], v[204:205], v[130:131]
	v_fma_f64 v[244:245], v[224:225], v[208:209], -v[210:211]
	ds_read_b128 v[208:211], v2 offset:1264
	v_add_f64 v[212:213], v[228:229], v[212:213]
	v_fmac_f64_e32 v[214:215], v[206:207], v[128:129]
	v_add_f64 v[224:225], v[212:213], v[214:215]
	ds_read_b128 v[212:215], v2 offset:1280
	v_mul_f64 v[218:219], v[222:223], v[218:219]
	v_fma_f64 v[246:247], v[220:221], v[216:217], -v[218:219]
	ds_read_b128 v[216:219], v2 offset:1296
	s_waitcnt vmcnt(3) lgkmcnt(2)
	v_mul_f64 v[220:221], v[208:209], v[134:135]
	v_fmac_f64_e32 v[220:221], v[210:211], v[132:133]
	s_waitcnt vmcnt(2) lgkmcnt(1)
	v_mul_f64 v[222:223], v[212:213], v[138:139]
	v_add_f64 v[220:221], v[224:225], v[220:221]
	v_fmac_f64_e32 v[222:223], v[214:215], v[136:137]
	v_add_f64 v[220:221], v[220:221], v[222:223]
	ds_read_b128 v[224:227], v2 offset:1312
	scratch_load_dwordx4 v[232:235], off, off offset:672
	s_waitcnt vmcnt(2) lgkmcnt(1)
	v_mul_f64 v[222:223], v[216:217], v[142:143]
	v_fmac_f64_e32 v[222:223], v[218:219], v[140:141]
	v_add_f64 v[228:229], v[220:221], v[222:223]
	scratch_load_dwordx4 v[220:223], off, off offset:656
	v_add_f64 v[240:241], v[248:249], v[244:245]
	v_mul_f64 v[6:7], v[46:47], v[6:7]
	v_add_f64 v[240:241], v[240:241], v[246:247]
	v_fma_f64 v[4:5], v[44:45], v[4:5], -v[6:7]
	v_mul_f64 v[6:7], v[66:67], v[10:11]
	v_add_f64 v[4:5], v[240:241], v[4:5]
	v_fma_f64 v[6:7], v[64:65], v[8:9], -v[6:7]
	v_add_f64 v[4:5], v[4:5], v[6:7]
	v_mul_f64 v[6:7], v[62:63], v[14:15]
	v_fma_f64 v[6:7], v[60:61], v[12:13], -v[6:7]
	v_add_f64 v[4:5], v[4:5], v[6:7]
	v_mul_f64 v[6:7], v[58:59], v[18:19]
	;; [unrolled: 3-line block ×24, first 2 shown]
	v_fma_f64 v[6:7], v[212:213], v[136:137], -v[6:7]
	s_waitcnt vmcnt(0) lgkmcnt(0)
	v_mul_f64 v[230:231], v[224:225], v[222:223]
	v_fmac_f64_e32 v[230:231], v[226:227], v[220:221]
	v_add_f64 v[254:255], v[228:229], v[230:231]
	ds_read_b128 v[228:231], v2 offset:1328
	v_add_f64 v[4:5], v[4:5], v[6:7]
	v_mul_f64 v[6:7], v[218:219], v[142:143]
	v_fma_f64 v[6:7], v[216:217], v[140:141], -v[6:7]
	v_add_f64 v[4:5], v[4:5], v[6:7]
	v_mul_f64 v[6:7], v[226:227], v[222:223]
	v_fma_f64 v[6:7], v[224:225], v[220:221], -v[6:7]
	s_waitcnt lgkmcnt(0)
	v_mul_f64 v[2:3], v[228:229], v[234:235]
	v_add_f64 v[4:5], v[4:5], v[6:7]
	v_mul_f64 v[6:7], v[230:231], v[234:235]
	v_fmac_f64_e32 v[2:3], v[230:231], v[232:233]
	v_fma_f64 v[6:7], v[228:229], v[232:233], -v[6:7]
	v_add_f64 v[2:3], v[254:255], v[2:3]
	v_add_f64 v[4:5], v[4:5], v[6:7]
	v_add_f64 v[4:5], v[236:237], -v[4:5]
	v_add_f64 v[6:7], v[238:239], -v[2:3]
	scratch_store_dwordx4 off, v[4:7], off offset:64
	s_and_saveexec_b64 s[0:1], vcc
	s_cbranch_execz .LBB41_261
; %bb.260:
	scratch_load_dwordx4 v[2:5], off, s12
	v_mov_b32_e32 v6, 0
	v_mov_b32_e32 v7, v6
	;; [unrolled: 1-line block ×4, first 2 shown]
	v_accvgpr_read_b32 v0, a85
	scratch_store_dwordx4 off, v[6:9], off offset:48
	s_waitcnt vmcnt(1)
	ds_write_b128 v0, v[2:5]
.LBB41_261:
	s_or_b64 exec, exec, s[0:1]
	s_waitcnt lgkmcnt(0)
	; wave barrier
	scratch_load_dwordx4 v[80:83], off, off offset:64
	scratch_load_dwordx4 v[84:87], off, off offset:80
	;; [unrolled: 1-line block ×31, first 2 shown]
	v_mov_b32_e32 v2, 0
	ds_read_b128 v[196:199], v2 offset:720
	ds_read_b128 v[200:203], v2 offset:736
	;; [unrolled: 1-line block ×20, first 2 shown]
	s_waitcnt vmcnt(30) lgkmcnt(14)
	v_mul_f64 v[140:141], v[196:197], v[82:83]
	s_waitcnt vmcnt(29)
	v_mul_f64 v[142:143], v[200:201], v[86:87]
	v_fmac_f64_e32 v[140:141], v[198:199], v[80:81]
	s_waitcnt vmcnt(28)
	v_mul_f64 v[152:153], v[204:205], v[90:91]
	v_fmac_f64_e32 v[142:143], v[202:203], v[84:85]
	v_add_f64 v[140:141], v[140:141], 0
	s_waitcnt vmcnt(27)
	v_mul_f64 v[154:155], v[208:209], v[94:95]
	v_fmac_f64_e32 v[152:153], v[206:207], v[88:89]
	v_add_f64 v[140:141], v[140:141], v[142:143]
	;; [unrolled: 4-line block ×4, first 2 shown]
	s_waitcnt vmcnt(24) lgkmcnt(13)
	v_mul_f64 v[164:165], v[220:221], v[106:107]
	v_fmac_f64_e32 v[162:163], v[218:219], v[100:101]
	v_add_f64 v[140:141], v[140:141], v[160:161]
	s_waitcnt vmcnt(23) lgkmcnt(12)
	v_mul_f64 v[166:167], v[224:225], v[110:111]
	v_fmac_f64_e32 v[164:165], v[222:223], v[104:105]
	v_add_f64 v[140:141], v[140:141], v[162:163]
	;; [unrolled: 4-line block ×8, first 2 shown]
	v_fmac_f64_e32 v[178:179], v[146:147], v[12:13]
	v_add_f64 v[140:141], v[140:141], v[176:177]
	v_add_f64 v[140:141], v[140:141], v[178:179]
	ds_read_b128 v[176:179], v2 offset:992
	s_waitcnt vmcnt(16) lgkmcnt(6)
	v_mul_f64 v[180:181], v[136:137], v[18:19]
	s_waitcnt vmcnt(15) lgkmcnt(5)
	v_mul_f64 v[182:183], v[132:133], v[22:23]
	v_fmac_f64_e32 v[180:181], v[138:139], v[16:17]
	v_add_f64 v[152:153], v[140:141], v[180:181]
	v_fmac_f64_e32 v[182:183], v[134:135], v[20:21]
	scratch_load_dwordx4 v[140:143], off, off offset:560
	s_waitcnt vmcnt(15) lgkmcnt(4)
	v_mul_f64 v[154:155], v[128:129], v[26:27]
	v_add_f64 v[152:153], v[152:153], v[182:183]
	v_fmac_f64_e32 v[154:155], v[130:131], v[24:25]
	v_add_f64 v[160:161], v[152:153], v[154:155]
	ds_read_b128 v[180:183], v2 offset:1008
	s_waitcnt vmcnt(14) lgkmcnt(1)
	v_mul_f64 v[162:163], v[176:177], v[30:31]
	scratch_load_dwordx4 v[152:155], off, off offset:576
	v_fmac_f64_e32 v[162:163], v[178:179], v[28:29]
	v_add_f64 v[164:165], v[160:161], v[162:163]
	scratch_load_dwordx4 v[160:163], off, off offset:592
	s_waitcnt vmcnt(15) lgkmcnt(0)
	v_mul_f64 v[166:167], v[180:181], v[34:35]
	v_fmac_f64_e32 v[166:167], v[182:183], v[32:33]
	v_add_f64 v[168:169], v[164:165], v[166:167]
	s_waitcnt vmcnt(14)
	v_mul_f64 v[170:171], v[184:185], v[38:39]
	scratch_load_dwordx4 v[164:167], off, off offset:608
	v_fmac_f64_e32 v[170:171], v[186:187], v[36:37]
	v_add_f64 v[168:169], v[168:169], v[170:171]
	s_waitcnt vmcnt(14)
	v_mul_f64 v[170:171], v[188:189], v[42:43]
	scratch_load_dwordx4 v[172:175], off, off offset:624
	v_fmac_f64_e32 v[170:171], v[190:191], v[40:41]
	v_add_f64 v[232:233], v[168:169], v[170:171]
	scratch_load_dwordx4 v[168:171], off, off offset:640
	v_mul_f64 v[82:83], v[198:199], v[82:83]
	v_fma_f64 v[240:241], v[196:197], v[80:81], -v[82:83]
	ds_read_b128 v[196:199], v2 offset:1072
	s_waitcnt vmcnt(15)
	v_mul_f64 v[80:81], v[192:193], v[46:47]
	v_fmac_f64_e32 v[80:81], v[194:195], v[44:45]
	v_add_f64 v[232:233], v[232:233], v[80:81]
	v_mul_f64 v[80:81], v[202:203], v[86:87]
	v_fma_f64 v[242:243], v[200:201], v[84:85], -v[80:81]
	scratch_load_dwordx4 v[80:83], off, off offset:656
	ds_read_b128 v[84:87], v2 offset:1088
	v_mul_f64 v[90:91], v[206:207], v[90:91]
	v_fma_f64 v[252:253], v[204:205], v[88:89], -v[90:91]
	ds_read_b128 v[88:91], v2 offset:1104
	s_waitcnt vmcnt(15) lgkmcnt(2)
	v_mul_f64 v[200:201], v[196:197], v[50:51]
	v_fmac_f64_e32 v[200:201], v[198:199], v[48:49]
	s_waitcnt vmcnt(14) lgkmcnt(1)
	v_mul_f64 v[202:203], v[84:85], v[54:55]
	v_add_f64 v[200:201], v[232:233], v[200:201]
	v_fmac_f64_e32 v[202:203], v[86:87], v[52:53]
	v_mul_f64 v[94:95], v[210:211], v[94:95]
	v_fma_f64 v[254:255], v[208:209], v[92:93], -v[94:95]
	ds_read_b128 v[92:95], v2 offset:1120
	v_add_f64 v[200:201], v[200:201], v[202:203]
	s_waitcnt vmcnt(13) lgkmcnt(1)
	v_mul_f64 v[202:203], v[88:89], v[58:59]
	v_fmac_f64_e32 v[202:203], v[90:91], v[56:57]
	v_add_f64 v[204:205], v[200:201], v[202:203]
	ds_read_b128 v[200:203], v2 offset:1136
	v_mul_f64 v[98:99], v[214:215], v[98:99]
	v_fma_f64 v[232:233], v[212:213], v[96:97], -v[98:99]
	ds_read_b128 v[96:99], v2 offset:1152
	s_waitcnt vmcnt(12) lgkmcnt(2)
	v_mul_f64 v[206:207], v[92:93], v[62:63]
	v_fmac_f64_e32 v[206:207], v[94:95], v[60:61]
	v_add_f64 v[204:205], v[204:205], v[206:207]
	s_waitcnt vmcnt(11) lgkmcnt(1)
	v_mul_f64 v[206:207], v[200:201], v[66:67]
	v_fmac_f64_e32 v[206:207], v[202:203], v[64:65]
	v_mul_f64 v[102:103], v[218:219], v[102:103]
	v_add_f64 v[204:205], v[204:205], v[206:207]
	v_fma_f64 v[4:5], v[216:217], v[100:101], -v[102:103]
	ds_read_b128 v[100:103], v2 offset:1168
	s_waitcnt vmcnt(10) lgkmcnt(1)
	v_mul_f64 v[206:207], v[96:97], v[70:71]
	v_fmac_f64_e32 v[206:207], v[98:99], v[68:69]
	v_add_f64 v[208:209], v[204:205], v[206:207]
	ds_read_b128 v[204:207], v2 offset:1184
	v_mul_f64 v[106:107], v[222:223], v[106:107]
	v_fma_f64 v[0:1], v[220:221], v[104:105], -v[106:107]
	ds_read_b128 v[104:107], v2 offset:1200
	s_waitcnt vmcnt(9) lgkmcnt(2)
	v_mul_f64 v[210:211], v[100:101], v[74:75]
	v_fmac_f64_e32 v[210:211], v[102:103], v[72:73]
	v_add_f64 v[208:209], v[208:209], v[210:211]
	s_waitcnt vmcnt(8) lgkmcnt(1)
	v_mul_f64 v[210:211], v[204:205], v[78:79]
	v_fmac_f64_e32 v[210:211], v[206:207], v[76:77]
	v_mul_f64 v[6:7], v[226:227], v[110:111]
	v_fma_f64 v[6:7], v[224:225], v[108:109], -v[6:7]
	ds_read_b128 v[108:111], v2 offset:1216
	v_add_f64 v[208:209], v[208:209], v[210:211]
	s_waitcnt vmcnt(7) lgkmcnt(1)
	v_mul_f64 v[210:211], v[104:105], v[126:127]
	v_fmac_f64_e32 v[210:211], v[106:107], v[124:125]
	v_mul_f64 v[114:115], v[230:231], v[114:115]
	v_add_f64 v[212:213], v[208:209], v[210:211]
	ds_read_b128 v[208:211], v2 offset:1232
	v_fma_f64 v[112:113], v[228:229], v[112:113], -v[114:115]
	v_accvgpr_write_b32 a86, v112
	v_accvgpr_write_b32 a87, v113
	ds_read_b128 v[112:115], v2 offset:1248
	s_waitcnt vmcnt(6) lgkmcnt(2)
	v_mul_f64 v[214:215], v[108:109], v[142:143]
	v_fmac_f64_e32 v[214:215], v[110:111], v[140:141]
	v_add_f64 v[212:213], v[212:213], v[214:215]
	s_waitcnt vmcnt(5) lgkmcnt(1)
	v_mul_f64 v[214:215], v[208:209], v[154:155]
	v_fmac_f64_e32 v[214:215], v[210:211], v[152:153]
	v_mul_f64 v[118:119], v[246:247], v[118:119]
	v_add_f64 v[212:213], v[212:213], v[214:215]
	v_fma_f64 v[238:239], v[244:245], v[116:117], -v[118:119]
	ds_read_b128 v[116:119], v2 offset:1264
	s_waitcnt vmcnt(4) lgkmcnt(1)
	v_mul_f64 v[214:215], v[112:113], v[162:163]
	v_fmac_f64_e32 v[214:215], v[114:115], v[160:161]
	v_add_f64 v[216:217], v[212:213], v[214:215]
	ds_read_b128 v[212:215], v2 offset:1280
	v_mul_f64 v[122:123], v[250:251], v[122:123]
	v_fma_f64 v[244:245], v[248:249], v[120:121], -v[122:123]
	ds_read_b128 v[120:123], v2 offset:1296
	s_waitcnt vmcnt(3) lgkmcnt(2)
	v_mul_f64 v[218:219], v[116:117], v[166:167]
	v_fmac_f64_e32 v[218:219], v[118:119], v[164:165]
	v_add_f64 v[216:217], v[216:217], v[218:219]
	s_waitcnt vmcnt(2) lgkmcnt(1)
	v_mul_f64 v[218:219], v[212:213], v[174:175]
	v_fmac_f64_e32 v[218:219], v[214:215], v[172:173]
	v_add_f64 v[216:217], v[216:217], v[218:219]
	;; [unrolled: 4-line block ×3, first 2 shown]
	ds_read_b128 v[216:219], v2 offset:1312
	ds_read_b128 v[224:227], v2 offset:1328
	s_waitcnt vmcnt(0) lgkmcnt(1)
	v_mul_f64 v[222:223], v[216:217], v[82:83]
	v_fmac_f64_e32 v[222:223], v[218:219], v[80:81]
	v_add_f64 v[228:229], v[220:221], v[222:223]
	scratch_load_dwordx4 v[220:223], off, off offset:672
	s_waitcnt vmcnt(0) lgkmcnt(0)
	v_mul_f64 v[230:231], v[224:225], v[222:223]
	v_fmac_f64_e32 v[230:231], v[226:227], v[220:221]
	v_add_f64 v[248:249], v[228:229], v[230:231]
	v_add_f64 v[228:229], v[240:241], 0
	;; [unrolled: 1-line block ×7, first 2 shown]
	scratch_load_dwordx4 v[228:231], off, off offset:48
	v_add_f64 v[246:247], v[4:5], v[0:1]
	v_accvgpr_read_b32 v4, a86
	v_add_f64 v[0:1], v[246:247], v[6:7]
	v_accvgpr_read_b32 v5, a87
	v_add_f64 v[0:1], v[0:1], v[4:5]
	v_add_f64 v[0:1], v[0:1], v[238:239]
	v_mul_f64 v[4:5], v[158:159], v[236:237]
	v_add_f64 v[0:1], v[0:1], v[244:245]
	v_fma_f64 v[4:5], v[156:157], v[234:235], -v[4:5]
	v_add_f64 v[0:1], v[0:1], v[4:5]
	v_mul_f64 v[4:5], v[150:151], v[10:11]
	v_fma_f64 v[4:5], v[148:149], v[8:9], -v[4:5]
	v_add_f64 v[0:1], v[0:1], v[4:5]
	v_mul_f64 v[4:5], v[146:147], v[14:15]
	;; [unrolled: 3-line block ×27, first 2 shown]
	v_fma_f64 v[4:5], v[224:225], v[220:221], -v[4:5]
	v_add_f64 v[0:1], v[0:1], v[4:5]
	s_waitcnt vmcnt(0)
	v_add_f64 v[4:5], v[228:229], -v[0:1]
	v_accvgpr_read_b32 v0, a84
	v_add_f64 v[6:7], v[230:231], -v[248:249]
	v_cmp_lt_u32_e32 vcc, 1, v0
	scratch_store_dwordx4 off, v[4:7], off offset:48
	s_and_saveexec_b64 s[0:1], vcc
	s_cbranch_execz .LBB41_263
; %bb.262:
	scratch_load_dwordx4 v[6:9], off, s15
	v_mov_b32_e32 v3, v2
	v_mov_b32_e32 v4, v2
	;; [unrolled: 1-line block ×3, first 2 shown]
	v_accvgpr_read_b32 v0, a85
	scratch_store_dwordx4 off, v[2:5], off offset:32
	s_waitcnt vmcnt(1)
	ds_write_b128 v0, v[6:9]
.LBB41_263:
	s_or_b64 exec, exec, s[0:1]
	s_waitcnt lgkmcnt(0)
	; wave barrier
	scratch_load_dwordx4 v[132:135], off, off offset:48
	scratch_load_dwordx4 v[160:163], off, off offset:64
	;; [unrolled: 1-line block ×16, first 2 shown]
	ds_read_b128 v[156:159], v2 offset:704
	ds_read_b128 v[172:175], v2 offset:720
	scratch_load_dwordx4 v[24:27], off, off offset:304
	ds_read_b128 v[232:235], v2 offset:736
	ds_read_b128 v[228:231], v2 offset:752
	scratch_load_dwordx4 v[28:31], off, off offset:320
	ds_read_b128 v[236:239], v2 offset:768
	ds_read_b128 v[184:187], v2 offset:784
	;; [unrolled: 1-line block ×5, first 2 shown]
	scratch_load_dwordx4 v[32:35], off, off offset:336
	ds_read_b128 v[220:223], v2 offset:848
	ds_read_b128 v[216:219], v2 offset:864
	;; [unrolled: 1-line block ×3, first 2 shown]
	scratch_load_dwordx4 v[36:39], off, off offset:352
	ds_read_b128 v[64:67], v2 offset:896
	ds_read_b128 v[60:63], v2 offset:912
	;; [unrolled: 1-line block ×5, first 2 shown]
	scratch_load_dwordx4 v[52:55], off, off offset:368
	scratch_load_dwordx4 v[68:71], off, off offset:384
	;; [unrolled: 1-line block ×11, first 2 shown]
	ds_read_b128 v[144:147], v2 offset:1008
	ds_read_b128 v[148:151], v2 offset:1024
	;; [unrolled: 1-line block ×3, first 2 shown]
	s_waitcnt vmcnt(30) lgkmcnt(14)
	v_mul_f64 v[0:1], v[156:157], v[134:135]
	s_waitcnt vmcnt(29)
	v_mul_f64 v[108:109], v[172:173], v[162:163]
	v_fmac_f64_e32 v[0:1], v[158:159], v[132:133]
	s_waitcnt vmcnt(28)
	v_mul_f64 v[110:111], v[232:233], v[166:167]
	v_fmac_f64_e32 v[108:109], v[174:175], v[160:161]
	v_add_f64 v[0:1], v[0:1], 0
	s_waitcnt vmcnt(27)
	v_mul_f64 v[112:113], v[228:229], v[170:171]
	v_fmac_f64_e32 v[110:111], v[234:235], v[164:165]
	v_add_f64 v[0:1], v[0:1], v[108:109]
	;; [unrolled: 4-line block ×4, first 2 shown]
	s_waitcnt vmcnt(24) lgkmcnt(13)
	v_mul_f64 v[118:119], v[224:225], v[190:191]
	v_fmac_f64_e32 v[116:117], v[186:187], v[180:181]
	v_add_f64 v[0:1], v[0:1], v[114:115]
	s_waitcnt vmcnt(23) lgkmcnt(12)
	v_mul_f64 v[120:121], v[196:197], v[194:195]
	v_fmac_f64_e32 v[118:119], v[226:227], v[188:189]
	v_add_f64 v[0:1], v[0:1], v[116:117]
	;; [unrolled: 4-line block ×9, first 2 shown]
	v_fmac_f64_e32 v[138:139], v[58:59], v[16:17]
	v_add_f64 v[0:1], v[0:1], v[136:137]
	v_add_f64 v[0:1], v[0:1], v[138:139]
	ds_read_b128 v[136:139], v2 offset:976
	s_waitcnt vmcnt(15) lgkmcnt(5)
	v_mul_f64 v[140:141], v[48:49], v[22:23]
	v_fmac_f64_e32 v[140:141], v[50:51], v[20:21]
	s_waitcnt vmcnt(14) lgkmcnt(4)
	v_mul_f64 v[112:113], v[44:45], v[26:27]
	scratch_load_dwordx4 v[108:111], off, off offset:544
	v_add_f64 v[0:1], v[0:1], v[140:141]
	v_fmac_f64_e32 v[112:113], v[46:47], v[24:25]
	v_add_f64 v[0:1], v[0:1], v[112:113]
	scratch_load_dwordx4 v[112:115], off, off offset:560
	ds_read_b128 v[140:143], v2 offset:992
	s_waitcnt vmcnt(15) lgkmcnt(1)
	v_mul_f64 v[116:117], v[136:137], v[30:31]
	v_fmac_f64_e32 v[116:117], v[138:139], v[28:29]
	v_add_f64 v[0:1], v[0:1], v[116:117]
	scratch_load_dwordx4 v[116:119], off, off offset:576
	s_waitcnt vmcnt(15) lgkmcnt(0)
	v_mul_f64 v[120:121], v[140:141], v[34:35]
	v_fmac_f64_e32 v[120:121], v[142:143], v[32:33]
	s_waitcnt vmcnt(14)
	v_mul_f64 v[124:125], v[144:145], v[38:39]
	v_add_f64 v[0:1], v[0:1], v[120:121]
	scratch_load_dwordx4 v[120:123], off, off offset:592
	v_fmac_f64_e32 v[124:125], v[146:147], v[36:37]
	v_add_f64 v[0:1], v[0:1], v[124:125]
	s_waitcnt vmcnt(14)
	v_mul_f64 v[124:125], v[148:149], v[54:55]
	scratch_load_dwordx4 v[128:131], off, off offset:608
	v_fmac_f64_e32 v[124:125], v[150:151], v[52:53]
	v_add_f64 v[0:1], v[0:1], v[124:125]
	scratch_load_dwordx4 v[124:127], off, off offset:624
	v_mul_f64 v[134:135], v[158:159], v[134:135]
	v_fma_f64 v[240:241], v[156:157], v[132:133], -v[134:135]
	ds_read_b128 v[156:159], v2 offset:1056
	s_waitcnt vmcnt(15)
	v_mul_f64 v[132:133], v[152:153], v[70:71]
	v_fmac_f64_e32 v[132:133], v[154:155], v[68:69]
	v_add_f64 v[0:1], v[0:1], v[132:133]
	v_mul_f64 v[132:133], v[174:175], v[162:163]
	v_fma_f64 v[242:243], v[172:173], v[160:161], -v[132:133]
	scratch_load_dwordx4 v[132:135], off, off offset:640
	ds_read_b128 v[160:163], v2 offset:1072
	v_mul_f64 v[166:167], v[234:235], v[166:167]
	v_fma_f64 v[248:249], v[232:233], v[164:165], -v[166:167]
	ds_read_b128 v[164:167], v2 offset:1088
	s_waitcnt vmcnt(15) lgkmcnt(2)
	v_mul_f64 v[172:173], v[156:157], v[74:75]
	v_fmac_f64_e32 v[172:173], v[158:159], v[72:73]
	v_add_f64 v[0:1], v[0:1], v[172:173]
	s_waitcnt vmcnt(14) lgkmcnt(1)
	v_mul_f64 v[172:173], v[160:161], v[78:79]
	v_fmac_f64_e32 v[172:173], v[162:163], v[76:77]
	v_mul_f64 v[170:171], v[230:231], v[170:171]
	v_fma_f64 v[250:251], v[228:229], v[168:169], -v[170:171]
	ds_read_b128 v[168:171], v2 offset:1104
	v_add_f64 v[0:1], v[0:1], v[172:173]
	s_waitcnt vmcnt(13) lgkmcnt(1)
	v_mul_f64 v[172:173], v[164:165], v[82:83]
	v_fmac_f64_e32 v[172:173], v[166:167], v[80:81]
	v_add_f64 v[0:1], v[0:1], v[172:173]
	ds_read_b128 v[172:175], v2 offset:1120
	v_mul_f64 v[178:179], v[238:239], v[178:179]
	v_fma_f64 v[236:237], v[236:237], v[176:177], -v[178:179]
	ds_read_b128 v[176:179], v2 offset:1136
	s_waitcnt vmcnt(12) lgkmcnt(2)
	v_mul_f64 v[228:229], v[168:169], v[86:87]
	v_fmac_f64_e32 v[228:229], v[170:171], v[84:85]
	v_add_f64 v[0:1], v[0:1], v[228:229]
	s_waitcnt vmcnt(11) lgkmcnt(1)
	v_mul_f64 v[228:229], v[172:173], v[90:91]
	v_mul_f64 v[182:183], v[186:187], v[182:183]
	v_fmac_f64_e32 v[228:229], v[174:175], v[88:89]
	v_fma_f64 v[238:239], v[184:185], v[180:181], -v[182:183]
	ds_read_b128 v[180:183], v2 offset:1152
	s_waitcnt vmcnt(10) lgkmcnt(1)
	v_mul_f64 v[184:185], v[176:177], v[94:95]
	v_add_f64 v[0:1], v[0:1], v[228:229]
	v_fmac_f64_e32 v[184:185], v[178:179], v[92:93]
	v_add_f64 v[0:1], v[0:1], v[184:185]
	ds_read_b128 v[184:187], v2 offset:1168
	v_mul_f64 v[190:191], v[226:227], v[190:191]
	v_fma_f64 v[252:253], v[224:225], v[188:189], -v[190:191]
	ds_read_b128 v[188:191], v2 offset:1184
	s_waitcnt vmcnt(9) lgkmcnt(2)
	v_mul_f64 v[228:229], v[180:181], v[98:99]
	v_fmac_f64_e32 v[228:229], v[182:183], v[96:97]
	s_waitcnt vmcnt(8) lgkmcnt(1)
	v_mul_f64 v[224:225], v[184:185], v[102:103]
	v_mul_f64 v[194:195], v[198:199], v[194:195]
	v_add_f64 v[0:1], v[0:1], v[228:229]
	v_fmac_f64_e32 v[224:225], v[186:187], v[100:101]
	v_fma_f64 v[254:255], v[196:197], v[192:193], -v[194:195]
	s_waitcnt vmcnt(7) lgkmcnt(0)
	v_mul_f64 v[196:197], v[188:189], v[106:107]
	ds_read_b128 v[192:195], v2 offset:1200
	v_add_f64 v[0:1], v[0:1], v[224:225]
	v_fmac_f64_e32 v[196:197], v[190:191], v[104:105]
	v_add_f64 v[0:1], v[0:1], v[196:197]
	ds_read_b128 v[196:199], v2 offset:1216
	v_mul_f64 v[202:203], v[210:211], v[202:203]
	v_fma_f64 v[244:245], v[208:209], v[200:201], -v[202:203]
	ds_read_b128 v[200:203], v2 offset:1232
	s_waitcnt vmcnt(6) lgkmcnt(2)
	v_mul_f64 v[224:225], v[192:193], v[110:111]
	v_fmac_f64_e32 v[224:225], v[194:195], v[108:109]
	s_waitcnt vmcnt(5) lgkmcnt(1)
	v_mul_f64 v[208:209], v[196:197], v[114:115]
	v_add_f64 v[0:1], v[0:1], v[224:225]
	v_fmac_f64_e32 v[208:209], v[198:199], v[112:113]
	v_add_f64 v[208:209], v[0:1], v[208:209]
	v_mul_f64 v[0:1], v[222:223], v[206:207]
	v_fma_f64 v[0:1], v[220:221], v[204:205], -v[0:1]
	ds_read_b128 v[204:207], v2 offset:1248
	s_waitcnt vmcnt(4) lgkmcnt(1)
	v_mul_f64 v[210:211], v[200:201], v[118:119]
	v_fmac_f64_e32 v[210:211], v[202:203], v[116:117]
	v_add_f64 v[220:221], v[208:209], v[210:211]
	ds_read_b128 v[208:211], v2 offset:1264
	v_mul_f64 v[214:215], v[218:219], v[214:215]
	v_fma_f64 v[246:247], v[216:217], v[212:213], -v[214:215]
	ds_read_b128 v[212:215], v2 offset:1280
	s_waitcnt vmcnt(3) lgkmcnt(2)
	v_mul_f64 v[216:217], v[204:205], v[122:123]
	v_fmac_f64_e32 v[216:217], v[206:207], v[120:121]
	s_waitcnt vmcnt(2) lgkmcnt(1)
	v_mul_f64 v[218:219], v[208:209], v[130:131]
	v_add_f64 v[216:217], v[220:221], v[216:217]
	v_fmac_f64_e32 v[218:219], v[210:211], v[128:129]
	v_add_f64 v[216:217], v[216:217], v[218:219]
	s_waitcnt vmcnt(1) lgkmcnt(0)
	v_mul_f64 v[218:219], v[212:213], v[126:127]
	v_fmac_f64_e32 v[218:219], v[214:215], v[124:125]
	v_add_f64 v[220:221], v[216:217], v[218:219]
	ds_read_b128 v[216:219], v2 offset:1296
	ds_read_b128 v[224:227], v2 offset:1312
	scratch_load_dwordx4 v[232:235], off, off offset:672
	v_accvgpr_write_b32 a87, v1
	v_accvgpr_write_b32 a86, v0
	s_waitcnt vmcnt(1) lgkmcnt(1)
	v_mul_f64 v[222:223], v[216:217], v[134:135]
	v_fmac_f64_e32 v[222:223], v[218:219], v[132:133]
	v_add_f64 v[228:229], v[220:221], v[222:223]
	scratch_load_dwordx4 v[220:223], off, off offset:656
	v_mul_f64 v[6:7], v[42:43], v[6:7]
	v_fma_f64 v[4:5], v[40:41], v[4:5], -v[6:7]
	s_waitcnt vmcnt(0) lgkmcnt(0)
	v_mul_f64 v[230:231], v[224:225], v[222:223]
	v_fmac_f64_e32 v[230:231], v[226:227], v[220:221]
	v_add_f64 v[0:1], v[228:229], v[230:231]
	ds_read_b128 v[228:231], v2 offset:1328
	s_waitcnt lgkmcnt(0)
	v_mul_f64 v[2:3], v[228:229], v[234:235]
	v_fmac_f64_e32 v[2:3], v[230:231], v[232:233]
	v_add_f64 v[2:3], v[0:1], v[2:3]
	v_add_f64 v[0:1], v[240:241], 0
	;; [unrolled: 1-line block ×7, first 2 shown]
	scratch_load_dwordx4 v[236:239], off, off offset:32
	v_add_f64 v[0:1], v[0:1], v[252:253]
	v_add_f64 v[0:1], v[0:1], v[254:255]
	;; [unrolled: 1-line block ×3, first 2 shown]
	v_accvgpr_read_b32 v0, a86
	v_accvgpr_read_b32 v1, a87
	v_add_f64 v[0:1], v[248:249], v[0:1]
	v_add_f64 v[0:1], v[0:1], v[246:247]
	;; [unrolled: 1-line block ×3, first 2 shown]
	v_mul_f64 v[4:5], v[66:67], v[10:11]
	v_fma_f64 v[4:5], v[64:65], v[8:9], -v[4:5]
	v_add_f64 v[0:1], v[0:1], v[4:5]
	v_mul_f64 v[4:5], v[62:63], v[14:15]
	v_fma_f64 v[4:5], v[60:61], v[12:13], -v[4:5]
	v_add_f64 v[0:1], v[0:1], v[4:5]
	;; [unrolled: 3-line block ×28, first 2 shown]
	s_waitcnt vmcnt(0)
	v_add_f64 v[4:5], v[236:237], -v[0:1]
	v_accvgpr_read_b32 v0, a84
	v_add_f64 v[6:7], v[238:239], -v[2:3]
	v_cmp_ne_u32_e32 vcc, 0, v0
	scratch_store_dwordx4 off, v[4:7], off offset:32
	s_and_saveexec_b64 s[0:1], vcc
	s_cbranch_execz .LBB41_265
; %bb.264:
	scratch_load_dwordx4 v[2:5], off, off offset:16
	v_mov_b32_e32 v6, 0
	v_mov_b32_e32 v7, v6
	;; [unrolled: 1-line block ×4, first 2 shown]
	v_accvgpr_read_b32 v0, a85
	scratch_store_dwordx4 off, v[6:9], off offset:16
	s_waitcnt vmcnt(1)
	ds_write_b128 v0, v[2:5]
.LBB41_265:
	s_or_b64 exec, exec, s[0:1]
	s_waitcnt lgkmcnt(0)
	; wave barrier
	scratch_load_dwordx4 v[120:123], off, off offset:32
	scratch_load_dwordx4 v[124:127], off, off offset:48
	;; [unrolled: 1-line block ×16, first 2 shown]
	v_mov_b32_e32 v8, 0
	scratch_load_dwordx4 v[16:19], off, off offset:288
	scratch_load_dwordx4 v[20:23], off, off offset:304
	;; [unrolled: 1-line block ×14, first 2 shown]
	ds_read_b128 v[152:155], v8 offset:688
	ds_read_b128 v[164:167], v8 offset:704
	;; [unrolled: 1-line block ×21, first 2 shown]
	s_and_b64 vcc, exec, s[18:19]
	s_waitcnt vmcnt(29) lgkmcnt(14)
	v_mul_f64 v[88:89], v[152:153], v[122:123]
	s_waitcnt vmcnt(28)
	v_mul_f64 v[90:91], v[164:165], v[126:127]
	v_fmac_f64_e32 v[88:89], v[154:155], v[120:121]
	s_waitcnt vmcnt(27)
	v_mul_f64 v[96:97], v[176:177], v[158:159]
	v_fmac_f64_e32 v[90:91], v[166:167], v[124:125]
	v_add_f64 v[88:89], v[88:89], 0
	s_waitcnt vmcnt(26)
	v_mul_f64 v[98:99], v[188:189], v[162:163]
	v_fmac_f64_e32 v[96:97], v[178:179], v[156:157]
	v_add_f64 v[88:89], v[88:89], v[90:91]
	;; [unrolled: 4-line block ×5, first 2 shown]
	s_waitcnt vmcnt(22) lgkmcnt(13)
	v_mul_f64 v[106:107], v[220:221], v[186:187]
	v_fmac_f64_e32 v[104:105], v[218:219], v[180:181]
	v_add_f64 v[88:89], v[88:89], v[102:103]
	s_waitcnt vmcnt(21) lgkmcnt(12)
	v_mul_f64 v[108:109], v[224:225], v[194:195]
	v_fmac_f64_e32 v[106:107], v[222:223], v[184:185]
	v_add_f64 v[88:89], v[88:89], v[104:105]
	;; [unrolled: 4-line block ×9, first 2 shown]
	v_fmac_f64_e32 v[130:131], v[78:79], v[12:13]
	v_add_f64 v[88:89], v[88:89], v[128:129]
	v_add_f64 v[96:97], v[88:89], v[130:131]
	scratch_load_dwordx4 v[88:91], off, off offset:512
	v_accvgpr_write_b32 a92, v132
	ds_read_b128 v[128:131], v8 offset:960
	v_accvgpr_write_b32 a93, v133
	v_accvgpr_write_b32 a94, v134
	;; [unrolled: 1-line block ×3, first 2 shown]
	ds_read_b128 v[132:135], v8 offset:976
	s_waitcnt vmcnt(14) lgkmcnt(6)
	v_mul_f64 v[98:99], v[72:73], v[18:19]
	v_fmac_f64_e32 v[98:99], v[74:75], v[16:17]
	s_waitcnt vmcnt(13) lgkmcnt(1)
	v_mul_f64 v[102:103], v[128:129], v[22:23]
	v_add_f64 v[100:101], v[96:97], v[98:99]
	v_fmac_f64_e32 v[102:103], v[130:131], v[20:21]
	s_waitcnt vmcnt(12) lgkmcnt(0)
	v_mul_f64 v[106:107], v[132:133], v[26:27]
	v_mul_f64 v[122:123], v[154:155], v[122:123]
	v_add_f64 v[104:105], v[100:101], v[102:103]
	v_fmac_f64_e32 v[106:107], v[134:135], v[24:25]
	s_waitcnt vmcnt(11)
	v_mul_f64 v[110:111], v[136:137], v[30:31]
	v_fma_f64 v[240:241], v[152:153], v[120:121], -v[122:123]
	ds_read_b128 v[152:155], v8 offset:1056
	v_add_f64 v[108:109], v[104:105], v[106:107]
	v_fmac_f64_e32 v[110:111], v[138:139], v[28:29]
	s_waitcnt vmcnt(10)
	v_mul_f64 v[114:115], v[140:141], v[34:35]
	v_mul_f64 v[158:159], v[178:179], v[158:159]
	v_add_f64 v[112:113], v[108:109], v[110:111]
	v_fmac_f64_e32 v[114:115], v[142:143], v[32:33]
	v_fma_f64 v[250:251], v[176:177], v[156:157], -v[158:159]
	ds_read_b128 v[156:159], v8 offset:1072
	v_add_f64 v[112:113], v[112:113], v[114:115]
	s_waitcnt vmcnt(9)
	v_mul_f64 v[114:115], v[144:145], v[38:39]
	v_fmac_f64_e32 v[114:115], v[146:147], v[36:37]
	s_waitcnt vmcnt(8)
	v_mul_f64 v[238:239], v[148:149], v[42:43]
	scratch_load_dwordx4 v[96:99], off, off offset:528
	v_add_f64 v[236:237], v[112:113], v[114:115]
	v_mul_f64 v[120:121], v[166:167], v[126:127]
	v_fmac_f64_e32 v[238:239], v[150:151], v[40:41]
	s_waitcnt vmcnt(8) lgkmcnt(1)
	v_mul_f64 v[166:167], v[152:153], v[46:47]
	v_fma_f64 v[242:243], v[164:165], v[124:125], -v[120:121]
	v_add_f64 v[164:165], v[236:237], v[238:239]
	v_fmac_f64_e32 v[166:167], v[154:155], v[44:45]
	v_mul_f64 v[162:163], v[190:191], v[162:163]
	scratch_load_dwordx4 v[100:103], off, off offset:544
	scratch_load_dwordx4 v[104:107], off, off offset:560
	v_add_f64 v[164:165], v[164:165], v[166:167]
	v_fma_f64 v[252:253], v[188:189], v[160:161], -v[162:163]
	ds_read_b128 v[160:163], v8 offset:1088
	s_waitcnt vmcnt(9) lgkmcnt(1)
	v_mul_f64 v[166:167], v[156:157], v[50:51]
	v_fmac_f64_e32 v[166:167], v[158:159], v[48:49]
	v_add_f64 v[176:177], v[164:165], v[166:167]
	ds_read_b128 v[164:167], v8 offset:1104
	v_mul_f64 v[170:171], v[202:203], v[170:171]
	scratch_load_dwordx4 v[108:111], off, off offset:576
	scratch_load_dwordx4 v[112:115], off, off offset:608
	v_fma_f64 v[254:255], v[200:201], v[168:169], -v[170:171]
	ds_read_b128 v[168:171], v8 offset:1120
	s_waitcnt vmcnt(10) lgkmcnt(2)
	v_mul_f64 v[178:179], v[160:161], v[54:55]
	v_fmac_f64_e32 v[178:179], v[162:163], v[52:53]
	v_accvgpr_write_b32 a87, v3
	v_add_f64 v[176:177], v[176:177], v[178:179]
	s_waitcnt vmcnt(9) lgkmcnt(1)
	v_mul_f64 v[178:179], v[164:165], v[58:59]
	v_mul_f64 v[174:175], v[214:215], v[174:175]
	v_accvgpr_write_b32 a86, v2
	v_accvgpr_write_b32 a85, v1
	;; [unrolled: 1-line block ×3, first 2 shown]
	v_fmac_f64_e32 v[178:179], v[166:167], v[56:57]
	v_fma_f64 v[0:1], v[212:213], v[172:173], -v[174:175]
	ds_read_b128 v[172:175], v8 offset:1136
	s_waitcnt vmcnt(8) lgkmcnt(1)
	v_mul_f64 v[2:3], v[168:169], v[62:63]
	scratch_load_dwordx4 v[116:119], off, off offset:592
	v_add_f64 v[176:177], v[176:177], v[178:179]
	v_fmac_f64_e32 v[2:3], v[170:171], v[60:61]
	v_add_f64 v[2:3], v[176:177], v[2:3]
	ds_read_b128 v[176:179], v8 offset:1152
	v_mul_f64 v[182:183], v[218:219], v[182:183]
	v_fma_f64 v[236:237], v[216:217], v[180:181], -v[182:183]
	ds_read_b128 v[180:183], v8 offset:1168
	scratch_load_dwordx4 v[120:123], off, off offset:624
	scratch_load_dwordx4 v[124:127], off, off offset:640
	s_waitcnt vmcnt(10) lgkmcnt(2)
	v_mul_f64 v[188:189], v[172:173], v[66:67]
	v_fmac_f64_e32 v[188:189], v[174:175], v[64:65]
	v_accvgpr_write_b32 a91, v7
	v_add_f64 v[2:3], v[2:3], v[188:189]
	s_waitcnt vmcnt(9) lgkmcnt(1)
	v_mul_f64 v[188:189], v[176:177], v[70:71]
	v_accvgpr_write_b32 a90, v6
	v_accvgpr_write_b32 a89, v5
	;; [unrolled: 1-line block ×3, first 2 shown]
	v_fmac_f64_e32 v[188:189], v[178:179], v[68:69]
	s_waitcnt vmcnt(8) lgkmcnt(0)
	v_mul_f64 v[6:7], v[180:181], v[90:91]
	v_add_f64 v[2:3], v[2:3], v[188:189]
	v_fmac_f64_e32 v[6:7], v[182:183], v[88:89]
	scratch_load_dwordx4 v[216:219], off, off offset:656
	v_add_f64 v[2:3], v[2:3], v[6:7]
	v_mul_f64 v[6:7], v[226:227], v[194:195]
	v_fma_f64 v[6:7], v[224:225], v[192:193], -v[6:7]
	scratch_load_dwordx4 v[224:227], off, off offset:672
	v_mul_f64 v[186:187], v[222:223], v[186:187]
	v_fma_f64 v[248:249], v[220:221], v[184:185], -v[186:187]
	ds_read_b128 v[184:187], v8 offset:1184
	ds_read_b128 v[188:191], v8 offset:1200
	;; [unrolled: 1-line block ×3, first 2 shown]
	v_mul_f64 v[198:199], v[230:231], v[198:199]
	v_fma_f64 v[4:5], v[228:229], v[196:197], -v[198:199]
	ds_read_b128 v[196:199], v8 offset:1232
	v_mul_f64 v[210:211], v[246:247], v[210:211]
	v_fma_f64 v[244:245], v[244:245], v[208:209], -v[210:211]
	ds_read_b128 v[208:211], v8 offset:1280
	ds_read_b128 v[212:215], v8 offset:1296
	;; [unrolled: 1-line block ×4, first 2 shown]
	s_waitcnt vmcnt(9) lgkmcnt(7)
	v_mul_f64 v[200:201], v[184:185], v[98:99]
	v_fmac_f64_e32 v[200:201], v[186:187], v[96:97]
	v_add_f64 v[2:3], v[2:3], v[200:201]
	s_waitcnt vmcnt(8) lgkmcnt(6)
	v_mul_f64 v[200:201], v[188:189], v[102:103]
	v_fmac_f64_e32 v[200:201], v[190:191], v[100:101]
	s_waitcnt vmcnt(7) lgkmcnt(5)
	v_mul_f64 v[10:11], v[192:193], v[106:107]
	v_add_f64 v[2:3], v[2:3], v[200:201]
	v_fmac_f64_e32 v[10:11], v[194:195], v[104:105]
	v_add_f64 v[2:3], v[2:3], v[10:11]
	ds_read_b128 v[200:203], v8 offset:1248
	s_waitcnt vmcnt(6) lgkmcnt(5)
	v_mul_f64 v[10:11], v[196:197], v[110:111]
	v_fmac_f64_e32 v[10:11], v[198:199], v[108:109]
	v_add_f64 v[2:3], v[2:3], v[10:11]
	v_mul_f64 v[10:11], v[234:235], v[206:207]
	v_fma_f64 v[238:239], v[232:233], v[204:205], -v[10:11]
	ds_read_b128 v[204:207], v8 offset:1264
	scratch_load_dwordx4 v[232:235], off, off offset:16
	s_waitcnt vmcnt(5) lgkmcnt(1)
	v_mul_f64 v[10:11], v[200:201], v[118:119]
	v_fmac_f64_e32 v[10:11], v[202:203], v[116:117]
	v_add_f64 v[2:3], v[2:3], v[10:11]
	s_waitcnt lgkmcnt(0)
	v_mul_f64 v[10:11], v[204:205], v[114:115]
	v_fmac_f64_e32 v[10:11], v[206:207], v[112:113]
	v_add_f64 v[2:3], v[2:3], v[10:11]
	s_waitcnt vmcnt(4)
	v_mul_f64 v[10:11], v[208:209], v[122:123]
	v_fmac_f64_e32 v[10:11], v[210:211], v[120:121]
	v_add_f64 v[2:3], v[2:3], v[10:11]
	s_waitcnt vmcnt(3)
	;; [unrolled: 4-line block ×4, first 2 shown]
	v_mul_f64 v[10:11], v[228:229], v[226:227]
	v_fmac_f64_e32 v[10:11], v[230:231], v[224:225]
	v_add_f64 v[2:3], v[2:3], v[10:11]
	v_add_f64 v[10:11], v[240:241], 0
	;; [unrolled: 1-line block ×12, first 2 shown]
	v_accvgpr_read_b32 v239, a87
	v_accvgpr_read_b32 v238, a86
	;; [unrolled: 1-line block ×4, first 2 shown]
	v_mul_f64 v[4:5], v[94:95], v[238:239]
	v_fma_f64 v[4:5], v[92:93], v[236:237], -v[4:5]
	v_accvgpr_read_b32 v95, a91
	v_add_f64 v[0:1], v[0:1], v[244:245]
	v_accvgpr_read_b32 v94, a90
	v_add_f64 v[0:1], v[0:1], v[4:5]
	v_accvgpr_read_b32 v93, a89
	v_accvgpr_read_b32 v92, a88
	v_mul_f64 v[4:5], v[86:87], v[94:95]
	v_fma_f64 v[4:5], v[84:85], v[92:93], -v[4:5]
	v_accvgpr_read_b32 v84, a92
	v_accvgpr_read_b32 v86, a94
	;; [unrolled: 1-line block ×3, first 2 shown]
	v_add_f64 v[0:1], v[0:1], v[4:5]
	v_accvgpr_read_b32 v85, a93
	v_mul_f64 v[4:5], v[82:83], v[86:87]
	v_fma_f64 v[4:5], v[80:81], v[84:85], -v[4:5]
	v_add_f64 v[0:1], v[0:1], v[4:5]
	v_mul_f64 v[4:5], v[78:79], v[14:15]
	v_fma_f64 v[4:5], v[76:77], v[12:13], -v[4:5]
	v_add_f64 v[0:1], v[0:1], v[4:5]
	;; [unrolled: 3-line block ×27, first 2 shown]
	s_waitcnt vmcnt(0)
	v_add_f64 v[0:1], v[232:233], -v[0:1]
	v_add_f64 v[2:3], v[234:235], -v[2:3]
	scratch_store_dwordx4 off, v[0:3], off offset:16
	s_cbranch_vccz .LBB41_348
; %bb.266:
	global_load_dword v0, v8, s[16:17] offset:160
	s_waitcnt vmcnt(0)
	v_readfirstlane_b32 s0, v0
	s_add_i32 s0, s0, -1
	s_cmp_lg_u32 s0, 40
	s_cbranch_scc0 .LBB41_268
; %bb.267:
	s_lshl_b32 s0, s0, 4
	s_add_i32 s0, s0, 16
	scratch_load_dwordx4 v[0:3], off, s0
	scratch_load_dwordx4 v[4:7], off, s54
	s_waitcnt vmcnt(1)
	scratch_store_dwordx4 off, v[0:3], s54
	s_waitcnt vmcnt(1)
	scratch_store_dwordx4 off, v[4:7], s0
.LBB41_268:
	v_mov_b32_e32 v0, 0
	global_load_dword v1, v0, s[16:17] offset:156
	s_waitcnt vmcnt(0)
	v_readfirstlane_b32 s0, v1
	s_add_i32 s0, s0, -1
	s_cmp_eq_u32 s0, 39
	s_cbranch_scc1 .LBB41_270
; %bb.269:
	s_lshl_b32 s0, s0, 4
	s_add_i32 s0, s0, 16
	scratch_load_dwordx4 v[2:5], off, s0
	scratch_load_dwordx4 v[6:9], off, s53
	s_waitcnt vmcnt(1)
	scratch_store_dwordx4 off, v[2:5], s53
	s_waitcnt vmcnt(1)
	scratch_store_dwordx4 off, v[6:9], s0
.LBB41_270:
	global_load_dword v0, v0, s[16:17] offset:152
	s_waitcnt vmcnt(0)
	v_readfirstlane_b32 s0, v0
	s_add_i32 s0, s0, -1
	s_cmp_eq_u32 s0, 38
	s_cbranch_scc1 .LBB41_272
; %bb.271:
	s_lshl_b32 s0, s0, 4
	s_add_i32 s0, s0, 16
	scratch_load_dwordx4 v[0:3], off, s0
	scratch_load_dwordx4 v[4:7], off, s52
	s_waitcnt vmcnt(1)
	scratch_store_dwordx4 off, v[0:3], s52
	s_waitcnt vmcnt(1)
	scratch_store_dwordx4 off, v[4:7], s0
.LBB41_272:
	v_mov_b32_e32 v0, 0
	global_load_dword v1, v0, s[16:17] offset:148
	s_waitcnt vmcnt(0)
	v_readfirstlane_b32 s0, v1
	s_add_i32 s0, s0, -1
	s_cmp_eq_u32 s0, 37
	s_cbranch_scc1 .LBB41_274
; %bb.273:
	s_lshl_b32 s0, s0, 4
	s_add_i32 s0, s0, 16
	scratch_load_dwordx4 v[2:5], off, s0
	scratch_load_dwordx4 v[6:9], off, s51
	s_waitcnt vmcnt(1)
	scratch_store_dwordx4 off, v[2:5], s51
	s_waitcnt vmcnt(1)
	scratch_store_dwordx4 off, v[6:9], s0
.LBB41_274:
	global_load_dword v0, v0, s[16:17] offset:144
	s_waitcnt vmcnt(0)
	v_readfirstlane_b32 s0, v0
	s_add_i32 s0, s0, -1
	s_cmp_eq_u32 s0, 36
	s_cbranch_scc1 .LBB41_276
; %bb.275:
	s_lshl_b32 s0, s0, 4
	s_add_i32 s0, s0, 16
	scratch_load_dwordx4 v[0:3], off, s0
	scratch_load_dwordx4 v[4:7], off, s50
	s_waitcnt vmcnt(1)
	scratch_store_dwordx4 off, v[0:3], s50
	s_waitcnt vmcnt(1)
	scratch_store_dwordx4 off, v[4:7], s0
.LBB41_276:
	;; [unrolled: 33-line block ×19, first 2 shown]
	v_mov_b32_e32 v0, 0
	global_load_dword v1, v0, s[16:17] offset:4
	s_waitcnt vmcnt(0)
	v_readfirstlane_b32 s0, v1
	s_add_i32 s0, s0, -1
	s_cmp_eq_u32 s0, 1
	s_cbranch_scc1 .LBB41_346
; %bb.345:
	s_lshl_b32 s0, s0, 4
	s_add_i32 s0, s0, 16
	scratch_load_dwordx4 v[2:5], off, s0
	scratch_load_dwordx4 v[6:9], off, s15
	s_waitcnt vmcnt(1)
	scratch_store_dwordx4 off, v[2:5], s15
	s_waitcnt vmcnt(1)
	scratch_store_dwordx4 off, v[6:9], s0
.LBB41_346:
	global_load_dword v0, v0, s[16:17]
	s_waitcnt vmcnt(0)
	v_readfirstlane_b32 s0, v0
	s_add_i32 s0, s0, -1
	s_cmp_eq_u32 s0, 0
	s_cbranch_scc1 .LBB41_348
; %bb.347:
	s_lshl_b32 s0, s0, 4
	s_add_i32 s0, s0, 16
	scratch_load_dwordx4 v[0:3], off, s0
	scratch_load_dwordx4 v[4:7], off, off offset:16
	s_waitcnt vmcnt(1)
	scratch_store_dwordx4 off, v[0:3], off offset:16
	s_waitcnt vmcnt(1)
	scratch_store_dwordx4 off, v[4:7], s0
.LBB41_348:
	scratch_load_dwordx4 v[0:3], off, off offset:16
	s_nop 0
	scratch_load_dwordx4 v[4:7], off, s15
	scratch_load_dwordx4 v[8:11], off, s12
	;; [unrolled: 1-line block ×10, first 2 shown]
                                        ; kill: killed $sgpr15
                                        ; kill: killed $sgpr56
                                        ; kill: killed $sgpr22
                                        ; kill: killed $sgpr20
                                        ; kill: killed $sgpr14
                                        ; kill: killed $sgpr57
                                        ; kill: killed $sgpr13
                                        ; kill: killed $sgpr23
                                        ; kill: killed $sgpr12
                                        ; kill: killed $sgpr21
	scratch_load_dwordx4 v[44:47], off, s24
	scratch_load_dwordx4 v[48:51], off, s25
	;; [unrolled: 1-line block ×31, first 2 shown]
	v_accvgpr_read_b32 v169, a1
	v_accvgpr_read_b32 v168, a0
	s_waitcnt vmcnt(41)
	global_store_dwordx4 v[168:169], v[0:3], off
	s_nop 1
	v_accvgpr_read_b32 v0, a2
	v_accvgpr_read_b32 v1, a3
	s_waitcnt vmcnt(41)
	global_store_dwordx4 v[0:1], v[4:7], off
	v_accvgpr_read_b32 v0, a4
	v_accvgpr_read_b32 v1, a5
	s_waitcnt vmcnt(41)
	global_store_dwordx4 v[0:1], v[8:11], off
	;; [unrolled: 4-line block ×41, first 2 shown]
	s_endpgm
	.section	.rodata,"a",@progbits
	.p2align	6, 0x0
	.amdhsa_kernel _ZN9rocsolver6v33100L18getri_kernel_smallILi42E19rocblas_complex_numIdEPS3_EEvT1_iilPiilS6_bb
		.amdhsa_group_segment_fixed_size 1352
		.amdhsa_private_segment_fixed_size 704
		.amdhsa_kernarg_size 60
		.amdhsa_user_sgpr_count 2
		.amdhsa_user_sgpr_dispatch_ptr 0
		.amdhsa_user_sgpr_queue_ptr 0
		.amdhsa_user_sgpr_kernarg_segment_ptr 1
		.amdhsa_user_sgpr_dispatch_id 0
		.amdhsa_user_sgpr_kernarg_preload_length 0
		.amdhsa_user_sgpr_kernarg_preload_offset 0
		.amdhsa_user_sgpr_private_segment_size 0
		.amdhsa_uses_dynamic_stack 0
		.amdhsa_enable_private_segment 1
		.amdhsa_system_sgpr_workgroup_id_x 1
		.amdhsa_system_sgpr_workgroup_id_y 0
		.amdhsa_system_sgpr_workgroup_id_z 0
		.amdhsa_system_sgpr_workgroup_info 0
		.amdhsa_system_vgpr_workitem_id 0
		.amdhsa_next_free_vgpr 352
		.amdhsa_next_free_sgpr 58
		.amdhsa_accum_offset 256
		.amdhsa_reserve_vcc 1
		.amdhsa_float_round_mode_32 0
		.amdhsa_float_round_mode_16_64 0
		.amdhsa_float_denorm_mode_32 3
		.amdhsa_float_denorm_mode_16_64 3
		.amdhsa_dx10_clamp 1
		.amdhsa_ieee_mode 1
		.amdhsa_fp16_overflow 0
		.amdhsa_tg_split 0
		.amdhsa_exception_fp_ieee_invalid_op 0
		.amdhsa_exception_fp_denorm_src 0
		.amdhsa_exception_fp_ieee_div_zero 0
		.amdhsa_exception_fp_ieee_overflow 0
		.amdhsa_exception_fp_ieee_underflow 0
		.amdhsa_exception_fp_ieee_inexact 0
		.amdhsa_exception_int_div_zero 0
	.end_amdhsa_kernel
	.section	.text._ZN9rocsolver6v33100L18getri_kernel_smallILi42E19rocblas_complex_numIdEPS3_EEvT1_iilPiilS6_bb,"axG",@progbits,_ZN9rocsolver6v33100L18getri_kernel_smallILi42E19rocblas_complex_numIdEPS3_EEvT1_iilPiilS6_bb,comdat
.Lfunc_end41:
	.size	_ZN9rocsolver6v33100L18getri_kernel_smallILi42E19rocblas_complex_numIdEPS3_EEvT1_iilPiilS6_bb, .Lfunc_end41-_ZN9rocsolver6v33100L18getri_kernel_smallILi42E19rocblas_complex_numIdEPS3_EEvT1_iilPiilS6_bb
                                        ; -- End function
	.set _ZN9rocsolver6v33100L18getri_kernel_smallILi42E19rocblas_complex_numIdEPS3_EEvT1_iilPiilS6_bb.num_vgpr, 256
	.set _ZN9rocsolver6v33100L18getri_kernel_smallILi42E19rocblas_complex_numIdEPS3_EEvT1_iilPiilS6_bb.num_agpr, 96
	.set _ZN9rocsolver6v33100L18getri_kernel_smallILi42E19rocblas_complex_numIdEPS3_EEvT1_iilPiilS6_bb.numbered_sgpr, 58
	.set _ZN9rocsolver6v33100L18getri_kernel_smallILi42E19rocblas_complex_numIdEPS3_EEvT1_iilPiilS6_bb.num_named_barrier, 0
	.set _ZN9rocsolver6v33100L18getri_kernel_smallILi42E19rocblas_complex_numIdEPS3_EEvT1_iilPiilS6_bb.private_seg_size, 704
	.set _ZN9rocsolver6v33100L18getri_kernel_smallILi42E19rocblas_complex_numIdEPS3_EEvT1_iilPiilS6_bb.uses_vcc, 1
	.set _ZN9rocsolver6v33100L18getri_kernel_smallILi42E19rocblas_complex_numIdEPS3_EEvT1_iilPiilS6_bb.uses_flat_scratch, 0
	.set _ZN9rocsolver6v33100L18getri_kernel_smallILi42E19rocblas_complex_numIdEPS3_EEvT1_iilPiilS6_bb.has_dyn_sized_stack, 0
	.set _ZN9rocsolver6v33100L18getri_kernel_smallILi42E19rocblas_complex_numIdEPS3_EEvT1_iilPiilS6_bb.has_recursion, 0
	.set _ZN9rocsolver6v33100L18getri_kernel_smallILi42E19rocblas_complex_numIdEPS3_EEvT1_iilPiilS6_bb.has_indirect_call, 0
	.section	.AMDGPU.csdata,"",@progbits
; Kernel info:
; codeLenInByte = 76848
; TotalNumSgprs: 64
; NumVgprs: 256
; NumAgprs: 96
; TotalNumVgprs: 352
; ScratchSize: 704
; MemoryBound: 0
; FloatMode: 240
; IeeeMode: 1
; LDSByteSize: 1352 bytes/workgroup (compile time only)
; SGPRBlocks: 7
; VGPRBlocks: 43
; NumSGPRsForWavesPerEU: 64
; NumVGPRsForWavesPerEU: 352
; AccumOffset: 256
; Occupancy: 1
; WaveLimiterHint : 1
; COMPUTE_PGM_RSRC2:SCRATCH_EN: 1
; COMPUTE_PGM_RSRC2:USER_SGPR: 2
; COMPUTE_PGM_RSRC2:TRAP_HANDLER: 0
; COMPUTE_PGM_RSRC2:TGID_X_EN: 1
; COMPUTE_PGM_RSRC2:TGID_Y_EN: 0
; COMPUTE_PGM_RSRC2:TGID_Z_EN: 0
; COMPUTE_PGM_RSRC2:TIDIG_COMP_CNT: 0
; COMPUTE_PGM_RSRC3_GFX90A:ACCUM_OFFSET: 63
; COMPUTE_PGM_RSRC3_GFX90A:TG_SPLIT: 0
	.section	.text._ZN9rocsolver6v33100L18getri_kernel_smallILi43E19rocblas_complex_numIdEPS3_EEvT1_iilPiilS6_bb,"axG",@progbits,_ZN9rocsolver6v33100L18getri_kernel_smallILi43E19rocblas_complex_numIdEPS3_EEvT1_iilPiilS6_bb,comdat
	.globl	_ZN9rocsolver6v33100L18getri_kernel_smallILi43E19rocblas_complex_numIdEPS3_EEvT1_iilPiilS6_bb ; -- Begin function _ZN9rocsolver6v33100L18getri_kernel_smallILi43E19rocblas_complex_numIdEPS3_EEvT1_iilPiilS6_bb
	.p2align	8
	.type	_ZN9rocsolver6v33100L18getri_kernel_smallILi43E19rocblas_complex_numIdEPS3_EEvT1_iilPiilS6_bb,@function
_ZN9rocsolver6v33100L18getri_kernel_smallILi43E19rocblas_complex_numIdEPS3_EEvT1_iilPiilS6_bb: ; @_ZN9rocsolver6v33100L18getri_kernel_smallILi43E19rocblas_complex_numIdEPS3_EEvT1_iilPiilS6_bb
; %bb.0:
	v_mov_b32_e32 v244, v0
	v_cmp_gt_u32_e32 vcc, 43, v244
	s_and_saveexec_b64 s[4:5], vcc
	s_cbranch_execz .LBB42_186
; %bb.1:
	s_load_dword s8, s[0:1], 0x38
	s_load_dwordx4 s[12:15], s[0:1], 0x10
	s_load_dwordx4 s[4:7], s[0:1], 0x28
                                        ; implicit-def: $sgpr16_sgpr17
	s_waitcnt lgkmcnt(0)
	s_bitcmp1_b32 s8, 8
	s_cselect_b64 s[18:19], -1, 0
	s_ashr_i32 s3, s2, 31
	s_bfe_u32 s8, s8, 0x10008
	s_cmp_eq_u32 s8, 0
	s_cbranch_scc1 .LBB42_3
; %bb.2:
	s_load_dword s8, s[0:1], 0x20
	s_mul_i32 s9, s4, s3
	s_mul_hi_u32 s10, s4, s2
	s_mul_i32 s5, s5, s2
	s_add_i32 s10, s10, s9
	s_add_i32 s5, s10, s5
	s_mul_i32 s4, s4, s2
	s_waitcnt lgkmcnt(0)
	s_ashr_i32 s9, s8, 31
	s_lshl_b64 s[4:5], s[4:5], 2
	s_add_u32 s10, s14, s4
	s_addc_u32 s11, s15, s5
	s_lshl_b64 s[4:5], s[8:9], 2
	s_add_u32 s16, s10, s4
	s_addc_u32 s17, s11, s5
.LBB42_3:
	s_load_dwordx4 s[8:11], s[0:1], 0x0
	s_load_dword s4, s[0:1], 0x38
	s_mul_i32 s5, s12, s3
	s_mul_hi_u32 s14, s12, s2
	s_add_i32 s5, s14, s5
	s_waitcnt lgkmcnt(0)
	s_ashr_i32 s1, s10, 31
	s_mov_b32 s0, s10
	s_mul_i32 s10, s13, s2
	s_add_i32 s13, s5, s10
	s_mul_i32 s12, s12, s2
	s_lshl_b64 s[12:13], s[12:13], 4
	s_add_u32 s5, s8, s12
	s_addc_u32 s8, s9, s13
	s_lshl_b64 s[0:1], s[0:1], 4
	s_add_u32 s0, s5, s0
	s_addc_u32 s1, s8, s1
	v_lshlrev_b32_e32 v66, 4, v244
	v_mov_b32_e32 v67, 0
	v_lshl_add_u64 v[0:1], s[0:1], 0, v[66:67]
	s_add_i32 s5, s11, s11
	s_ashr_i32 s9, s11, 31
	s_mov_b32 s8, s11
	v_accvgpr_write_b32 a0, v0
	v_add_u32_e32 v2, s5, v244
	global_load_dwordx4 v[58:61], v66, s[0:1]
	v_accvgpr_write_b32 a1, v1
	v_lshl_add_u64 v[0:1], s[8:9], 4, v[0:1]
	v_ashrrev_i32_e32 v3, 31, v2
	v_lshl_add_u64 v[4:5], v[2:3], 4, s[0:1]
	global_load_dwordx4 v[62:65], v[0:1], off
	global_load_dwordx4 v[68:71], v[4:5], off
	v_accvgpr_write_b32 a4, v4
	v_add_u32_e32 v2, s11, v2
	v_accvgpr_write_b32 a5, v5
	v_add_u32_e32 v4, s11, v2
	v_add_u32_e32 v10, s11, v4
	v_accvgpr_write_b32 a3, v1
	v_ashrrev_i32_e32 v3, 31, v2
	v_ashrrev_i32_e32 v5, 31, v4
	v_add_u32_e32 v12, s11, v10
	v_accvgpr_write_b32 a2, v0
	v_lshl_add_u64 v[0:1], v[2:3], 4, s[0:1]
	v_lshl_add_u64 v[6:7], v[4:5], 4, s[0:1]
	v_add_u32_e32 v18, s11, v12
	v_ashrrev_i32_e32 v11, 31, v10
	v_accvgpr_write_b32 a7, v1
	v_accvgpr_write_b32 a9, v7
	v_ashrrev_i32_e32 v13, 31, v12
	v_add_u32_e32 v20, s11, v18
	v_accvgpr_write_b32 a6, v0
	global_load_dwordx4 v[2:5], v[0:1], off
	v_accvgpr_write_b32 a8, v6
	global_load_dwordx4 v[6:9], v[6:7], off
	v_lshl_add_u64 v[0:1], v[10:11], 4, s[0:1]
	v_lshl_add_u64 v[14:15], v[12:13], 4, s[0:1]
	v_add_u32_e32 v26, s11, v20
	v_ashrrev_i32_e32 v19, 31, v18
	v_accvgpr_write_b32 a11, v1
	v_accvgpr_write_b32 a12, v14
	v_ashrrev_i32_e32 v21, 31, v20
	v_add_u32_e32 v28, s11, v26
	v_accvgpr_write_b32 a10, v0
	global_load_dwordx4 v[10:13], v[0:1], off
	v_accvgpr_write_b32 a13, v15
	global_load_dwordx4 v[14:17], v[14:15], off
	;; [unrolled: 12-line block ×5, first 2 shown]
	v_lshl_add_u64 v[0:1], v[42:43], 4, s[0:1]
	v_lshl_add_u64 v[46:47], v[44:45], 4, s[0:1]
	v_ashrrev_i32_e32 v53, 31, v52
	v_ashrrev_i32_e32 v51, 31, v50
	v_accvgpr_write_b32 a27, v1
	v_accvgpr_write_b32 a28, v46
	v_add_u32_e32 v72, s11, v52
	v_lshl_add_u64 v[54:55], v[52:53], 4, s[0:1]
	v_accvgpr_write_b32 a26, v0
	global_load_dwordx4 v[42:45], v[0:1], off
	v_accvgpr_write_b32 a29, v47
	global_load_dwordx4 v[46:49], v[46:47], off
	v_lshl_add_u64 v[0:1], v[50:51], 4, s[0:1]
	v_add_u32_e32 v74, s11, v72
	v_accvgpr_write_b32 a32, v54
	v_ashrrev_i32_e32 v73, 31, v72
	v_accvgpr_write_b32 a31, v1
	global_load_dwordx4 v[50:53], v[0:1], off
	v_accvgpr_write_b32 a33, v55
	global_load_dwordx4 v[54:57], v[54:55], off
	v_ashrrev_i32_e32 v75, 31, v74
	s_waitcnt vmcnt(16)
	scratch_store_dwordx4 off, v[58:61], off offset:16
	s_waitcnt vmcnt(16)
	scratch_store_dwordx4 off, v[62:65], off offset:32
	;; [unrolled: 2-line block ×3, first 2 shown]
	v_accvgpr_write_b32 a30, v0
	v_lshl_add_u64 v[0:1], v[72:73], 4, s[0:1]
	v_add_u32_e32 v68, s11, v74
	v_lshl_add_u64 v[72:73], v[74:75], 4, s[0:1]
	v_add_u32_e32 v76, s11, v68
	v_accvgpr_write_b32 a36, v72
	v_ashrrev_i32_e32 v77, 31, v76
	global_load_dwordx4 v[58:61], v[0:1], off
	global_load_dwordx4 v[62:65], v[72:73], off
	v_accvgpr_write_b32 a37, v73
	v_lshl_add_u64 v[72:73], v[76:77], 4, s[0:1]
	v_add_u32_e32 v76, s11, v76
	v_add_u32_e32 v84, s11, v76
	v_ashrrev_i32_e32 v85, 31, v84
	v_lshl_add_u64 v[80:81], v[84:85], 4, s[0:1]
	v_add_u32_e32 v84, s11, v84
	v_add_u32_e32 v92, s11, v84
	v_ashrrev_i32_e32 v93, 31, v92
	;; [unrolled: 4-line block ×3, first 2 shown]
	v_accvgpr_write_b32 a35, v1
	v_ashrrev_i32_e32 v69, 31, v68
	v_lshl_add_u64 v[96:97], v[100:101], 4, s[0:1]
	v_add_u32_e32 v100, s11, v100
	v_accvgpr_write_b32 a34, v0
	v_lshl_add_u64 v[0:1], v[68:69], 4, s[0:1]
	v_add_u32_e32 v108, s11, v100
	v_accvgpr_write_b32 a39, v1
	v_accvgpr_write_b32 a40, v72
	v_ashrrev_i32_e32 v77, 31, v76
	v_ashrrev_i32_e32 v109, 31, v108
	v_accvgpr_write_b32 a38, v0
	global_load_dwordx4 v[68:71], v[0:1], off
	v_accvgpr_write_b32 a41, v73
	global_load_dwordx4 v[72:75], v[72:73], off
	v_lshl_add_u64 v[0:1], v[76:77], 4, s[0:1]
	v_lshl_add_u64 v[104:105], v[108:109], 4, s[0:1]
	v_add_u32_e32 v108, s11, v108
	v_accvgpr_write_b32 a43, v1
	v_accvgpr_write_b32 a44, v80
	v_ashrrev_i32_e32 v85, 31, v84
	v_add_u32_e32 v116, s11, v108
	v_accvgpr_write_b32 a42, v0
	global_load_dwordx4 v[76:79], v[0:1], off
	v_accvgpr_write_b32 a45, v81
	global_load_dwordx4 v[80:83], v[80:81], off
	v_lshl_add_u64 v[0:1], v[84:85], 4, s[0:1]
	v_ashrrev_i32_e32 v117, 31, v116
	v_accvgpr_write_b32 a47, v1
	v_accvgpr_write_b32 a48, v88
	v_ashrrev_i32_e32 v93, 31, v92
	v_lshl_add_u64 v[112:113], v[116:117], 4, s[0:1]
	v_add_u32_e32 v116, s11, v116
	v_accvgpr_write_b32 a46, v0
	global_load_dwordx4 v[84:87], v[0:1], off
	v_accvgpr_write_b32 a49, v89
	global_load_dwordx4 v[88:91], v[88:89], off
	v_lshl_add_u64 v[0:1], v[92:93], 4, s[0:1]
	v_add_u32_e32 v124, s11, v116
	v_accvgpr_write_b32 a51, v1
	v_accvgpr_write_b32 a52, v96
	v_ashrrev_i32_e32 v101, 31, v100
	v_ashrrev_i32_e32 v125, 31, v124
	v_accvgpr_write_b32 a50, v0
	global_load_dwordx4 v[92:95], v[0:1], off
	v_accvgpr_write_b32 a53, v97
	global_load_dwordx4 v[96:99], v[96:97], off
	v_lshl_add_u64 v[0:1], v[100:101], 4, s[0:1]
	v_lshl_add_u64 v[120:121], v[124:125], 4, s[0:1]
	v_add_u32_e32 v124, s11, v124
	v_accvgpr_write_b32 a55, v1
	v_accvgpr_write_b32 a56, v104
	v_ashrrev_i32_e32 v109, 31, v108
	v_add_u32_e32 v132, s11, v124
	v_accvgpr_write_b32 a54, v0
	global_load_dwordx4 v[100:103], v[0:1], off
	v_accvgpr_write_b32 a57, v105
	global_load_dwordx4 v[104:107], v[104:105], off
	v_lshl_add_u64 v[0:1], v[108:109], 4, s[0:1]
	v_ashrrev_i32_e32 v133, 31, v132
	v_accvgpr_write_b32 a59, v1
	v_accvgpr_write_b32 a60, v112
	v_ashrrev_i32_e32 v117, 31, v116
	v_lshl_add_u64 v[128:129], v[132:133], 4, s[0:1]
	v_add_u32_e32 v132, s11, v132
	v_accvgpr_write_b32 a58, v0
	global_load_dwordx4 v[108:111], v[0:1], off
	v_accvgpr_write_b32 a61, v113
	global_load_dwordx4 v[112:115], v[112:113], off
	;; [unrolled: 32-line block ×3, first 2 shown]
	v_lshl_add_u64 v[0:1], v[140:141], 4, s[0:1]
	v_add_u32_e32 v156, s11, v148
	v_accvgpr_write_b32 a75, v1
	v_accvgpr_write_b32 a76, v144
	v_ashrrev_i32_e32 v149, 31, v148
	v_ashrrev_i32_e32 v157, 31, v156
	v_accvgpr_write_b32 a74, v0
	global_load_dwordx4 v[140:143], v[0:1], off
	v_accvgpr_write_b32 a77, v145
	global_load_dwordx4 v[144:147], v[144:145], off
	v_lshl_add_u64 v[0:1], v[148:149], 4, s[0:1]
	v_lshl_add_u64 v[152:153], v[156:157], 4, s[0:1]
	v_add_u32_e32 v156, s11, v156
	v_accvgpr_write_b32 a79, v1
	v_accvgpr_write_b32 a80, v152
	v_ashrrev_i32_e32 v157, 31, v156
	v_accvgpr_write_b32 a78, v0
	global_load_dwordx4 v[148:151], v[0:1], off
	v_accvgpr_write_b32 a81, v153
	global_load_dwordx4 v[152:155], v[152:153], off
	v_lshl_add_u64 v[0:1], v[156:157], 4, s[0:1]
	v_add_u32_e32 v156, s11, v156
	v_ashrrev_i32_e32 v157, 31, v156
	v_lshl_add_u64 v[160:161], v[156:157], 4, s[0:1]
	global_load_dwordx4 v[156:159], v[0:1], off
	v_accvgpr_write_b32 a84, v160
	v_accvgpr_write_b32 a85, v161
	global_load_dwordx4 v[160:163], v[160:161], off
	s_movk_i32 s0, 0x50
	s_add_i32 s20, s0, 16
	s_movk_i32 s0, 0x60
	s_add_i32 s24, s0, 16
	;; [unrolled: 2-line block ×37, first 2 shown]
	s_movk_i32 s0, 0x2a0
	v_accvgpr_write_b32 a83, v1
	s_add_i32 s23, s0, 16
	v_accvgpr_write_b32 a82, v0
	s_mov_b32 s15, 32
	s_mov_b32 s12, 48
	;; [unrolled: 1-line block ×3, first 2 shown]
	s_movk_i32 s14, 0x50
	s_bitcmp0_b32 s4, 0
	s_mov_b64 s[4:5], -1
	s_waitcnt vmcnt(42)
	scratch_store_dwordx4 off, v[2:5], off offset:64
	s_waitcnt vmcnt(42)
	scratch_store_dwordx4 off, v[6:9], off offset:80
	;; [unrolled: 2-line block ×40, first 2 shown]
	s_cbranch_scc1 .LBB42_184
; %bb.4:
	v_cmp_eq_u32_e64 s[0:1], 0, v244
	s_and_saveexec_b64 s[4:5], s[0:1]
; %bb.5:
	v_mov_b32_e32 v0, 0
	ds_write_b32 v0, v0 offset:1376
; %bb.6:
	s_or_b64 exec, exec, s[4:5]
	s_waitcnt lgkmcnt(0)
	; wave barrier
	scratch_load_dwordx4 v[2:5], v66, off offset:16
	s_waitcnt vmcnt(0)
	v_cmp_eq_f64_e32 vcc, 0, v[2:3]
	v_cmp_eq_f64_e64 s[4:5], 0, v[4:5]
	s_and_b64 s[4:5], vcc, s[4:5]
	s_and_saveexec_b64 s[8:9], s[4:5]
	s_cbranch_execz .LBB42_10
; %bb.7:
	v_mov_b32_e32 v1, 0
	ds_read_b32 v0, v1 offset:1376
	v_add_u32_e32 v2, 1, v244
	s_waitcnt lgkmcnt(0)
	v_readfirstlane_b32 s4, v0
	s_cmp_eq_u32 s4, 0
	s_cselect_b64 s[10:11], -1, 0
	v_cmp_gt_i32_e32 vcc, s4, v2
	s_or_b64 s[10:11], s[10:11], vcc
	s_and_b64 exec, exec, s[10:11]
	s_cbranch_execz .LBB42_10
; %bb.8:
	s_mov_b64 s[10:11], 0
	v_mov_b32_e32 v3, s4
.LBB42_9:                               ; =>This Inner Loop Header: Depth=1
	ds_cmpst_rtn_b32 v3, v1, v3, v2 offset:1376
	s_waitcnt lgkmcnt(0)
	v_cmp_ne_u32_e32 vcc, 0, v3
	v_cmp_le_i32_e64 s[4:5], v3, v2
	s_and_b64 s[4:5], vcc, s[4:5]
	s_and_b64 s[4:5], exec, s[4:5]
	s_or_b64 s[10:11], s[4:5], s[10:11]
	s_andn2_b64 exec, exec, s[10:11]
	s_cbranch_execnz .LBB42_9
.LBB42_10:
	s_or_b64 exec, exec, s[8:9]
	v_mov_b32_e32 v2, 0
	; wave barrier
	ds_read_b32 v1, v2 offset:1376
	s_and_saveexec_b64 s[4:5], s[0:1]
	s_cbranch_execz .LBB42_12
; %bb.11:
	s_lshl_b64 s[8:9], s[2:3], 2
	s_add_u32 s8, s6, s8
	s_addc_u32 s9, s7, s9
	s_waitcnt lgkmcnt(0)
	global_store_dword v2, v1, s[8:9]
.LBB42_12:
	s_or_b64 exec, exec, s[4:5]
	s_waitcnt lgkmcnt(0)
	v_cmp_ne_u32_e32 vcc, 0, v1
	s_mov_b64 s[4:5], 0
	s_cbranch_vccnz .LBB42_184
; %bb.13:
	v_add_u32_e32 v14, 16, v66
	scratch_load_dwordx4 v[2:5], v14, off
                                        ; implicit-def: $vgpr6_vgpr7
                                        ; implicit-def: $vgpr10_vgpr11
	s_waitcnt vmcnt(0)
	v_cmp_ngt_f64_e64 s[4:5], |v[2:3]|, |v[4:5]|
	s_and_saveexec_b64 s[8:9], s[4:5]
	s_xor_b64 s[4:5], exec, s[8:9]
	s_cbranch_execz .LBB42_15
; %bb.14:
	v_div_scale_f64 v[6:7], s[8:9], v[4:5], v[4:5], v[2:3]
	v_rcp_f64_e32 v[8:9], v[6:7]
	v_div_scale_f64 v[10:11], vcc, v[2:3], v[4:5], v[2:3]
	v_fma_f64 v[12:13], -v[6:7], v[8:9], 1.0
	v_fmac_f64_e32 v[8:9], v[8:9], v[12:13]
	v_fma_f64 v[12:13], -v[6:7], v[8:9], 1.0
	v_fmac_f64_e32 v[8:9], v[8:9], v[12:13]
	v_mul_f64 v[12:13], v[10:11], v[8:9]
	v_fma_f64 v[6:7], -v[6:7], v[12:13], v[10:11]
	v_div_fmas_f64 v[6:7], v[6:7], v[8:9], v[12:13]
	v_div_fixup_f64 v[6:7], v[6:7], v[4:5], v[2:3]
	v_fmac_f64_e32 v[4:5], v[2:3], v[6:7]
	v_div_scale_f64 v[2:3], s[8:9], v[4:5], v[4:5], 1.0
	v_rcp_f64_e32 v[8:9], v[2:3]
	s_nop 0
	v_fma_f64 v[10:11], -v[2:3], v[8:9], 1.0
	v_fmac_f64_e32 v[8:9], v[8:9], v[10:11]
	v_fma_f64 v[10:11], -v[2:3], v[8:9], 1.0
	v_fmac_f64_e32 v[8:9], v[8:9], v[10:11]
	v_div_scale_f64 v[10:11], vcc, 1.0, v[4:5], 1.0
	v_mul_f64 v[12:13], v[10:11], v[8:9]
	v_fma_f64 v[2:3], -v[2:3], v[12:13], v[10:11]
	s_nop 1
	v_div_fmas_f64 v[2:3], v[2:3], v[8:9], v[12:13]
	v_div_fixup_f64 v[8:9], v[2:3], v[4:5], 1.0
	v_mul_f64 v[6:7], v[6:7], v[8:9]
	v_xor_b32_e32 v9, 0x80000000, v9
	v_xor_b32_e32 v11, 0x80000000, v7
	v_mov_b32_e32 v10, v6
                                        ; implicit-def: $vgpr2_vgpr3
.LBB42_15:
	s_andn2_saveexec_b64 s[4:5], s[4:5]
	s_cbranch_execz .LBB42_17
; %bb.16:
	v_div_scale_f64 v[6:7], s[8:9], v[2:3], v[2:3], v[4:5]
	v_rcp_f64_e32 v[8:9], v[6:7]
	v_div_scale_f64 v[10:11], vcc, v[4:5], v[2:3], v[4:5]
	v_fma_f64 v[12:13], -v[6:7], v[8:9], 1.0
	v_fmac_f64_e32 v[8:9], v[8:9], v[12:13]
	v_fma_f64 v[12:13], -v[6:7], v[8:9], 1.0
	v_fmac_f64_e32 v[8:9], v[8:9], v[12:13]
	v_mul_f64 v[12:13], v[10:11], v[8:9]
	v_fma_f64 v[6:7], -v[6:7], v[12:13], v[10:11]
	v_div_fmas_f64 v[6:7], v[6:7], v[8:9], v[12:13]
	v_div_fixup_f64 v[8:9], v[6:7], v[2:3], v[4:5]
	v_fmac_f64_e32 v[2:3], v[4:5], v[8:9]
	v_div_scale_f64 v[4:5], s[8:9], v[2:3], v[2:3], 1.0
	v_rcp_f64_e32 v[6:7], v[4:5]
	s_nop 0
	v_fma_f64 v[10:11], -v[4:5], v[6:7], 1.0
	v_fmac_f64_e32 v[6:7], v[6:7], v[10:11]
	v_fma_f64 v[10:11], -v[4:5], v[6:7], 1.0
	v_fmac_f64_e32 v[6:7], v[6:7], v[10:11]
	v_div_scale_f64 v[10:11], vcc, 1.0, v[2:3], 1.0
	v_mul_f64 v[12:13], v[10:11], v[6:7]
	v_fma_f64 v[4:5], -v[4:5], v[12:13], v[10:11]
	s_nop 1
	v_div_fmas_f64 v[4:5], v[4:5], v[6:7], v[12:13]
	v_div_fixup_f64 v[6:7], v[4:5], v[2:3], 1.0
	v_xor_b32_e32 v11, 0x80000000, v7
	v_mov_b32_e32 v10, v6
	v_mul_f64 v[8:9], v[8:9], -v[6:7]
.LBB42_17:
	s_or_b64 exec, exec, s[4:5]
	scratch_store_dwordx4 v14, v[6:9], off
	scratch_load_dwordx4 v[2:5], off, s15
	v_xor_b32_e32 v13, 0x80000000, v9
	v_mov_b32_e32 v12, v8
	v_add_u32_e32 v1, 0x2b0, v66
	ds_write_b128 v66, v[10:13]
	s_waitcnt vmcnt(0)
	ds_write_b128 v66, v[2:5] offset:688
	s_waitcnt lgkmcnt(0)
	; wave barrier
	s_and_saveexec_b64 s[4:5], s[0:1]
	s_cbranch_execz .LBB42_19
; %bb.18:
	scratch_load_dwordx4 v[2:5], v14, off
	ds_read_b128 v[6:9], v1
	v_mov_b32_e32 v0, 0
	ds_read_b128 v[10:13], v0 offset:16
	s_waitcnt vmcnt(0) lgkmcnt(1)
	v_mul_f64 v[16:17], v[8:9], v[4:5]
	v_mul_f64 v[4:5], v[6:7], v[4:5]
	v_fma_f64 v[6:7], v[6:7], v[2:3], -v[16:17]
	v_fmac_f64_e32 v[4:5], v[8:9], v[2:3]
	v_add_f64 v[2:3], v[6:7], 0
	v_add_f64 v[6:7], v[4:5], 0
	s_waitcnt lgkmcnt(0)
	v_mul_f64 v[8:9], v[6:7], v[12:13]
	v_mul_f64 v[4:5], v[2:3], v[12:13]
	v_fma_f64 v[2:3], v[2:3], v[10:11], -v[8:9]
	v_fmac_f64_e32 v[4:5], v[6:7], v[10:11]
	scratch_store_dwordx4 off, v[2:5], off offset:32
.LBB42_19:
	s_or_b64 exec, exec, s[4:5]
	; wave barrier
	scratch_load_dwordx4 v[2:5], off, s12
	v_cmp_gt_u32_e32 vcc, 2, v244
	s_waitcnt vmcnt(0)
	ds_write_b128 v1, v[2:5]
	s_waitcnt lgkmcnt(0)
	; wave barrier
	s_and_saveexec_b64 s[4:5], vcc
	s_cbranch_execz .LBB42_23
; %bb.20:
	scratch_load_dwordx4 v[2:5], v14, off
	ds_read_b128 v[6:9], v1
	s_waitcnt vmcnt(0) lgkmcnt(0)
	v_mul_f64 v[10:11], v[8:9], v[4:5]
	v_mul_f64 v[12:13], v[6:7], v[4:5]
	v_fma_f64 v[4:5], v[6:7], v[2:3], -v[10:11]
	v_fmac_f64_e32 v[12:13], v[8:9], v[2:3]
	v_add_f64 v[4:5], v[4:5], 0
	v_add_f64 v[2:3], v[12:13], 0
	s_and_saveexec_b64 s[8:9], s[0:1]
	s_cbranch_execz .LBB42_22
; %bb.21:
	scratch_load_dwordx4 v[6:9], off, off offset:32
	v_mov_b32_e32 v0, 0
	ds_read_b128 v[10:13], v0 offset:704
	s_waitcnt vmcnt(0) lgkmcnt(0)
	v_mul_f64 v[14:15], v[10:11], v[8:9]
	v_mul_f64 v[8:9], v[12:13], v[8:9]
	v_fmac_f64_e32 v[14:15], v[12:13], v[6:7]
	v_fma_f64 v[6:7], v[10:11], v[6:7], -v[8:9]
	v_add_f64 v[2:3], v[2:3], v[14:15]
	v_add_f64 v[4:5], v[4:5], v[6:7]
.LBB42_22:
	s_or_b64 exec, exec, s[8:9]
	v_mov_b32_e32 v0, 0
	ds_read_b128 v[6:9], v0 offset:32
	s_waitcnt lgkmcnt(0)
	v_mul_f64 v[12:13], v[2:3], v[8:9]
	v_mul_f64 v[10:11], v[4:5], v[8:9]
	v_fma_f64 v[8:9], v[4:5], v[6:7], -v[12:13]
	v_fmac_f64_e32 v[10:11], v[2:3], v[6:7]
	scratch_store_dwordx4 off, v[8:11], off offset:48
.LBB42_23:
	s_or_b64 exec, exec, s[4:5]
	; wave barrier
	scratch_load_dwordx4 v[2:5], off, s13
	v_cmp_gt_u32_e32 vcc, 3, v244
	v_add_u32_e32 v6, -1, v244
	s_waitcnt vmcnt(0)
	ds_write_b128 v1, v[2:5]
	s_waitcnt lgkmcnt(0)
	; wave barrier
	s_and_saveexec_b64 s[0:1], vcc
	s_cbranch_execz .LBB42_27
; %bb.24:
	v_add_u32_e32 v7, -1, v244
	v_add_u32_e32 v8, 0x2b0, v66
	v_add_u32_e32 v9, 16, v66
	v_mov_b64_e32 v[2:3], 0
	s_mov_b64 s[4:5], 0
	v_mov_b64_e32 v[4:5], 0
.LBB42_25:                              ; =>This Inner Loop Header: Depth=1
	scratch_load_dwordx4 v[10:13], v9, off
	ds_read_b128 v[14:17], v8
	v_add_u32_e32 v7, 1, v7
	v_cmp_lt_u32_e32 vcc, 1, v7
	v_add_u32_e32 v8, 16, v8
	v_add_u32_e32 v9, 16, v9
	s_or_b64 s[4:5], vcc, s[4:5]
	s_waitcnt vmcnt(0) lgkmcnt(0)
	v_mul_f64 v[18:19], v[16:17], v[12:13]
	v_mul_f64 v[12:13], v[14:15], v[12:13]
	v_fma_f64 v[14:15], v[14:15], v[10:11], -v[18:19]
	v_fmac_f64_e32 v[12:13], v[16:17], v[10:11]
	v_add_f64 v[4:5], v[4:5], v[14:15]
	v_add_f64 v[2:3], v[2:3], v[12:13]
	s_andn2_b64 exec, exec, s[4:5]
	s_cbranch_execnz .LBB42_25
; %bb.26:
	s_or_b64 exec, exec, s[4:5]
	v_mov_b32_e32 v0, 0
	ds_read_b128 v[8:11], v0 offset:48
	s_waitcnt lgkmcnt(0)
	v_mul_f64 v[14:15], v[2:3], v[10:11]
	v_mul_f64 v[12:13], v[4:5], v[10:11]
	v_fma_f64 v[10:11], v[4:5], v[8:9], -v[14:15]
	v_fmac_f64_e32 v[12:13], v[2:3], v[8:9]
	scratch_store_dwordx4 off, v[10:13], off offset:64
.LBB42_27:
	s_or_b64 exec, exec, s[0:1]
	; wave barrier
	scratch_load_dwordx4 v[2:5], off, s14
	v_cmp_gt_u32_e32 vcc, 4, v244
	s_waitcnt vmcnt(0)
	ds_write_b128 v1, v[2:5]
	s_waitcnt lgkmcnt(0)
	; wave barrier
	s_and_saveexec_b64 s[0:1], vcc
	s_cbranch_execz .LBB42_31
; %bb.28:
	v_add_u32_e32 v7, -1, v244
	v_add_u32_e32 v8, 0x2b0, v66
	v_add_u32_e32 v9, 16, v66
	v_mov_b64_e32 v[2:3], 0
	s_mov_b64 s[4:5], 0
	v_mov_b64_e32 v[4:5], 0
.LBB42_29:                              ; =>This Inner Loop Header: Depth=1
	scratch_load_dwordx4 v[10:13], v9, off
	ds_read_b128 v[14:17], v8
	v_add_u32_e32 v7, 1, v7
	v_cmp_lt_u32_e32 vcc, 2, v7
	v_add_u32_e32 v8, 16, v8
	v_add_u32_e32 v9, 16, v9
	s_or_b64 s[4:5], vcc, s[4:5]
	s_waitcnt vmcnt(0) lgkmcnt(0)
	v_mul_f64 v[18:19], v[16:17], v[12:13]
	v_mul_f64 v[12:13], v[14:15], v[12:13]
	v_fma_f64 v[14:15], v[14:15], v[10:11], -v[18:19]
	v_fmac_f64_e32 v[12:13], v[16:17], v[10:11]
	v_add_f64 v[4:5], v[4:5], v[14:15]
	v_add_f64 v[2:3], v[2:3], v[12:13]
	s_andn2_b64 exec, exec, s[4:5]
	s_cbranch_execnz .LBB42_29
; %bb.30:
	s_or_b64 exec, exec, s[4:5]
	v_mov_b32_e32 v0, 0
	ds_read_b128 v[8:11], v0 offset:64
	s_waitcnt lgkmcnt(0)
	v_mul_f64 v[14:15], v[2:3], v[10:11]
	v_mul_f64 v[12:13], v[4:5], v[10:11]
	v_fma_f64 v[10:11], v[4:5], v[8:9], -v[14:15]
	v_fmac_f64_e32 v[12:13], v[2:3], v[8:9]
	scratch_store_dwordx4 off, v[10:13], off offset:80
.LBB42_31:
	s_or_b64 exec, exec, s[0:1]
	; wave barrier
	scratch_load_dwordx4 v[2:5], off, s20
	v_cmp_gt_u32_e32 vcc, 5, v244
	s_waitcnt vmcnt(0)
	ds_write_b128 v1, v[2:5]
	s_waitcnt lgkmcnt(0)
	; wave barrier
	s_and_saveexec_b64 s[0:1], vcc
	s_cbranch_execz .LBB42_35
; %bb.32:
	v_add_u32_e32 v7, -1, v244
	v_add_u32_e32 v8, 0x2b0, v66
	v_add_u32_e32 v9, 16, v66
	v_mov_b64_e32 v[2:3], 0
	s_mov_b64 s[4:5], 0
	v_mov_b64_e32 v[4:5], 0
.LBB42_33:                              ; =>This Inner Loop Header: Depth=1
	scratch_load_dwordx4 v[10:13], v9, off
	ds_read_b128 v[14:17], v8
	v_add_u32_e32 v7, 1, v7
	v_cmp_lt_u32_e32 vcc, 3, v7
	v_add_u32_e32 v8, 16, v8
	v_add_u32_e32 v9, 16, v9
	s_or_b64 s[4:5], vcc, s[4:5]
	s_waitcnt vmcnt(0) lgkmcnt(0)
	v_mul_f64 v[18:19], v[16:17], v[12:13]
	v_mul_f64 v[12:13], v[14:15], v[12:13]
	v_fma_f64 v[14:15], v[14:15], v[10:11], -v[18:19]
	v_fmac_f64_e32 v[12:13], v[16:17], v[10:11]
	v_add_f64 v[4:5], v[4:5], v[14:15]
	v_add_f64 v[2:3], v[2:3], v[12:13]
	s_andn2_b64 exec, exec, s[4:5]
	s_cbranch_execnz .LBB42_33
; %bb.34:
	s_or_b64 exec, exec, s[4:5]
	v_mov_b32_e32 v0, 0
	ds_read_b128 v[8:11], v0 offset:80
	s_waitcnt lgkmcnt(0)
	v_mul_f64 v[14:15], v[2:3], v[10:11]
	v_mul_f64 v[12:13], v[4:5], v[10:11]
	v_fma_f64 v[10:11], v[4:5], v[8:9], -v[14:15]
	v_fmac_f64_e32 v[12:13], v[2:3], v[8:9]
	scratch_store_dwordx4 off, v[10:13], off offset:96
.LBB42_35:
	s_or_b64 exec, exec, s[0:1]
	; wave barrier
	scratch_load_dwordx4 v[2:5], off, s24
	v_cmp_gt_u32_e32 vcc, 6, v244
	s_waitcnt vmcnt(0)
	ds_write_b128 v1, v[2:5]
	s_waitcnt lgkmcnt(0)
	; wave barrier
	s_and_saveexec_b64 s[0:1], vcc
	s_cbranch_execz .LBB42_39
; %bb.36:
	v_add_u32_e32 v7, -1, v244
	v_add_u32_e32 v8, 0x2b0, v66
	v_add_u32_e32 v9, 16, v66
	v_mov_b64_e32 v[2:3], 0
	s_mov_b64 s[4:5], 0
	v_mov_b64_e32 v[4:5], 0
.LBB42_37:                              ; =>This Inner Loop Header: Depth=1
	scratch_load_dwordx4 v[10:13], v9, off
	ds_read_b128 v[14:17], v8
	v_add_u32_e32 v7, 1, v7
	v_cmp_lt_u32_e32 vcc, 4, v7
	v_add_u32_e32 v8, 16, v8
	v_add_u32_e32 v9, 16, v9
	s_or_b64 s[4:5], vcc, s[4:5]
	s_waitcnt vmcnt(0) lgkmcnt(0)
	v_mul_f64 v[18:19], v[16:17], v[12:13]
	v_mul_f64 v[12:13], v[14:15], v[12:13]
	v_fma_f64 v[14:15], v[14:15], v[10:11], -v[18:19]
	v_fmac_f64_e32 v[12:13], v[16:17], v[10:11]
	v_add_f64 v[4:5], v[4:5], v[14:15]
	v_add_f64 v[2:3], v[2:3], v[12:13]
	s_andn2_b64 exec, exec, s[4:5]
	s_cbranch_execnz .LBB42_37
; %bb.38:
	s_or_b64 exec, exec, s[4:5]
	v_mov_b32_e32 v0, 0
	ds_read_b128 v[8:11], v0 offset:96
	s_waitcnt lgkmcnt(0)
	v_mul_f64 v[14:15], v[2:3], v[10:11]
	v_mul_f64 v[12:13], v[4:5], v[10:11]
	v_fma_f64 v[10:11], v[4:5], v[8:9], -v[14:15]
	v_fmac_f64_e32 v[12:13], v[2:3], v[8:9]
	scratch_store_dwordx4 off, v[10:13], off offset:112
.LBB42_39:
	s_or_b64 exec, exec, s[0:1]
	; wave barrier
	scratch_load_dwordx4 v[2:5], off, s58
	v_cmp_gt_u32_e32 vcc, 7, v244
	s_waitcnt vmcnt(0)
	ds_write_b128 v1, v[2:5]
	s_waitcnt lgkmcnt(0)
	; wave barrier
	s_and_saveexec_b64 s[0:1], vcc
	s_cbranch_execz .LBB42_43
; %bb.40:
	v_add_u32_e32 v7, -1, v244
	v_add_u32_e32 v8, 0x2b0, v66
	v_add_u32_e32 v9, 16, v66
	v_mov_b64_e32 v[2:3], 0
	s_mov_b64 s[4:5], 0
	v_mov_b64_e32 v[4:5], 0
.LBB42_41:                              ; =>This Inner Loop Header: Depth=1
	scratch_load_dwordx4 v[10:13], v9, off
	ds_read_b128 v[14:17], v8
	v_add_u32_e32 v7, 1, v7
	v_cmp_lt_u32_e32 vcc, 5, v7
	v_add_u32_e32 v8, 16, v8
	v_add_u32_e32 v9, 16, v9
	s_or_b64 s[4:5], vcc, s[4:5]
	s_waitcnt vmcnt(0) lgkmcnt(0)
	v_mul_f64 v[18:19], v[16:17], v[12:13]
	v_mul_f64 v[12:13], v[14:15], v[12:13]
	v_fma_f64 v[14:15], v[14:15], v[10:11], -v[18:19]
	v_fmac_f64_e32 v[12:13], v[16:17], v[10:11]
	v_add_f64 v[4:5], v[4:5], v[14:15]
	v_add_f64 v[2:3], v[2:3], v[12:13]
	s_andn2_b64 exec, exec, s[4:5]
	s_cbranch_execnz .LBB42_41
; %bb.42:
	s_or_b64 exec, exec, s[4:5]
	v_mov_b32_e32 v0, 0
	ds_read_b128 v[8:11], v0 offset:112
	s_waitcnt lgkmcnt(0)
	v_mul_f64 v[14:15], v[2:3], v[10:11]
	v_mul_f64 v[12:13], v[4:5], v[10:11]
	v_fma_f64 v[10:11], v[4:5], v[8:9], -v[14:15]
	v_fmac_f64_e32 v[12:13], v[2:3], v[8:9]
	scratch_store_dwordx4 off, v[10:13], off offset:128
.LBB42_43:
	s_or_b64 exec, exec, s[0:1]
	; wave barrier
	scratch_load_dwordx4 v[2:5], off, s21
	v_cmp_gt_u32_e32 vcc, 8, v244
	s_waitcnt vmcnt(0)
	ds_write_b128 v1, v[2:5]
	s_waitcnt lgkmcnt(0)
	; wave barrier
	s_and_saveexec_b64 s[0:1], vcc
	s_cbranch_execz .LBB42_47
; %bb.44:
	v_add_u32_e32 v7, -1, v244
	v_add_u32_e32 v8, 0x2b0, v66
	v_add_u32_e32 v9, 16, v66
	v_mov_b64_e32 v[2:3], 0
	s_mov_b64 s[4:5], 0
	v_mov_b64_e32 v[4:5], 0
.LBB42_45:                              ; =>This Inner Loop Header: Depth=1
	scratch_load_dwordx4 v[10:13], v9, off
	ds_read_b128 v[14:17], v8
	v_add_u32_e32 v7, 1, v7
	v_cmp_lt_u32_e32 vcc, 6, v7
	v_add_u32_e32 v8, 16, v8
	v_add_u32_e32 v9, 16, v9
	s_or_b64 s[4:5], vcc, s[4:5]
	s_waitcnt vmcnt(0) lgkmcnt(0)
	v_mul_f64 v[18:19], v[16:17], v[12:13]
	v_mul_f64 v[12:13], v[14:15], v[12:13]
	v_fma_f64 v[14:15], v[14:15], v[10:11], -v[18:19]
	v_fmac_f64_e32 v[12:13], v[16:17], v[10:11]
	v_add_f64 v[4:5], v[4:5], v[14:15]
	v_add_f64 v[2:3], v[2:3], v[12:13]
	s_andn2_b64 exec, exec, s[4:5]
	s_cbranch_execnz .LBB42_45
; %bb.46:
	s_or_b64 exec, exec, s[4:5]
	v_mov_b32_e32 v0, 0
	ds_read_b128 v[8:11], v0 offset:128
	s_waitcnt lgkmcnt(0)
	v_mul_f64 v[14:15], v[2:3], v[10:11]
	v_mul_f64 v[12:13], v[4:5], v[10:11]
	v_fma_f64 v[10:11], v[4:5], v[8:9], -v[14:15]
	v_fmac_f64_e32 v[12:13], v[2:3], v[8:9]
	scratch_store_dwordx4 off, v[10:13], off offset:144
.LBB42_47:
	s_or_b64 exec, exec, s[0:1]
	; wave barrier
	scratch_load_dwordx4 v[2:5], off, s57
	v_cmp_gt_u32_e32 vcc, 9, v244
	s_waitcnt vmcnt(0)
	ds_write_b128 v1, v[2:5]
	s_waitcnt lgkmcnt(0)
	; wave barrier
	s_and_saveexec_b64 s[0:1], vcc
	s_cbranch_execz .LBB42_51
; %bb.48:
	v_add_u32_e32 v7, -1, v244
	v_add_u32_e32 v8, 0x2b0, v66
	v_add_u32_e32 v9, 16, v66
	v_mov_b64_e32 v[2:3], 0
	s_mov_b64 s[4:5], 0
	v_mov_b64_e32 v[4:5], 0
.LBB42_49:                              ; =>This Inner Loop Header: Depth=1
	scratch_load_dwordx4 v[10:13], v9, off
	ds_read_b128 v[14:17], v8
	v_add_u32_e32 v7, 1, v7
	v_cmp_lt_u32_e32 vcc, 7, v7
	v_add_u32_e32 v8, 16, v8
	v_add_u32_e32 v9, 16, v9
	s_or_b64 s[4:5], vcc, s[4:5]
	s_waitcnt vmcnt(0) lgkmcnt(0)
	v_mul_f64 v[18:19], v[16:17], v[12:13]
	v_mul_f64 v[12:13], v[14:15], v[12:13]
	v_fma_f64 v[14:15], v[14:15], v[10:11], -v[18:19]
	v_fmac_f64_e32 v[12:13], v[16:17], v[10:11]
	v_add_f64 v[4:5], v[4:5], v[14:15]
	v_add_f64 v[2:3], v[2:3], v[12:13]
	s_andn2_b64 exec, exec, s[4:5]
	s_cbranch_execnz .LBB42_49
; %bb.50:
	s_or_b64 exec, exec, s[4:5]
	v_mov_b32_e32 v0, 0
	ds_read_b128 v[8:11], v0 offset:144
	s_waitcnt lgkmcnt(0)
	v_mul_f64 v[14:15], v[2:3], v[10:11]
	v_mul_f64 v[12:13], v[4:5], v[10:11]
	v_fma_f64 v[10:11], v[4:5], v[8:9], -v[14:15]
	v_fmac_f64_e32 v[12:13], v[2:3], v[8:9]
	scratch_store_dwordx4 off, v[10:13], off offset:160
.LBB42_51:
	s_or_b64 exec, exec, s[0:1]
	; wave barrier
	scratch_load_dwordx4 v[2:5], off, s25
	v_cmp_gt_u32_e32 vcc, 10, v244
	s_waitcnt vmcnt(0)
	ds_write_b128 v1, v[2:5]
	s_waitcnt lgkmcnt(0)
	; wave barrier
	s_and_saveexec_b64 s[0:1], vcc
	s_cbranch_execz .LBB42_55
; %bb.52:
	v_add_u32_e32 v7, -1, v244
	v_add_u32_e32 v8, 0x2b0, v66
	v_add_u32_e32 v9, 16, v66
	v_mov_b64_e32 v[2:3], 0
	s_mov_b64 s[4:5], 0
	v_mov_b64_e32 v[4:5], 0
.LBB42_53:                              ; =>This Inner Loop Header: Depth=1
	scratch_load_dwordx4 v[10:13], v9, off
	ds_read_b128 v[14:17], v8
	v_add_u32_e32 v7, 1, v7
	v_cmp_lt_u32_e32 vcc, 8, v7
	v_add_u32_e32 v8, 16, v8
	v_add_u32_e32 v9, 16, v9
	s_or_b64 s[4:5], vcc, s[4:5]
	s_waitcnt vmcnt(0) lgkmcnt(0)
	v_mul_f64 v[18:19], v[16:17], v[12:13]
	v_mul_f64 v[12:13], v[14:15], v[12:13]
	v_fma_f64 v[14:15], v[14:15], v[10:11], -v[18:19]
	v_fmac_f64_e32 v[12:13], v[16:17], v[10:11]
	v_add_f64 v[4:5], v[4:5], v[14:15]
	v_add_f64 v[2:3], v[2:3], v[12:13]
	s_andn2_b64 exec, exec, s[4:5]
	s_cbranch_execnz .LBB42_53
; %bb.54:
	s_or_b64 exec, exec, s[4:5]
	v_mov_b32_e32 v0, 0
	ds_read_b128 v[8:11], v0 offset:160
	s_waitcnt lgkmcnt(0)
	v_mul_f64 v[14:15], v[2:3], v[10:11]
	v_mul_f64 v[12:13], v[4:5], v[10:11]
	v_fma_f64 v[10:11], v[4:5], v[8:9], -v[14:15]
	v_fmac_f64_e32 v[12:13], v[2:3], v[8:9]
	scratch_store_dwordx4 off, v[10:13], off offset:176
.LBB42_55:
	s_or_b64 exec, exec, s[0:1]
	; wave barrier
	scratch_load_dwordx4 v[2:5], off, s26
	v_cmp_gt_u32_e32 vcc, 11, v244
	s_waitcnt vmcnt(0)
	ds_write_b128 v1, v[2:5]
	s_waitcnt lgkmcnt(0)
	; wave barrier
	s_and_saveexec_b64 s[0:1], vcc
	s_cbranch_execz .LBB42_59
; %bb.56:
	v_add_u32_e32 v7, -1, v244
	v_add_u32_e32 v8, 0x2b0, v66
	v_add_u32_e32 v9, 16, v66
	v_mov_b64_e32 v[2:3], 0
	s_mov_b64 s[4:5], 0
	v_mov_b64_e32 v[4:5], 0
.LBB42_57:                              ; =>This Inner Loop Header: Depth=1
	scratch_load_dwordx4 v[10:13], v9, off
	ds_read_b128 v[14:17], v8
	v_add_u32_e32 v7, 1, v7
	v_cmp_lt_u32_e32 vcc, 9, v7
	v_add_u32_e32 v8, 16, v8
	v_add_u32_e32 v9, 16, v9
	s_or_b64 s[4:5], vcc, s[4:5]
	s_waitcnt vmcnt(0) lgkmcnt(0)
	v_mul_f64 v[18:19], v[16:17], v[12:13]
	v_mul_f64 v[12:13], v[14:15], v[12:13]
	v_fma_f64 v[14:15], v[14:15], v[10:11], -v[18:19]
	v_fmac_f64_e32 v[12:13], v[16:17], v[10:11]
	v_add_f64 v[4:5], v[4:5], v[14:15]
	v_add_f64 v[2:3], v[2:3], v[12:13]
	s_andn2_b64 exec, exec, s[4:5]
	s_cbranch_execnz .LBB42_57
; %bb.58:
	s_or_b64 exec, exec, s[4:5]
	v_mov_b32_e32 v0, 0
	ds_read_b128 v[8:11], v0 offset:176
	s_waitcnt lgkmcnt(0)
	v_mul_f64 v[14:15], v[2:3], v[10:11]
	v_mul_f64 v[12:13], v[4:5], v[10:11]
	v_fma_f64 v[10:11], v[4:5], v[8:9], -v[14:15]
	v_fmac_f64_e32 v[12:13], v[2:3], v[8:9]
	scratch_store_dwordx4 off, v[10:13], off offset:192
.LBB42_59:
	s_or_b64 exec, exec, s[0:1]
	; wave barrier
	scratch_load_dwordx4 v[2:5], off, s27
	v_cmp_gt_u32_e32 vcc, 12, v244
	s_waitcnt vmcnt(0)
	ds_write_b128 v1, v[2:5]
	s_waitcnt lgkmcnt(0)
	; wave barrier
	s_and_saveexec_b64 s[0:1], vcc
	s_cbranch_execz .LBB42_63
; %bb.60:
	v_add_u32_e32 v7, -1, v244
	v_add_u32_e32 v8, 0x2b0, v66
	v_add_u32_e32 v9, 16, v66
	v_mov_b64_e32 v[2:3], 0
	s_mov_b64 s[4:5], 0
	v_mov_b64_e32 v[4:5], 0
.LBB42_61:                              ; =>This Inner Loop Header: Depth=1
	scratch_load_dwordx4 v[10:13], v9, off
	ds_read_b128 v[14:17], v8
	v_add_u32_e32 v7, 1, v7
	v_cmp_lt_u32_e32 vcc, 10, v7
	v_add_u32_e32 v8, 16, v8
	v_add_u32_e32 v9, 16, v9
	s_or_b64 s[4:5], vcc, s[4:5]
	s_waitcnt vmcnt(0) lgkmcnt(0)
	v_mul_f64 v[18:19], v[16:17], v[12:13]
	v_mul_f64 v[12:13], v[14:15], v[12:13]
	v_fma_f64 v[14:15], v[14:15], v[10:11], -v[18:19]
	v_fmac_f64_e32 v[12:13], v[16:17], v[10:11]
	v_add_f64 v[4:5], v[4:5], v[14:15]
	v_add_f64 v[2:3], v[2:3], v[12:13]
	s_andn2_b64 exec, exec, s[4:5]
	s_cbranch_execnz .LBB42_61
; %bb.62:
	s_or_b64 exec, exec, s[4:5]
	v_mov_b32_e32 v0, 0
	ds_read_b128 v[8:11], v0 offset:192
	s_waitcnt lgkmcnt(0)
	v_mul_f64 v[14:15], v[2:3], v[10:11]
	v_mul_f64 v[12:13], v[4:5], v[10:11]
	v_fma_f64 v[10:11], v[4:5], v[8:9], -v[14:15]
	v_fmac_f64_e32 v[12:13], v[2:3], v[8:9]
	scratch_store_dwordx4 off, v[10:13], off offset:208
.LBB42_63:
	s_or_b64 exec, exec, s[0:1]
	; wave barrier
	scratch_load_dwordx4 v[2:5], off, s28
	v_cmp_gt_u32_e32 vcc, 13, v244
	s_waitcnt vmcnt(0)
	ds_write_b128 v1, v[2:5]
	s_waitcnt lgkmcnt(0)
	; wave barrier
	s_and_saveexec_b64 s[0:1], vcc
	s_cbranch_execz .LBB42_67
; %bb.64:
	v_add_u32_e32 v7, -1, v244
	v_add_u32_e32 v8, 0x2b0, v66
	v_add_u32_e32 v9, 16, v66
	v_mov_b64_e32 v[2:3], 0
	s_mov_b64 s[4:5], 0
	v_mov_b64_e32 v[4:5], 0
.LBB42_65:                              ; =>This Inner Loop Header: Depth=1
	scratch_load_dwordx4 v[10:13], v9, off
	ds_read_b128 v[14:17], v8
	v_add_u32_e32 v7, 1, v7
	v_cmp_lt_u32_e32 vcc, 11, v7
	v_add_u32_e32 v8, 16, v8
	v_add_u32_e32 v9, 16, v9
	s_or_b64 s[4:5], vcc, s[4:5]
	s_waitcnt vmcnt(0) lgkmcnt(0)
	v_mul_f64 v[18:19], v[16:17], v[12:13]
	v_mul_f64 v[12:13], v[14:15], v[12:13]
	v_fma_f64 v[14:15], v[14:15], v[10:11], -v[18:19]
	v_fmac_f64_e32 v[12:13], v[16:17], v[10:11]
	v_add_f64 v[4:5], v[4:5], v[14:15]
	v_add_f64 v[2:3], v[2:3], v[12:13]
	s_andn2_b64 exec, exec, s[4:5]
	s_cbranch_execnz .LBB42_65
; %bb.66:
	s_or_b64 exec, exec, s[4:5]
	v_mov_b32_e32 v0, 0
	ds_read_b128 v[8:11], v0 offset:208
	s_waitcnt lgkmcnt(0)
	v_mul_f64 v[14:15], v[2:3], v[10:11]
	v_mul_f64 v[12:13], v[4:5], v[10:11]
	v_fma_f64 v[10:11], v[4:5], v[8:9], -v[14:15]
	v_fmac_f64_e32 v[12:13], v[2:3], v[8:9]
	scratch_store_dwordx4 off, v[10:13], off offset:224
.LBB42_67:
	s_or_b64 exec, exec, s[0:1]
	; wave barrier
	scratch_load_dwordx4 v[2:5], off, s29
	v_cmp_gt_u32_e32 vcc, 14, v244
	s_waitcnt vmcnt(0)
	ds_write_b128 v1, v[2:5]
	s_waitcnt lgkmcnt(0)
	; wave barrier
	s_and_saveexec_b64 s[0:1], vcc
	s_cbranch_execz .LBB42_71
; %bb.68:
	v_add_u32_e32 v7, -1, v244
	v_add_u32_e32 v8, 0x2b0, v66
	v_add_u32_e32 v9, 16, v66
	v_mov_b64_e32 v[2:3], 0
	s_mov_b64 s[4:5], 0
	v_mov_b64_e32 v[4:5], 0
.LBB42_69:                              ; =>This Inner Loop Header: Depth=1
	scratch_load_dwordx4 v[10:13], v9, off
	ds_read_b128 v[14:17], v8
	v_add_u32_e32 v7, 1, v7
	v_cmp_lt_u32_e32 vcc, 12, v7
	v_add_u32_e32 v8, 16, v8
	v_add_u32_e32 v9, 16, v9
	s_or_b64 s[4:5], vcc, s[4:5]
	s_waitcnt vmcnt(0) lgkmcnt(0)
	v_mul_f64 v[18:19], v[16:17], v[12:13]
	v_mul_f64 v[12:13], v[14:15], v[12:13]
	v_fma_f64 v[14:15], v[14:15], v[10:11], -v[18:19]
	v_fmac_f64_e32 v[12:13], v[16:17], v[10:11]
	v_add_f64 v[4:5], v[4:5], v[14:15]
	v_add_f64 v[2:3], v[2:3], v[12:13]
	s_andn2_b64 exec, exec, s[4:5]
	s_cbranch_execnz .LBB42_69
; %bb.70:
	s_or_b64 exec, exec, s[4:5]
	v_mov_b32_e32 v0, 0
	ds_read_b128 v[8:11], v0 offset:224
	s_waitcnt lgkmcnt(0)
	v_mul_f64 v[14:15], v[2:3], v[10:11]
	v_mul_f64 v[12:13], v[4:5], v[10:11]
	v_fma_f64 v[10:11], v[4:5], v[8:9], -v[14:15]
	v_fmac_f64_e32 v[12:13], v[2:3], v[8:9]
	scratch_store_dwordx4 off, v[10:13], off offset:240
.LBB42_71:
	s_or_b64 exec, exec, s[0:1]
	; wave barrier
	scratch_load_dwordx4 v[2:5], off, s30
	v_cmp_gt_u32_e32 vcc, 15, v244
	s_waitcnt vmcnt(0)
	ds_write_b128 v1, v[2:5]
	s_waitcnt lgkmcnt(0)
	; wave barrier
	s_and_saveexec_b64 s[0:1], vcc
	s_cbranch_execz .LBB42_75
; %bb.72:
	v_add_u32_e32 v7, -1, v244
	v_add_u32_e32 v8, 0x2b0, v66
	v_add_u32_e32 v9, 16, v66
	v_mov_b64_e32 v[2:3], 0
	s_mov_b64 s[4:5], 0
	v_mov_b64_e32 v[4:5], 0
.LBB42_73:                              ; =>This Inner Loop Header: Depth=1
	scratch_load_dwordx4 v[10:13], v9, off
	ds_read_b128 v[14:17], v8
	v_add_u32_e32 v7, 1, v7
	v_cmp_lt_u32_e32 vcc, 13, v7
	v_add_u32_e32 v8, 16, v8
	v_add_u32_e32 v9, 16, v9
	s_or_b64 s[4:5], vcc, s[4:5]
	s_waitcnt vmcnt(0) lgkmcnt(0)
	v_mul_f64 v[18:19], v[16:17], v[12:13]
	v_mul_f64 v[12:13], v[14:15], v[12:13]
	v_fma_f64 v[14:15], v[14:15], v[10:11], -v[18:19]
	v_fmac_f64_e32 v[12:13], v[16:17], v[10:11]
	v_add_f64 v[4:5], v[4:5], v[14:15]
	v_add_f64 v[2:3], v[2:3], v[12:13]
	s_andn2_b64 exec, exec, s[4:5]
	s_cbranch_execnz .LBB42_73
; %bb.74:
	s_or_b64 exec, exec, s[4:5]
	v_mov_b32_e32 v0, 0
	ds_read_b128 v[8:11], v0 offset:240
	s_waitcnt lgkmcnt(0)
	v_mul_f64 v[14:15], v[2:3], v[10:11]
	v_mul_f64 v[12:13], v[4:5], v[10:11]
	v_fma_f64 v[10:11], v[4:5], v[8:9], -v[14:15]
	v_fmac_f64_e32 v[12:13], v[2:3], v[8:9]
	scratch_store_dwordx4 off, v[10:13], off offset:256
.LBB42_75:
	s_or_b64 exec, exec, s[0:1]
	; wave barrier
	scratch_load_dwordx4 v[2:5], off, s31
	v_cmp_gt_u32_e32 vcc, 16, v244
	s_waitcnt vmcnt(0)
	ds_write_b128 v1, v[2:5]
	s_waitcnt lgkmcnt(0)
	; wave barrier
	s_and_saveexec_b64 s[0:1], vcc
	s_cbranch_execz .LBB42_79
; %bb.76:
	v_add_u32_e32 v7, -1, v244
	v_add_u32_e32 v8, 0x2b0, v66
	v_add_u32_e32 v9, 16, v66
	v_mov_b64_e32 v[2:3], 0
	s_mov_b64 s[4:5], 0
	v_mov_b64_e32 v[4:5], 0
.LBB42_77:                              ; =>This Inner Loop Header: Depth=1
	scratch_load_dwordx4 v[10:13], v9, off
	ds_read_b128 v[14:17], v8
	v_add_u32_e32 v7, 1, v7
	v_cmp_lt_u32_e32 vcc, 14, v7
	v_add_u32_e32 v8, 16, v8
	v_add_u32_e32 v9, 16, v9
	s_or_b64 s[4:5], vcc, s[4:5]
	s_waitcnt vmcnt(0) lgkmcnt(0)
	v_mul_f64 v[18:19], v[16:17], v[12:13]
	v_mul_f64 v[12:13], v[14:15], v[12:13]
	v_fma_f64 v[14:15], v[14:15], v[10:11], -v[18:19]
	v_fmac_f64_e32 v[12:13], v[16:17], v[10:11]
	v_add_f64 v[4:5], v[4:5], v[14:15]
	v_add_f64 v[2:3], v[2:3], v[12:13]
	s_andn2_b64 exec, exec, s[4:5]
	s_cbranch_execnz .LBB42_77
; %bb.78:
	s_or_b64 exec, exec, s[4:5]
	v_mov_b32_e32 v0, 0
	ds_read_b128 v[8:11], v0 offset:256
	s_waitcnt lgkmcnt(0)
	v_mul_f64 v[14:15], v[2:3], v[10:11]
	v_mul_f64 v[12:13], v[4:5], v[10:11]
	v_fma_f64 v[10:11], v[4:5], v[8:9], -v[14:15]
	v_fmac_f64_e32 v[12:13], v[2:3], v[8:9]
	scratch_store_dwordx4 off, v[10:13], off offset:272
.LBB42_79:
	s_or_b64 exec, exec, s[0:1]
	; wave barrier
	scratch_load_dwordx4 v[2:5], off, s33
	v_cmp_gt_u32_e32 vcc, 17, v244
	s_waitcnt vmcnt(0)
	ds_write_b128 v1, v[2:5]
	s_waitcnt lgkmcnt(0)
	; wave barrier
	s_and_saveexec_b64 s[0:1], vcc
	s_cbranch_execz .LBB42_83
; %bb.80:
	v_add_u32_e32 v7, -1, v244
	v_add_u32_e32 v8, 0x2b0, v66
	v_add_u32_e32 v9, 16, v66
	v_mov_b64_e32 v[2:3], 0
	s_mov_b64 s[4:5], 0
	v_mov_b64_e32 v[4:5], 0
.LBB42_81:                              ; =>This Inner Loop Header: Depth=1
	scratch_load_dwordx4 v[10:13], v9, off
	ds_read_b128 v[14:17], v8
	v_add_u32_e32 v7, 1, v7
	v_cmp_lt_u32_e32 vcc, 15, v7
	v_add_u32_e32 v8, 16, v8
	v_add_u32_e32 v9, 16, v9
	s_or_b64 s[4:5], vcc, s[4:5]
	s_waitcnt vmcnt(0) lgkmcnt(0)
	v_mul_f64 v[18:19], v[16:17], v[12:13]
	v_mul_f64 v[12:13], v[14:15], v[12:13]
	v_fma_f64 v[14:15], v[14:15], v[10:11], -v[18:19]
	v_fmac_f64_e32 v[12:13], v[16:17], v[10:11]
	v_add_f64 v[4:5], v[4:5], v[14:15]
	v_add_f64 v[2:3], v[2:3], v[12:13]
	s_andn2_b64 exec, exec, s[4:5]
	s_cbranch_execnz .LBB42_81
; %bb.82:
	s_or_b64 exec, exec, s[4:5]
	v_mov_b32_e32 v0, 0
	ds_read_b128 v[8:11], v0 offset:272
	s_waitcnt lgkmcnt(0)
	v_mul_f64 v[14:15], v[2:3], v[10:11]
	v_mul_f64 v[12:13], v[4:5], v[10:11]
	v_fma_f64 v[10:11], v[4:5], v[8:9], -v[14:15]
	v_fmac_f64_e32 v[12:13], v[2:3], v[8:9]
	scratch_store_dwordx4 off, v[10:13], off offset:288
.LBB42_83:
	s_or_b64 exec, exec, s[0:1]
	; wave barrier
	scratch_load_dwordx4 v[2:5], off, s34
	v_cmp_gt_u32_e32 vcc, 18, v244
	s_waitcnt vmcnt(0)
	ds_write_b128 v1, v[2:5]
	s_waitcnt lgkmcnt(0)
	; wave barrier
	s_and_saveexec_b64 s[0:1], vcc
	s_cbranch_execz .LBB42_87
; %bb.84:
	v_add_u32_e32 v7, -1, v244
	v_add_u32_e32 v8, 0x2b0, v66
	v_add_u32_e32 v9, 16, v66
	v_mov_b64_e32 v[2:3], 0
	s_mov_b64 s[4:5], 0
	v_mov_b64_e32 v[4:5], 0
.LBB42_85:                              ; =>This Inner Loop Header: Depth=1
	scratch_load_dwordx4 v[10:13], v9, off
	ds_read_b128 v[14:17], v8
	v_add_u32_e32 v7, 1, v7
	v_cmp_lt_u32_e32 vcc, 16, v7
	v_add_u32_e32 v8, 16, v8
	v_add_u32_e32 v9, 16, v9
	s_or_b64 s[4:5], vcc, s[4:5]
	s_waitcnt vmcnt(0) lgkmcnt(0)
	v_mul_f64 v[18:19], v[16:17], v[12:13]
	v_mul_f64 v[12:13], v[14:15], v[12:13]
	v_fma_f64 v[14:15], v[14:15], v[10:11], -v[18:19]
	v_fmac_f64_e32 v[12:13], v[16:17], v[10:11]
	v_add_f64 v[4:5], v[4:5], v[14:15]
	v_add_f64 v[2:3], v[2:3], v[12:13]
	s_andn2_b64 exec, exec, s[4:5]
	s_cbranch_execnz .LBB42_85
; %bb.86:
	s_or_b64 exec, exec, s[4:5]
	v_mov_b32_e32 v0, 0
	ds_read_b128 v[8:11], v0 offset:288
	s_waitcnt lgkmcnt(0)
	v_mul_f64 v[14:15], v[2:3], v[10:11]
	v_mul_f64 v[12:13], v[4:5], v[10:11]
	v_fma_f64 v[10:11], v[4:5], v[8:9], -v[14:15]
	v_fmac_f64_e32 v[12:13], v[2:3], v[8:9]
	scratch_store_dwordx4 off, v[10:13], off offset:304
.LBB42_87:
	s_or_b64 exec, exec, s[0:1]
	; wave barrier
	scratch_load_dwordx4 v[2:5], off, s35
	v_cmp_gt_u32_e32 vcc, 19, v244
	s_waitcnt vmcnt(0)
	ds_write_b128 v1, v[2:5]
	s_waitcnt lgkmcnt(0)
	; wave barrier
	s_and_saveexec_b64 s[0:1], vcc
	s_cbranch_execz .LBB42_91
; %bb.88:
	v_add_u32_e32 v7, -1, v244
	v_add_u32_e32 v8, 0x2b0, v66
	v_add_u32_e32 v9, 16, v66
	v_mov_b64_e32 v[2:3], 0
	s_mov_b64 s[4:5], 0
	v_mov_b64_e32 v[4:5], 0
.LBB42_89:                              ; =>This Inner Loop Header: Depth=1
	scratch_load_dwordx4 v[10:13], v9, off
	ds_read_b128 v[14:17], v8
	v_add_u32_e32 v7, 1, v7
	v_cmp_lt_u32_e32 vcc, 17, v7
	v_add_u32_e32 v8, 16, v8
	v_add_u32_e32 v9, 16, v9
	s_or_b64 s[4:5], vcc, s[4:5]
	s_waitcnt vmcnt(0) lgkmcnt(0)
	v_mul_f64 v[18:19], v[16:17], v[12:13]
	v_mul_f64 v[12:13], v[14:15], v[12:13]
	v_fma_f64 v[14:15], v[14:15], v[10:11], -v[18:19]
	v_fmac_f64_e32 v[12:13], v[16:17], v[10:11]
	v_add_f64 v[4:5], v[4:5], v[14:15]
	v_add_f64 v[2:3], v[2:3], v[12:13]
	s_andn2_b64 exec, exec, s[4:5]
	s_cbranch_execnz .LBB42_89
; %bb.90:
	s_or_b64 exec, exec, s[4:5]
	v_mov_b32_e32 v0, 0
	ds_read_b128 v[8:11], v0 offset:304
	s_waitcnt lgkmcnt(0)
	v_mul_f64 v[14:15], v[2:3], v[10:11]
	v_mul_f64 v[12:13], v[4:5], v[10:11]
	v_fma_f64 v[10:11], v[4:5], v[8:9], -v[14:15]
	v_fmac_f64_e32 v[12:13], v[2:3], v[8:9]
	scratch_store_dwordx4 off, v[10:13], off offset:320
.LBB42_91:
	s_or_b64 exec, exec, s[0:1]
	; wave barrier
	scratch_load_dwordx4 v[2:5], off, s36
	v_cmp_gt_u32_e32 vcc, 20, v244
	s_waitcnt vmcnt(0)
	ds_write_b128 v1, v[2:5]
	s_waitcnt lgkmcnt(0)
	; wave barrier
	s_and_saveexec_b64 s[0:1], vcc
	s_cbranch_execz .LBB42_95
; %bb.92:
	v_add_u32_e32 v7, -1, v244
	v_add_u32_e32 v8, 0x2b0, v66
	v_add_u32_e32 v9, 16, v66
	v_mov_b64_e32 v[2:3], 0
	s_mov_b64 s[4:5], 0
	v_mov_b64_e32 v[4:5], 0
.LBB42_93:                              ; =>This Inner Loop Header: Depth=1
	scratch_load_dwordx4 v[10:13], v9, off
	ds_read_b128 v[14:17], v8
	v_add_u32_e32 v7, 1, v7
	v_cmp_lt_u32_e32 vcc, 18, v7
	v_add_u32_e32 v8, 16, v8
	v_add_u32_e32 v9, 16, v9
	s_or_b64 s[4:5], vcc, s[4:5]
	s_waitcnt vmcnt(0) lgkmcnt(0)
	v_mul_f64 v[18:19], v[16:17], v[12:13]
	v_mul_f64 v[12:13], v[14:15], v[12:13]
	v_fma_f64 v[14:15], v[14:15], v[10:11], -v[18:19]
	v_fmac_f64_e32 v[12:13], v[16:17], v[10:11]
	v_add_f64 v[4:5], v[4:5], v[14:15]
	v_add_f64 v[2:3], v[2:3], v[12:13]
	s_andn2_b64 exec, exec, s[4:5]
	s_cbranch_execnz .LBB42_93
; %bb.94:
	s_or_b64 exec, exec, s[4:5]
	v_mov_b32_e32 v0, 0
	ds_read_b128 v[8:11], v0 offset:320
	s_waitcnt lgkmcnt(0)
	v_mul_f64 v[14:15], v[2:3], v[10:11]
	v_mul_f64 v[12:13], v[4:5], v[10:11]
	v_fma_f64 v[10:11], v[4:5], v[8:9], -v[14:15]
	v_fmac_f64_e32 v[12:13], v[2:3], v[8:9]
	scratch_store_dwordx4 off, v[10:13], off offset:336
.LBB42_95:
	s_or_b64 exec, exec, s[0:1]
	; wave barrier
	scratch_load_dwordx4 v[2:5], off, s37
	v_cmp_gt_u32_e32 vcc, 21, v244
	s_waitcnt vmcnt(0)
	ds_write_b128 v1, v[2:5]
	s_waitcnt lgkmcnt(0)
	; wave barrier
	s_and_saveexec_b64 s[0:1], vcc
	s_cbranch_execz .LBB42_99
; %bb.96:
	v_add_u32_e32 v7, -1, v244
	v_add_u32_e32 v8, 0x2b0, v66
	v_add_u32_e32 v9, 16, v66
	v_mov_b64_e32 v[2:3], 0
	s_mov_b64 s[4:5], 0
	v_mov_b64_e32 v[4:5], 0
.LBB42_97:                              ; =>This Inner Loop Header: Depth=1
	scratch_load_dwordx4 v[10:13], v9, off
	ds_read_b128 v[14:17], v8
	v_add_u32_e32 v7, 1, v7
	v_cmp_lt_u32_e32 vcc, 19, v7
	v_add_u32_e32 v8, 16, v8
	v_add_u32_e32 v9, 16, v9
	s_or_b64 s[4:5], vcc, s[4:5]
	s_waitcnt vmcnt(0) lgkmcnt(0)
	v_mul_f64 v[18:19], v[16:17], v[12:13]
	v_mul_f64 v[12:13], v[14:15], v[12:13]
	v_fma_f64 v[14:15], v[14:15], v[10:11], -v[18:19]
	v_fmac_f64_e32 v[12:13], v[16:17], v[10:11]
	v_add_f64 v[4:5], v[4:5], v[14:15]
	v_add_f64 v[2:3], v[2:3], v[12:13]
	s_andn2_b64 exec, exec, s[4:5]
	s_cbranch_execnz .LBB42_97
; %bb.98:
	s_or_b64 exec, exec, s[4:5]
	v_mov_b32_e32 v0, 0
	ds_read_b128 v[8:11], v0 offset:336
	s_waitcnt lgkmcnt(0)
	v_mul_f64 v[14:15], v[2:3], v[10:11]
	v_mul_f64 v[12:13], v[4:5], v[10:11]
	v_fma_f64 v[10:11], v[4:5], v[8:9], -v[14:15]
	v_fmac_f64_e32 v[12:13], v[2:3], v[8:9]
	scratch_store_dwordx4 off, v[10:13], off offset:352
.LBB42_99:
	s_or_b64 exec, exec, s[0:1]
	; wave barrier
	scratch_load_dwordx4 v[2:5], off, s38
	v_cmp_gt_u32_e32 vcc, 22, v244
	s_waitcnt vmcnt(0)
	ds_write_b128 v1, v[2:5]
	s_waitcnt lgkmcnt(0)
	; wave barrier
	s_and_saveexec_b64 s[0:1], vcc
	s_cbranch_execz .LBB42_103
; %bb.100:
	v_add_u32_e32 v7, -1, v244
	v_add_u32_e32 v8, 0x2b0, v66
	v_add_u32_e32 v9, 16, v66
	v_mov_b64_e32 v[2:3], 0
	s_mov_b64 s[4:5], 0
	v_mov_b64_e32 v[4:5], 0
.LBB42_101:                             ; =>This Inner Loop Header: Depth=1
	scratch_load_dwordx4 v[10:13], v9, off
	ds_read_b128 v[14:17], v8
	v_add_u32_e32 v7, 1, v7
	v_cmp_lt_u32_e32 vcc, 20, v7
	v_add_u32_e32 v8, 16, v8
	v_add_u32_e32 v9, 16, v9
	s_or_b64 s[4:5], vcc, s[4:5]
	s_waitcnt vmcnt(0) lgkmcnt(0)
	v_mul_f64 v[18:19], v[16:17], v[12:13]
	v_mul_f64 v[12:13], v[14:15], v[12:13]
	v_fma_f64 v[14:15], v[14:15], v[10:11], -v[18:19]
	v_fmac_f64_e32 v[12:13], v[16:17], v[10:11]
	v_add_f64 v[4:5], v[4:5], v[14:15]
	v_add_f64 v[2:3], v[2:3], v[12:13]
	s_andn2_b64 exec, exec, s[4:5]
	s_cbranch_execnz .LBB42_101
; %bb.102:
	s_or_b64 exec, exec, s[4:5]
	v_mov_b32_e32 v0, 0
	ds_read_b128 v[8:11], v0 offset:352
	s_waitcnt lgkmcnt(0)
	v_mul_f64 v[14:15], v[2:3], v[10:11]
	v_mul_f64 v[12:13], v[4:5], v[10:11]
	v_fma_f64 v[10:11], v[4:5], v[8:9], -v[14:15]
	v_fmac_f64_e32 v[12:13], v[2:3], v[8:9]
	scratch_store_dwordx4 off, v[10:13], off offset:368
.LBB42_103:
	s_or_b64 exec, exec, s[0:1]
	; wave barrier
	scratch_load_dwordx4 v[2:5], off, s39
	v_cmp_gt_u32_e32 vcc, 23, v244
	s_waitcnt vmcnt(0)
	ds_write_b128 v1, v[2:5]
	s_waitcnt lgkmcnt(0)
	; wave barrier
	s_and_saveexec_b64 s[0:1], vcc
	s_cbranch_execz .LBB42_107
; %bb.104:
	v_add_u32_e32 v7, -1, v244
	v_add_u32_e32 v8, 0x2b0, v66
	v_add_u32_e32 v9, 16, v66
	v_mov_b64_e32 v[2:3], 0
	s_mov_b64 s[4:5], 0
	v_mov_b64_e32 v[4:5], 0
.LBB42_105:                             ; =>This Inner Loop Header: Depth=1
	scratch_load_dwordx4 v[10:13], v9, off
	ds_read_b128 v[14:17], v8
	v_add_u32_e32 v7, 1, v7
	v_cmp_lt_u32_e32 vcc, 21, v7
	v_add_u32_e32 v8, 16, v8
	v_add_u32_e32 v9, 16, v9
	s_or_b64 s[4:5], vcc, s[4:5]
	s_waitcnt vmcnt(0) lgkmcnt(0)
	v_mul_f64 v[18:19], v[16:17], v[12:13]
	v_mul_f64 v[12:13], v[14:15], v[12:13]
	v_fma_f64 v[14:15], v[14:15], v[10:11], -v[18:19]
	v_fmac_f64_e32 v[12:13], v[16:17], v[10:11]
	v_add_f64 v[4:5], v[4:5], v[14:15]
	v_add_f64 v[2:3], v[2:3], v[12:13]
	s_andn2_b64 exec, exec, s[4:5]
	s_cbranch_execnz .LBB42_105
; %bb.106:
	s_or_b64 exec, exec, s[4:5]
	v_mov_b32_e32 v0, 0
	ds_read_b128 v[8:11], v0 offset:368
	s_waitcnt lgkmcnt(0)
	v_mul_f64 v[14:15], v[2:3], v[10:11]
	v_mul_f64 v[12:13], v[4:5], v[10:11]
	v_fma_f64 v[10:11], v[4:5], v[8:9], -v[14:15]
	v_fmac_f64_e32 v[12:13], v[2:3], v[8:9]
	scratch_store_dwordx4 off, v[10:13], off offset:384
.LBB42_107:
	s_or_b64 exec, exec, s[0:1]
	; wave barrier
	scratch_load_dwordx4 v[2:5], off, s40
	v_cmp_gt_u32_e32 vcc, 24, v244
	;; [unrolled: 45-line block ×19, first 2 shown]
	s_waitcnt vmcnt(0)
	ds_write_b128 v1, v[2:5]
	s_waitcnt lgkmcnt(0)
	; wave barrier
	s_and_saveexec_b64 s[0:1], vcc
	s_cbranch_execz .LBB42_179
; %bb.176:
	v_add_u32_e32 v7, -1, v244
	v_add_u32_e32 v8, 0x2b0, v66
	v_add_u32_e32 v9, 16, v66
	v_mov_b64_e32 v[2:3], 0
	s_mov_b64 s[4:5], 0
	v_mov_b64_e32 v[4:5], 0
.LBB42_177:                             ; =>This Inner Loop Header: Depth=1
	scratch_load_dwordx4 v[10:13], v9, off
	ds_read_b128 v[14:17], v8
	v_add_u32_e32 v7, 1, v7
	v_cmp_lt_u32_e32 vcc, 39, v7
	v_add_u32_e32 v8, 16, v8
	v_add_u32_e32 v9, 16, v9
	s_or_b64 s[4:5], vcc, s[4:5]
	s_waitcnt vmcnt(0) lgkmcnt(0)
	v_mul_f64 v[18:19], v[16:17], v[12:13]
	v_mul_f64 v[12:13], v[14:15], v[12:13]
	v_fma_f64 v[14:15], v[14:15], v[10:11], -v[18:19]
	v_fmac_f64_e32 v[12:13], v[16:17], v[10:11]
	v_add_f64 v[4:5], v[4:5], v[14:15]
	v_add_f64 v[2:3], v[2:3], v[12:13]
	s_andn2_b64 exec, exec, s[4:5]
	s_cbranch_execnz .LBB42_177
; %bb.178:
	s_or_b64 exec, exec, s[4:5]
	v_mov_b32_e32 v0, 0
	ds_read_b128 v[8:11], v0 offset:656
	s_waitcnt lgkmcnt(0)
	v_mul_f64 v[14:15], v[2:3], v[10:11]
	v_mul_f64 v[12:13], v[4:5], v[10:11]
	v_fma_f64 v[10:11], v[4:5], v[8:9], -v[14:15]
	v_fmac_f64_e32 v[12:13], v[2:3], v[8:9]
	scratch_store_dwordx4 off, v[10:13], off offset:672
.LBB42_179:
	s_or_b64 exec, exec, s[0:1]
	; wave barrier
	scratch_load_dwordx4 v[2:5], off, s23
	v_cmp_ne_u32_e32 vcc, 42, v244
	s_waitcnt vmcnt(0)
	ds_write_b128 v1, v[2:5]
	s_waitcnt lgkmcnt(0)
	; wave barrier
	s_and_saveexec_b64 s[0:1], vcc
	s_cbranch_execz .LBB42_183
; %bb.180:
	v_add_u32_e32 v1, 0x2b0, v66
	v_add_u32_e32 v7, 16, v66
	v_mov_b64_e32 v[2:3], 0
	s_mov_b64 s[4:5], 0
	v_mov_b64_e32 v[4:5], 0
.LBB42_181:                             ; =>This Inner Loop Header: Depth=1
	scratch_load_dwordx4 v[8:11], v7, off
	ds_read_b128 v[12:15], v1
	v_add_u32_e32 v6, 1, v6
	v_cmp_lt_u32_e32 vcc, 40, v6
	v_add_u32_e32 v1, 16, v1
	v_add_u32_e32 v7, 16, v7
	s_or_b64 s[4:5], vcc, s[4:5]
	s_waitcnt vmcnt(0) lgkmcnt(0)
	v_mul_f64 v[16:17], v[14:15], v[10:11]
	v_mul_f64 v[10:11], v[12:13], v[10:11]
	v_fma_f64 v[12:13], v[12:13], v[8:9], -v[16:17]
	v_fmac_f64_e32 v[10:11], v[14:15], v[8:9]
	v_add_f64 v[4:5], v[4:5], v[12:13]
	v_add_f64 v[2:3], v[2:3], v[10:11]
	s_andn2_b64 exec, exec, s[4:5]
	s_cbranch_execnz .LBB42_181
; %bb.182:
	s_or_b64 exec, exec, s[4:5]
	v_mov_b32_e32 v0, 0
	ds_read_b128 v[6:9], v0 offset:672
	s_waitcnt lgkmcnt(0)
	v_mul_f64 v[12:13], v[2:3], v[8:9]
	v_mul_f64 v[10:11], v[4:5], v[8:9]
	v_fma_f64 v[8:9], v[4:5], v[6:7], -v[12:13]
	v_fmac_f64_e32 v[10:11], v[2:3], v[6:7]
	scratch_store_dwordx4 off, v[8:11], off offset:688
.LBB42_183:
	s_or_b64 exec, exec, s[0:1]
	s_mov_b64 s[4:5], -1
	; wave barrier
.LBB42_184:
	s_and_b64 vcc, exec, s[4:5]
	s_cbranch_vccz .LBB42_186
; %bb.185:
	s_lshl_b64 s[0:1], s[2:3], 2
	s_add_u32 s0, s6, s0
	s_addc_u32 s1, s7, s1
	v_mov_b32_e32 v0, 0
	global_load_dword v0, v0, s[0:1]
	s_waitcnt vmcnt(0)
	v_cmp_ne_u32_e32 vcc, 0, v0
	s_cbranch_vccz .LBB42_187
.LBB42_186:
	s_endpgm
.LBB42_187:
	v_mov_b32_e32 v0, 0x2b0
	v_lshl_add_u32 v0, v244, 4, v0
	v_accvgpr_write_b32 a87, v0
	v_cmp_eq_u32_e32 vcc, 42, v244
	s_and_saveexec_b64 s[0:1], vcc
	s_cbranch_execz .LBB42_189
; %bb.188:
	scratch_load_dwordx4 v[2:5], off, s22
	v_mov_b32_e32 v6, 0
	v_mov_b32_e32 v7, v6
	;; [unrolled: 1-line block ×4, first 2 shown]
	v_accvgpr_read_b32 v0, a87
	scratch_store_dwordx4 off, v[6:9], off offset:672
	s_waitcnt vmcnt(1)
	ds_write_b128 v0, v[2:5]
.LBB42_189:
	s_or_b64 exec, exec, s[0:1]
	s_waitcnt lgkmcnt(0)
	; wave barrier
	scratch_load_dwordx4 v[4:7], off, off offset:688
	scratch_load_dwordx4 v[8:11], off, off offset:672
	v_mov_b32_e32 v2, 0
	ds_read_b128 v[12:15], v2 offset:1360
	v_cmp_lt_u32_e32 vcc, 40, v244
	s_waitcnt vmcnt(1) lgkmcnt(0)
	v_mul_f64 v[16:17], v[12:13], v[6:7]
	v_mul_f64 v[6:7], v[14:15], v[6:7]
	v_fmac_f64_e32 v[16:17], v[14:15], v[4:5]
	v_fma_f64 v[4:5], v[12:13], v[4:5], -v[6:7]
	v_add_f64 v[6:7], v[16:17], 0
	v_add_f64 v[4:5], v[4:5], 0
	s_waitcnt vmcnt(0)
	v_add_f64 v[4:5], v[8:9], -v[4:5]
	v_add_f64 v[6:7], v[10:11], -v[6:7]
	scratch_store_dwordx4 off, v[4:7], off offset:672
	s_and_saveexec_b64 s[0:1], vcc
	s_cbranch_execz .LBB42_191
; %bb.190:
	scratch_load_dwordx4 v[6:9], off, s56
	v_mov_b32_e32 v3, v2
	v_mov_b32_e32 v4, v2
	;; [unrolled: 1-line block ×3, first 2 shown]
	v_accvgpr_read_b32 v0, a87
	scratch_store_dwordx4 off, v[2:5], off offset:656
	s_waitcnt vmcnt(1)
	ds_write_b128 v0, v[6:9]
.LBB42_191:
	s_or_b64 exec, exec, s[0:1]
	s_waitcnt lgkmcnt(0)
	; wave barrier
	scratch_load_dwordx4 v[4:7], off, off offset:672
	scratch_load_dwordx4 v[8:11], off, off offset:688
	;; [unrolled: 1-line block ×3, first 2 shown]
	ds_read_b128 v[16:19], v2 offset:1344
	ds_read_b128 v[20:23], v2 offset:1360
	v_cmp_lt_u32_e32 vcc, 39, v244
	s_waitcnt vmcnt(2) lgkmcnt(1)
	v_mul_f64 v[2:3], v[16:17], v[6:7]
	v_mul_f64 v[6:7], v[18:19], v[6:7]
	s_waitcnt vmcnt(1) lgkmcnt(0)
	v_mul_f64 v[24:25], v[20:21], v[10:11]
	v_mul_f64 v[10:11], v[22:23], v[10:11]
	v_fmac_f64_e32 v[2:3], v[18:19], v[4:5]
	v_fma_f64 v[4:5], v[16:17], v[4:5], -v[6:7]
	v_fmac_f64_e32 v[24:25], v[22:23], v[8:9]
	v_fma_f64 v[6:7], v[20:21], v[8:9], -v[10:11]
	v_add_f64 v[2:3], v[2:3], 0
	v_add_f64 v[4:5], v[4:5], 0
	;; [unrolled: 1-line block ×4, first 2 shown]
	s_waitcnt vmcnt(0)
	v_add_f64 v[2:3], v[12:13], -v[2:3]
	v_add_f64 v[4:5], v[14:15], -v[8:9]
	scratch_store_dwordx4 off, v[2:5], off offset:656
	s_and_saveexec_b64 s[0:1], vcc
	s_cbranch_execz .LBB42_193
; %bb.192:
	scratch_load_dwordx4 v[2:5], off, s55
	v_mov_b32_e32 v6, 0
	v_mov_b32_e32 v7, v6
	;; [unrolled: 1-line block ×4, first 2 shown]
	v_accvgpr_read_b32 v0, a87
	scratch_store_dwordx4 off, v[6:9], off offset:640
	s_waitcnt vmcnt(1)
	ds_write_b128 v0, v[2:5]
.LBB42_193:
	s_or_b64 exec, exec, s[0:1]
	s_waitcnt lgkmcnt(0)
	; wave barrier
	scratch_load_dwordx4 v[4:7], off, off offset:656
	scratch_load_dwordx4 v[8:11], off, off offset:672
	;; [unrolled: 1-line block ×4, first 2 shown]
	v_mov_b32_e32 v2, 0
	ds_read_b128 v[20:23], v2 offset:1328
	ds_read_b128 v[24:27], v2 offset:1344
	;; [unrolled: 1-line block ×3, first 2 shown]
	v_cmp_lt_u32_e32 vcc, 38, v244
	s_waitcnt vmcnt(3) lgkmcnt(2)
	v_mul_f64 v[32:33], v[20:21], v[6:7]
	v_mul_f64 v[6:7], v[22:23], v[6:7]
	s_waitcnt vmcnt(2) lgkmcnt(1)
	v_mul_f64 v[34:35], v[24:25], v[10:11]
	v_mul_f64 v[10:11], v[26:27], v[10:11]
	v_fmac_f64_e32 v[32:33], v[22:23], v[4:5]
	v_fma_f64 v[4:5], v[20:21], v[4:5], -v[6:7]
	s_waitcnt vmcnt(1) lgkmcnt(0)
	v_mul_f64 v[36:37], v[28:29], v[14:15]
	v_mul_f64 v[14:15], v[30:31], v[14:15]
	v_fmac_f64_e32 v[34:35], v[26:27], v[8:9]
	v_fma_f64 v[6:7], v[24:25], v[8:9], -v[10:11]
	v_add_f64 v[10:11], v[32:33], 0
	v_add_f64 v[4:5], v[4:5], 0
	v_fmac_f64_e32 v[36:37], v[30:31], v[12:13]
	v_fma_f64 v[8:9], v[28:29], v[12:13], -v[14:15]
	v_add_f64 v[10:11], v[10:11], v[34:35]
	v_add_f64 v[4:5], v[4:5], v[6:7]
	;; [unrolled: 1-line block ×4, first 2 shown]
	s_waitcnt vmcnt(0)
	v_add_f64 v[4:5], v[16:17], -v[4:5]
	v_add_f64 v[6:7], v[18:19], -v[6:7]
	scratch_store_dwordx4 off, v[4:7], off offset:640
	s_and_saveexec_b64 s[0:1], vcc
	s_cbranch_execz .LBB42_195
; %bb.194:
	scratch_load_dwordx4 v[6:9], off, s54
	v_mov_b32_e32 v3, v2
	v_mov_b32_e32 v4, v2
	v_mov_b32_e32 v5, v2
	v_accvgpr_read_b32 v0, a87
	scratch_store_dwordx4 off, v[2:5], off offset:624
	s_waitcnt vmcnt(1)
	ds_write_b128 v0, v[6:9]
.LBB42_195:
	s_or_b64 exec, exec, s[0:1]
	s_waitcnt lgkmcnt(0)
	; wave barrier
	ds_read_b128 v[4:7], v2 offset:1312
	ds_read_b128 v[8:11], v2 offset:1328
	;; [unrolled: 1-line block ×4, first 2 shown]
	scratch_load_dwordx4 v[20:23], off, off offset:640
	scratch_load_dwordx4 v[24:27], off, off offset:656
	v_cmp_lt_u32_e32 vcc, 37, v244
	s_waitcnt vmcnt(1) lgkmcnt(3)
	v_mul_f64 v[2:3], v[4:5], v[22:23]
	v_fmac_f64_e32 v[2:3], v[6:7], v[20:21]
	s_waitcnt vmcnt(0) lgkmcnt(2)
	v_mul_f64 v[28:29], v[8:9], v[26:27]
	v_add_f64 v[2:3], v[2:3], 0
	v_fmac_f64_e32 v[28:29], v[10:11], v[24:25]
	v_add_f64 v[2:3], v[2:3], v[28:29]
	scratch_load_dwordx4 v[28:31], off, off offset:672
	s_waitcnt vmcnt(0) lgkmcnt(1)
	v_mul_f64 v[32:33], v[12:13], v[30:31]
	v_fmac_f64_e32 v[32:33], v[14:15], v[28:29]
	v_add_f64 v[2:3], v[2:3], v[32:33]
	scratch_load_dwordx4 v[32:35], off, off offset:688
	s_waitcnt vmcnt(0) lgkmcnt(0)
	v_mul_f64 v[36:37], v[16:17], v[34:35]
	v_fmac_f64_e32 v[36:37], v[18:19], v[32:33]
	v_add_f64 v[36:37], v[2:3], v[36:37]
	v_mul_f64 v[2:3], v[6:7], v[22:23]
	v_fma_f64 v[2:3], v[4:5], v[20:21], -v[2:3]
	v_mul_f64 v[4:5], v[10:11], v[26:27]
	v_add_f64 v[2:3], v[2:3], 0
	v_fma_f64 v[4:5], v[8:9], v[24:25], -v[4:5]
	v_add_f64 v[2:3], v[2:3], v[4:5]
	v_mul_f64 v[4:5], v[14:15], v[30:31]
	v_fma_f64 v[4:5], v[12:13], v[28:29], -v[4:5]
	v_add_f64 v[2:3], v[2:3], v[4:5]
	v_mul_f64 v[4:5], v[18:19], v[34:35]
	v_fma_f64 v[4:5], v[16:17], v[32:33], -v[4:5]
	v_add_f64 v[6:7], v[2:3], v[4:5]
	scratch_load_dwordx4 v[2:5], off, off offset:624
	s_waitcnt vmcnt(0)
	v_add_f64 v[2:3], v[2:3], -v[6:7]
	v_add_f64 v[4:5], v[4:5], -v[36:37]
	scratch_store_dwordx4 off, v[2:5], off offset:624
	s_and_saveexec_b64 s[0:1], vcc
	s_cbranch_execz .LBB42_197
; %bb.196:
	scratch_load_dwordx4 v[2:5], off, s53
	v_mov_b32_e32 v6, 0
	v_mov_b32_e32 v7, v6
	;; [unrolled: 1-line block ×4, first 2 shown]
	v_accvgpr_read_b32 v0, a87
	scratch_store_dwordx4 off, v[6:9], off offset:608
	s_waitcnt vmcnt(1)
	ds_write_b128 v0, v[2:5]
.LBB42_197:
	s_or_b64 exec, exec, s[0:1]
	s_waitcnt lgkmcnt(0)
	; wave barrier
	scratch_load_dwordx4 v[4:7], off, off offset:624
	scratch_load_dwordx4 v[8:11], off, off offset:640
	;; [unrolled: 1-line block ×6, first 2 shown]
	v_mov_b32_e32 v2, 0
	ds_read_b128 v[28:31], v2 offset:1296
	ds_read_b128 v[32:35], v2 offset:1312
	;; [unrolled: 1-line block ×5, first 2 shown]
	v_cmp_lt_u32_e32 vcc, 36, v244
	s_waitcnt vmcnt(5) lgkmcnt(4)
	v_mul_f64 v[48:49], v[28:29], v[6:7]
	v_mul_f64 v[6:7], v[30:31], v[6:7]
	s_waitcnt vmcnt(4) lgkmcnt(3)
	v_mul_f64 v[50:51], v[32:33], v[10:11]
	s_waitcnt vmcnt(3) lgkmcnt(2)
	v_mul_f64 v[52:53], v[36:37], v[14:15]
	v_mul_f64 v[10:11], v[34:35], v[10:11]
	;; [unrolled: 1-line block ×3, first 2 shown]
	v_fmac_f64_e32 v[48:49], v[30:31], v[4:5]
	v_fma_f64 v[4:5], v[28:29], v[4:5], -v[6:7]
	v_fmac_f64_e32 v[50:51], v[34:35], v[8:9]
	v_fma_f64 v[6:7], v[32:33], v[8:9], -v[10:11]
	v_fma_f64 v[8:9], v[36:37], v[12:13], -v[14:15]
	v_add_f64 v[14:15], v[48:49], 0
	v_add_f64 v[4:5], v[4:5], 0
	s_waitcnt vmcnt(2) lgkmcnt(1)
	v_mul_f64 v[54:55], v[40:41], v[18:19]
	v_mul_f64 v[18:19], v[42:43], v[18:19]
	v_fmac_f64_e32 v[52:53], v[38:39], v[12:13]
	v_add_f64 v[14:15], v[14:15], v[50:51]
	v_add_f64 v[4:5], v[4:5], v[6:7]
	s_waitcnt vmcnt(1) lgkmcnt(0)
	v_mul_f64 v[56:57], v[44:45], v[22:23]
	v_mul_f64 v[22:23], v[46:47], v[22:23]
	v_fmac_f64_e32 v[54:55], v[42:43], v[16:17]
	v_fma_f64 v[10:11], v[40:41], v[16:17], -v[18:19]
	v_add_f64 v[6:7], v[14:15], v[52:53]
	v_add_f64 v[4:5], v[4:5], v[8:9]
	v_fmac_f64_e32 v[56:57], v[46:47], v[20:21]
	v_fma_f64 v[12:13], v[44:45], v[20:21], -v[22:23]
	v_add_f64 v[6:7], v[6:7], v[54:55]
	v_add_f64 v[4:5], v[4:5], v[10:11]
	v_add_f64 v[6:7], v[6:7], v[56:57]
	v_add_f64 v[4:5], v[4:5], v[12:13]
	s_waitcnt vmcnt(0)
	v_add_f64 v[4:5], v[24:25], -v[4:5]
	v_add_f64 v[6:7], v[26:27], -v[6:7]
	scratch_store_dwordx4 off, v[4:7], off offset:608
	s_and_saveexec_b64 s[0:1], vcc
	s_cbranch_execz .LBB42_199
; %bb.198:
	scratch_load_dwordx4 v[6:9], off, s52
	v_mov_b32_e32 v3, v2
	v_mov_b32_e32 v4, v2
	;; [unrolled: 1-line block ×3, first 2 shown]
	v_accvgpr_read_b32 v0, a87
	scratch_store_dwordx4 off, v[2:5], off offset:592
	s_waitcnt vmcnt(1)
	ds_write_b128 v0, v[6:9]
.LBB42_199:
	s_or_b64 exec, exec, s[0:1]
	s_waitcnt lgkmcnt(0)
	; wave barrier
	scratch_load_dwordx4 v[4:7], off, off offset:608
	scratch_load_dwordx4 v[8:11], off, off offset:624
	;; [unrolled: 1-line block ×7, first 2 shown]
	ds_read_b128 v[32:35], v2 offset:1280
	ds_read_b128 v[36:39], v2 offset:1296
	;; [unrolled: 1-line block ×6, first 2 shown]
	v_cmp_lt_u32_e32 vcc, 35, v244
	s_waitcnt vmcnt(6) lgkmcnt(5)
	v_mul_f64 v[2:3], v[32:33], v[6:7]
	v_mul_f64 v[6:7], v[34:35], v[6:7]
	s_waitcnt vmcnt(5) lgkmcnt(4)
	v_mul_f64 v[56:57], v[36:37], v[10:11]
	v_mul_f64 v[10:11], v[38:39], v[10:11]
	v_fmac_f64_e32 v[2:3], v[34:35], v[4:5]
	v_fma_f64 v[4:5], v[32:33], v[4:5], -v[6:7]
	s_waitcnt vmcnt(4) lgkmcnt(3)
	v_mul_f64 v[58:59], v[40:41], v[14:15]
	v_mul_f64 v[14:15], v[42:43], v[14:15]
	v_fmac_f64_e32 v[56:57], v[38:39], v[8:9]
	v_fma_f64 v[6:7], v[36:37], v[8:9], -v[10:11]
	v_add_f64 v[2:3], v[2:3], 0
	v_add_f64 v[4:5], v[4:5], 0
	s_waitcnt vmcnt(3) lgkmcnt(2)
	v_mul_f64 v[60:61], v[44:45], v[18:19]
	v_mul_f64 v[18:19], v[46:47], v[18:19]
	v_fmac_f64_e32 v[58:59], v[42:43], v[12:13]
	v_fma_f64 v[8:9], v[40:41], v[12:13], -v[14:15]
	v_add_f64 v[2:3], v[2:3], v[56:57]
	v_add_f64 v[4:5], v[4:5], v[6:7]
	;; [unrolled: 7-line block ×4, first 2 shown]
	v_fmac_f64_e32 v[64:65], v[54:55], v[24:25]
	v_fma_f64 v[14:15], v[52:53], v[24:25], -v[26:27]
	v_add_f64 v[2:3], v[2:3], v[62:63]
	v_add_f64 v[4:5], v[4:5], v[12:13]
	;; [unrolled: 1-line block ×4, first 2 shown]
	s_waitcnt vmcnt(0)
	v_add_f64 v[2:3], v[28:29], -v[2:3]
	v_add_f64 v[4:5], v[30:31], -v[6:7]
	scratch_store_dwordx4 off, v[2:5], off offset:592
	s_and_saveexec_b64 s[0:1], vcc
	s_cbranch_execz .LBB42_201
; %bb.200:
	scratch_load_dwordx4 v[2:5], off, s51
	v_mov_b32_e32 v6, 0
	v_mov_b32_e32 v7, v6
	;; [unrolled: 1-line block ×4, first 2 shown]
	v_accvgpr_read_b32 v0, a87
	scratch_store_dwordx4 off, v[6:9], off offset:576
	s_waitcnt vmcnt(1)
	ds_write_b128 v0, v[2:5]
.LBB42_201:
	s_or_b64 exec, exec, s[0:1]
	s_waitcnt lgkmcnt(0)
	; wave barrier
	scratch_load_dwordx4 v[4:7], off, off offset:592
	scratch_load_dwordx4 v[8:11], off, off offset:608
	;; [unrolled: 1-line block ×8, first 2 shown]
	v_mov_b32_e32 v2, 0
	ds_read_b128 v[36:39], v2 offset:1264
	ds_read_b128 v[40:43], v2 offset:1280
	;; [unrolled: 1-line block ×7, first 2 shown]
	v_cmp_lt_u32_e32 vcc, 34, v244
	s_waitcnt vmcnt(7) lgkmcnt(6)
	v_mul_f64 v[64:65], v[36:37], v[6:7]
	v_mul_f64 v[6:7], v[38:39], v[6:7]
	s_waitcnt vmcnt(6) lgkmcnt(5)
	v_mul_f64 v[66:67], v[40:41], v[10:11]
	s_waitcnt vmcnt(4) lgkmcnt(3)
	v_mul_f64 v[70:71], v[48:49], v[18:19]
	v_mul_f64 v[10:11], v[42:43], v[10:11]
	;; [unrolled: 1-line block ×3, first 2 shown]
	v_fmac_f64_e32 v[64:65], v[38:39], v[4:5]
	v_fma_f64 v[4:5], v[36:37], v[4:5], -v[6:7]
	v_mul_f64 v[68:69], v[44:45], v[14:15]
	v_mul_f64 v[14:15], v[46:47], v[14:15]
	v_fmac_f64_e32 v[66:67], v[42:43], v[8:9]
	v_fma_f64 v[6:7], v[40:41], v[8:9], -v[10:11]
	v_fma_f64 v[10:11], v[48:49], v[16:17], -v[18:19]
	v_add_f64 v[18:19], v[64:65], 0
	v_add_f64 v[4:5], v[4:5], 0
	v_fmac_f64_e32 v[68:69], v[46:47], v[12:13]
	v_fma_f64 v[8:9], v[44:45], v[12:13], -v[14:15]
	v_add_f64 v[18:19], v[18:19], v[66:67]
	v_add_f64 v[4:5], v[4:5], v[6:7]
	s_waitcnt vmcnt(3) lgkmcnt(2)
	v_mul_f64 v[72:73], v[52:53], v[22:23]
	v_mul_f64 v[22:23], v[54:55], v[22:23]
	v_fmac_f64_e32 v[70:71], v[50:51], v[16:17]
	v_add_f64 v[6:7], v[18:19], v[68:69]
	v_add_f64 v[4:5], v[4:5], v[8:9]
	s_waitcnt vmcnt(2) lgkmcnt(1)
	v_mul_f64 v[74:75], v[56:57], v[26:27]
	v_mul_f64 v[26:27], v[58:59], v[26:27]
	v_fmac_f64_e32 v[72:73], v[54:55], v[20:21]
	v_fma_f64 v[12:13], v[52:53], v[20:21], -v[22:23]
	v_add_f64 v[6:7], v[6:7], v[70:71]
	v_add_f64 v[4:5], v[4:5], v[10:11]
	s_waitcnt vmcnt(1) lgkmcnt(0)
	v_mul_f64 v[76:77], v[60:61], v[30:31]
	v_mul_f64 v[30:31], v[62:63], v[30:31]
	v_fmac_f64_e32 v[74:75], v[58:59], v[24:25]
	v_fma_f64 v[14:15], v[56:57], v[24:25], -v[26:27]
	v_add_f64 v[6:7], v[6:7], v[72:73]
	v_add_f64 v[4:5], v[4:5], v[12:13]
	v_fmac_f64_e32 v[76:77], v[62:63], v[28:29]
	v_fma_f64 v[16:17], v[60:61], v[28:29], -v[30:31]
	v_add_f64 v[6:7], v[6:7], v[74:75]
	v_add_f64 v[4:5], v[4:5], v[14:15]
	;; [unrolled: 1-line block ×4, first 2 shown]
	s_waitcnt vmcnt(0)
	v_add_f64 v[4:5], v[32:33], -v[4:5]
	v_add_f64 v[6:7], v[34:35], -v[6:7]
	scratch_store_dwordx4 off, v[4:7], off offset:576
	s_and_saveexec_b64 s[0:1], vcc
	s_cbranch_execz .LBB42_203
; %bb.202:
	scratch_load_dwordx4 v[6:9], off, s50
	v_mov_b32_e32 v3, v2
	v_mov_b32_e32 v4, v2
	;; [unrolled: 1-line block ×3, first 2 shown]
	v_accvgpr_read_b32 v0, a87
	scratch_store_dwordx4 off, v[2:5], off offset:560
	s_waitcnt vmcnt(1)
	ds_write_b128 v0, v[6:9]
.LBB42_203:
	s_or_b64 exec, exec, s[0:1]
	s_waitcnt lgkmcnt(0)
	; wave barrier
	ds_read_b128 v[4:7], v2 offset:1248
	ds_read_b128 v[8:11], v2 offset:1264
	ds_read_b128 v[12:15], v2 offset:1280
	ds_read_b128 v[16:19], v2 offset:1296
	scratch_load_dwordx4 v[20:23], off, off offset:576
	scratch_load_dwordx4 v[40:43], off, off offset:640
	v_cmp_lt_u32_e32 vcc, 33, v244
	scratch_load_dwordx4 v[48:51], off, off offset:656
	scratch_load_dwordx4 v[56:59], off, off offset:672
	;; [unrolled: 1-line block ×3, first 2 shown]
	s_waitcnt vmcnt(4) lgkmcnt(3)
	v_mul_f64 v[24:25], v[4:5], v[22:23]
	v_fmac_f64_e32 v[24:25], v[6:7], v[20:21]
	v_add_f64 v[28:29], v[24:25], 0
	scratch_load_dwordx4 v[24:27], off, off offset:592
	s_waitcnt vmcnt(0) lgkmcnt(2)
	v_mul_f64 v[30:31], v[8:9], v[26:27]
	v_fmac_f64_e32 v[30:31], v[10:11], v[24:25]
	v_add_f64 v[32:33], v[28:29], v[30:31]
	scratch_load_dwordx4 v[28:31], off, off offset:608
	;; [unrolled: 5-line block ×3, first 2 shown]
	s_waitcnt vmcnt(0) lgkmcnt(0)
	v_mul_f64 v[38:39], v[16:17], v[34:35]
	v_fmac_f64_e32 v[38:39], v[18:19], v[32:33]
	v_add_f64 v[44:45], v[36:37], v[38:39]
	ds_read_b128 v[36:39], v2 offset:1312
	s_waitcnt lgkmcnt(0)
	v_mul_f64 v[46:47], v[36:37], v[42:43]
	v_fmac_f64_e32 v[46:47], v[38:39], v[40:41]
	v_add_f64 v[52:53], v[44:45], v[46:47]
	ds_read_b128 v[44:47], v2 offset:1328
	s_waitcnt lgkmcnt(0)
	;; [unrolled: 5-line block ×4, first 2 shown]
	v_mul_f64 v[2:3], v[60:61], v[66:67]
	v_fmac_f64_e32 v[2:3], v[62:63], v[64:65]
	v_add_f64 v[68:69], v[68:69], v[2:3]
	v_mul_f64 v[2:3], v[6:7], v[22:23]
	v_fma_f64 v[2:3], v[4:5], v[20:21], -v[2:3]
	v_mul_f64 v[4:5], v[10:11], v[26:27]
	v_add_f64 v[2:3], v[2:3], 0
	v_fma_f64 v[4:5], v[8:9], v[24:25], -v[4:5]
	v_add_f64 v[2:3], v[2:3], v[4:5]
	v_mul_f64 v[4:5], v[14:15], v[30:31]
	v_fma_f64 v[4:5], v[12:13], v[28:29], -v[4:5]
	v_add_f64 v[2:3], v[2:3], v[4:5]
	v_mul_f64 v[4:5], v[18:19], v[34:35]
	;; [unrolled: 3-line block ×6, first 2 shown]
	v_fma_f64 v[4:5], v[60:61], v[64:65], -v[4:5]
	v_add_f64 v[6:7], v[2:3], v[4:5]
	scratch_load_dwordx4 v[2:5], off, off offset:560
	s_waitcnt vmcnt(0)
	v_add_f64 v[2:3], v[2:3], -v[6:7]
	v_add_f64 v[4:5], v[4:5], -v[68:69]
	scratch_store_dwordx4 off, v[2:5], off offset:560
	s_and_saveexec_b64 s[0:1], vcc
	s_cbranch_execz .LBB42_205
; %bb.204:
	scratch_load_dwordx4 v[2:5], off, s49
	v_mov_b32_e32 v6, 0
	v_mov_b32_e32 v7, v6
	;; [unrolled: 1-line block ×4, first 2 shown]
	v_accvgpr_read_b32 v0, a87
	scratch_store_dwordx4 off, v[6:9], off offset:544
	s_waitcnt vmcnt(1)
	ds_write_b128 v0, v[2:5]
.LBB42_205:
	s_or_b64 exec, exec, s[0:1]
	v_mov_b32_e32 v2, 0
	s_waitcnt lgkmcnt(0)
	; wave barrier
	ds_read_b128 v[4:7], v2 offset:1232
	ds_read_b128 v[8:11], v2 offset:1248
	;; [unrolled: 1-line block ×4, first 2 shown]
	scratch_load_dwordx4 v[20:23], off, off offset:560
	scratch_load_dwordx4 v[40:43], off, off offset:624
	;; [unrolled: 1-line block ×3, first 2 shown]
	v_cmp_lt_u32_e32 vcc, 32, v244
	scratch_load_dwordx4 v[48:51], off, off offset:640
	scratch_load_dwordx4 v[56:59], off, off offset:656
	;; [unrolled: 1-line block ×3, first 2 shown]
	s_waitcnt vmcnt(5) lgkmcnt(3)
	v_mul_f64 v[24:25], v[4:5], v[22:23]
	v_fmac_f64_e32 v[24:25], v[6:7], v[20:21]
	v_add_f64 v[28:29], v[24:25], 0
	scratch_load_dwordx4 v[24:27], off, off offset:576
	v_mul_f64 v[6:7], v[6:7], v[22:23]
	v_fma_f64 v[4:5], v[4:5], v[20:21], -v[6:7]
	v_add_f64 v[4:5], v[4:5], 0
	s_waitcnt vmcnt(0) lgkmcnt(2)
	v_mul_f64 v[30:31], v[8:9], v[26:27]
	v_fmac_f64_e32 v[30:31], v[10:11], v[24:25]
	v_add_f64 v[32:33], v[28:29], v[30:31]
	scratch_load_dwordx4 v[28:31], off, off offset:592
	v_mul_f64 v[6:7], v[10:11], v[26:27]
	v_fma_f64 v[6:7], v[8:9], v[24:25], -v[6:7]
	v_add_f64 v[4:5], v[4:5], v[6:7]
	;; [unrolled: 8-line block ×3, first 2 shown]
	s_waitcnt vmcnt(0) lgkmcnt(0)
	v_mul_f64 v[38:39], v[16:17], v[34:35]
	v_fmac_f64_e32 v[38:39], v[18:19], v[32:33]
	v_add_f64 v[44:45], v[36:37], v[38:39]
	ds_read_b128 v[36:39], v2 offset:1296
	v_mul_f64 v[6:7], v[18:19], v[34:35]
	v_fma_f64 v[6:7], v[16:17], v[32:33], -v[6:7]
	v_add_f64 v[4:5], v[4:5], v[6:7]
	s_waitcnt lgkmcnt(0)
	v_mul_f64 v[46:47], v[36:37], v[42:43]
	v_fmac_f64_e32 v[46:47], v[38:39], v[40:41]
	v_add_f64 v[52:53], v[44:45], v[46:47]
	ds_read_b128 v[44:47], v2 offset:1312
	v_mul_f64 v[6:7], v[38:39], v[42:43]
	v_fma_f64 v[6:7], v[36:37], v[40:41], -v[6:7]
	v_add_f64 v[4:5], v[4:5], v[6:7]
	s_waitcnt lgkmcnt(0)
	;; [unrolled: 8-line block ×5, first 2 shown]
	v_mul_f64 v[6:7], v[70:71], v[74:75]
	v_fma_f64 v[6:7], v[68:69], v[72:73], -v[6:7]
	v_add_f64 v[8:9], v[4:5], v[6:7]
	scratch_load_dwordx4 v[4:7], off, off offset:544
	v_mul_f64 v[78:79], v[68:69], v[74:75]
	v_fmac_f64_e32 v[78:79], v[70:71], v[72:73]
	v_add_f64 v[76:77], v[76:77], v[78:79]
	s_waitcnt vmcnt(0)
	v_add_f64 v[4:5], v[4:5], -v[8:9]
	v_add_f64 v[6:7], v[6:7], -v[76:77]
	scratch_store_dwordx4 off, v[4:7], off offset:544
	s_and_saveexec_b64 s[0:1], vcc
	s_cbranch_execz .LBB42_207
; %bb.206:
	scratch_load_dwordx4 v[6:9], off, s48
	v_mov_b32_e32 v3, v2
	v_mov_b32_e32 v4, v2
	;; [unrolled: 1-line block ×3, first 2 shown]
	v_accvgpr_read_b32 v0, a87
	scratch_store_dwordx4 off, v[2:5], off offset:528
	s_waitcnt vmcnt(1)
	ds_write_b128 v0, v[6:9]
.LBB42_207:
	s_or_b64 exec, exec, s[0:1]
	s_waitcnt lgkmcnt(0)
	; wave barrier
	scratch_load_dwordx4 v[4:7], off, off offset:544
	scratch_load_dwordx4 v[8:11], off, off offset:560
	;; [unrolled: 1-line block ×11, first 2 shown]
	ds_read_b128 v[48:51], v2 offset:1216
	ds_read_b128 v[52:55], v2 offset:1232
	;; [unrolled: 1-line block ×10, first 2 shown]
	v_cmp_lt_u32_e32 vcc, 31, v244
	s_waitcnt vmcnt(10) lgkmcnt(9)
	v_mul_f64 v[2:3], v[48:49], v[6:7]
	v_mul_f64 v[6:7], v[50:51], v[6:7]
	s_waitcnt vmcnt(9) lgkmcnt(8)
	v_mul_f64 v[88:89], v[52:53], v[10:11]
	v_mul_f64 v[10:11], v[54:55], v[10:11]
	v_fmac_f64_e32 v[2:3], v[50:51], v[4:5]
	v_fma_f64 v[4:5], v[48:49], v[4:5], -v[6:7]
	s_waitcnt vmcnt(8) lgkmcnt(7)
	v_mul_f64 v[90:91], v[56:57], v[14:15]
	v_mul_f64 v[14:15], v[58:59], v[14:15]
	v_fmac_f64_e32 v[88:89], v[54:55], v[8:9]
	v_fma_f64 v[6:7], v[52:53], v[8:9], -v[10:11]
	v_add_f64 v[2:3], v[2:3], 0
	v_add_f64 v[4:5], v[4:5], 0
	s_waitcnt vmcnt(7) lgkmcnt(6)
	v_mul_f64 v[92:93], v[60:61], v[18:19]
	v_mul_f64 v[18:19], v[62:63], v[18:19]
	v_fmac_f64_e32 v[90:91], v[58:59], v[12:13]
	v_fma_f64 v[8:9], v[56:57], v[12:13], -v[14:15]
	v_add_f64 v[2:3], v[2:3], v[88:89]
	v_add_f64 v[4:5], v[4:5], v[6:7]
	;; [unrolled: 7-line block ×8, first 2 shown]
	v_fmac_f64_e32 v[104:105], v[86:87], v[40:41]
	v_fma_f64 v[22:23], v[84:85], v[40:41], -v[42:43]
	v_add_f64 v[2:3], v[2:3], v[102:103]
	v_add_f64 v[4:5], v[4:5], v[20:21]
	;; [unrolled: 1-line block ×4, first 2 shown]
	s_waitcnt vmcnt(0)
	v_add_f64 v[2:3], v[44:45], -v[2:3]
	v_add_f64 v[4:5], v[46:47], -v[6:7]
	scratch_store_dwordx4 off, v[2:5], off offset:528
	s_and_saveexec_b64 s[0:1], vcc
	s_cbranch_execz .LBB42_209
; %bb.208:
	scratch_load_dwordx4 v[2:5], off, s47
	v_mov_b32_e32 v6, 0
	v_mov_b32_e32 v7, v6
	;; [unrolled: 1-line block ×4, first 2 shown]
	v_accvgpr_read_b32 v0, a87
	scratch_store_dwordx4 off, v[6:9], off offset:512
	s_waitcnt vmcnt(1)
	ds_write_b128 v0, v[2:5]
.LBB42_209:
	s_or_b64 exec, exec, s[0:1]
	s_waitcnt lgkmcnt(0)
	; wave barrier
	scratch_load_dwordx4 v[4:7], off, off offset:528
	scratch_load_dwordx4 v[8:11], off, off offset:544
	;; [unrolled: 1-line block ×12, first 2 shown]
	v_mov_b32_e32 v2, 0
	ds_read_b128 v[52:55], v2 offset:1200
	ds_read_b128 v[56:59], v2 offset:1216
	;; [unrolled: 1-line block ×11, first 2 shown]
	v_cmp_lt_u32_e32 vcc, 30, v244
	s_waitcnt vmcnt(11) lgkmcnt(10)
	v_mul_f64 v[96:97], v[52:53], v[6:7]
	v_mul_f64 v[6:7], v[54:55], v[6:7]
	s_waitcnt vmcnt(10) lgkmcnt(9)
	v_mul_f64 v[98:99], v[56:57], v[10:11]
	s_waitcnt vmcnt(9) lgkmcnt(8)
	v_mul_f64 v[100:101], v[60:61], v[14:15]
	v_mul_f64 v[10:11], v[58:59], v[10:11]
	s_waitcnt vmcnt(6) lgkmcnt(5)
	v_mul_f64 v[106:107], v[72:73], v[26:27]
	v_mul_f64 v[14:15], v[62:63], v[14:15]
	;; [unrolled: 1-line block ×3, first 2 shown]
	v_fmac_f64_e32 v[96:97], v[54:55], v[4:5]
	v_fma_f64 v[4:5], v[52:53], v[4:5], -v[6:7]
	v_fmac_f64_e32 v[98:99], v[58:59], v[8:9]
	v_fma_f64 v[6:7], v[56:57], v[8:9], -v[10:11]
	v_fma_f64 v[8:9], v[60:61], v[12:13], -v[14:15]
	;; [unrolled: 1-line block ×3, first 2 shown]
	v_add_f64 v[26:27], v[96:97], 0
	v_add_f64 v[4:5], v[4:5], 0
	v_mul_f64 v[102:103], v[64:65], v[18:19]
	v_mul_f64 v[18:19], v[66:67], v[18:19]
	v_fmac_f64_e32 v[100:101], v[62:63], v[12:13]
	v_add_f64 v[26:27], v[26:27], v[98:99]
	v_add_f64 v[4:5], v[4:5], v[6:7]
	v_mul_f64 v[104:105], v[68:69], v[22:23]
	v_mul_f64 v[22:23], v[70:71], v[22:23]
	v_fmac_f64_e32 v[102:103], v[66:67], v[16:17]
	v_fma_f64 v[10:11], v[64:65], v[16:17], -v[18:19]
	v_add_f64 v[6:7], v[26:27], v[100:101]
	v_add_f64 v[4:5], v[4:5], v[8:9]
	v_fmac_f64_e32 v[104:105], v[70:71], v[20:21]
	v_fma_f64 v[12:13], v[68:69], v[20:21], -v[22:23]
	v_add_f64 v[6:7], v[6:7], v[102:103]
	v_add_f64 v[4:5], v[4:5], v[10:11]
	s_waitcnt vmcnt(5) lgkmcnt(4)
	v_mul_f64 v[108:109], v[76:77], v[30:31]
	v_mul_f64 v[30:31], v[78:79], v[30:31]
	v_fmac_f64_e32 v[106:107], v[74:75], v[24:25]
	v_add_f64 v[6:7], v[6:7], v[104:105]
	v_add_f64 v[4:5], v[4:5], v[12:13]
	s_waitcnt vmcnt(4) lgkmcnt(3)
	v_mul_f64 v[110:111], v[80:81], v[34:35]
	v_mul_f64 v[34:35], v[82:83], v[34:35]
	v_fmac_f64_e32 v[108:109], v[78:79], v[28:29]
	v_fma_f64 v[16:17], v[76:77], v[28:29], -v[30:31]
	v_add_f64 v[6:7], v[6:7], v[106:107]
	v_add_f64 v[4:5], v[4:5], v[14:15]
	s_waitcnt vmcnt(3) lgkmcnt(2)
	v_mul_f64 v[112:113], v[84:85], v[38:39]
	v_mul_f64 v[38:39], v[86:87], v[38:39]
	v_fmac_f64_e32 v[110:111], v[82:83], v[32:33]
	v_fma_f64 v[18:19], v[80:81], v[32:33], -v[34:35]
	;; [unrolled: 7-line block ×4, first 2 shown]
	v_add_f64 v[6:7], v[6:7], v[112:113]
	v_add_f64 v[4:5], v[4:5], v[20:21]
	v_fmac_f64_e32 v[116:117], v[94:95], v[44:45]
	v_fma_f64 v[24:25], v[92:93], v[44:45], -v[46:47]
	v_add_f64 v[6:7], v[6:7], v[114:115]
	v_add_f64 v[4:5], v[4:5], v[22:23]
	;; [unrolled: 1-line block ×4, first 2 shown]
	s_waitcnt vmcnt(0)
	v_add_f64 v[4:5], v[48:49], -v[4:5]
	v_add_f64 v[6:7], v[50:51], -v[6:7]
	scratch_store_dwordx4 off, v[4:7], off offset:512
	s_and_saveexec_b64 s[0:1], vcc
	s_cbranch_execz .LBB42_211
; %bb.210:
	scratch_load_dwordx4 v[6:9], off, s46
	v_mov_b32_e32 v3, v2
	v_mov_b32_e32 v4, v2
	;; [unrolled: 1-line block ×3, first 2 shown]
	v_accvgpr_read_b32 v0, a87
	scratch_store_dwordx4 off, v[2:5], off offset:496
	s_waitcnt vmcnt(1)
	ds_write_b128 v0, v[6:9]
.LBB42_211:
	s_or_b64 exec, exec, s[0:1]
	s_waitcnt lgkmcnt(0)
	; wave barrier
	scratch_load_dwordx4 v[4:7], off, off offset:512
	scratch_load_dwordx4 v[8:11], off, off offset:528
	;; [unrolled: 1-line block ×12, first 2 shown]
	ds_read_b128 v[52:55], v2 offset:1184
	ds_read_b128 v[56:59], v2 offset:1200
	;; [unrolled: 1-line block ×4, first 2 shown]
	scratch_load_dwordx4 v[68:71], off, off offset:496
	ds_read_b128 v[72:75], v2 offset:1248
	ds_read_b128 v[76:79], v2 offset:1264
	;; [unrolled: 1-line block ×8, first 2 shown]
	v_cmp_lt_u32_e32 vcc, 29, v244
	s_waitcnt vmcnt(12) lgkmcnt(11)
	v_mul_f64 v[2:3], v[52:53], v[6:7]
	s_waitcnt vmcnt(11) lgkmcnt(10)
	v_mul_f64 v[104:105], v[56:57], v[10:11]
	v_fmac_f64_e32 v[2:3], v[54:55], v[4:5]
	s_waitcnt vmcnt(10) lgkmcnt(9)
	v_mul_f64 v[106:107], v[60:61], v[14:15]
	v_mul_f64 v[6:7], v[54:55], v[6:7]
	v_fmac_f64_e32 v[104:105], v[58:59], v[8:9]
	v_add_f64 v[2:3], v[2:3], 0
	s_waitcnt vmcnt(9) lgkmcnt(8)
	v_mul_f64 v[108:109], v[64:65], v[18:19]
	v_mul_f64 v[10:11], v[58:59], v[10:11]
	v_fmac_f64_e32 v[106:107], v[62:63], v[12:13]
	v_fma_f64 v[4:5], v[52:53], v[4:5], -v[6:7]
	v_add_f64 v[2:3], v[2:3], v[104:105]
	s_waitcnt vmcnt(8) lgkmcnt(7)
	v_mul_f64 v[110:111], v[72:73], v[22:23]
	v_mul_f64 v[14:15], v[62:63], v[14:15]
	v_fmac_f64_e32 v[108:109], v[66:67], v[16:17]
	v_fma_f64 v[6:7], v[56:57], v[8:9], -v[10:11]
	v_add_f64 v[4:5], v[4:5], 0
	v_add_f64 v[2:3], v[2:3], v[106:107]
	s_waitcnt vmcnt(7) lgkmcnt(6)
	v_mul_f64 v[112:113], v[76:77], v[26:27]
	v_mul_f64 v[18:19], v[66:67], v[18:19]
	v_fmac_f64_e32 v[110:111], v[74:75], v[20:21]
	v_fma_f64 v[8:9], v[60:61], v[12:13], -v[14:15]
	v_add_f64 v[4:5], v[4:5], v[6:7]
	;; [unrolled: 7-line block ×8, first 2 shown]
	v_add_f64 v[2:3], v[2:3], v[120:121]
	v_mul_f64 v[46:47], v[98:99], v[46:47]
	v_fmac_f64_e32 v[124:125], v[102:103], v[48:49]
	v_fma_f64 v[22:23], v[92:93], v[40:41], -v[42:43]
	v_add_f64 v[4:5], v[4:5], v[20:21]
	v_add_f64 v[2:3], v[2:3], v[122:123]
	;; [unrolled: 1-line block ×4, first 2 shown]
	v_fma_f64 v[2:3], v[96:97], v[44:45], -v[46:47]
	v_add_f64 v[2:3], v[4:5], v[2:3]
	v_mul_f64 v[4:5], v[102:103], v[50:51]
	v_fma_f64 v[4:5], v[100:101], v[48:49], -v[4:5]
	v_add_f64 v[2:3], v[2:3], v[4:5]
	s_waitcnt vmcnt(0)
	v_add_f64 v[2:3], v[68:69], -v[2:3]
	v_add_f64 v[4:5], v[70:71], -v[6:7]
	scratch_store_dwordx4 off, v[2:5], off offset:496
	s_and_saveexec_b64 s[0:1], vcc
	s_cbranch_execz .LBB42_213
; %bb.212:
	scratch_load_dwordx4 v[2:5], off, s45
	v_mov_b32_e32 v6, 0
	v_mov_b32_e32 v7, v6
	;; [unrolled: 1-line block ×4, first 2 shown]
	v_accvgpr_read_b32 v0, a87
	scratch_store_dwordx4 off, v[6:9], off offset:480
	s_waitcnt vmcnt(1)
	ds_write_b128 v0, v[2:5]
.LBB42_213:
	s_or_b64 exec, exec, s[0:1]
	s_waitcnt lgkmcnt(0)
	; wave barrier
	scratch_load_dwordx4 v[4:7], off, off offset:496
	scratch_load_dwordx4 v[8:11], off, off offset:512
	;; [unrolled: 1-line block ×14, first 2 shown]
	v_mov_b32_e32 v2, 0
	ds_read_b128 v[60:63], v2 offset:1168
	ds_read_b128 v[64:67], v2 offset:1184
	;; [unrolled: 1-line block ×13, first 2 shown]
	v_cmp_lt_u32_e32 vcc, 28, v244
	s_waitcnt vmcnt(13) lgkmcnt(12)
	v_mul_f64 v[112:113], v[60:61], v[6:7]
	v_mul_f64 v[6:7], v[62:63], v[6:7]
	s_waitcnt vmcnt(12) lgkmcnt(11)
	v_mul_f64 v[114:115], v[64:65], v[10:11]
	v_mul_f64 v[10:11], v[66:67], v[10:11]
	v_fmac_f64_e32 v[112:113], v[62:63], v[4:5]
	v_fma_f64 v[4:5], v[60:61], v[4:5], -v[6:7]
	s_waitcnt vmcnt(11) lgkmcnt(10)
	v_mul_f64 v[116:117], v[68:69], v[14:15]
	v_mul_f64 v[14:15], v[70:71], v[14:15]
	v_fma_f64 v[6:7], v[64:65], v[8:9], -v[10:11]
	v_add_f64 v[4:5], v[4:5], 0
	s_waitcnt vmcnt(10) lgkmcnt(9)
	v_mul_f64 v[118:119], v[72:73], v[18:19]
	v_mul_f64 v[18:19], v[74:75], v[18:19]
	v_fmac_f64_e32 v[114:115], v[66:67], v[8:9]
	v_fma_f64 v[8:9], v[68:69], v[12:13], -v[14:15]
	v_add_f64 v[4:5], v[4:5], v[6:7]
	s_waitcnt vmcnt(9) lgkmcnt(8)
	v_mul_f64 v[120:121], v[76:77], v[22:23]
	v_mul_f64 v[22:23], v[78:79], v[22:23]
	v_fma_f64 v[10:11], v[72:73], v[16:17], -v[18:19]
	v_add_f64 v[4:5], v[4:5], v[8:9]
	s_waitcnt vmcnt(8) lgkmcnt(7)
	v_mul_f64 v[122:123], v[80:81], v[26:27]
	v_mul_f64 v[26:27], v[82:83], v[26:27]
	v_fmac_f64_e32 v[116:117], v[70:71], v[12:13]
	v_fma_f64 v[12:13], v[76:77], v[20:21], -v[22:23]
	v_add_f64 v[22:23], v[112:113], 0
	v_add_f64 v[4:5], v[4:5], v[10:11]
	s_waitcnt vmcnt(7) lgkmcnt(6)
	v_mul_f64 v[124:125], v[84:85], v[30:31]
	v_mul_f64 v[30:31], v[86:87], v[30:31]
	v_fma_f64 v[14:15], v[80:81], v[24:25], -v[26:27]
	v_add_f64 v[22:23], v[22:23], v[114:115]
	v_add_f64 v[4:5], v[4:5], v[12:13]
	s_waitcnt vmcnt(6) lgkmcnt(5)
	v_mul_f64 v[126:127], v[88:89], v[34:35]
	v_mul_f64 v[34:35], v[90:91], v[34:35]
	v_fmac_f64_e32 v[118:119], v[74:75], v[16:17]
	v_fma_f64 v[16:17], v[84:85], v[28:29], -v[30:31]
	v_add_f64 v[6:7], v[22:23], v[116:117]
	v_add_f64 v[4:5], v[4:5], v[14:15]
	s_waitcnt vmcnt(5) lgkmcnt(4)
	v_mul_f64 v[128:129], v[92:93], v[38:39]
	v_mul_f64 v[38:39], v[94:95], v[38:39]
	v_fmac_f64_e32 v[120:121], v[78:79], v[20:21]
	v_fma_f64 v[18:19], v[88:89], v[32:33], -v[34:35]
	v_add_f64 v[6:7], v[6:7], v[118:119]
	v_add_f64 v[4:5], v[4:5], v[16:17]
	v_fmac_f64_e32 v[122:123], v[82:83], v[24:25]
	v_fma_f64 v[20:21], v[92:93], v[36:37], -v[38:39]
	v_add_f64 v[6:7], v[6:7], v[120:121]
	v_add_f64 v[4:5], v[4:5], v[18:19]
	s_waitcnt vmcnt(4) lgkmcnt(3)
	v_mul_f64 v[8:9], v[98:99], v[42:43]
	v_fmac_f64_e32 v[124:125], v[86:87], v[28:29]
	v_add_f64 v[6:7], v[6:7], v[122:123]
	v_add_f64 v[4:5], v[4:5], v[20:21]
	v_fma_f64 v[8:9], v[96:97], v[40:41], -v[8:9]
	v_fmac_f64_e32 v[126:127], v[90:91], v[32:33]
	v_add_f64 v[6:7], v[6:7], v[124:125]
	v_add_f64 v[4:5], v[4:5], v[8:9]
	s_waitcnt vmcnt(3) lgkmcnt(2)
	v_mul_f64 v[8:9], v[102:103], v[46:47]
	v_mul_f64 v[130:131], v[96:97], v[42:43]
	v_fmac_f64_e32 v[128:129], v[94:95], v[36:37]
	v_add_f64 v[6:7], v[6:7], v[126:127]
	v_fma_f64 v[8:9], v[100:101], v[44:45], -v[8:9]
	v_mul_f64 v[132:133], v[100:101], v[46:47]
	v_fmac_f64_e32 v[130:131], v[98:99], v[40:41]
	v_add_f64 v[6:7], v[6:7], v[128:129]
	v_add_f64 v[4:5], v[4:5], v[8:9]
	s_waitcnt vmcnt(2) lgkmcnt(1)
	v_mul_f64 v[8:9], v[106:107], v[50:51]
	v_mul_f64 v[134:135], v[104:105], v[50:51]
	v_fmac_f64_e32 v[132:133], v[102:103], v[44:45]
	v_add_f64 v[6:7], v[6:7], v[130:131]
	v_fma_f64 v[8:9], v[104:105], v[48:49], -v[8:9]
	s_waitcnt vmcnt(1) lgkmcnt(0)
	v_mul_f64 v[136:137], v[108:109], v[54:55]
	v_fmac_f64_e32 v[134:135], v[106:107], v[48:49]
	v_add_f64 v[6:7], v[6:7], v[132:133]
	v_add_f64 v[4:5], v[4:5], v[8:9]
	v_mul_f64 v[8:9], v[110:111], v[54:55]
	v_fmac_f64_e32 v[136:137], v[110:111], v[52:53]
	v_add_f64 v[6:7], v[6:7], v[134:135]
	v_fma_f64 v[8:9], v[108:109], v[52:53], -v[8:9]
	v_add_f64 v[6:7], v[6:7], v[136:137]
	v_add_f64 v[4:5], v[4:5], v[8:9]
	s_waitcnt vmcnt(0)
	v_add_f64 v[4:5], v[56:57], -v[4:5]
	v_add_f64 v[6:7], v[58:59], -v[6:7]
	scratch_store_dwordx4 off, v[4:7], off offset:480
	s_and_saveexec_b64 s[0:1], vcc
	s_cbranch_execz .LBB42_215
; %bb.214:
	scratch_load_dwordx4 v[6:9], off, s44
	v_mov_b32_e32 v3, v2
	v_mov_b32_e32 v4, v2
	;; [unrolled: 1-line block ×3, first 2 shown]
	v_accvgpr_read_b32 v0, a87
	scratch_store_dwordx4 off, v[2:5], off offset:464
	s_waitcnt vmcnt(1)
	ds_write_b128 v0, v[6:9]
.LBB42_215:
	s_or_b64 exec, exec, s[0:1]
	s_waitcnt lgkmcnt(0)
	; wave barrier
	scratch_load_dwordx4 v[4:7], off, off offset:480
	scratch_load_dwordx4 v[8:11], off, off offset:496
	;; [unrolled: 1-line block ×14, first 2 shown]
	ds_read_b128 v[60:63], v2 offset:1152
	ds_read_b128 v[64:67], v2 offset:1168
	ds_read_b128 v[68:71], v2 offset:1184
	ds_read_b128 v[72:75], v2 offset:1200
	ds_read_b128 v[76:79], v2 offset:1216
	ds_read_b128 v[80:83], v2 offset:1232
	ds_read_b128 v[84:87], v2 offset:1248
	ds_read_b128 v[88:91], v2 offset:1264
	ds_read_b128 v[92:95], v2 offset:1280
	ds_read_b128 v[96:99], v2 offset:1296
	ds_read_b128 v[100:103], v2 offset:1312
	ds_read_b128 v[104:107], v2 offset:1328
	ds_read_b128 v[108:111], v2 offset:1344
	ds_read_b128 v[112:115], v2 offset:1360
	scratch_load_dwordx4 v[116:119], off, off offset:464
	v_cmp_lt_u32_e32 vcc, 27, v244
	s_waitcnt vmcnt(14) lgkmcnt(13)
	v_mul_f64 v[2:3], v[60:61], v[6:7]
	s_waitcnt vmcnt(13) lgkmcnt(12)
	v_mul_f64 v[120:121], v[64:65], v[10:11]
	v_fmac_f64_e32 v[2:3], v[62:63], v[4:5]
	s_waitcnt vmcnt(12) lgkmcnt(11)
	v_mul_f64 v[122:123], v[68:69], v[14:15]
	v_fmac_f64_e32 v[120:121], v[66:67], v[8:9]
	v_add_f64 v[2:3], v[2:3], 0
	s_waitcnt vmcnt(11) lgkmcnt(10)
	v_mul_f64 v[124:125], v[72:73], v[18:19]
	v_fmac_f64_e32 v[122:123], v[70:71], v[12:13]
	v_add_f64 v[2:3], v[2:3], v[120:121]
	;; [unrolled: 4-line block ×4, first 2 shown]
	s_waitcnt vmcnt(8) lgkmcnt(7)
	v_mul_f64 v[130:131], v[84:85], v[30:31]
	v_mul_f64 v[6:7], v[62:63], v[6:7]
	v_fmac_f64_e32 v[128:129], v[82:83], v[24:25]
	v_add_f64 v[2:3], v[2:3], v[126:127]
	s_waitcnt vmcnt(7) lgkmcnt(6)
	v_mul_f64 v[132:133], v[88:89], v[34:35]
	v_mul_f64 v[10:11], v[66:67], v[10:11]
	v_fmac_f64_e32 v[130:131], v[86:87], v[28:29]
	v_fma_f64 v[4:5], v[60:61], v[4:5], -v[6:7]
	v_add_f64 v[2:3], v[2:3], v[128:129]
	s_waitcnt vmcnt(6) lgkmcnt(5)
	v_mul_f64 v[134:135], v[92:93], v[38:39]
	v_mul_f64 v[14:15], v[70:71], v[14:15]
	v_fmac_f64_e32 v[132:133], v[90:91], v[32:33]
	v_fma_f64 v[6:7], v[64:65], v[8:9], -v[10:11]
	v_add_f64 v[4:5], v[4:5], 0
	v_add_f64 v[2:3], v[2:3], v[130:131]
	s_waitcnt vmcnt(5) lgkmcnt(4)
	v_mul_f64 v[136:137], v[96:97], v[42:43]
	v_mul_f64 v[18:19], v[74:75], v[18:19]
	v_fmac_f64_e32 v[134:135], v[94:95], v[36:37]
	v_fma_f64 v[8:9], v[68:69], v[12:13], -v[14:15]
	v_add_f64 v[4:5], v[4:5], v[6:7]
	;; [unrolled: 7-line block ×6, first 2 shown]
	v_add_f64 v[2:3], v[2:3], v[140:141]
	v_fmac_f64_e32 v[144:145], v[114:115], v[56:57]
	v_fma_f64 v[18:19], v[88:89], v[32:33], -v[34:35]
	v_add_f64 v[4:5], v[4:5], v[16:17]
	v_add_f64 v[2:3], v[2:3], v[142:143]
	;; [unrolled: 1-line block ×4, first 2 shown]
	v_mul_f64 v[4:5], v[94:95], v[38:39]
	v_fma_f64 v[4:5], v[92:93], v[36:37], -v[4:5]
	v_add_f64 v[2:3], v[2:3], v[4:5]
	v_mul_f64 v[4:5], v[98:99], v[42:43]
	v_fma_f64 v[4:5], v[96:97], v[40:41], -v[4:5]
	v_add_f64 v[2:3], v[2:3], v[4:5]
	;; [unrolled: 3-line block ×6, first 2 shown]
	s_waitcnt vmcnt(0)
	v_add_f64 v[2:3], v[116:117], -v[2:3]
	v_add_f64 v[4:5], v[118:119], -v[6:7]
	scratch_store_dwordx4 off, v[2:5], off offset:464
	s_and_saveexec_b64 s[0:1], vcc
	s_cbranch_execz .LBB42_217
; %bb.216:
	scratch_load_dwordx4 v[2:5], off, s43
	v_mov_b32_e32 v6, 0
	v_mov_b32_e32 v7, v6
	;; [unrolled: 1-line block ×4, first 2 shown]
	v_accvgpr_read_b32 v0, a87
	scratch_store_dwordx4 off, v[6:9], off offset:448
	s_waitcnt vmcnt(1)
	ds_write_b128 v0, v[2:5]
.LBB42_217:
	s_or_b64 exec, exec, s[0:1]
	s_waitcnt lgkmcnt(0)
	; wave barrier
	scratch_load_dwordx4 v[4:7], off, off offset:464
	scratch_load_dwordx4 v[8:11], off, off offset:480
	;; [unrolled: 1-line block ×16, first 2 shown]
	v_mov_b32_e32 v2, 0
	ds_read_b128 v[68:71], v2 offset:1136
	ds_read_b128 v[72:75], v2 offset:1152
	;; [unrolled: 1-line block ×15, first 2 shown]
	v_cmp_lt_u32_e32 vcc, 26, v244
	s_waitcnt vmcnt(15) lgkmcnt(14)
	v_mul_f64 v[128:129], v[68:69], v[6:7]
	v_mul_f64 v[6:7], v[70:71], v[6:7]
	s_waitcnt vmcnt(14) lgkmcnt(13)
	v_mul_f64 v[130:131], v[72:73], v[10:11]
	v_mul_f64 v[10:11], v[74:75], v[10:11]
	v_fmac_f64_e32 v[128:129], v[70:71], v[4:5]
	v_fma_f64 v[4:5], v[68:69], v[4:5], -v[6:7]
	s_waitcnt vmcnt(13) lgkmcnt(12)
	v_mul_f64 v[132:133], v[76:77], v[14:15]
	v_mul_f64 v[14:15], v[78:79], v[14:15]
	v_fma_f64 v[6:7], v[72:73], v[8:9], -v[10:11]
	v_add_f64 v[4:5], v[4:5], 0
	s_waitcnt vmcnt(12) lgkmcnt(11)
	v_mul_f64 v[134:135], v[80:81], v[18:19]
	v_mul_f64 v[18:19], v[82:83], v[18:19]
	v_fmac_f64_e32 v[130:131], v[74:75], v[8:9]
	v_fma_f64 v[8:9], v[76:77], v[12:13], -v[14:15]
	v_add_f64 v[4:5], v[4:5], v[6:7]
	s_waitcnt vmcnt(11) lgkmcnt(10)
	v_mul_f64 v[136:137], v[84:85], v[22:23]
	v_mul_f64 v[22:23], v[86:87], v[22:23]
	v_fma_f64 v[10:11], v[80:81], v[16:17], -v[18:19]
	v_add_f64 v[4:5], v[4:5], v[8:9]
	s_waitcnt vmcnt(10) lgkmcnt(9)
	v_mul_f64 v[138:139], v[88:89], v[26:27]
	v_mul_f64 v[26:27], v[90:91], v[26:27]
	v_fmac_f64_e32 v[132:133], v[78:79], v[12:13]
	v_fma_f64 v[12:13], v[84:85], v[20:21], -v[22:23]
	v_add_f64 v[4:5], v[4:5], v[10:11]
	v_fma_f64 v[14:15], v[88:89], v[24:25], -v[26:27]
	v_add_f64 v[4:5], v[4:5], v[12:13]
	s_waitcnt vmcnt(9) lgkmcnt(8)
	v_mul_f64 v[8:9], v[94:95], v[30:31]
	v_add_f64 v[4:5], v[4:5], v[14:15]
	v_fma_f64 v[8:9], v[92:93], v[28:29], -v[8:9]
	v_add_f64 v[4:5], v[4:5], v[8:9]
	s_waitcnt vmcnt(8) lgkmcnt(7)
	v_mul_f64 v[8:9], v[98:99], v[34:35]
	v_fma_f64 v[8:9], v[96:97], v[32:33], -v[8:9]
	v_fmac_f64_e32 v[134:135], v[82:83], v[16:17]
	v_add_f64 v[16:17], v[128:129], 0
	v_add_f64 v[4:5], v[4:5], v[8:9]
	s_waitcnt vmcnt(7) lgkmcnt(6)
	v_mul_f64 v[8:9], v[102:103], v[38:39]
	v_add_f64 v[16:17], v[16:17], v[130:131]
	v_fma_f64 v[8:9], v[100:101], v[36:37], -v[8:9]
	v_add_f64 v[6:7], v[16:17], v[132:133]
	v_add_f64 v[4:5], v[4:5], v[8:9]
	s_waitcnt vmcnt(6) lgkmcnt(5)
	v_mul_f64 v[8:9], v[106:107], v[42:43]
	v_fmac_f64_e32 v[136:137], v[86:87], v[20:21]
	v_add_f64 v[6:7], v[6:7], v[134:135]
	v_fma_f64 v[8:9], v[104:105], v[40:41], -v[8:9]
	v_mul_f64 v[140:141], v[92:93], v[30:31]
	v_fmac_f64_e32 v[138:139], v[90:91], v[24:25]
	v_add_f64 v[6:7], v[6:7], v[136:137]
	v_add_f64 v[4:5], v[4:5], v[8:9]
	s_waitcnt vmcnt(5) lgkmcnt(4)
	v_mul_f64 v[8:9], v[110:111], v[46:47]
	v_mul_f64 v[142:143], v[96:97], v[34:35]
	v_fmac_f64_e32 v[140:141], v[94:95], v[28:29]
	v_add_f64 v[6:7], v[6:7], v[138:139]
	v_fma_f64 v[8:9], v[108:109], v[44:45], -v[8:9]
	v_mul_f64 v[144:145], v[100:101], v[38:39]
	v_fmac_f64_e32 v[142:143], v[98:99], v[32:33]
	v_add_f64 v[6:7], v[6:7], v[140:141]
	v_add_f64 v[4:5], v[4:5], v[8:9]
	s_waitcnt vmcnt(4) lgkmcnt(3)
	v_mul_f64 v[8:9], v[114:115], v[50:51]
	v_mul_f64 v[146:147], v[104:105], v[42:43]
	v_fmac_f64_e32 v[144:145], v[102:103], v[36:37]
	v_add_f64 v[6:7], v[6:7], v[142:143]
	v_fma_f64 v[8:9], v[112:113], v[48:49], -v[8:9]
	v_mul_f64 v[148:149], v[108:109], v[46:47]
	v_fmac_f64_e32 v[146:147], v[106:107], v[40:41]
	v_add_f64 v[6:7], v[6:7], v[144:145]
	v_add_f64 v[4:5], v[4:5], v[8:9]
	s_waitcnt vmcnt(3) lgkmcnt(2)
	v_mul_f64 v[8:9], v[118:119], v[54:55]
	v_mul_f64 v[150:151], v[112:113], v[50:51]
	v_fmac_f64_e32 v[148:149], v[110:111], v[44:45]
	v_add_f64 v[6:7], v[6:7], v[146:147]
	v_fma_f64 v[8:9], v[116:117], v[52:53], -v[8:9]
	v_mul_f64 v[152:153], v[116:117], v[54:55]
	v_fmac_f64_e32 v[150:151], v[114:115], v[48:49]
	v_add_f64 v[6:7], v[6:7], v[148:149]
	v_add_f64 v[4:5], v[4:5], v[8:9]
	s_waitcnt vmcnt(2) lgkmcnt(1)
	v_mul_f64 v[8:9], v[122:123], v[58:59]
	v_mul_f64 v[154:155], v[120:121], v[58:59]
	v_fmac_f64_e32 v[152:153], v[118:119], v[52:53]
	v_add_f64 v[6:7], v[6:7], v[150:151]
	v_fma_f64 v[8:9], v[120:121], v[56:57], -v[8:9]
	s_waitcnt vmcnt(1) lgkmcnt(0)
	v_mul_f64 v[156:157], v[124:125], v[62:63]
	v_fmac_f64_e32 v[154:155], v[122:123], v[56:57]
	v_add_f64 v[6:7], v[6:7], v[152:153]
	v_add_f64 v[4:5], v[4:5], v[8:9]
	v_mul_f64 v[8:9], v[126:127], v[62:63]
	v_fmac_f64_e32 v[156:157], v[126:127], v[60:61]
	v_add_f64 v[6:7], v[6:7], v[154:155]
	v_fma_f64 v[8:9], v[124:125], v[60:61], -v[8:9]
	v_add_f64 v[6:7], v[6:7], v[156:157]
	v_add_f64 v[4:5], v[4:5], v[8:9]
	s_waitcnt vmcnt(0)
	v_add_f64 v[4:5], v[64:65], -v[4:5]
	v_add_f64 v[6:7], v[66:67], -v[6:7]
	scratch_store_dwordx4 off, v[4:7], off offset:448
	s_and_saveexec_b64 s[0:1], vcc
	s_cbranch_execz .LBB42_219
; %bb.218:
	scratch_load_dwordx4 v[6:9], off, s42
	v_mov_b32_e32 v3, v2
	v_mov_b32_e32 v4, v2
	;; [unrolled: 1-line block ×3, first 2 shown]
	v_accvgpr_read_b32 v0, a87
	scratch_store_dwordx4 off, v[2:5], off offset:432
	s_waitcnt vmcnt(1)
	ds_write_b128 v0, v[6:9]
.LBB42_219:
	s_or_b64 exec, exec, s[0:1]
	s_waitcnt lgkmcnt(0)
	; wave barrier
	scratch_load_dwordx4 v[4:7], off, off offset:448
	scratch_load_dwordx4 v[8:11], off, off offset:464
	;; [unrolled: 1-line block ×16, first 2 shown]
	ds_read_b128 v[68:71], v2 offset:1120
	ds_read_b128 v[72:75], v2 offset:1136
	;; [unrolled: 1-line block ×16, first 2 shown]
	scratch_load_dwordx4 v[132:135], off, off offset:432
	v_cmp_lt_u32_e32 vcc, 25, v244
	s_waitcnt vmcnt(16) lgkmcnt(14)
	v_mul_f64 v[2:3], v[68:69], v[6:7]
	s_waitcnt vmcnt(15)
	v_mul_f64 v[136:137], v[72:73], v[10:11]
	v_fmac_f64_e32 v[2:3], v[70:71], v[4:5]
	s_waitcnt vmcnt(14) lgkmcnt(13)
	v_mul_f64 v[138:139], v[76:77], v[14:15]
	v_fmac_f64_e32 v[136:137], v[74:75], v[8:9]
	v_add_f64 v[2:3], v[2:3], 0
	s_waitcnt vmcnt(13) lgkmcnt(12)
	v_mul_f64 v[140:141], v[80:81], v[18:19]
	v_fmac_f64_e32 v[138:139], v[78:79], v[12:13]
	v_add_f64 v[2:3], v[2:3], v[136:137]
	;; [unrolled: 4-line block ×10, first 2 shown]
	s_waitcnt vmcnt(4) lgkmcnt(3)
	v_mul_f64 v[158:159], v[116:117], v[54:55]
	v_mul_f64 v[6:7], v[70:71], v[6:7]
	v_fmac_f64_e32 v[156:157], v[114:115], v[48:49]
	v_add_f64 v[2:3], v[2:3], v[154:155]
	s_waitcnt vmcnt(3) lgkmcnt(2)
	v_mul_f64 v[160:161], v[120:121], v[58:59]
	v_mul_f64 v[10:11], v[74:75], v[10:11]
	v_fmac_f64_e32 v[158:159], v[118:119], v[52:53]
	v_fma_f64 v[4:5], v[68:69], v[4:5], -v[6:7]
	v_add_f64 v[2:3], v[2:3], v[156:157]
	s_waitcnt vmcnt(2) lgkmcnt(1)
	v_mul_f64 v[162:163], v[124:125], v[62:63]
	v_mul_f64 v[14:15], v[78:79], v[14:15]
	v_fmac_f64_e32 v[160:161], v[122:123], v[56:57]
	v_fma_f64 v[6:7], v[72:73], v[8:9], -v[10:11]
	v_add_f64 v[4:5], v[4:5], 0
	v_add_f64 v[2:3], v[2:3], v[158:159]
	s_waitcnt vmcnt(1) lgkmcnt(0)
	v_mul_f64 v[164:165], v[128:129], v[66:67]
	v_mul_f64 v[18:19], v[82:83], v[18:19]
	v_fmac_f64_e32 v[162:163], v[126:127], v[60:61]
	v_fma_f64 v[8:9], v[76:77], v[12:13], -v[14:15]
	v_add_f64 v[4:5], v[4:5], v[6:7]
	v_add_f64 v[2:3], v[2:3], v[160:161]
	v_mul_f64 v[26:27], v[86:87], v[26:27]
	v_fmac_f64_e32 v[164:165], v[130:131], v[64:65]
	v_fma_f64 v[10:11], v[80:81], v[16:17], -v[18:19]
	v_add_f64 v[4:5], v[4:5], v[8:9]
	v_add_f64 v[2:3], v[2:3], v[162:163]
	v_fma_f64 v[12:13], v[84:85], v[24:25], -v[26:27]
	v_add_f64 v[4:5], v[4:5], v[10:11]
	v_add_f64 v[6:7], v[2:3], v[164:165]
	v_mul_f64 v[2:3], v[90:91], v[22:23]
	v_add_f64 v[4:5], v[4:5], v[12:13]
	v_fma_f64 v[2:3], v[88:89], v[20:21], -v[2:3]
	v_add_f64 v[2:3], v[4:5], v[2:3]
	v_mul_f64 v[4:5], v[94:95], v[30:31]
	v_fma_f64 v[4:5], v[92:93], v[28:29], -v[4:5]
	v_add_f64 v[2:3], v[2:3], v[4:5]
	v_mul_f64 v[4:5], v[98:99], v[34:35]
	;; [unrolled: 3-line block ×10, first 2 shown]
	v_fma_f64 v[4:5], v[128:129], v[64:65], -v[4:5]
	v_add_f64 v[2:3], v[2:3], v[4:5]
	s_waitcnt vmcnt(0)
	v_add_f64 v[2:3], v[132:133], -v[2:3]
	v_add_f64 v[4:5], v[134:135], -v[6:7]
	scratch_store_dwordx4 off, v[2:5], off offset:432
	s_and_saveexec_b64 s[0:1], vcc
	s_cbranch_execz .LBB42_221
; %bb.220:
	scratch_load_dwordx4 v[2:5], off, s41
	v_mov_b32_e32 v6, 0
	v_mov_b32_e32 v7, v6
	;; [unrolled: 1-line block ×4, first 2 shown]
	v_accvgpr_read_b32 v0, a87
	scratch_store_dwordx4 off, v[6:9], off offset:416
	s_waitcnt vmcnt(1)
	ds_write_b128 v0, v[2:5]
.LBB42_221:
	s_or_b64 exec, exec, s[0:1]
	v_mov_b32_e32 v2, 0
	s_waitcnt lgkmcnt(0)
	; wave barrier
	ds_read_b128 v[16:19], v2 offset:1104
	ds_read_b128 v[12:15], v2 offset:1120
	;; [unrolled: 1-line block ×4, first 2 shown]
	scratch_load_dwordx4 v[20:23], off, off offset:432
	scratch_load_dwordx4 v[40:43], off, off offset:496
	;; [unrolled: 1-line block ×11, first 2 shown]
	v_cmp_lt_u32_e32 vcc, 24, v244
	scratch_load_dwordx4 v[48:51], off, off offset:512
	scratch_load_dwordx4 v[56:59], off, off offset:528
	;; [unrolled: 1-line block ×3, first 2 shown]
	s_waitcnt vmcnt(13) lgkmcnt(3)
	v_mul_f64 v[24:25], v[16:17], v[22:23]
	v_fmac_f64_e32 v[24:25], v[18:19], v[20:21]
	v_add_f64 v[28:29], v[24:25], 0
	scratch_load_dwordx4 v[24:27], off, off offset:448
	v_mul_f64 v[18:19], v[18:19], v[22:23]
	v_fma_f64 v[16:17], v[16:17], v[20:21], -v[18:19]
	v_add_f64 v[16:17], v[16:17], 0
	s_waitcnt vmcnt(0) lgkmcnt(2)
	v_mul_f64 v[30:31], v[12:13], v[26:27]
	v_fmac_f64_e32 v[30:31], v[14:15], v[24:25]
	v_add_f64 v[32:33], v[28:29], v[30:31]
	scratch_load_dwordx4 v[28:31], off, off offset:464
	v_mul_f64 v[14:15], v[14:15], v[26:27]
	v_fma_f64 v[12:13], v[12:13], v[24:25], -v[14:15]
	v_add_f64 v[12:13], v[16:17], v[12:13]
	;; [unrolled: 8-line block ×3, first 2 shown]
	s_waitcnt vmcnt(0) lgkmcnt(0)
	v_mul_f64 v[38:39], v[4:5], v[34:35]
	v_fmac_f64_e32 v[38:39], v[6:7], v[32:33]
	v_add_f64 v[44:45], v[36:37], v[38:39]
	ds_read_b128 v[36:39], v2 offset:1168
	v_mul_f64 v[6:7], v[6:7], v[34:35]
	v_fma_f64 v[4:5], v[4:5], v[32:33], -v[6:7]
	v_add_f64 v[4:5], v[8:9], v[4:5]
	s_waitcnt lgkmcnt(0)
	v_mul_f64 v[46:47], v[36:37], v[42:43]
	v_fmac_f64_e32 v[46:47], v[38:39], v[40:41]
	v_add_f64 v[52:53], v[44:45], v[46:47]
	ds_read_b128 v[44:47], v2 offset:1184
	v_mul_f64 v[6:7], v[38:39], v[42:43]
	v_fma_f64 v[6:7], v[36:37], v[40:41], -v[6:7]
	v_add_f64 v[4:5], v[4:5], v[6:7]
	s_waitcnt lgkmcnt(0)
	;; [unrolled: 8-line block ×13, first 2 shown]
	v_mul_f64 v[6:7], v[136:137], v[140:141]
	v_fma_f64 v[6:7], v[134:135], v[138:139], -v[6:7]
	v_add_f64 v[8:9], v[4:5], v[6:7]
	scratch_load_dwordx4 v[4:7], off, off offset:416
	v_mul_f64 v[142:143], v[134:135], v[140:141]
	v_fmac_f64_e32 v[142:143], v[136:137], v[138:139]
	v_add_f64 v[72:73], v[72:73], v[142:143]
	s_waitcnt vmcnt(0)
	v_add_f64 v[4:5], v[4:5], -v[8:9]
	v_add_f64 v[6:7], v[6:7], -v[72:73]
	scratch_store_dwordx4 off, v[4:7], off offset:416
	s_and_saveexec_b64 s[0:1], vcc
	s_cbranch_execz .LBB42_223
; %bb.222:
	scratch_load_dwordx4 v[6:9], off, s40
	v_mov_b32_e32 v3, v2
	v_mov_b32_e32 v4, v2
	;; [unrolled: 1-line block ×3, first 2 shown]
	v_accvgpr_read_b32 v0, a87
	scratch_store_dwordx4 off, v[2:5], off offset:400
	s_waitcnt vmcnt(1)
	ds_write_b128 v0, v[6:9]
.LBB42_223:
	s_or_b64 exec, exec, s[0:1]
	s_waitcnt lgkmcnt(0)
	; wave barrier
	ds_read_b128 v[16:19], v2 offset:1088
	ds_read_b128 v[12:15], v2 offset:1104
	;; [unrolled: 1-line block ×4, first 2 shown]
	scratch_load_dwordx4 v[20:23], off, off offset:416
	scratch_load_dwordx4 v[40:43], off, off offset:480
	;; [unrolled: 1-line block ×12, first 2 shown]
	v_cmp_lt_u32_e32 vcc, 23, v244
	scratch_load_dwordx4 v[48:51], off, off offset:496
	scratch_load_dwordx4 v[56:59], off, off offset:512
	;; [unrolled: 1-line block ×3, first 2 shown]
	s_waitcnt vmcnt(14) lgkmcnt(3)
	v_mul_f64 v[24:25], v[16:17], v[22:23]
	v_fmac_f64_e32 v[24:25], v[18:19], v[20:21]
	v_add_f64 v[28:29], v[24:25], 0
	scratch_load_dwordx4 v[24:27], off, off offset:432
	s_waitcnt vmcnt(0) lgkmcnt(2)
	v_mul_f64 v[30:31], v[12:13], v[26:27]
	v_fmac_f64_e32 v[30:31], v[14:15], v[24:25]
	v_add_f64 v[32:33], v[28:29], v[30:31]
	scratch_load_dwordx4 v[28:31], off, off offset:448
	v_mul_f64 v[14:15], v[14:15], v[26:27]
	v_fma_f64 v[12:13], v[12:13], v[24:25], -v[14:15]
	s_waitcnt vmcnt(0) lgkmcnt(1)
	v_mul_f64 v[34:35], v[8:9], v[30:31]
	v_fmac_f64_e32 v[34:35], v[10:11], v[28:29]
	v_add_f64 v[36:37], v[32:33], v[34:35]
	scratch_load_dwordx4 v[32:35], off, off offset:464
	v_mul_f64 v[10:11], v[10:11], v[30:31]
	v_fma_f64 v[8:9], v[8:9], v[28:29], -v[10:11]
	s_waitcnt vmcnt(0) lgkmcnt(0)
	v_mul_f64 v[38:39], v[4:5], v[34:35]
	v_fmac_f64_e32 v[38:39], v[6:7], v[32:33]
	v_add_f64 v[44:45], v[36:37], v[38:39]
	ds_read_b128 v[36:39], v2 offset:1152
	v_mul_f64 v[6:7], v[6:7], v[34:35]
	v_fma_f64 v[4:5], v[4:5], v[32:33], -v[6:7]
	s_waitcnt lgkmcnt(0)
	v_mul_f64 v[46:47], v[36:37], v[42:43]
	v_fmac_f64_e32 v[46:47], v[38:39], v[40:41]
	v_add_f64 v[52:53], v[44:45], v[46:47]
	ds_read_b128 v[44:47], v2 offset:1168
	s_waitcnt lgkmcnt(0)
	v_mul_f64 v[54:55], v[44:45], v[50:51]
	v_fmac_f64_e32 v[54:55], v[46:47], v[48:49]
	v_add_f64 v[60:61], v[52:53], v[54:55]
	ds_read_b128 v[52:55], v2 offset:1184
	;; [unrolled: 5-line block ×13, first 2 shown]
	s_waitcnt lgkmcnt(0)
	v_mul_f64 v[2:3], v[142:143], v[148:149]
	v_fmac_f64_e32 v[2:3], v[144:145], v[146:147]
	v_add_f64 v[80:81], v[80:81], v[2:3]
	v_mul_f64 v[2:3], v[18:19], v[22:23]
	v_fma_f64 v[2:3], v[16:17], v[20:21], -v[2:3]
	v_add_f64 v[2:3], v[2:3], 0
	v_add_f64 v[2:3], v[2:3], v[12:13]
	v_add_f64 v[2:3], v[2:3], v[8:9]
	v_add_f64 v[2:3], v[2:3], v[4:5]
	v_mul_f64 v[4:5], v[38:39], v[42:43]
	v_fma_f64 v[4:5], v[36:37], v[40:41], -v[4:5]
	v_add_f64 v[2:3], v[2:3], v[4:5]
	v_mul_f64 v[4:5], v[46:47], v[50:51]
	v_fma_f64 v[4:5], v[44:45], v[48:49], -v[4:5]
	v_add_f64 v[2:3], v[2:3], v[4:5]
	;; [unrolled: 3-line block ×14, first 2 shown]
	scratch_load_dwordx4 v[2:5], off, off offset:400
	s_waitcnt vmcnt(0)
	v_add_f64 v[2:3], v[2:3], -v[6:7]
	v_add_f64 v[4:5], v[4:5], -v[80:81]
	scratch_store_dwordx4 off, v[2:5], off offset:400
	s_and_saveexec_b64 s[0:1], vcc
	s_cbranch_execz .LBB42_225
; %bb.224:
	scratch_load_dwordx4 v[2:5], off, s39
	v_mov_b32_e32 v6, 0
	v_mov_b32_e32 v7, v6
	;; [unrolled: 1-line block ×4, first 2 shown]
	v_accvgpr_read_b32 v0, a87
	scratch_store_dwordx4 off, v[6:9], off offset:384
	s_waitcnt vmcnt(1)
	ds_write_b128 v0, v[2:5]
.LBB42_225:
	s_or_b64 exec, exec, s[0:1]
	v_mov_b32_e32 v2, 0
	s_waitcnt lgkmcnt(0)
	; wave barrier
	ds_read_b128 v[16:19], v2 offset:1072
	ds_read_b128 v[12:15], v2 offset:1088
	;; [unrolled: 1-line block ×4, first 2 shown]
	scratch_load_dwordx4 v[20:23], off, off offset:400
	scratch_load_dwordx4 v[40:43], off, off offset:464
	;; [unrolled: 1-line block ×13, first 2 shown]
	v_cmp_lt_u32_e32 vcc, 22, v244
	scratch_load_dwordx4 v[48:51], off, off offset:480
	scratch_load_dwordx4 v[56:59], off, off offset:496
	;; [unrolled: 1-line block ×3, first 2 shown]
	s_waitcnt vmcnt(15) lgkmcnt(3)
	v_mul_f64 v[24:25], v[16:17], v[22:23]
	v_fmac_f64_e32 v[24:25], v[18:19], v[20:21]
	v_add_f64 v[28:29], v[24:25], 0
	scratch_load_dwordx4 v[24:27], off, off offset:416
	v_mul_f64 v[18:19], v[18:19], v[22:23]
	v_fma_f64 v[16:17], v[16:17], v[20:21], -v[18:19]
	v_add_f64 v[16:17], v[16:17], 0
	s_waitcnt vmcnt(0) lgkmcnt(2)
	v_mul_f64 v[30:31], v[12:13], v[26:27]
	v_fmac_f64_e32 v[30:31], v[14:15], v[24:25]
	v_add_f64 v[32:33], v[28:29], v[30:31]
	scratch_load_dwordx4 v[28:31], off, off offset:432
	v_mul_f64 v[14:15], v[14:15], v[26:27]
	v_fma_f64 v[12:13], v[12:13], v[24:25], -v[14:15]
	v_add_f64 v[12:13], v[16:17], v[12:13]
	;; [unrolled: 8-line block ×3, first 2 shown]
	s_waitcnt vmcnt(0) lgkmcnt(0)
	v_mul_f64 v[38:39], v[4:5], v[34:35]
	v_fmac_f64_e32 v[38:39], v[6:7], v[32:33]
	v_add_f64 v[44:45], v[36:37], v[38:39]
	ds_read_b128 v[36:39], v2 offset:1136
	v_mul_f64 v[6:7], v[6:7], v[34:35]
	v_fma_f64 v[4:5], v[4:5], v[32:33], -v[6:7]
	v_add_f64 v[4:5], v[8:9], v[4:5]
	s_waitcnt lgkmcnt(0)
	v_mul_f64 v[46:47], v[36:37], v[42:43]
	v_fmac_f64_e32 v[46:47], v[38:39], v[40:41]
	v_add_f64 v[52:53], v[44:45], v[46:47]
	ds_read_b128 v[44:47], v2 offset:1152
	v_mul_f64 v[6:7], v[38:39], v[42:43]
	v_fma_f64 v[6:7], v[36:37], v[40:41], -v[6:7]
	v_add_f64 v[4:5], v[4:5], v[6:7]
	s_waitcnt lgkmcnt(0)
	;; [unrolled: 8-line block ×15, first 2 shown]
	v_mul_f64 v[6:7], v[152:153], v[156:157]
	v_fma_f64 v[6:7], v[150:151], v[154:155], -v[6:7]
	v_add_f64 v[8:9], v[4:5], v[6:7]
	scratch_load_dwordx4 v[4:7], off, off offset:384
	v_mul_f64 v[158:159], v[150:151], v[156:157]
	v_fmac_f64_e32 v[158:159], v[152:153], v[154:155]
	v_add_f64 v[88:89], v[88:89], v[158:159]
	s_waitcnt vmcnt(0)
	v_add_f64 v[4:5], v[4:5], -v[8:9]
	v_add_f64 v[6:7], v[6:7], -v[88:89]
	scratch_store_dwordx4 off, v[4:7], off offset:384
	s_and_saveexec_b64 s[0:1], vcc
	s_cbranch_execz .LBB42_227
; %bb.226:
	scratch_load_dwordx4 v[6:9], off, s38
	v_mov_b32_e32 v3, v2
	v_mov_b32_e32 v4, v2
	;; [unrolled: 1-line block ×3, first 2 shown]
	v_accvgpr_read_b32 v0, a87
	scratch_store_dwordx4 off, v[2:5], off offset:368
	s_waitcnt vmcnt(1)
	ds_write_b128 v0, v[6:9]
.LBB42_227:
	s_or_b64 exec, exec, s[0:1]
	s_waitcnt lgkmcnt(0)
	; wave barrier
	ds_read_b128 v[16:19], v2 offset:1056
	ds_read_b128 v[12:15], v2 offset:1072
	ds_read_b128 v[8:11], v2 offset:1088
	ds_read_b128 v[4:7], v2 offset:1104
	scratch_load_dwordx4 v[20:23], off, off offset:384
	scratch_load_dwordx4 v[40:43], off, off offset:448
	;; [unrolled: 1-line block ×14, first 2 shown]
	v_cmp_lt_u32_e32 vcc, 21, v244
	scratch_load_dwordx4 v[48:51], off, off offset:464
	scratch_load_dwordx4 v[56:59], off, off offset:480
	;; [unrolled: 1-line block ×3, first 2 shown]
	s_waitcnt vmcnt(16) lgkmcnt(3)
	v_mul_f64 v[24:25], v[16:17], v[22:23]
	v_fmac_f64_e32 v[24:25], v[18:19], v[20:21]
	v_add_f64 v[28:29], v[24:25], 0
	scratch_load_dwordx4 v[24:27], off, off offset:400
	s_waitcnt vmcnt(0) lgkmcnt(2)
	v_mul_f64 v[30:31], v[12:13], v[26:27]
	v_fmac_f64_e32 v[30:31], v[14:15], v[24:25]
	v_add_f64 v[32:33], v[28:29], v[30:31]
	scratch_load_dwordx4 v[28:31], off, off offset:416
	v_mul_f64 v[14:15], v[14:15], v[26:27]
	v_fma_f64 v[12:13], v[12:13], v[24:25], -v[14:15]
	s_waitcnt vmcnt(0) lgkmcnt(1)
	v_mul_f64 v[34:35], v[8:9], v[30:31]
	v_fmac_f64_e32 v[34:35], v[10:11], v[28:29]
	v_add_f64 v[36:37], v[32:33], v[34:35]
	scratch_load_dwordx4 v[32:35], off, off offset:432
	v_mul_f64 v[10:11], v[10:11], v[30:31]
	v_fma_f64 v[8:9], v[8:9], v[28:29], -v[10:11]
	s_waitcnt vmcnt(0) lgkmcnt(0)
	v_mul_f64 v[38:39], v[4:5], v[34:35]
	v_fmac_f64_e32 v[38:39], v[6:7], v[32:33]
	v_add_f64 v[44:45], v[36:37], v[38:39]
	ds_read_b128 v[36:39], v2 offset:1120
	v_mul_f64 v[6:7], v[6:7], v[34:35]
	v_fma_f64 v[4:5], v[4:5], v[32:33], -v[6:7]
	s_waitcnt lgkmcnt(0)
	v_mul_f64 v[46:47], v[36:37], v[42:43]
	v_fmac_f64_e32 v[46:47], v[38:39], v[40:41]
	v_add_f64 v[52:53], v[44:45], v[46:47]
	ds_read_b128 v[44:47], v2 offset:1136
	s_waitcnt lgkmcnt(0)
	v_mul_f64 v[54:55], v[44:45], v[50:51]
	v_fmac_f64_e32 v[54:55], v[46:47], v[48:49]
	v_add_f64 v[60:61], v[52:53], v[54:55]
	ds_read_b128 v[52:55], v2 offset:1152
	;; [unrolled: 5-line block ×15, first 2 shown]
	s_waitcnt lgkmcnt(0)
	v_mul_f64 v[2:3], v[158:159], v[164:165]
	v_fmac_f64_e32 v[2:3], v[160:161], v[162:163]
	v_add_f64 v[96:97], v[96:97], v[2:3]
	v_mul_f64 v[2:3], v[18:19], v[22:23]
	v_fma_f64 v[2:3], v[16:17], v[20:21], -v[2:3]
	v_add_f64 v[2:3], v[2:3], 0
	v_add_f64 v[2:3], v[2:3], v[12:13]
	;; [unrolled: 1-line block ×4, first 2 shown]
	v_mul_f64 v[4:5], v[38:39], v[42:43]
	v_fma_f64 v[4:5], v[36:37], v[40:41], -v[4:5]
	v_add_f64 v[2:3], v[2:3], v[4:5]
	v_mul_f64 v[4:5], v[46:47], v[50:51]
	v_fma_f64 v[4:5], v[44:45], v[48:49], -v[4:5]
	v_add_f64 v[2:3], v[2:3], v[4:5]
	;; [unrolled: 3-line block ×16, first 2 shown]
	scratch_load_dwordx4 v[2:5], off, off offset:368
	s_waitcnt vmcnt(0)
	v_add_f64 v[2:3], v[2:3], -v[6:7]
	v_add_f64 v[4:5], v[4:5], -v[96:97]
	scratch_store_dwordx4 off, v[2:5], off offset:368
	s_and_saveexec_b64 s[0:1], vcc
	s_cbranch_execz .LBB42_229
; %bb.228:
	scratch_load_dwordx4 v[2:5], off, s37
	v_mov_b32_e32 v6, 0
	v_mov_b32_e32 v7, v6
	;; [unrolled: 1-line block ×4, first 2 shown]
	v_accvgpr_read_b32 v0, a87
	scratch_store_dwordx4 off, v[6:9], off offset:352
	s_waitcnt vmcnt(1)
	ds_write_b128 v0, v[2:5]
.LBB42_229:
	s_or_b64 exec, exec, s[0:1]
	v_mov_b32_e32 v2, 0
	s_waitcnt lgkmcnt(0)
	; wave barrier
	ds_read_b128 v[16:19], v2 offset:1040
	ds_read_b128 v[12:15], v2 offset:1056
	;; [unrolled: 1-line block ×4, first 2 shown]
	scratch_load_dwordx4 v[20:23], off, off offset:368
	scratch_load_dwordx4 v[40:43], off, off offset:432
	;; [unrolled: 1-line block ×15, first 2 shown]
	v_cmp_lt_u32_e32 vcc, 20, v244
	scratch_load_dwordx4 v[48:51], off, off offset:448
	scratch_load_dwordx4 v[56:59], off, off offset:464
	scratch_load_dwordx4 v[64:67], off, off offset:480
	s_waitcnt vmcnt(17) lgkmcnt(3)
	v_mul_f64 v[24:25], v[16:17], v[22:23]
	v_fmac_f64_e32 v[24:25], v[18:19], v[20:21]
	v_add_f64 v[28:29], v[24:25], 0
	scratch_load_dwordx4 v[24:27], off, off offset:384
	v_mul_f64 v[18:19], v[18:19], v[22:23]
	v_fma_f64 v[16:17], v[16:17], v[20:21], -v[18:19]
	v_add_f64 v[16:17], v[16:17], 0
	s_waitcnt vmcnt(0) lgkmcnt(2)
	v_mul_f64 v[30:31], v[12:13], v[26:27]
	v_fmac_f64_e32 v[30:31], v[14:15], v[24:25]
	v_add_f64 v[32:33], v[28:29], v[30:31]
	scratch_load_dwordx4 v[28:31], off, off offset:400
	v_mul_f64 v[14:15], v[14:15], v[26:27]
	v_fma_f64 v[12:13], v[12:13], v[24:25], -v[14:15]
	v_add_f64 v[12:13], v[16:17], v[12:13]
	;; [unrolled: 8-line block ×3, first 2 shown]
	s_waitcnt vmcnt(0) lgkmcnt(0)
	v_mul_f64 v[38:39], v[4:5], v[34:35]
	v_fmac_f64_e32 v[38:39], v[6:7], v[32:33]
	v_add_f64 v[44:45], v[36:37], v[38:39]
	ds_read_b128 v[36:39], v2 offset:1104
	v_mul_f64 v[6:7], v[6:7], v[34:35]
	v_fma_f64 v[4:5], v[4:5], v[32:33], -v[6:7]
	v_add_f64 v[4:5], v[8:9], v[4:5]
	s_waitcnt lgkmcnt(0)
	v_mul_f64 v[46:47], v[36:37], v[42:43]
	v_fmac_f64_e32 v[46:47], v[38:39], v[40:41]
	v_add_f64 v[52:53], v[44:45], v[46:47]
	ds_read_b128 v[44:47], v2 offset:1120
	v_mul_f64 v[6:7], v[38:39], v[42:43]
	v_fma_f64 v[6:7], v[36:37], v[40:41], -v[6:7]
	v_add_f64 v[4:5], v[4:5], v[6:7]
	s_waitcnt lgkmcnt(0)
	;; [unrolled: 8-line block ×17, first 2 shown]
	v_mul_f64 v[6:7], v[168:169], v[172:173]
	v_fma_f64 v[6:7], v[166:167], v[170:171], -v[6:7]
	v_add_f64 v[8:9], v[4:5], v[6:7]
	scratch_load_dwordx4 v[4:7], off, off offset:352
	v_mul_f64 v[174:175], v[166:167], v[172:173]
	v_fmac_f64_e32 v[174:175], v[168:169], v[170:171]
	v_add_f64 v[104:105], v[104:105], v[174:175]
	s_waitcnt vmcnt(0)
	v_add_f64 v[4:5], v[4:5], -v[8:9]
	v_add_f64 v[6:7], v[6:7], -v[104:105]
	scratch_store_dwordx4 off, v[4:7], off offset:352
	s_and_saveexec_b64 s[0:1], vcc
	s_cbranch_execz .LBB42_231
; %bb.230:
	scratch_load_dwordx4 v[6:9], off, s36
	v_mov_b32_e32 v3, v2
	v_mov_b32_e32 v4, v2
	;; [unrolled: 1-line block ×3, first 2 shown]
	v_accvgpr_read_b32 v0, a87
	scratch_store_dwordx4 off, v[2:5], off offset:336
	s_waitcnt vmcnt(1)
	ds_write_b128 v0, v[6:9]
.LBB42_231:
	s_or_b64 exec, exec, s[0:1]
	s_waitcnt lgkmcnt(0)
	; wave barrier
	ds_read_b128 v[16:19], v2 offset:1024
	ds_read_b128 v[12:15], v2 offset:1040
	;; [unrolled: 1-line block ×4, first 2 shown]
	scratch_load_dwordx4 v[20:23], off, off offset:352
	scratch_load_dwordx4 v[40:43], off, off offset:416
	;; [unrolled: 1-line block ×16, first 2 shown]
	v_cmp_lt_u32_e32 vcc, 19, v244
	scratch_load_dwordx4 v[48:51], off, off offset:432
	scratch_load_dwordx4 v[56:59], off, off offset:448
	;; [unrolled: 1-line block ×3, first 2 shown]
	s_waitcnt vmcnt(18) lgkmcnt(3)
	v_mul_f64 v[24:25], v[16:17], v[22:23]
	v_fmac_f64_e32 v[24:25], v[18:19], v[20:21]
	v_add_f64 v[28:29], v[24:25], 0
	scratch_load_dwordx4 v[24:27], off, off offset:368
	s_waitcnt vmcnt(0) lgkmcnt(2)
	v_mul_f64 v[30:31], v[12:13], v[26:27]
	v_fmac_f64_e32 v[30:31], v[14:15], v[24:25]
	v_add_f64 v[32:33], v[28:29], v[30:31]
	scratch_load_dwordx4 v[28:31], off, off offset:384
	v_mul_f64 v[14:15], v[14:15], v[26:27]
	v_fma_f64 v[12:13], v[12:13], v[24:25], -v[14:15]
	s_waitcnt vmcnt(0) lgkmcnt(1)
	v_mul_f64 v[34:35], v[8:9], v[30:31]
	v_fmac_f64_e32 v[34:35], v[10:11], v[28:29]
	v_add_f64 v[36:37], v[32:33], v[34:35]
	scratch_load_dwordx4 v[32:35], off, off offset:400
	v_mul_f64 v[10:11], v[10:11], v[30:31]
	v_fma_f64 v[8:9], v[8:9], v[28:29], -v[10:11]
	s_waitcnt vmcnt(0) lgkmcnt(0)
	v_mul_f64 v[38:39], v[4:5], v[34:35]
	v_fmac_f64_e32 v[38:39], v[6:7], v[32:33]
	v_add_f64 v[44:45], v[36:37], v[38:39]
	ds_read_b128 v[36:39], v2 offset:1088
	v_mul_f64 v[6:7], v[6:7], v[34:35]
	v_fma_f64 v[4:5], v[4:5], v[32:33], -v[6:7]
	s_waitcnt lgkmcnt(0)
	v_mul_f64 v[46:47], v[36:37], v[42:43]
	v_fmac_f64_e32 v[46:47], v[38:39], v[40:41]
	v_add_f64 v[52:53], v[44:45], v[46:47]
	ds_read_b128 v[44:47], v2 offset:1104
	s_waitcnt lgkmcnt(0)
	v_mul_f64 v[54:55], v[44:45], v[50:51]
	v_fmac_f64_e32 v[54:55], v[46:47], v[48:49]
	v_add_f64 v[60:61], v[52:53], v[54:55]
	ds_read_b128 v[52:55], v2 offset:1120
	;; [unrolled: 5-line block ×17, first 2 shown]
	s_waitcnt lgkmcnt(0)
	v_mul_f64 v[2:3], v[174:175], v[180:181]
	v_fmac_f64_e32 v[2:3], v[176:177], v[178:179]
	v_add_f64 v[120:121], v[120:121], v[2:3]
	v_mul_f64 v[2:3], v[18:19], v[22:23]
	v_fma_f64 v[2:3], v[16:17], v[20:21], -v[2:3]
	v_add_f64 v[2:3], v[2:3], 0
	v_add_f64 v[2:3], v[2:3], v[12:13]
	v_add_f64 v[2:3], v[2:3], v[8:9]
	v_add_f64 v[2:3], v[2:3], v[4:5]
	v_mul_f64 v[4:5], v[38:39], v[42:43]
	v_fma_f64 v[4:5], v[36:37], v[40:41], -v[4:5]
	v_add_f64 v[2:3], v[2:3], v[4:5]
	v_mul_f64 v[4:5], v[46:47], v[50:51]
	v_fma_f64 v[4:5], v[44:45], v[48:49], -v[4:5]
	v_add_f64 v[2:3], v[2:3], v[4:5]
	;; [unrolled: 3-line block ×18, first 2 shown]
	scratch_load_dwordx4 v[2:5], off, off offset:336
	s_waitcnt vmcnt(0)
	v_add_f64 v[2:3], v[2:3], -v[6:7]
	v_add_f64 v[4:5], v[4:5], -v[120:121]
	scratch_store_dwordx4 off, v[2:5], off offset:336
	s_and_saveexec_b64 s[0:1], vcc
	s_cbranch_execz .LBB42_233
; %bb.232:
	scratch_load_dwordx4 v[2:5], off, s35
	v_mov_b32_e32 v6, 0
	v_mov_b32_e32 v7, v6
	;; [unrolled: 1-line block ×4, first 2 shown]
	v_accvgpr_read_b32 v0, a87
	scratch_store_dwordx4 off, v[6:9], off offset:320
	s_waitcnt vmcnt(1)
	ds_write_b128 v0, v[2:5]
.LBB42_233:
	s_or_b64 exec, exec, s[0:1]
	v_mov_b32_e32 v2, 0
	s_waitcnt lgkmcnt(0)
	; wave barrier
	ds_read_b128 v[16:19], v2 offset:1008
	ds_read_b128 v[12:15], v2 offset:1024
	;; [unrolled: 1-line block ×4, first 2 shown]
	scratch_load_dwordx4 v[20:23], off, off offset:336
	scratch_load_dwordx4 v[40:43], off, off offset:400
	scratch_load_dwordx4 v[72:75], off, off offset:464
	scratch_load_dwordx4 v[80:83], off, off offset:480
	scratch_load_dwordx4 v[88:91], off, off offset:496
	scratch_load_dwordx4 v[96:99], off, off offset:512
	scratch_load_dwordx4 v[104:107], off, off offset:528
	scratch_load_dwordx4 v[112:115], off, off offset:544
	scratch_load_dwordx4 v[120:123], off, off offset:560
	scratch_load_dwordx4 v[130:133], off, off offset:576
	scratch_load_dwordx4 v[138:141], off, off offset:592
	scratch_load_dwordx4 v[146:149], off, off offset:608
	scratch_load_dwordx4 v[154:157], off, off offset:624
	scratch_load_dwordx4 v[162:165], off, off offset:640
	scratch_load_dwordx4 v[170:173], off, off offset:656
	scratch_load_dwordx4 v[178:181], off, off offset:672
	scratch_load_dwordx4 v[186:189], off, off offset:688
	v_cmp_lt_u32_e32 vcc, 18, v244
	scratch_load_dwordx4 v[48:51], off, off offset:416
	scratch_load_dwordx4 v[56:59], off, off offset:432
	scratch_load_dwordx4 v[64:67], off, off offset:448
	s_waitcnt vmcnt(19) lgkmcnt(3)
	v_mul_f64 v[24:25], v[16:17], v[22:23]
	v_fmac_f64_e32 v[24:25], v[18:19], v[20:21]
	v_add_f64 v[28:29], v[24:25], 0
	scratch_load_dwordx4 v[24:27], off, off offset:352
	v_mul_f64 v[18:19], v[18:19], v[22:23]
	v_fma_f64 v[16:17], v[16:17], v[20:21], -v[18:19]
	v_add_f64 v[16:17], v[16:17], 0
	s_waitcnt vmcnt(0) lgkmcnt(2)
	v_mul_f64 v[30:31], v[12:13], v[26:27]
	v_fmac_f64_e32 v[30:31], v[14:15], v[24:25]
	v_add_f64 v[32:33], v[28:29], v[30:31]
	scratch_load_dwordx4 v[28:31], off, off offset:368
	v_mul_f64 v[14:15], v[14:15], v[26:27]
	v_fma_f64 v[12:13], v[12:13], v[24:25], -v[14:15]
	v_add_f64 v[12:13], v[16:17], v[12:13]
	;; [unrolled: 8-line block ×3, first 2 shown]
	s_waitcnt vmcnt(0) lgkmcnt(0)
	v_mul_f64 v[38:39], v[4:5], v[34:35]
	v_fmac_f64_e32 v[38:39], v[6:7], v[32:33]
	v_add_f64 v[44:45], v[36:37], v[38:39]
	ds_read_b128 v[36:39], v2 offset:1072
	v_mul_f64 v[6:7], v[6:7], v[34:35]
	v_fma_f64 v[4:5], v[4:5], v[32:33], -v[6:7]
	v_add_f64 v[4:5], v[8:9], v[4:5]
	s_waitcnt lgkmcnt(0)
	v_mul_f64 v[46:47], v[36:37], v[42:43]
	v_fmac_f64_e32 v[46:47], v[38:39], v[40:41]
	v_add_f64 v[52:53], v[44:45], v[46:47]
	ds_read_b128 v[44:47], v2 offset:1088
	v_mul_f64 v[6:7], v[38:39], v[42:43]
	v_fma_f64 v[6:7], v[36:37], v[40:41], -v[6:7]
	v_add_f64 v[4:5], v[4:5], v[6:7]
	s_waitcnt lgkmcnt(0)
	;; [unrolled: 8-line block ×19, first 2 shown]
	v_mul_f64 v[6:7], v[184:185], v[188:189]
	v_fma_f64 v[6:7], v[182:183], v[186:187], -v[6:7]
	v_add_f64 v[8:9], v[4:5], v[6:7]
	scratch_load_dwordx4 v[4:7], off, off offset:320
	v_mul_f64 v[190:191], v[182:183], v[188:189]
	v_fmac_f64_e32 v[190:191], v[184:185], v[186:187]
	v_add_f64 v[128:129], v[128:129], v[190:191]
	s_waitcnt vmcnt(0)
	v_add_f64 v[4:5], v[4:5], -v[8:9]
	v_add_f64 v[6:7], v[6:7], -v[128:129]
	scratch_store_dwordx4 off, v[4:7], off offset:320
	s_and_saveexec_b64 s[0:1], vcc
	s_cbranch_execz .LBB42_235
; %bb.234:
	scratch_load_dwordx4 v[6:9], off, s34
	v_mov_b32_e32 v3, v2
	v_mov_b32_e32 v4, v2
	;; [unrolled: 1-line block ×3, first 2 shown]
	v_accvgpr_read_b32 v0, a87
	scratch_store_dwordx4 off, v[2:5], off offset:304
	s_waitcnt vmcnt(1)
	ds_write_b128 v0, v[6:9]
.LBB42_235:
	s_or_b64 exec, exec, s[0:1]
	s_waitcnt lgkmcnt(0)
	; wave barrier
	ds_read_b128 v[16:19], v2 offset:992
	ds_read_b128 v[12:15], v2 offset:1008
	;; [unrolled: 1-line block ×4, first 2 shown]
	scratch_load_dwordx4 v[20:23], off, off offset:320
	scratch_load_dwordx4 v[40:43], off, off offset:384
	;; [unrolled: 1-line block ×18, first 2 shown]
	v_cmp_lt_u32_e32 vcc, 17, v244
	scratch_load_dwordx4 v[48:51], off, off offset:400
	scratch_load_dwordx4 v[56:59], off, off offset:416
	;; [unrolled: 1-line block ×3, first 2 shown]
	s_waitcnt vmcnt(20) lgkmcnt(3)
	v_mul_f64 v[24:25], v[16:17], v[22:23]
	v_fmac_f64_e32 v[24:25], v[18:19], v[20:21]
	v_add_f64 v[28:29], v[24:25], 0
	scratch_load_dwordx4 v[24:27], off, off offset:336
	s_waitcnt vmcnt(0) lgkmcnt(2)
	v_mul_f64 v[30:31], v[12:13], v[26:27]
	v_fmac_f64_e32 v[30:31], v[14:15], v[24:25]
	v_add_f64 v[32:33], v[28:29], v[30:31]
	scratch_load_dwordx4 v[28:31], off, off offset:352
	v_mul_f64 v[14:15], v[14:15], v[26:27]
	v_fma_f64 v[12:13], v[12:13], v[24:25], -v[14:15]
	s_waitcnt vmcnt(0) lgkmcnt(1)
	v_mul_f64 v[34:35], v[8:9], v[30:31]
	v_fmac_f64_e32 v[34:35], v[10:11], v[28:29]
	v_add_f64 v[36:37], v[32:33], v[34:35]
	scratch_load_dwordx4 v[32:35], off, off offset:368
	v_mul_f64 v[10:11], v[10:11], v[30:31]
	v_fma_f64 v[8:9], v[8:9], v[28:29], -v[10:11]
	s_waitcnt vmcnt(0) lgkmcnt(0)
	v_mul_f64 v[38:39], v[4:5], v[34:35]
	v_fmac_f64_e32 v[38:39], v[6:7], v[32:33]
	v_add_f64 v[44:45], v[36:37], v[38:39]
	ds_read_b128 v[36:39], v2 offset:1056
	v_mul_f64 v[6:7], v[6:7], v[34:35]
	v_fma_f64 v[4:5], v[4:5], v[32:33], -v[6:7]
	s_waitcnt lgkmcnt(0)
	v_mul_f64 v[46:47], v[36:37], v[42:43]
	v_fmac_f64_e32 v[46:47], v[38:39], v[40:41]
	v_add_f64 v[52:53], v[44:45], v[46:47]
	ds_read_b128 v[44:47], v2 offset:1072
	s_waitcnt lgkmcnt(0)
	v_mul_f64 v[54:55], v[44:45], v[50:51]
	v_fmac_f64_e32 v[54:55], v[46:47], v[48:49]
	v_add_f64 v[60:61], v[52:53], v[54:55]
	ds_read_b128 v[52:55], v2 offset:1088
	;; [unrolled: 5-line block ×19, first 2 shown]
	s_waitcnt lgkmcnt(0)
	v_mul_f64 v[2:3], v[190:191], v[196:197]
	v_fmac_f64_e32 v[2:3], v[192:193], v[194:195]
	v_add_f64 v[148:149], v[148:149], v[2:3]
	v_mul_f64 v[2:3], v[18:19], v[22:23]
	v_fma_f64 v[2:3], v[16:17], v[20:21], -v[2:3]
	v_add_f64 v[2:3], v[2:3], 0
	v_add_f64 v[2:3], v[2:3], v[12:13]
	;; [unrolled: 1-line block ×4, first 2 shown]
	v_mul_f64 v[4:5], v[38:39], v[42:43]
	v_fma_f64 v[4:5], v[36:37], v[40:41], -v[4:5]
	v_add_f64 v[2:3], v[2:3], v[4:5]
	v_mul_f64 v[4:5], v[46:47], v[50:51]
	v_fma_f64 v[4:5], v[44:45], v[48:49], -v[4:5]
	v_add_f64 v[2:3], v[2:3], v[4:5]
	;; [unrolled: 3-line block ×20, first 2 shown]
	scratch_load_dwordx4 v[2:5], off, off offset:304
	s_waitcnt vmcnt(0)
	v_add_f64 v[2:3], v[2:3], -v[6:7]
	v_add_f64 v[4:5], v[4:5], -v[148:149]
	scratch_store_dwordx4 off, v[2:5], off offset:304
	s_and_saveexec_b64 s[0:1], vcc
	s_cbranch_execz .LBB42_237
; %bb.236:
	scratch_load_dwordx4 v[2:5], off, s33
	v_mov_b32_e32 v6, 0
	v_mov_b32_e32 v7, v6
	;; [unrolled: 1-line block ×4, first 2 shown]
	v_accvgpr_read_b32 v0, a87
	scratch_store_dwordx4 off, v[6:9], off offset:288
	s_waitcnt vmcnt(1)
	ds_write_b128 v0, v[2:5]
.LBB42_237:
	s_or_b64 exec, exec, s[0:1]
	v_mov_b32_e32 v2, 0
	s_waitcnt lgkmcnt(0)
	; wave barrier
	ds_read_b128 v[16:19], v2 offset:976
	ds_read_b128 v[12:15], v2 offset:992
	;; [unrolled: 1-line block ×4, first 2 shown]
	scratch_load_dwordx4 v[20:23], off, off offset:304
	scratch_load_dwordx4 v[40:43], off, off offset:368
	;; [unrolled: 1-line block ×19, first 2 shown]
	v_cmp_lt_u32_e32 vcc, 16, v244
	scratch_load_dwordx4 v[48:51], off, off offset:384
	scratch_load_dwordx4 v[56:59], off, off offset:400
	;; [unrolled: 1-line block ×3, first 2 shown]
	s_waitcnt vmcnt(21) lgkmcnt(3)
	v_mul_f64 v[24:25], v[16:17], v[22:23]
	v_fmac_f64_e32 v[24:25], v[18:19], v[20:21]
	v_add_f64 v[28:29], v[24:25], 0
	scratch_load_dwordx4 v[24:27], off, off offset:320
	v_mul_f64 v[18:19], v[18:19], v[22:23]
	v_fma_f64 v[16:17], v[16:17], v[20:21], -v[18:19]
	v_add_f64 v[16:17], v[16:17], 0
	s_waitcnt vmcnt(0) lgkmcnt(2)
	v_mul_f64 v[30:31], v[12:13], v[26:27]
	v_fmac_f64_e32 v[30:31], v[14:15], v[24:25]
	v_add_f64 v[32:33], v[28:29], v[30:31]
	scratch_load_dwordx4 v[28:31], off, off offset:336
	v_mul_f64 v[14:15], v[14:15], v[26:27]
	v_fma_f64 v[12:13], v[12:13], v[24:25], -v[14:15]
	v_add_f64 v[12:13], v[16:17], v[12:13]
	;; [unrolled: 8-line block ×3, first 2 shown]
	s_waitcnt vmcnt(0) lgkmcnt(0)
	v_mul_f64 v[38:39], v[4:5], v[34:35]
	v_fmac_f64_e32 v[38:39], v[6:7], v[32:33]
	v_add_f64 v[44:45], v[36:37], v[38:39]
	ds_read_b128 v[36:39], v2 offset:1040
	v_mul_f64 v[6:7], v[6:7], v[34:35]
	v_fma_f64 v[4:5], v[4:5], v[32:33], -v[6:7]
	v_add_f64 v[4:5], v[8:9], v[4:5]
	s_waitcnt lgkmcnt(0)
	v_mul_f64 v[46:47], v[36:37], v[42:43]
	v_fmac_f64_e32 v[46:47], v[38:39], v[40:41]
	v_add_f64 v[52:53], v[44:45], v[46:47]
	ds_read_b128 v[44:47], v2 offset:1056
	v_mul_f64 v[6:7], v[38:39], v[42:43]
	v_fma_f64 v[6:7], v[36:37], v[40:41], -v[6:7]
	v_add_f64 v[4:5], v[4:5], v[6:7]
	s_waitcnt lgkmcnt(0)
	;; [unrolled: 8-line block ×21, first 2 shown]
	v_mul_f64 v[6:7], v[200:201], v[204:205]
	v_fma_f64 v[6:7], v[198:199], v[202:203], -v[6:7]
	v_add_f64 v[8:9], v[4:5], v[6:7]
	scratch_load_dwordx4 v[4:7], off, off offset:288
	v_mul_f64 v[206:207], v[198:199], v[204:205]
	v_fmac_f64_e32 v[206:207], v[200:201], v[202:203]
	v_add_f64 v[144:145], v[144:145], v[206:207]
	s_waitcnt vmcnt(0)
	v_add_f64 v[4:5], v[4:5], -v[8:9]
	v_add_f64 v[6:7], v[6:7], -v[144:145]
	scratch_store_dwordx4 off, v[4:7], off offset:288
	s_and_saveexec_b64 s[0:1], vcc
	s_cbranch_execz .LBB42_239
; %bb.238:
	scratch_load_dwordx4 v[6:9], off, s31
	v_mov_b32_e32 v3, v2
	v_mov_b32_e32 v4, v2
	;; [unrolled: 1-line block ×3, first 2 shown]
	v_accvgpr_read_b32 v0, a87
	scratch_store_dwordx4 off, v[2:5], off offset:272
	s_waitcnt vmcnt(1)
	ds_write_b128 v0, v[6:9]
.LBB42_239:
	s_or_b64 exec, exec, s[0:1]
	s_waitcnt lgkmcnt(0)
	; wave barrier
	ds_read_b128 v[16:19], v2 offset:960
	ds_read_b128 v[12:15], v2 offset:976
	;; [unrolled: 1-line block ×4, first 2 shown]
	scratch_load_dwordx4 v[20:23], off, off offset:288
	scratch_load_dwordx4 v[40:43], off, off offset:352
	;; [unrolled: 1-line block ×20, first 2 shown]
	v_cmp_lt_u32_e32 vcc, 15, v244
	scratch_load_dwordx4 v[48:51], off, off offset:368
	scratch_load_dwordx4 v[56:59], off, off offset:384
	;; [unrolled: 1-line block ×3, first 2 shown]
	s_waitcnt vmcnt(22) lgkmcnt(3)
	v_mul_f64 v[24:25], v[16:17], v[22:23]
	v_fmac_f64_e32 v[24:25], v[18:19], v[20:21]
	v_add_f64 v[28:29], v[24:25], 0
	scratch_load_dwordx4 v[24:27], off, off offset:304
	s_waitcnt vmcnt(0) lgkmcnt(2)
	v_mul_f64 v[30:31], v[12:13], v[26:27]
	v_fmac_f64_e32 v[30:31], v[14:15], v[24:25]
	v_add_f64 v[32:33], v[28:29], v[30:31]
	scratch_load_dwordx4 v[28:31], off, off offset:320
	v_mul_f64 v[14:15], v[14:15], v[26:27]
	v_fma_f64 v[12:13], v[12:13], v[24:25], -v[14:15]
	s_waitcnt vmcnt(0) lgkmcnt(1)
	v_mul_f64 v[34:35], v[8:9], v[30:31]
	v_fmac_f64_e32 v[34:35], v[10:11], v[28:29]
	v_add_f64 v[36:37], v[32:33], v[34:35]
	scratch_load_dwordx4 v[32:35], off, off offset:336
	v_mul_f64 v[10:11], v[10:11], v[30:31]
	v_fma_f64 v[8:9], v[8:9], v[28:29], -v[10:11]
	s_waitcnt vmcnt(0) lgkmcnt(0)
	v_mul_f64 v[38:39], v[4:5], v[34:35]
	v_fmac_f64_e32 v[38:39], v[6:7], v[32:33]
	v_add_f64 v[44:45], v[36:37], v[38:39]
	ds_read_b128 v[36:39], v2 offset:1024
	v_mul_f64 v[6:7], v[6:7], v[34:35]
	v_fma_f64 v[4:5], v[4:5], v[32:33], -v[6:7]
	s_waitcnt lgkmcnt(0)
	v_mul_f64 v[46:47], v[36:37], v[42:43]
	v_fmac_f64_e32 v[46:47], v[38:39], v[40:41]
	v_add_f64 v[52:53], v[44:45], v[46:47]
	ds_read_b128 v[44:47], v2 offset:1040
	s_waitcnt lgkmcnt(0)
	v_mul_f64 v[54:55], v[44:45], v[50:51]
	v_fmac_f64_e32 v[54:55], v[46:47], v[48:49]
	v_add_f64 v[60:61], v[52:53], v[54:55]
	ds_read_b128 v[52:55], v2 offset:1056
	;; [unrolled: 5-line block ×21, first 2 shown]
	s_waitcnt lgkmcnt(0)
	v_mul_f64 v[2:3], v[206:207], v[212:213]
	v_fmac_f64_e32 v[2:3], v[208:209], v[210:211]
	v_add_f64 v[168:169], v[168:169], v[2:3]
	v_mul_f64 v[2:3], v[18:19], v[22:23]
	v_fma_f64 v[2:3], v[16:17], v[20:21], -v[2:3]
	v_add_f64 v[2:3], v[2:3], 0
	v_add_f64 v[2:3], v[2:3], v[12:13]
	;; [unrolled: 1-line block ×4, first 2 shown]
	v_mul_f64 v[4:5], v[38:39], v[42:43]
	v_fma_f64 v[4:5], v[36:37], v[40:41], -v[4:5]
	v_add_f64 v[2:3], v[2:3], v[4:5]
	v_mul_f64 v[4:5], v[46:47], v[50:51]
	v_fma_f64 v[4:5], v[44:45], v[48:49], -v[4:5]
	v_add_f64 v[2:3], v[2:3], v[4:5]
	;; [unrolled: 3-line block ×22, first 2 shown]
	scratch_load_dwordx4 v[2:5], off, off offset:272
	s_waitcnt vmcnt(0)
	v_add_f64 v[2:3], v[2:3], -v[6:7]
	v_add_f64 v[4:5], v[4:5], -v[168:169]
	scratch_store_dwordx4 off, v[2:5], off offset:272
	s_and_saveexec_b64 s[0:1], vcc
	s_cbranch_execz .LBB42_241
; %bb.240:
	scratch_load_dwordx4 v[2:5], off, s30
	v_mov_b32_e32 v6, 0
	v_mov_b32_e32 v7, v6
	;; [unrolled: 1-line block ×4, first 2 shown]
	v_accvgpr_read_b32 v0, a87
	scratch_store_dwordx4 off, v[6:9], off offset:256
	s_waitcnt vmcnt(1)
	ds_write_b128 v0, v[2:5]
.LBB42_241:
	s_or_b64 exec, exec, s[0:1]
	v_mov_b32_e32 v2, 0
	s_waitcnt lgkmcnt(0)
	; wave barrier
	ds_read_b128 v[16:19], v2 offset:944
	ds_read_b128 v[12:15], v2 offset:960
	;; [unrolled: 1-line block ×4, first 2 shown]
	scratch_load_dwordx4 v[20:23], off, off offset:272
	scratch_load_dwordx4 v[40:43], off, off offset:336
	;; [unrolled: 1-line block ×21, first 2 shown]
	v_cmp_lt_u32_e32 vcc, 14, v244
	scratch_load_dwordx4 v[48:51], off, off offset:352
	scratch_load_dwordx4 v[56:59], off, off offset:368
	;; [unrolled: 1-line block ×3, first 2 shown]
	s_waitcnt vmcnt(23) lgkmcnt(3)
	v_mul_f64 v[24:25], v[16:17], v[22:23]
	v_fmac_f64_e32 v[24:25], v[18:19], v[20:21]
	v_add_f64 v[28:29], v[24:25], 0
	scratch_load_dwordx4 v[24:27], off, off offset:288
	v_mul_f64 v[18:19], v[18:19], v[22:23]
	v_fma_f64 v[16:17], v[16:17], v[20:21], -v[18:19]
	v_add_f64 v[16:17], v[16:17], 0
	s_waitcnt vmcnt(0) lgkmcnt(2)
	v_mul_f64 v[30:31], v[12:13], v[26:27]
	v_fmac_f64_e32 v[30:31], v[14:15], v[24:25]
	v_add_f64 v[32:33], v[28:29], v[30:31]
	scratch_load_dwordx4 v[28:31], off, off offset:304
	v_mul_f64 v[14:15], v[14:15], v[26:27]
	v_fma_f64 v[12:13], v[12:13], v[24:25], -v[14:15]
	v_add_f64 v[12:13], v[16:17], v[12:13]
	;; [unrolled: 8-line block ×3, first 2 shown]
	s_waitcnt vmcnt(0) lgkmcnt(0)
	v_mul_f64 v[38:39], v[4:5], v[34:35]
	v_fmac_f64_e32 v[38:39], v[6:7], v[32:33]
	v_add_f64 v[44:45], v[36:37], v[38:39]
	ds_read_b128 v[36:39], v2 offset:1008
	v_mul_f64 v[6:7], v[6:7], v[34:35]
	v_fma_f64 v[4:5], v[4:5], v[32:33], -v[6:7]
	v_add_f64 v[4:5], v[8:9], v[4:5]
	s_waitcnt lgkmcnt(0)
	v_mul_f64 v[46:47], v[36:37], v[42:43]
	v_fmac_f64_e32 v[46:47], v[38:39], v[40:41]
	v_add_f64 v[52:53], v[44:45], v[46:47]
	ds_read_b128 v[44:47], v2 offset:1024
	v_mul_f64 v[6:7], v[38:39], v[42:43]
	v_fma_f64 v[6:7], v[36:37], v[40:41], -v[6:7]
	v_add_f64 v[4:5], v[4:5], v[6:7]
	s_waitcnt lgkmcnt(0)
	;; [unrolled: 8-line block ×23, first 2 shown]
	v_mul_f64 v[6:7], v[216:217], v[220:221]
	v_fma_f64 v[6:7], v[214:215], v[218:219], -v[6:7]
	v_add_f64 v[8:9], v[4:5], v[6:7]
	scratch_load_dwordx4 v[4:7], off, off offset:256
	v_mul_f64 v[222:223], v[214:215], v[220:221]
	v_fmac_f64_e32 v[222:223], v[216:217], v[218:219]
	v_add_f64 v[160:161], v[160:161], v[222:223]
	s_waitcnt vmcnt(0)
	v_add_f64 v[4:5], v[4:5], -v[8:9]
	v_add_f64 v[6:7], v[6:7], -v[160:161]
	scratch_store_dwordx4 off, v[4:7], off offset:256
	s_and_saveexec_b64 s[0:1], vcc
	s_cbranch_execz .LBB42_243
; %bb.242:
	scratch_load_dwordx4 v[6:9], off, s29
	v_mov_b32_e32 v3, v2
	v_mov_b32_e32 v4, v2
	v_mov_b32_e32 v5, v2
	v_accvgpr_read_b32 v0, a87
	scratch_store_dwordx4 off, v[2:5], off offset:240
	s_waitcnt vmcnt(1)
	ds_write_b128 v0, v[6:9]
.LBB42_243:
	s_or_b64 exec, exec, s[0:1]
	s_waitcnt lgkmcnt(0)
	; wave barrier
	ds_read_b128 v[16:19], v2 offset:928
	ds_read_b128 v[12:15], v2 offset:944
	;; [unrolled: 1-line block ×4, first 2 shown]
	scratch_load_dwordx4 v[20:23], off, off offset:256
	scratch_load_dwordx4 v[40:43], off, off offset:320
	;; [unrolled: 1-line block ×22, first 2 shown]
	v_cmp_lt_u32_e32 vcc, 13, v244
	scratch_load_dwordx4 v[48:51], off, off offset:336
	scratch_load_dwordx4 v[56:59], off, off offset:352
	scratch_load_dwordx4 v[64:67], off, off offset:368
	s_waitcnt vmcnt(24) lgkmcnt(3)
	v_mul_f64 v[24:25], v[16:17], v[22:23]
	v_fmac_f64_e32 v[24:25], v[18:19], v[20:21]
	v_add_f64 v[28:29], v[24:25], 0
	scratch_load_dwordx4 v[24:27], off, off offset:272
	s_waitcnt vmcnt(0) lgkmcnt(2)
	v_mul_f64 v[30:31], v[12:13], v[26:27]
	v_fmac_f64_e32 v[30:31], v[14:15], v[24:25]
	v_add_f64 v[32:33], v[28:29], v[30:31]
	scratch_load_dwordx4 v[28:31], off, off offset:288
	v_mul_f64 v[14:15], v[14:15], v[26:27]
	v_fma_f64 v[12:13], v[12:13], v[24:25], -v[14:15]
	s_waitcnt vmcnt(0) lgkmcnt(1)
	v_mul_f64 v[34:35], v[8:9], v[30:31]
	v_fmac_f64_e32 v[34:35], v[10:11], v[28:29]
	v_add_f64 v[36:37], v[32:33], v[34:35]
	scratch_load_dwordx4 v[32:35], off, off offset:304
	v_mul_f64 v[10:11], v[10:11], v[30:31]
	v_fma_f64 v[8:9], v[8:9], v[28:29], -v[10:11]
	s_waitcnt vmcnt(0) lgkmcnt(0)
	v_mul_f64 v[38:39], v[4:5], v[34:35]
	v_fmac_f64_e32 v[38:39], v[6:7], v[32:33]
	v_add_f64 v[44:45], v[36:37], v[38:39]
	ds_read_b128 v[36:39], v2 offset:992
	v_mul_f64 v[6:7], v[6:7], v[34:35]
	v_fma_f64 v[4:5], v[4:5], v[32:33], -v[6:7]
	s_waitcnt lgkmcnt(0)
	v_mul_f64 v[46:47], v[36:37], v[42:43]
	v_fmac_f64_e32 v[46:47], v[38:39], v[40:41]
	v_add_f64 v[52:53], v[44:45], v[46:47]
	ds_read_b128 v[44:47], v2 offset:1008
	s_waitcnt lgkmcnt(0)
	v_mul_f64 v[54:55], v[44:45], v[50:51]
	v_fmac_f64_e32 v[54:55], v[46:47], v[48:49]
	v_add_f64 v[60:61], v[52:53], v[54:55]
	ds_read_b128 v[52:55], v2 offset:1024
	;; [unrolled: 5-line block ×23, first 2 shown]
	s_waitcnt lgkmcnt(0)
	v_mul_f64 v[2:3], v[222:223], v[228:229]
	v_fmac_f64_e32 v[2:3], v[224:225], v[226:227]
	v_add_f64 v[176:177], v[176:177], v[2:3]
	v_mul_f64 v[2:3], v[18:19], v[22:23]
	v_fma_f64 v[2:3], v[16:17], v[20:21], -v[2:3]
	v_add_f64 v[2:3], v[2:3], 0
	v_add_f64 v[2:3], v[2:3], v[12:13]
	;; [unrolled: 1-line block ×4, first 2 shown]
	v_mul_f64 v[4:5], v[38:39], v[42:43]
	v_fma_f64 v[4:5], v[36:37], v[40:41], -v[4:5]
	v_add_f64 v[2:3], v[2:3], v[4:5]
	v_mul_f64 v[4:5], v[46:47], v[50:51]
	v_fma_f64 v[4:5], v[44:45], v[48:49], -v[4:5]
	v_add_f64 v[2:3], v[2:3], v[4:5]
	;; [unrolled: 3-line block ×24, first 2 shown]
	scratch_load_dwordx4 v[2:5], off, off offset:240
	s_waitcnt vmcnt(0)
	v_add_f64 v[2:3], v[2:3], -v[6:7]
	v_add_f64 v[4:5], v[4:5], -v[176:177]
	scratch_store_dwordx4 off, v[2:5], off offset:240
	s_and_saveexec_b64 s[0:1], vcc
	s_cbranch_execz .LBB42_245
; %bb.244:
	scratch_load_dwordx4 v[2:5], off, s28
	v_mov_b32_e32 v6, 0
	v_mov_b32_e32 v7, v6
	;; [unrolled: 1-line block ×4, first 2 shown]
	v_accvgpr_read_b32 v0, a87
	scratch_store_dwordx4 off, v[6:9], off offset:224
	s_waitcnt vmcnt(1)
	ds_write_b128 v0, v[2:5]
.LBB42_245:
	s_or_b64 exec, exec, s[0:1]
	v_mov_b32_e32 v2, 0
	s_waitcnt lgkmcnt(0)
	; wave barrier
	ds_read_b128 v[16:19], v2 offset:912
	ds_read_b128 v[12:15], v2 offset:928
	;; [unrolled: 1-line block ×4, first 2 shown]
	scratch_load_dwordx4 v[20:23], off, off offset:240
	scratch_load_dwordx4 v[40:43], off, off offset:304
	;; [unrolled: 1-line block ×23, first 2 shown]
	v_cmp_lt_u32_e32 vcc, 12, v244
	scratch_load_dwordx4 v[48:51], off, off offset:320
	scratch_load_dwordx4 v[56:59], off, off offset:336
	;; [unrolled: 1-line block ×3, first 2 shown]
	s_waitcnt vmcnt(25) lgkmcnt(3)
	v_mul_f64 v[24:25], v[16:17], v[22:23]
	v_fmac_f64_e32 v[24:25], v[18:19], v[20:21]
	v_add_f64 v[28:29], v[24:25], 0
	scratch_load_dwordx4 v[24:27], off, off offset:256
	v_mul_f64 v[18:19], v[18:19], v[22:23]
	v_fma_f64 v[16:17], v[16:17], v[20:21], -v[18:19]
	v_add_f64 v[16:17], v[16:17], 0
	s_waitcnt vmcnt(0) lgkmcnt(2)
	v_mul_f64 v[30:31], v[12:13], v[26:27]
	v_fmac_f64_e32 v[30:31], v[14:15], v[24:25]
	v_add_f64 v[32:33], v[28:29], v[30:31]
	scratch_load_dwordx4 v[28:31], off, off offset:272
	v_mul_f64 v[14:15], v[14:15], v[26:27]
	v_fma_f64 v[12:13], v[12:13], v[24:25], -v[14:15]
	v_add_f64 v[12:13], v[16:17], v[12:13]
	;; [unrolled: 8-line block ×3, first 2 shown]
	s_waitcnt vmcnt(0) lgkmcnt(0)
	v_mul_f64 v[38:39], v[4:5], v[34:35]
	v_fmac_f64_e32 v[38:39], v[6:7], v[32:33]
	v_add_f64 v[44:45], v[36:37], v[38:39]
	ds_read_b128 v[36:39], v2 offset:976
	v_mul_f64 v[6:7], v[6:7], v[34:35]
	v_fma_f64 v[4:5], v[4:5], v[32:33], -v[6:7]
	v_add_f64 v[4:5], v[8:9], v[4:5]
	s_waitcnt lgkmcnt(0)
	v_mul_f64 v[46:47], v[36:37], v[42:43]
	v_fmac_f64_e32 v[46:47], v[38:39], v[40:41]
	v_add_f64 v[52:53], v[44:45], v[46:47]
	ds_read_b128 v[44:47], v2 offset:992
	v_mul_f64 v[6:7], v[38:39], v[42:43]
	v_fma_f64 v[6:7], v[36:37], v[40:41], -v[6:7]
	v_add_f64 v[4:5], v[4:5], v[6:7]
	s_waitcnt lgkmcnt(0)
	;; [unrolled: 8-line block ×25, first 2 shown]
	v_mul_f64 v[6:7], v[232:233], v[236:237]
	v_fma_f64 v[6:7], v[230:231], v[234:235], -v[6:7]
	v_add_f64 v[8:9], v[4:5], v[6:7]
	scratch_load_dwordx4 v[4:7], off, off offset:224
	v_mul_f64 v[238:239], v[230:231], v[236:237]
	v_fmac_f64_e32 v[238:239], v[232:233], v[234:235]
	v_add_f64 v[176:177], v[176:177], v[238:239]
	s_waitcnt vmcnt(0)
	v_add_f64 v[4:5], v[4:5], -v[8:9]
	v_add_f64 v[6:7], v[6:7], -v[176:177]
	scratch_store_dwordx4 off, v[4:7], off offset:224
	s_and_saveexec_b64 s[0:1], vcc
	s_cbranch_execz .LBB42_247
; %bb.246:
	scratch_load_dwordx4 v[6:9], off, s27
	v_mov_b32_e32 v3, v2
	v_mov_b32_e32 v4, v2
	v_mov_b32_e32 v5, v2
	v_accvgpr_read_b32 v0, a87
	scratch_store_dwordx4 off, v[2:5], off offset:208
	s_waitcnt vmcnt(1)
	ds_write_b128 v0, v[6:9]
.LBB42_247:
	s_or_b64 exec, exec, s[0:1]
	s_waitcnt lgkmcnt(0)
	; wave barrier
	ds_read_b128 v[16:19], v2 offset:896
	ds_read_b128 v[12:15], v2 offset:912
	;; [unrolled: 1-line block ×4, first 2 shown]
	scratch_load_dwordx4 v[20:23], off, off offset:224
	scratch_load_dwordx4 v[40:43], off, off offset:288
	;; [unrolled: 1-line block ×24, first 2 shown]
	v_cmp_lt_u32_e32 vcc, 11, v244
	scratch_load_dwordx4 v[48:51], off, off offset:304
	scratch_load_dwordx4 v[56:59], off, off offset:320
	;; [unrolled: 1-line block ×3, first 2 shown]
	ds_read_b128 v[246:249], v2 offset:1360
	s_waitcnt vmcnt(26) lgkmcnt(4)
	v_mul_f64 v[24:25], v[16:17], v[22:23]
	v_fmac_f64_e32 v[24:25], v[18:19], v[20:21]
	v_add_f64 v[28:29], v[24:25], 0
	scratch_load_dwordx4 v[24:27], off, off offset:240
	s_waitcnt vmcnt(0) lgkmcnt(3)
	v_mul_f64 v[30:31], v[12:13], v[26:27]
	v_fmac_f64_e32 v[30:31], v[14:15], v[24:25]
	v_add_f64 v[32:33], v[28:29], v[30:31]
	scratch_load_dwordx4 v[28:31], off, off offset:256
	v_mul_f64 v[14:15], v[14:15], v[26:27]
	v_fma_f64 v[12:13], v[12:13], v[24:25], -v[14:15]
	s_waitcnt vmcnt(0) lgkmcnt(2)
	v_mul_f64 v[34:35], v[8:9], v[30:31]
	v_fmac_f64_e32 v[34:35], v[10:11], v[28:29]
	v_add_f64 v[36:37], v[32:33], v[34:35]
	scratch_load_dwordx4 v[32:35], off, off offset:272
	v_mul_f64 v[10:11], v[10:11], v[30:31]
	v_fma_f64 v[8:9], v[8:9], v[28:29], -v[10:11]
	s_waitcnt vmcnt(0) lgkmcnt(1)
	v_mul_f64 v[38:39], v[4:5], v[34:35]
	v_fmac_f64_e32 v[38:39], v[6:7], v[32:33]
	v_add_f64 v[44:45], v[36:37], v[38:39]
	ds_read_b128 v[36:39], v2 offset:960
	v_mul_f64 v[6:7], v[6:7], v[34:35]
	v_fma_f64 v[4:5], v[4:5], v[32:33], -v[6:7]
	s_waitcnt lgkmcnt(0)
	v_mul_f64 v[46:47], v[36:37], v[42:43]
	v_fmac_f64_e32 v[46:47], v[38:39], v[40:41]
	v_add_f64 v[52:53], v[44:45], v[46:47]
	ds_read_b128 v[44:47], v2 offset:976
	s_waitcnt lgkmcnt(0)
	v_mul_f64 v[54:55], v[44:45], v[50:51]
	v_fmac_f64_e32 v[54:55], v[46:47], v[48:49]
	v_add_f64 v[60:61], v[52:53], v[54:55]
	ds_read_b128 v[52:55], v2 offset:992
	;; [unrolled: 5-line block ×24, first 2 shown]
	v_mul_f64 v[2:3], v[246:247], v[252:253]
	v_fmac_f64_e32 v[2:3], v[248:249], v[250:251]
	s_waitcnt lgkmcnt(0)
	v_mul_f64 v[238:239], v[230:231], v[236:237]
	v_fmac_f64_e32 v[238:239], v[232:233], v[234:235]
	v_add_f64 v[184:185], v[184:185], v[238:239]
	v_add_f64 v[184:185], v[184:185], v[2:3]
	v_mul_f64 v[2:3], v[18:19], v[22:23]
	v_fma_f64 v[2:3], v[16:17], v[20:21], -v[2:3]
	v_add_f64 v[2:3], v[2:3], 0
	v_add_f64 v[2:3], v[2:3], v[12:13]
	;; [unrolled: 1-line block ×4, first 2 shown]
	v_mul_f64 v[4:5], v[38:39], v[42:43]
	v_fma_f64 v[4:5], v[36:37], v[40:41], -v[4:5]
	v_add_f64 v[2:3], v[2:3], v[4:5]
	v_mul_f64 v[4:5], v[46:47], v[50:51]
	v_fma_f64 v[4:5], v[44:45], v[48:49], -v[4:5]
	v_add_f64 v[2:3], v[2:3], v[4:5]
	;; [unrolled: 3-line block ×26, first 2 shown]
	scratch_load_dwordx4 v[2:5], off, off offset:208
	s_waitcnt vmcnt(0)
	v_add_f64 v[2:3], v[2:3], -v[6:7]
	v_add_f64 v[4:5], v[4:5], -v[184:185]
	scratch_store_dwordx4 off, v[2:5], off offset:208
	s_and_saveexec_b64 s[0:1], vcc
	s_cbranch_execz .LBB42_249
; %bb.248:
	scratch_load_dwordx4 v[2:5], off, s26
	v_mov_b32_e32 v6, 0
	v_mov_b32_e32 v7, v6
	v_mov_b32_e32 v8, v6
	v_mov_b32_e32 v9, v6
	v_accvgpr_read_b32 v0, a87
	scratch_store_dwordx4 off, v[6:9], off offset:192
	s_waitcnt vmcnt(1)
	ds_write_b128 v0, v[2:5]
.LBB42_249:
	s_or_b64 exec, exec, s[0:1]
	s_waitcnt lgkmcnt(0)
	; wave barrier
	scratch_load_dwordx4 v[16:19], off, off offset:208
	scratch_load_dwordx4 v[12:15], off, off offset:224
	;; [unrolled: 1-line block ×32, first 2 shown]
	v_mov_b32_e32 v2, 0
	ds_read_b128 v[132:135], v2 offset:880
	ds_read_b128 v[136:139], v2 offset:896
	;; [unrolled: 1-line block ×17, first 2 shown]
	v_cmp_lt_u32_e32 vcc, 10, v244
	s_waitcnt vmcnt(31) lgkmcnt(14)
	v_mul_f64 v[200:201], v[132:133], v[18:19]
	s_waitcnt vmcnt(30)
	v_mul_f64 v[202:203], v[136:137], v[14:15]
	v_fmac_f64_e32 v[200:201], v[134:135], v[16:17]
	s_waitcnt vmcnt(29)
	v_mul_f64 v[204:205], v[140:141], v[10:11]
	v_fmac_f64_e32 v[202:203], v[138:139], v[12:13]
	v_add_f64 v[200:201], v[200:201], 0
	s_waitcnt vmcnt(28) lgkmcnt(13)
	v_mul_f64 v[206:207], v[144:145], v[6:7]
	v_fmac_f64_e32 v[204:205], v[142:143], v[8:9]
	v_add_f64 v[200:201], v[200:201], v[202:203]
	s_waitcnt vmcnt(27) lgkmcnt(12)
	;; [unrolled: 4-line block ×12, first 2 shown]
	v_mul_f64 v[228:229], v[188:189], v[62:63]
	v_fmac_f64_e32 v[226:227], v[186:187], v[56:57]
	v_add_f64 v[200:201], v[200:201], v[224:225]
	v_fmac_f64_e32 v[228:229], v[190:191], v[60:61]
	v_add_f64 v[200:201], v[200:201], v[226:227]
	s_waitcnt vmcnt(16) lgkmcnt(1)
	v_mul_f64 v[202:203], v[192:193], v[66:67]
	v_add_f64 v[200:201], v[200:201], v[228:229]
	v_fmac_f64_e32 v[202:203], v[194:195], v[64:65]
	s_waitcnt vmcnt(15) lgkmcnt(0)
	v_mul_f64 v[206:207], v[196:197], v[70:71]
	v_add_f64 v[204:205], v[200:201], v[202:203]
	ds_read_b128 v[200:203], v2 offset:1152
	v_fmac_f64_e32 v[206:207], v[198:199], v[68:69]
	v_add_f64 v[208:209], v[204:205], v[206:207]
	ds_read_b128 v[204:207], v2 offset:1168
	v_mul_f64 v[18:19], v[134:135], v[18:19]
	s_waitcnt vmcnt(14) lgkmcnt(1)
	v_mul_f64 v[210:211], v[200:201], v[74:75]
	v_fmac_f64_e32 v[210:211], v[202:203], v[72:73]
	v_add_f64 v[212:213], v[208:209], v[210:211]
	s_waitcnt vmcnt(13) lgkmcnt(0)
	v_mul_f64 v[214:215], v[204:205], v[78:79]
	ds_read_b128 v[208:211], v2 offset:1184
	v_fmac_f64_e32 v[214:215], v[206:207], v[76:77]
	v_add_f64 v[216:217], v[212:213], v[214:215]
	ds_read_b128 v[212:215], v2 offset:1200
	v_fma_f64 v[248:249], v[132:133], v[16:17], -v[18:19]
	s_waitcnt vmcnt(12) lgkmcnt(1)
	v_mul_f64 v[218:219], v[208:209], v[82:83]
	v_fmac_f64_e32 v[218:219], v[210:211], v[80:81]
	v_add_f64 v[220:221], v[216:217], v[218:219]
	s_waitcnt vmcnt(11) lgkmcnt(0)
	v_mul_f64 v[222:223], v[212:213], v[86:87]
	ds_read_b128 v[216:219], v2 offset:1216
	v_fmac_f64_e32 v[222:223], v[214:215], v[84:85]
	v_add_f64 v[224:225], v[220:221], v[222:223]
	ds_read_b128 v[220:223], v2 offset:1232
	ds_read_b128 v[16:19], v2 offset:1312
	s_waitcnt vmcnt(10) lgkmcnt(2)
	v_mul_f64 v[226:227], v[216:217], v[90:91]
	v_fmac_f64_e32 v[226:227], v[218:219], v[88:89]
	v_add_f64 v[228:229], v[224:225], v[226:227]
	s_waitcnt vmcnt(9) lgkmcnt(1)
	v_mul_f64 v[230:231], v[220:221], v[94:95]
	ds_read_b128 v[224:227], v2 offset:1248
	v_fmac_f64_e32 v[230:231], v[222:223], v[92:93]
	v_add_f64 v[232:233], v[228:229], v[230:231]
	ds_read_b128 v[228:231], v2 offset:1264
	v_mul_f64 v[14:15], v[138:139], v[14:15]
	s_waitcnt vmcnt(8) lgkmcnt(1)
	v_mul_f64 v[234:235], v[224:225], v[98:99]
	v_fmac_f64_e32 v[234:235], v[226:227], v[96:97]
	v_add_f64 v[236:237], v[232:233], v[234:235]
	s_waitcnt vmcnt(7) lgkmcnt(0)
	v_mul_f64 v[238:239], v[228:229], v[102:103]
	ds_read_b128 v[232:235], v2 offset:1280
	v_fmac_f64_e32 v[238:239], v[230:231], v[100:101]
	v_add_f64 v[246:247], v[236:237], v[238:239]
	ds_read_b128 v[236:239], v2 offset:1296
	v_fma_f64 v[136:137], v[136:137], v[12:13], -v[14:15]
	s_waitcnt vmcnt(6) lgkmcnt(1)
	v_mul_f64 v[132:133], v[232:233], v[106:107]
	v_fmac_f64_e32 v[132:133], v[234:235], v[104:105]
	v_add_f64 v[132:133], v[246:247], v[132:133]
	s_waitcnt vmcnt(5) lgkmcnt(0)
	v_mul_f64 v[134:135], v[236:237], v[110:111]
	v_fmac_f64_e32 v[134:135], v[238:239], v[108:109]
	v_add_f64 v[132:133], v[132:133], v[134:135]
	ds_read_b128 v[12:15], v2 offset:1328
	s_waitcnt vmcnt(4)
	v_mul_f64 v[134:135], v[16:17], v[114:115]
	v_fmac_f64_e32 v[134:135], v[18:19], v[112:113]
	v_add_f64 v[138:139], v[132:133], v[134:135]
	ds_read_b128 v[132:135], v2 offset:1344
	v_mul_f64 v[10:11], v[142:143], v[10:11]
	v_fma_f64 v[140:141], v[140:141], v[8:9], -v[10:11]
	ds_read_b128 v[8:11], v2 offset:1360
	s_waitcnt vmcnt(3) lgkmcnt(2)
	v_mul_f64 v[142:143], v[12:13], v[118:119]
	v_fmac_f64_e32 v[142:143], v[14:15], v[116:117]
	v_add_f64 v[138:139], v[138:139], v[142:143]
	s_waitcnt vmcnt(2) lgkmcnt(1)
	v_mul_f64 v[142:143], v[132:133], v[122:123]
	v_fmac_f64_e32 v[142:143], v[134:135], v[120:121]
	v_add_f64 v[138:139], v[138:139], v[142:143]
	;; [unrolled: 4-line block ×3, first 2 shown]
	v_add_f64 v[142:143], v[248:249], 0
	v_add_f64 v[136:137], v[142:143], v[136:137]
	v_mul_f64 v[6:7], v[146:147], v[6:7]
	v_add_f64 v[136:137], v[136:137], v[140:141]
	v_fma_f64 v[4:5], v[144:145], v[4:5], -v[6:7]
	v_mul_f64 v[6:7], v[150:151], v[22:23]
	v_add_f64 v[4:5], v[136:137], v[4:5]
	v_fma_f64 v[6:7], v[148:149], v[20:21], -v[6:7]
	v_add_f64 v[4:5], v[4:5], v[6:7]
	v_mul_f64 v[6:7], v[154:155], v[26:27]
	v_fma_f64 v[6:7], v[152:153], v[24:25], -v[6:7]
	v_add_f64 v[4:5], v[4:5], v[6:7]
	v_mul_f64 v[6:7], v[158:159], v[30:31]
	;; [unrolled: 3-line block ×26, first 2 shown]
	v_fma_f64 v[6:7], v[8:9], v[124:125], -v[6:7]
	v_add_f64 v[4:5], v[4:5], v[6:7]
	s_waitcnt vmcnt(0)
	v_add_f64 v[4:5], v[128:129], -v[4:5]
	v_add_f64 v[6:7], v[130:131], -v[138:139]
	scratch_store_dwordx4 off, v[4:7], off offset:192
	s_and_saveexec_b64 s[0:1], vcc
	s_cbranch_execz .LBB42_251
; %bb.250:
	scratch_load_dwordx4 v[6:9], off, s25
	v_mov_b32_e32 v3, v2
	v_mov_b32_e32 v4, v2
	v_mov_b32_e32 v5, v2
	v_accvgpr_read_b32 v0, a87
	scratch_store_dwordx4 off, v[2:5], off offset:176
	s_waitcnt vmcnt(1)
	ds_write_b128 v0, v[6:9]
.LBB42_251:
	s_or_b64 exec, exec, s[0:1]
	s_waitcnt lgkmcnt(0)
	; wave barrier
	scratch_load_dwordx4 v[140:143], off, off offset:192
	scratch_load_dwordx4 v[148:151], off, off offset:208
	;; [unrolled: 1-line block ×16, first 2 shown]
	ds_read_b128 v[188:191], v2 offset:864
	ds_read_b128 v[184:187], v2 offset:880
	scratch_load_dwordx4 v[56:59], off, off offset:448
	ds_read_b128 v[192:195], v2 offset:896
	ds_read_b128 v[68:71], v2 offset:912
	scratch_load_dwordx4 v[60:63], off, off offset:464
	ds_read_b128 v[88:91], v2 offset:928
	ds_read_b128 v[84:87], v2 offset:944
	;; [unrolled: 1-line block ×4, first 2 shown]
	scratch_load_dwordx4 v[64:67], off, off offset:480
	ds_read_b128 v[100:103], v2 offset:992
	ds_read_b128 v[96:99], v2 offset:1008
	scratch_load_dwordx4 v[72:75], off, off offset:496
	ds_read_b128 v[116:119], v2 offset:1024
	ds_read_b128 v[112:115], v2 offset:1040
	;; [unrolled: 1-line block ×4, first 2 shown]
	scratch_load_dwordx4 v[92:95], off, off offset:512
	ds_read_b128 v[132:135], v2 offset:1088
	ds_read_b128 v[128:131], v2 offset:1104
	;; [unrolled: 1-line block ×3, first 2 shown]
	scratch_load_dwordx4 v[120:123], off, off offset:528
	scratch_load_dwordx4 v[136:139], off, off offset:544
	;; [unrolled: 1-line block ×11, first 2 shown]
	v_cmp_lt_u32_e32 vcc, 9, v244
	s_waitcnt vmcnt(31) lgkmcnt(14)
	v_mul_f64 v[200:201], v[188:189], v[142:143]
	s_waitcnt vmcnt(30)
	v_mul_f64 v[202:203], v[184:185], v[150:151]
	v_fmac_f64_e32 v[200:201], v[190:191], v[140:141]
	s_waitcnt vmcnt(29)
	v_mul_f64 v[204:205], v[192:193], v[154:155]
	v_fmac_f64_e32 v[202:203], v[186:187], v[148:149]
	v_add_f64 v[200:201], v[200:201], 0
	s_waitcnt vmcnt(28) lgkmcnt(13)
	v_mul_f64 v[206:207], v[68:69], v[6:7]
	v_fmac_f64_e32 v[204:205], v[194:195], v[152:153]
	v_add_f64 v[200:201], v[200:201], v[202:203]
	s_waitcnt vmcnt(27) lgkmcnt(12)
	;; [unrolled: 4-line block ×13, first 2 shown]
	v_mul_f64 v[230:231], v[128:129], v[54:55]
	v_fmac_f64_e32 v[228:229], v[134:135], v[48:49]
	v_add_f64 v[200:201], v[200:201], v[226:227]
	v_add_f64 v[200:201], v[200:201], v[228:229]
	v_fmac_f64_e32 v[230:231], v[130:131], v[52:53]
	v_add_f64 v[204:205], v[200:201], v[230:231]
	ds_read_b128 v[200:203], v2 offset:1136
	s_waitcnt vmcnt(15) lgkmcnt(1)
	v_mul_f64 v[206:207], v[124:125], v[58:59]
	v_fmac_f64_e32 v[206:207], v[126:127], v[56:57]
	v_add_f64 v[208:209], v[204:205], v[206:207]
	ds_read_b128 v[204:207], v2 offset:1152
	s_waitcnt vmcnt(14) lgkmcnt(1)
	v_mul_f64 v[210:211], v[200:201], v[62:63]
	;; [unrolled: 5-line block ×10, first 2 shown]
	v_fmac_f64_e32 v[248:249], v[234:235], v[160:161]
	v_mul_f64 v[142:143], v[190:191], v[142:143]
	v_add_f64 v[248:249], v[246:247], v[248:249]
	v_fma_f64 v[246:247], v[188:189], v[140:141], -v[142:143]
	ds_read_b128 v[140:143], v2 offset:1296
	s_waitcnt vmcnt(5) lgkmcnt(1)
	v_mul_f64 v[188:189], v[236:237], v[166:167]
	v_fmac_f64_e32 v[188:189], v[238:239], v[164:165]
	v_mul_f64 v[150:151], v[186:187], v[150:151]
	v_add_f64 v[188:189], v[248:249], v[188:189]
	v_fma_f64 v[248:249], v[184:185], v[148:149], -v[150:151]
	ds_read_b128 v[148:151], v2 offset:1312
	s_waitcnt vmcnt(4) lgkmcnt(1)
	v_mul_f64 v[184:185], v[140:141], v[170:171]
	v_fmac_f64_e32 v[184:185], v[142:143], v[168:169]
	v_add_f64 v[188:189], v[188:189], v[184:185]
	ds_read_b128 v[184:187], v2 offset:1328
	v_mul_f64 v[154:155], v[194:195], v[154:155]
	s_waitcnt vmcnt(3) lgkmcnt(1)
	v_mul_f64 v[190:191], v[148:149], v[174:175]
	v_fma_f64 v[252:253], v[192:193], v[152:153], -v[154:155]
	ds_read_b128 v[152:155], v2 offset:1344
	v_fmac_f64_e32 v[190:191], v[150:151], v[172:173]
	v_add_f64 v[250:251], v[188:189], v[190:191]
	ds_read_b128 v[188:191], v2 offset:1360
	s_waitcnt vmcnt(2) lgkmcnt(2)
	v_mul_f64 v[192:193], v[184:185], v[178:179]
	v_fmac_f64_e32 v[192:193], v[186:187], v[176:177]
	v_add_f64 v[2:3], v[250:251], v[192:193]
	s_waitcnt vmcnt(1) lgkmcnt(1)
	v_mul_f64 v[192:193], v[152:153], v[182:183]
	v_fmac_f64_e32 v[192:193], v[154:155], v[180:181]
	v_add_f64 v[2:3], v[2:3], v[192:193]
	;; [unrolled: 4-line block ×3, first 2 shown]
	scratch_load_dwordx4 v[192:195], off, off offset:176
	v_add_f64 v[246:247], v[246:247], 0
	v_add_f64 v[246:247], v[246:247], v[248:249]
	v_mul_f64 v[6:7], v[70:71], v[6:7]
	v_add_f64 v[246:247], v[246:247], v[252:253]
	v_fma_f64 v[4:5], v[68:69], v[4:5], -v[6:7]
	v_mul_f64 v[6:7], v[90:91], v[10:11]
	v_add_f64 v[4:5], v[246:247], v[4:5]
	v_fma_f64 v[6:7], v[88:89], v[8:9], -v[6:7]
	v_add_f64 v[4:5], v[4:5], v[6:7]
	v_mul_f64 v[6:7], v[86:87], v[14:15]
	v_fma_f64 v[6:7], v[84:85], v[12:13], -v[6:7]
	v_add_f64 v[4:5], v[4:5], v[6:7]
	v_mul_f64 v[6:7], v[82:83], v[18:19]
	;; [unrolled: 3-line block ×27, first 2 shown]
	v_fma_f64 v[6:7], v[188:189], v[196:197], -v[6:7]
	v_add_f64 v[4:5], v[4:5], v[6:7]
	s_waitcnt vmcnt(0)
	v_add_f64 v[4:5], v[192:193], -v[4:5]
	v_add_f64 v[6:7], v[194:195], -v[2:3]
	scratch_store_dwordx4 off, v[4:7], off offset:176
	s_and_saveexec_b64 s[0:1], vcc
	s_cbranch_execz .LBB42_253
; %bb.252:
	scratch_load_dwordx4 v[2:5], off, s57
	v_mov_b32_e32 v6, 0
	v_mov_b32_e32 v7, v6
	;; [unrolled: 1-line block ×4, first 2 shown]
	v_accvgpr_read_b32 v0, a87
	scratch_store_dwordx4 off, v[6:9], off offset:160
	s_waitcnt vmcnt(1)
	ds_write_b128 v0, v[2:5]
.LBB42_253:
	s_or_b64 exec, exec, s[0:1]
	s_waitcnt lgkmcnt(0)
	; wave barrier
	scratch_load_dwordx4 v[108:111], off, off offset:176
	scratch_load_dwordx4 v[116:119], off, off offset:192
	;; [unrolled: 1-line block ×33, first 2 shown]
	v_mov_b32_e32 v2, 0
	ds_read_b128 v[220:223], v2 offset:848
	ds_read_b128 v[224:227], v2 offset:864
	;; [unrolled: 1-line block ×16, first 2 shown]
	v_cmp_lt_u32_e32 vcc, 8, v244
	s_waitcnt vmcnt(32) lgkmcnt(14)
	v_mul_f64 v[180:181], v[220:221], v[110:111]
	s_waitcnt vmcnt(31)
	v_mul_f64 v[182:183], v[224:225], v[118:119]
	v_fmac_f64_e32 v[180:181], v[222:223], v[108:109]
	s_waitcnt vmcnt(30) lgkmcnt(13)
	v_mul_f64 v[184:185], v[234:235], v[122:123]
	v_fmac_f64_e32 v[182:183], v[226:227], v[116:117]
	v_add_f64 v[180:181], v[180:181], 0
	s_waitcnt vmcnt(29) lgkmcnt(12)
	v_mul_f64 v[186:187], v[246:247], v[126:127]
	v_fmac_f64_e32 v[184:185], v[236:237], v[120:121]
	v_add_f64 v[180:181], v[180:181], v[182:183]
	;; [unrolled: 4-line block ×13, first 2 shown]
	v_fmac_f64_e32 v[208:209], v[142:143], v[40:41]
	v_add_f64 v[180:181], v[180:181], v[206:207]
	v_add_f64 v[184:185], v[180:181], v[208:209]
	ds_read_b128 v[180:183], v2 offset:1104
	s_waitcnt vmcnt(17) lgkmcnt(1)
	v_mul_f64 v[186:187], v[136:137], v[46:47]
	v_fmac_f64_e32 v[186:187], v[138:139], v[44:45]
	v_add_f64 v[188:189], v[184:185], v[186:187]
	ds_read_b128 v[184:187], v2 offset:1120
	s_waitcnt vmcnt(16) lgkmcnt(1)
	v_mul_f64 v[190:191], v[180:181], v[50:51]
	v_fmac_f64_e32 v[190:191], v[182:183], v[48:49]
	;; [unrolled: 5-line block ×10, first 2 shown]
	v_mul_f64 v[110:111], v[222:223], v[110:111]
	v_add_f64 v[228:229], v[228:229], v[230:231]
	v_fma_f64 v[230:231], v[220:221], v[108:109], -v[110:111]
	ds_read_b128 v[108:111], v2 offset:1264
	s_waitcnt vmcnt(7) lgkmcnt(1)
	v_mul_f64 v[220:221], v[216:217], v[86:87]
	v_mul_f64 v[118:119], v[226:227], v[118:119]
	v_fmac_f64_e32 v[220:221], v[218:219], v[84:85]
	v_fma_f64 v[232:233], v[224:225], v[116:117], -v[118:119]
	ds_read_b128 v[116:119], v2 offset:1280
	s_waitcnt vmcnt(6) lgkmcnt(1)
	v_mul_f64 v[222:223], v[108:109], v[90:91]
	v_add_f64 v[220:221], v[228:229], v[220:221]
	v_fmac_f64_e32 v[222:223], v[110:111], v[88:89]
	v_add_f64 v[224:225], v[220:221], v[222:223]
	ds_read_b128 v[220:223], v2 offset:1296
	v_mul_f64 v[122:123], v[236:237], v[122:123]
	v_fma_f64 v[234:235], v[234:235], v[120:121], -v[122:123]
	ds_read_b128 v[120:123], v2 offset:1312
	s_waitcnt vmcnt(5) lgkmcnt(2)
	v_mul_f64 v[226:227], v[116:117], v[94:95]
	v_fmac_f64_e32 v[226:227], v[118:119], v[92:93]
	v_mul_f64 v[126:127], v[248:249], v[126:127]
	v_add_f64 v[224:225], v[224:225], v[226:227]
	s_waitcnt vmcnt(4) lgkmcnt(1)
	v_mul_f64 v[226:227], v[220:221], v[98:99]
	v_fma_f64 v[236:237], v[246:247], v[124:125], -v[126:127]
	ds_read_b128 v[124:127], v2 offset:1328
	v_fmac_f64_e32 v[226:227], v[222:223], v[96:97]
	v_add_f64 v[228:229], v[224:225], v[226:227]
	s_waitcnt vmcnt(3) lgkmcnt(1)
	v_mul_f64 v[238:239], v[120:121], v[102:103]
	ds_read_b128 v[224:227], v2 offset:1344
	v_fmac_f64_e32 v[238:239], v[122:123], v[100:101]
	v_mul_f64 v[130:131], v[252:253], v[130:131]
	v_add_f64 v[228:229], v[228:229], v[238:239]
	v_fma_f64 v[238:239], v[250:251], v[128:129], -v[130:131]
	ds_read_b128 v[128:131], v2 offset:1360
	s_waitcnt vmcnt(2) lgkmcnt(2)
	v_mul_f64 v[246:247], v[124:125], v[106:107]
	v_fmac_f64_e32 v[246:247], v[126:127], v[104:105]
	v_add_f64 v[228:229], v[228:229], v[246:247]
	s_waitcnt vmcnt(1) lgkmcnt(1)
	v_mul_f64 v[246:247], v[224:225], v[114:115]
	v_fmac_f64_e32 v[246:247], v[226:227], v[112:113]
	v_add_f64 v[228:229], v[228:229], v[246:247]
	;; [unrolled: 4-line block ×3, first 2 shown]
	scratch_load_dwordx4 v[246:249], off, off offset:160
	v_add_f64 v[230:231], v[230:231], 0
	v_add_f64 v[230:231], v[230:231], v[232:233]
	v_add_f64 v[230:231], v[230:231], v[234:235]
	v_add_f64 v[230:231], v[230:231], v[236:237]
	v_mul_f64 v[6:7], v[178:179], v[6:7]
	v_add_f64 v[230:231], v[230:231], v[238:239]
	v_fma_f64 v[4:5], v[176:177], v[4:5], -v[6:7]
	v_mul_f64 v[6:7], v[174:175], v[10:11]
	v_add_f64 v[4:5], v[230:231], v[4:5]
	v_fma_f64 v[6:7], v[172:173], v[8:9], -v[6:7]
	v_add_f64 v[4:5], v[4:5], v[6:7]
	v_mul_f64 v[6:7], v[170:171], v[14:15]
	v_fma_f64 v[6:7], v[168:169], v[12:13], -v[6:7]
	v_add_f64 v[4:5], v[4:5], v[6:7]
	v_mul_f64 v[6:7], v[166:167], v[18:19]
	;; [unrolled: 3-line block ×26, first 2 shown]
	v_fma_f64 v[6:7], v[128:129], v[132:133], -v[6:7]
	v_add_f64 v[4:5], v[4:5], v[6:7]
	s_waitcnt vmcnt(0)
	v_add_f64 v[4:5], v[246:247], -v[4:5]
	v_add_f64 v[6:7], v[248:249], -v[228:229]
	scratch_store_dwordx4 off, v[4:7], off offset:160
	s_and_saveexec_b64 s[0:1], vcc
	s_cbranch_execz .LBB42_255
; %bb.254:
	scratch_load_dwordx4 v[6:9], off, s21
	v_mov_b32_e32 v3, v2
	v_mov_b32_e32 v4, v2
	;; [unrolled: 1-line block ×3, first 2 shown]
	v_accvgpr_read_b32 v0, a87
	scratch_store_dwordx4 off, v[2:5], off offset:144
	s_waitcnt vmcnt(1)
	ds_write_b128 v0, v[6:9]
.LBB42_255:
	s_or_b64 exec, exec, s[0:1]
	s_waitcnt lgkmcnt(0)
	; wave barrier
	scratch_load_dwordx4 v[144:147], off, off offset:160
	scratch_load_dwordx4 v[152:155], off, off offset:176
	;; [unrolled: 1-line block ×16, first 2 shown]
	ds_read_b128 v[196:199], v2 offset:832
	ds_read_b128 v[188:191], v2 offset:848
	ds_read_b128 v[180:183], v2 offset:864
	scratch_load_dwordx4 v[48:51], off, off offset:416
	ds_read_b128 v[192:195], v2 offset:880
	ds_read_b128 v[184:187], v2 offset:896
	ds_read_b128 v[64:67], v2 offset:912
	scratch_load_dwordx4 v[52:55], off, off offset:432
	ds_read_b128 v[76:79], v2 offset:928
	ds_read_b128 v[72:75], v2 offset:944
	ds_read_b128 v[68:71], v2 offset:960
	scratch_load_dwordx4 v[56:59], off, off offset:448
	ds_read_b128 v[88:91], v2 offset:976
	ds_read_b128 v[84:87], v2 offset:992
	ds_read_b128 v[80:83], v2 offset:1008
	scratch_load_dwordx4 v[60:63], off, off offset:464
	ds_read_b128 v[104:107], v2 offset:1024
	ds_read_b128 v[100:103], v2 offset:1040
	ds_read_b128 v[96:99], v2 offset:1056
	scratch_load_dwordx4 v[92:95], off, off offset:480
	ds_read_b128 v[116:119], v2 offset:1072
	ds_read_b128 v[112:115], v2 offset:1088
	scratch_load_dwordx4 v[108:111], off, off offset:496
	scratch_load_dwordx4 v[120:123], off, off offset:512
	;; [unrolled: 1-line block ×12, first 2 shown]
	v_cmp_lt_u32_e32 vcc, 7, v244
	s_waitcnt vmcnt(32) lgkmcnt(14)
	v_mul_f64 v[204:205], v[196:197], v[146:147]
	s_waitcnt vmcnt(31)
	v_mul_f64 v[206:207], v[188:189], v[154:155]
	v_fmac_f64_e32 v[204:205], v[198:199], v[144:145]
	s_waitcnt vmcnt(30)
	v_mul_f64 v[208:209], v[180:181], v[158:159]
	v_fmac_f64_e32 v[206:207], v[190:191], v[152:153]
	v_add_f64 v[204:205], v[204:205], 0
	s_waitcnt vmcnt(29) lgkmcnt(13)
	v_mul_f64 v[210:211], v[192:193], v[162:163]
	v_fmac_f64_e32 v[208:209], v[182:183], v[156:157]
	v_add_f64 v[204:205], v[204:205], v[206:207]
	s_waitcnt vmcnt(28) lgkmcnt(12)
	;; [unrolled: 4-line block ×12, first 2 shown]
	v_mul_f64 v[232:233], v[96:97], v[42:43]
	v_fmac_f64_e32 v[230:231], v[102:103], v[36:37]
	v_add_f64 v[204:205], v[204:205], v[228:229]
	v_fmac_f64_e32 v[232:233], v[98:99], v[40:41]
	v_add_f64 v[204:205], v[204:205], v[230:231]
	s_waitcnt vmcnt(17) lgkmcnt(1)
	v_mul_f64 v[206:207], v[116:117], v[46:47]
	v_add_f64 v[204:205], v[204:205], v[232:233]
	v_fmac_f64_e32 v[206:207], v[118:119], v[44:45]
	s_waitcnt vmcnt(16) lgkmcnt(0)
	v_mul_f64 v[210:211], v[112:113], v[50:51]
	v_add_f64 v[208:209], v[204:205], v[206:207]
	ds_read_b128 v[204:207], v2 offset:1104
	v_fmac_f64_e32 v[210:211], v[114:115], v[48:49]
	v_add_f64 v[212:213], v[208:209], v[210:211]
	ds_read_b128 v[208:211], v2 offset:1120
	v_mul_f64 v[146:147], v[198:199], v[146:147]
	s_waitcnt vmcnt(15) lgkmcnt(1)
	v_mul_f64 v[214:215], v[204:205], v[54:55]
	v_fmac_f64_e32 v[214:215], v[206:207], v[52:53]
	v_add_f64 v[216:217], v[212:213], v[214:215]
	s_waitcnt vmcnt(14) lgkmcnt(0)
	v_mul_f64 v[218:219], v[208:209], v[58:59]
	ds_read_b128 v[212:215], v2 offset:1136
	v_fmac_f64_e32 v[218:219], v[210:211], v[56:57]
	v_add_f64 v[220:221], v[216:217], v[218:219]
	ds_read_b128 v[216:219], v2 offset:1152
	v_mul_f64 v[154:155], v[190:191], v[154:155]
	s_waitcnt vmcnt(13) lgkmcnt(1)
	v_mul_f64 v[222:223], v[212:213], v[62:63]
	v_fmac_f64_e32 v[222:223], v[214:215], v[60:61]
	v_add_f64 v[224:225], v[220:221], v[222:223]
	s_waitcnt vmcnt(12) lgkmcnt(0)
	v_mul_f64 v[226:227], v[216:217], v[94:95]
	ds_read_b128 v[220:223], v2 offset:1168
	v_fmac_f64_e32 v[226:227], v[218:219], v[92:93]
	v_add_f64 v[228:229], v[224:225], v[226:227]
	ds_read_b128 v[224:227], v2 offset:1184
	v_fma_f64 v[250:251], v[188:189], v[152:153], -v[154:155]
	s_waitcnt vmcnt(11) lgkmcnt(1)
	v_mul_f64 v[230:231], v[220:221], v[110:111]
	v_fmac_f64_e32 v[230:231], v[222:223], v[108:109]
	v_add_f64 v[232:233], v[228:229], v[230:231]
	s_waitcnt vmcnt(10) lgkmcnt(0)
	v_mul_f64 v[234:235], v[224:225], v[122:123]
	ds_read_b128 v[228:231], v2 offset:1200
	v_fmac_f64_e32 v[234:235], v[226:227], v[120:121]
	v_add_f64 v[236:237], v[232:233], v[234:235]
	ds_read_b128 v[232:235], v2 offset:1216
	ds_read_b128 v[152:155], v2 offset:1264
	s_waitcnt vmcnt(9) lgkmcnt(2)
	v_mul_f64 v[238:239], v[228:229], v[126:127]
	v_fmac_f64_e32 v[238:239], v[230:231], v[124:125]
	v_add_f64 v[246:247], v[236:237], v[238:239]
	s_waitcnt vmcnt(8) lgkmcnt(1)
	v_mul_f64 v[248:249], v[232:233], v[130:131]
	ds_read_b128 v[236:239], v2 offset:1232
	v_fmac_f64_e32 v[248:249], v[234:235], v[128:129]
	v_add_f64 v[246:247], v[246:247], v[248:249]
	v_fma_f64 v[248:249], v[196:197], v[144:145], -v[146:147]
	ds_read_b128 v[144:147], v2 offset:1248
	s_waitcnt vmcnt(7) lgkmcnt(1)
	v_mul_f64 v[196:197], v[236:237], v[134:135]
	v_fmac_f64_e32 v[196:197], v[238:239], v[132:133]
	v_add_f64 v[188:189], v[246:247], v[196:197]
	v_mul_f64 v[158:159], v[182:183], v[158:159]
	s_waitcnt vmcnt(6) lgkmcnt(0)
	v_mul_f64 v[190:191], v[144:145], v[138:139]
	v_fmac_f64_e32 v[190:191], v[146:147], v[136:137]
	v_add_f64 v[196:197], v[188:189], v[190:191]
	ds_read_b128 v[188:191], v2 offset:1280
	v_fma_f64 v[246:247], v[180:181], v[156:157], -v[158:159]
	ds_read_b128 v[156:159], v2 offset:1296
	s_waitcnt vmcnt(5)
	v_mul_f64 v[198:199], v[152:153], v[142:143]
	v_fmac_f64_e32 v[198:199], v[154:155], v[140:141]
	s_waitcnt vmcnt(4) lgkmcnt(1)
	v_mul_f64 v[180:181], v[188:189], v[150:151]
	v_add_f64 v[196:197], v[196:197], v[198:199]
	v_fmac_f64_e32 v[180:181], v[190:191], v[148:149]
	v_mul_f64 v[162:163], v[194:195], v[162:163]
	v_add_f64 v[198:199], v[196:197], v[180:181]
	v_fma_f64 v[196:197], v[192:193], v[160:161], -v[162:163]
	ds_read_b128 v[160:163], v2 offset:1312
	s_waitcnt vmcnt(3) lgkmcnt(1)
	v_mul_f64 v[192:193], v[156:157], v[166:167]
	ds_read_b128 v[180:183], v2 offset:1328
	v_fmac_f64_e32 v[192:193], v[158:159], v[164:165]
	v_mul_f64 v[170:171], v[186:187], v[170:171]
	v_add_f64 v[192:193], v[198:199], v[192:193]
	v_fma_f64 v[198:199], v[184:185], v[168:169], -v[170:171]
	ds_read_b128 v[168:171], v2 offset:1344
	s_waitcnt vmcnt(2) lgkmcnt(2)
	v_mul_f64 v[184:185], v[160:161], v[174:175]
	v_fmac_f64_e32 v[184:185], v[162:163], v[172:173]
	s_waitcnt vmcnt(1) lgkmcnt(1)
	v_mul_f64 v[186:187], v[180:181], v[178:179]
	v_add_f64 v[184:185], v[192:193], v[184:185]
	v_fmac_f64_e32 v[186:187], v[182:183], v[176:177]
	v_add_f64 v[184:185], v[184:185], v[186:187]
	s_waitcnt vmcnt(0) lgkmcnt(0)
	v_mul_f64 v[186:187], v[168:169], v[202:203]
	v_fmac_f64_e32 v[186:187], v[170:171], v[200:201]
	v_add_f64 v[252:253], v[184:185], v[186:187]
	scratch_load_dwordx4 v[184:187], off, off offset:688
	v_add_f64 v[248:249], v[248:249], 0
	v_add_f64 v[248:249], v[248:249], v[250:251]
	;; [unrolled: 1-line block ×3, first 2 shown]
	scratch_load_dwordx4 v[248:251], off, off offset:144
	v_add_f64 v[196:197], v[246:247], v[196:197]
	v_mul_f64 v[6:7], v[66:67], v[6:7]
	v_add_f64 v[196:197], v[196:197], v[198:199]
	v_fma_f64 v[4:5], v[64:65], v[4:5], -v[6:7]
	v_mul_f64 v[6:7], v[78:79], v[10:11]
	v_add_f64 v[4:5], v[196:197], v[4:5]
	v_fma_f64 v[6:7], v[76:77], v[8:9], -v[6:7]
	v_add_f64 v[4:5], v[4:5], v[6:7]
	v_mul_f64 v[6:7], v[74:75], v[14:15]
	v_fma_f64 v[6:7], v[72:73], v[12:13], -v[6:7]
	v_add_f64 v[4:5], v[4:5], v[6:7]
	v_mul_f64 v[6:7], v[70:71], v[18:19]
	;; [unrolled: 3-line block ×24, first 2 shown]
	ds_read_b128 v[192:195], v2 offset:1360
	v_fma_f64 v[6:7], v[160:161], v[172:173], -v[6:7]
	v_add_f64 v[4:5], v[4:5], v[6:7]
	v_mul_f64 v[6:7], v[182:183], v[178:179]
	v_fma_f64 v[6:7], v[180:181], v[176:177], -v[6:7]
	v_add_f64 v[4:5], v[4:5], v[6:7]
	v_mul_f64 v[6:7], v[170:171], v[202:203]
	v_fma_f64 v[6:7], v[168:169], v[200:201], -v[6:7]
	s_waitcnt vmcnt(1) lgkmcnt(0)
	v_mul_f64 v[2:3], v[192:193], v[186:187]
	v_add_f64 v[4:5], v[4:5], v[6:7]
	v_mul_f64 v[6:7], v[194:195], v[186:187]
	v_fmac_f64_e32 v[2:3], v[194:195], v[184:185]
	v_fma_f64 v[6:7], v[192:193], v[184:185], -v[6:7]
	v_add_f64 v[2:3], v[252:253], v[2:3]
	v_add_f64 v[4:5], v[4:5], v[6:7]
	s_waitcnt vmcnt(0)
	v_add_f64 v[4:5], v[248:249], -v[4:5]
	v_add_f64 v[6:7], v[250:251], -v[2:3]
	scratch_store_dwordx4 off, v[4:7], off offset:144
	s_and_saveexec_b64 s[0:1], vcc
	s_cbranch_execz .LBB42_257
; %bb.256:
	scratch_load_dwordx4 v[2:5], off, s58
	v_mov_b32_e32 v6, 0
	v_mov_b32_e32 v7, v6
	;; [unrolled: 1-line block ×4, first 2 shown]
	v_accvgpr_read_b32 v0, a87
	scratch_store_dwordx4 off, v[6:9], off offset:128
	s_waitcnt vmcnt(1)
	ds_write_b128 v0, v[2:5]
.LBB42_257:
	s_or_b64 exec, exec, s[0:1]
	s_waitcnt lgkmcnt(0)
	; wave barrier
	scratch_load_dwordx4 v[184:187], off, off offset:144
	scratch_load_dwordx4 v[188:191], off, off offset:160
	;; [unrolled: 1-line block ×32, first 2 shown]
	v_mov_b32_e32 v2, 0
	ds_read_b128 v[192:195], v2 offset:816
	ds_read_b128 v[204:207], v2 offset:832
	;; [unrolled: 1-line block ×16, first 2 shown]
	v_cmp_lt_u32_e32 vcc, 6, v244
	s_waitcnt vmcnt(31) lgkmcnt(14)
	v_mul_f64 v[104:105], v[192:193], v[186:187]
	s_waitcnt vmcnt(30)
	v_mul_f64 v[106:107], v[204:205], v[190:191]
	v_fmac_f64_e32 v[104:105], v[194:195], v[184:185]
	s_waitcnt vmcnt(29) lgkmcnt(13)
	v_mul_f64 v[112:113], v[216:217], v[198:199]
	v_fmac_f64_e32 v[106:107], v[206:207], v[188:189]
	v_add_f64 v[104:105], v[104:105], 0
	s_waitcnt vmcnt(28) lgkmcnt(12)
	v_mul_f64 v[114:115], v[224:225], v[202:203]
	v_fmac_f64_e32 v[112:113], v[218:219], v[196:197]
	v_add_f64 v[104:105], v[104:105], v[106:107]
	s_waitcnt vmcnt(27) lgkmcnt(11)
	v_mul_f64 v[128:129], v[228:229], v[210:211]
	v_fmac_f64_e32 v[114:115], v[226:227], v[200:201]
	v_add_f64 v[104:105], v[104:105], v[112:113]
	s_waitcnt vmcnt(26) lgkmcnt(10)
	v_mul_f64 v[130:131], v[246:247], v[214:215]
	v_fmac_f64_e32 v[128:129], v[230:231], v[208:209]
	v_add_f64 v[104:105], v[104:105], v[114:115]
	s_waitcnt vmcnt(25) lgkmcnt(9)
	v_mul_f64 v[152:153], v[250:251], v[222:223]
	v_fmac_f64_e32 v[130:131], v[248:249], v[212:213]
	v_add_f64 v[104:105], v[104:105], v[128:129]
	s_waitcnt vmcnt(24) lgkmcnt(8)
	v_mul_f64 v[154:155], v[148:149], v[6:7]
	v_fmac_f64_e32 v[152:153], v[252:253], v[220:221]
	v_add_f64 v[104:105], v[104:105], v[130:131]
	s_waitcnt vmcnt(23) lgkmcnt(7)
	v_mul_f64 v[156:157], v[144:145], v[10:11]
	v_fmac_f64_e32 v[154:155], v[150:151], v[4:5]
	v_add_f64 v[104:105], v[104:105], v[152:153]
	s_waitcnt vmcnt(22) lgkmcnt(6)
	v_mul_f64 v[158:159], v[140:141], v[14:15]
	v_fmac_f64_e32 v[156:157], v[146:147], v[8:9]
	v_add_f64 v[104:105], v[104:105], v[154:155]
	s_waitcnt vmcnt(21) lgkmcnt(5)
	v_mul_f64 v[160:161], v[136:137], v[18:19]
	v_fmac_f64_e32 v[158:159], v[142:143], v[12:13]
	v_add_f64 v[104:105], v[104:105], v[156:157]
	s_waitcnt vmcnt(20) lgkmcnt(4)
	v_mul_f64 v[162:163], v[132:133], v[22:23]
	v_fmac_f64_e32 v[160:161], v[138:139], v[16:17]
	v_add_f64 v[104:105], v[104:105], v[158:159]
	ds_read_b128 v[152:155], v2 offset:1072
	ds_read_b128 v[156:159], v2 offset:1088
	s_waitcnt vmcnt(19) lgkmcnt(5)
	v_mul_f64 v[164:165], v[124:125], v[26:27]
	v_fmac_f64_e32 v[162:163], v[134:135], v[20:21]
	v_add_f64 v[104:105], v[104:105], v[160:161]
	s_waitcnt vmcnt(18) lgkmcnt(4)
	v_mul_f64 v[166:167], v[120:121], v[30:31]
	v_fmac_f64_e32 v[164:165], v[126:127], v[24:25]
	v_add_f64 v[104:105], v[104:105], v[162:163]
	;; [unrolled: 4-line block ×4, first 2 shown]
	v_add_f64 v[112:113], v[104:105], v[168:169]
	v_fmac_f64_e32 v[170:171], v[110:111], v[36:37]
	scratch_load_dwordx4 v[104:107], off, off offset:656
	s_waitcnt vmcnt(16) lgkmcnt(1)
	v_mul_f64 v[114:115], v[152:153], v[42:43]
	v_add_f64 v[112:113], v[112:113], v[170:171]
	v_fmac_f64_e32 v[114:115], v[154:155], v[40:41]
	v_add_f64 v[128:129], v[112:113], v[114:115]
	scratch_load_dwordx4 v[112:115], off, off offset:672
	s_waitcnt vmcnt(16) lgkmcnt(0)
	v_mul_f64 v[130:131], v[156:157], v[46:47]
	v_fmac_f64_e32 v[130:131], v[158:159], v[44:45]
	v_add_f64 v[168:169], v[128:129], v[130:131]
	scratch_load_dwordx4 v[128:131], off, off offset:688
	ds_read_b128 v[160:163], v2 offset:1104
	ds_read_b128 v[164:167], v2 offset:1120
	v_mul_f64 v[186:187], v[194:195], v[186:187]
	v_fma_f64 v[254:255], v[192:193], v[184:185], -v[186:187]
	ds_read_b128 v[184:187], v2 offset:1200
	s_waitcnt vmcnt(16) lgkmcnt(2)
	v_mul_f64 v[170:171], v[160:161], v[50:51]
	v_fmac_f64_e32 v[170:171], v[162:163], v[48:49]
	s_waitcnt vmcnt(15) lgkmcnt(1)
	v_mul_f64 v[174:175], v[164:165], v[54:55]
	v_add_f64 v[172:173], v[168:169], v[170:171]
	ds_read_b128 v[168:171], v2 offset:1136
	v_fmac_f64_e32 v[174:175], v[166:167], v[52:53]
	v_add_f64 v[176:177], v[172:173], v[174:175]
	ds_read_b128 v[172:175], v2 offset:1152
	v_mul_f64 v[190:191], v[206:207], v[190:191]
	s_waitcnt vmcnt(14) lgkmcnt(1)
	v_mul_f64 v[178:179], v[168:169], v[58:59]
	v_fmac_f64_e32 v[178:179], v[170:171], v[56:57]
	v_add_f64 v[180:181], v[176:177], v[178:179]
	s_waitcnt vmcnt(13) lgkmcnt(0)
	v_mul_f64 v[182:183], v[172:173], v[62:63]
	ds_read_b128 v[176:179], v2 offset:1168
	v_fmac_f64_e32 v[182:183], v[174:175], v[60:61]
	v_add_f64 v[232:233], v[180:181], v[182:183]
	ds_read_b128 v[180:183], v2 offset:1184
	v_fma_f64 v[240:241], v[204:205], v[188:189], -v[190:191]
	s_waitcnt vmcnt(12) lgkmcnt(1)
	v_mul_f64 v[234:235], v[176:177], v[66:67]
	v_fmac_f64_e32 v[234:235], v[178:179], v[64:65]
	v_add_f64 v[232:233], v[232:233], v[234:235]
	s_waitcnt vmcnt(11) lgkmcnt(0)
	v_mul_f64 v[192:193], v[180:181], v[70:71]
	v_fmac_f64_e32 v[192:193], v[182:183], v[68:69]
	ds_read_b128 v[188:191], v2 offset:1216
	s_waitcnt vmcnt(10)
	v_mul_f64 v[194:195], v[184:185], v[74:75]
	v_add_f64 v[192:193], v[232:233], v[192:193]
	v_fmac_f64_e32 v[194:195], v[186:187], v[72:73]
	v_add_f64 v[204:205], v[192:193], v[194:195]
	ds_read_b128 v[192:195], v2 offset:1232
	v_mul_f64 v[198:199], v[218:219], v[198:199]
	v_fma_f64 v[242:243], v[216:217], v[196:197], -v[198:199]
	ds_read_b128 v[196:199], v2 offset:1248
	s_waitcnt vmcnt(9) lgkmcnt(2)
	v_mul_f64 v[206:207], v[188:189], v[78:79]
	v_fmac_f64_e32 v[206:207], v[190:191], v[76:77]
	v_add_f64 v[204:205], v[204:205], v[206:207]
	s_waitcnt vmcnt(8) lgkmcnt(1)
	v_mul_f64 v[206:207], v[192:193], v[82:83]
	v_fmac_f64_e32 v[206:207], v[194:195], v[80:81]
	v_mul_f64 v[202:203], v[226:227], v[202:203]
	v_add_f64 v[204:205], v[204:205], v[206:207]
	v_fma_f64 v[234:235], v[224:225], v[200:201], -v[202:203]
	ds_read_b128 v[200:203], v2 offset:1264
	s_waitcnt vmcnt(7) lgkmcnt(1)
	v_mul_f64 v[206:207], v[196:197], v[86:87]
	v_fmac_f64_e32 v[206:207], v[198:199], v[84:85]
	v_add_f64 v[216:217], v[204:205], v[206:207]
	ds_read_b128 v[204:207], v2 offset:1280
	v_mul_f64 v[210:211], v[230:231], v[210:211]
	v_fma_f64 v[236:237], v[228:229], v[208:209], -v[210:211]
	ds_read_b128 v[208:211], v2 offset:1296
	s_waitcnt vmcnt(6) lgkmcnt(2)
	v_mul_f64 v[218:219], v[200:201], v[90:91]
	v_fmac_f64_e32 v[218:219], v[202:203], v[88:89]
	v_add_f64 v[216:217], v[216:217], v[218:219]
	s_waitcnt vmcnt(5) lgkmcnt(1)
	v_mul_f64 v[218:219], v[204:205], v[94:95]
	v_fmac_f64_e32 v[218:219], v[206:207], v[92:93]
	v_mul_f64 v[214:215], v[248:249], v[214:215]
	v_fma_f64 v[238:239], v[246:247], v[212:213], -v[214:215]
	ds_read_b128 v[212:215], v2 offset:1312
	v_add_f64 v[216:217], v[216:217], v[218:219]
	s_waitcnt vmcnt(4) lgkmcnt(1)
	v_mul_f64 v[218:219], v[208:209], v[102:103]
	v_fmac_f64_e32 v[218:219], v[210:211], v[100:101]
	v_add_f64 v[224:225], v[216:217], v[218:219]
	ds_read_b128 v[216:219], v2 offset:1328
	v_mul_f64 v[222:223], v[252:253], v[222:223]
	v_fma_f64 v[246:247], v[250:251], v[220:221], -v[222:223]
	ds_read_b128 v[220:223], v2 offset:1344
	s_waitcnt vmcnt(3) lgkmcnt(2)
	v_mul_f64 v[226:227], v[212:213], v[98:99]
	v_fmac_f64_e32 v[226:227], v[214:215], v[96:97]
	v_add_f64 v[224:225], v[224:225], v[226:227]
	s_waitcnt vmcnt(2) lgkmcnt(1)
	v_mul_f64 v[226:227], v[216:217], v[106:107]
	v_fmac_f64_e32 v[226:227], v[218:219], v[104:105]
	v_add_f64 v[224:225], v[224:225], v[226:227]
	;; [unrolled: 4-line block ×3, first 2 shown]
	ds_read_b128 v[224:227], v2 offset:1360
	v_mul_f64 v[6:7], v[150:151], v[6:7]
	v_fma_f64 v[4:5], v[148:149], v[4:5], -v[6:7]
	v_mul_f64 v[6:7], v[146:147], v[10:11]
	v_fma_f64 v[6:7], v[144:145], v[8:9], -v[6:7]
	s_waitcnt vmcnt(0) lgkmcnt(0)
	v_mul_f64 v[230:231], v[224:225], v[130:131]
	v_fmac_f64_e32 v[230:231], v[226:227], v[128:129]
	v_add_f64 v[232:233], v[228:229], v[230:231]
	v_add_f64 v[228:229], v[254:255], 0
	;; [unrolled: 1-line block ×4, first 2 shown]
	scratch_load_dwordx4 v[228:231], off, off offset:128
	v_add_f64 v[234:235], v[248:249], v[234:235]
	v_add_f64 v[234:235], v[234:235], v[236:237]
	;; [unrolled: 1-line block ×6, first 2 shown]
	v_mul_f64 v[6:7], v[142:143], v[14:15]
	v_fma_f64 v[6:7], v[140:141], v[12:13], -v[6:7]
	v_add_f64 v[4:5], v[4:5], v[6:7]
	v_mul_f64 v[6:7], v[138:139], v[18:19]
	v_fma_f64 v[6:7], v[136:137], v[16:17], -v[6:7]
	v_add_f64 v[4:5], v[4:5], v[6:7]
	;; [unrolled: 3-line block ×26, first 2 shown]
	s_waitcnt vmcnt(0)
	v_add_f64 v[4:5], v[228:229], -v[4:5]
	v_add_f64 v[6:7], v[230:231], -v[232:233]
	scratch_store_dwordx4 off, v[4:7], off offset:128
	s_and_saveexec_b64 s[0:1], vcc
	s_cbranch_execz .LBB42_259
; %bb.258:
	scratch_load_dwordx4 v[6:9], off, s24
	v_mov_b32_e32 v3, v2
	v_mov_b32_e32 v4, v2
	v_mov_b32_e32 v5, v2
	v_accvgpr_read_b32 v0, a87
	scratch_store_dwordx4 off, v[2:5], off offset:112
	s_waitcnt vmcnt(1)
	ds_write_b128 v0, v[6:9]
.LBB42_259:
	s_or_b64 exec, exec, s[0:1]
	s_waitcnt lgkmcnt(0)
	; wave barrier
	scratch_load_dwordx4 v[140:143], off, off offset:128
	scratch_load_dwordx4 v[144:147], off, off offset:144
	;; [unrolled: 1-line block ×16, first 2 shown]
	ds_read_b128 v[208:211], v2 offset:800
	ds_read_b128 v[200:203], v2 offset:816
	;; [unrolled: 1-line block ×3, first 2 shown]
	scratch_load_dwordx4 v[40:43], off, off offset:384
	ds_read_b128 v[204:207], v2 offset:848
	ds_read_b128 v[192:195], v2 offset:864
	;; [unrolled: 1-line block ×3, first 2 shown]
	scratch_load_dwordx4 v[44:47], off, off offset:400
	ds_read_b128 v[196:199], v2 offset:896
	ds_read_b128 v[64:67], v2 offset:912
	;; [unrolled: 1-line block ×4, first 2 shown]
	scratch_load_dwordx4 v[48:51], off, off offset:416
	ds_read_b128 v[72:75], v2 offset:960
	ds_read_b128 v[68:71], v2 offset:976
	scratch_load_dwordx4 v[56:59], off, off offset:432
	ds_read_b128 v[92:95], v2 offset:992
	ds_read_b128 v[88:91], v2 offset:1008
	;; [unrolled: 1-line block ×4, first 2 shown]
	scratch_load_dwordx4 v[76:79], off, off offset:448
	scratch_load_dwordx4 v[96:99], off, off offset:464
	;; [unrolled: 1-line block ×12, first 2 shown]
	ds_read_b128 v[168:171], v2 offset:1056
	v_accvgpr_write_b32 a86, v244
	v_cmp_lt_u32_e32 vcc, 5, v244
	s_waitcnt vmcnt(31) lgkmcnt(14)
	v_mul_f64 v[172:173], v[208:209], v[142:143]
	s_waitcnt vmcnt(30)
	v_mul_f64 v[174:175], v[200:201], v[146:147]
	v_fmac_f64_e32 v[172:173], v[210:211], v[140:141]
	s_waitcnt vmcnt(29)
	v_mul_f64 v[176:177], v[188:189], v[150:151]
	v_fmac_f64_e32 v[174:175], v[202:203], v[144:145]
	v_add_f64 v[172:173], v[172:173], 0
	s_waitcnt vmcnt(28) lgkmcnt(13)
	v_mul_f64 v[178:179], v[204:205], v[154:155]
	v_fmac_f64_e32 v[176:177], v[190:191], v[148:149]
	v_add_f64 v[172:173], v[172:173], v[174:175]
	s_waitcnt vmcnt(27) lgkmcnt(12)
	;; [unrolled: 4-line block ×10, first 2 shown]
	v_mul_f64 v[224:225], v[92:93], v[26:27]
	v_fmac_f64_e32 v[222:223], v[70:71], v[20:21]
	v_add_f64 v[172:173], v[172:173], v[220:221]
	ds_read_b128 v[212:215], v2 offset:1072
	s_waitcnt vmcnt(18) lgkmcnt(4)
	v_mul_f64 v[226:227], v[88:89], v[30:31]
	v_fmac_f64_e32 v[224:225], v[94:95], v[24:25]
	v_add_f64 v[172:173], v[172:173], v[222:223]
	ds_read_b128 v[216:219], v2 offset:1088
	ds_read_b128 v[220:223], v2 offset:1104
	s_waitcnt vmcnt(17) lgkmcnt(5)
	v_mul_f64 v[228:229], v[84:85], v[34:35]
	v_fmac_f64_e32 v[226:227], v[90:91], v[28:29]
	v_add_f64 v[172:173], v[172:173], v[224:225]
	s_waitcnt vmcnt(16) lgkmcnt(4)
	v_mul_f64 v[230:231], v[80:81], v[38:39]
	v_fmac_f64_e32 v[228:229], v[86:87], v[32:33]
	v_add_f64 v[172:173], v[172:173], v[226:227]
	v_add_f64 v[176:177], v[172:173], v[228:229]
	v_fmac_f64_e32 v[230:231], v[82:83], v[36:37]
	s_waitcnt vmcnt(15) lgkmcnt(3)
	v_mul_f64 v[178:179], v[168:169], v[42:43]
	v_add_f64 v[176:177], v[176:177], v[230:231]
	v_fmac_f64_e32 v[178:179], v[170:171], v[40:41]
	s_waitcnt vmcnt(14) lgkmcnt(2)
	v_mul_f64 v[182:183], v[212:213], v[46:47]
	;; [unrolled: 4-line block ×3, first 2 shown]
	v_add_f64 v[224:225], v[180:181], v[182:183]
	v_fmac_f64_e32 v[226:227], v[218:219], v[48:49]
	v_add_f64 v[228:229], v[224:225], v[226:227]
	ds_read_b128 v[224:227], v2 offset:1120
	s_waitcnt vmcnt(12) lgkmcnt(1)
	v_mul_f64 v[230:231], v[220:221], v[58:59]
	v_fmac_f64_e32 v[230:231], v[222:223], v[56:57]
	v_add_f64 v[232:233], v[228:229], v[230:231]
	ds_read_b128 v[228:231], v2 offset:1136
	s_waitcnt vmcnt(11) lgkmcnt(1)
	v_mul_f64 v[234:235], v[224:225], v[78:79]
	;; [unrolled: 5-line block ×4, first 2 shown]
	v_fmac_f64_e32 v[242:243], v[234:235], v[100:101]
	v_mul_f64 v[142:143], v[210:211], v[142:143]
	v_add_f64 v[240:241], v[240:241], v[242:243]
	v_fma_f64 v[242:243], v[208:209], v[140:141], -v[142:143]
	ds_read_b128 v[140:143], v2 offset:1184
	s_waitcnt vmcnt(8) lgkmcnt(1)
	v_mul_f64 v[208:209], v[236:237], v[106:107]
	v_fmac_f64_e32 v[208:209], v[238:239], v[104:105]
	v_mul_f64 v[146:147], v[202:203], v[146:147]
	v_add_f64 v[208:209], v[240:241], v[208:209]
	v_fma_f64 v[240:241], v[200:201], v[144:145], -v[146:147]
	ds_read_b128 v[144:147], v2 offset:1200
	s_waitcnt vmcnt(7) lgkmcnt(1)
	v_mul_f64 v[200:201], v[140:141], v[110:111]
	scratch_load_dwordx4 v[172:175], off, off offset:640
	v_fmac_f64_e32 v[200:201], v[142:143], v[108:109]
	v_add_f64 v[208:209], v[208:209], v[200:201]
	ds_read_b128 v[200:203], v2 offset:1216
	v_mul_f64 v[150:151], v[190:191], v[150:151]
	scratch_load_dwordx4 v[176:179], off, off offset:656
	scratch_load_dwordx4 v[180:183], off, off offset:672
	v_fma_f64 v[246:247], v[188:189], v[148:149], -v[150:151]
	ds_read_b128 v[148:151], v2 offset:1232
	s_waitcnt vmcnt(9) lgkmcnt(2)
	v_mul_f64 v[210:211], v[144:145], v[114:115]
	v_fmac_f64_e32 v[210:211], v[146:147], v[112:113]
	s_waitcnt vmcnt(8) lgkmcnt(1)
	v_mul_f64 v[188:189], v[200:201], v[118:119]
	v_add_f64 v[208:209], v[208:209], v[210:211]
	v_fmac_f64_e32 v[188:189], v[202:203], v[116:117]
	v_mul_f64 v[154:155], v[206:207], v[154:155]
	s_waitcnt vmcnt(7) lgkmcnt(0)
	v_mul_f64 v[190:191], v[148:149], v[122:123]
	v_add_f64 v[188:189], v[208:209], v[188:189]
	v_fma_f64 v[248:249], v[204:205], v[152:153], -v[154:155]
	ds_read_b128 v[152:155], v2 offset:1248
	v_fmac_f64_e32 v[190:191], v[150:151], v[120:121]
	v_add_f64 v[204:205], v[188:189], v[190:191]
	ds_read_b128 v[188:191], v2 offset:1264
	v_mul_f64 v[158:159], v[194:195], v[158:159]
	s_waitcnt vmcnt(6) lgkmcnt(1)
	v_mul_f64 v[206:207], v[152:153], v[126:127]
	v_fmac_f64_e32 v[206:207], v[154:155], v[124:125]
	v_fma_f64 v[250:251], v[192:193], v[156:157], -v[158:159]
	s_waitcnt vmcnt(5) lgkmcnt(0)
	v_mul_f64 v[192:193], v[188:189], v[130:131]
	v_add_f64 v[204:205], v[204:205], v[206:207]
	v_fmac_f64_e32 v[192:193], v[190:191], v[128:129]
	v_mul_f64 v[162:163], v[186:187], v[162:163]
	v_add_f64 v[242:243], v[242:243], 0
	v_fma_f64 v[208:209], v[184:185], v[160:161], -v[162:163]
	v_add_f64 v[184:185], v[204:205], v[192:193]
	scratch_load_dwordx4 v[204:207], off, off offset:688
	v_add_f64 v[240:241], v[242:243], v[240:241]
	v_add_f64 v[240:241], v[240:241], v[246:247]
	;; [unrolled: 1-line block ×4, first 2 shown]
	scratch_load_dwordx4 v[248:251], off, off offset:112
	v_mul_f64 v[166:167], v[198:199], v[166:167]
	v_fma_f64 v[210:211], v[196:197], v[164:165], -v[166:167]
	v_add_f64 v[208:209], v[246:247], v[208:209]
	v_mul_f64 v[6:7], v[66:67], v[6:7]
	v_add_f64 v[208:209], v[208:209], v[210:211]
	v_fma_f64 v[4:5], v[64:65], v[4:5], -v[6:7]
	v_mul_f64 v[6:7], v[62:63], v[10:11]
	v_add_f64 v[4:5], v[208:209], v[4:5]
	v_fma_f64 v[6:7], v[60:61], v[8:9], -v[6:7]
	v_add_f64 v[4:5], v[4:5], v[6:7]
	v_mul_f64 v[6:7], v[54:55], v[14:15]
	v_fma_f64 v[6:7], v[52:53], v[12:13], -v[6:7]
	v_add_f64 v[4:5], v[4:5], v[6:7]
	v_mul_f64 v[6:7], v[74:75], v[18:19]
	;; [unrolled: 3-line block ×12, first 2 shown]
	v_fma_f64 v[6:7], v[224:225], v[76:77], -v[6:7]
	ds_read_b128 v[156:159], v2 offset:1280
	ds_read_b128 v[160:163], v2 offset:1296
	v_add_f64 v[4:5], v[4:5], v[6:7]
	v_mul_f64 v[6:7], v[230:231], v[98:99]
	v_fma_f64 v[6:7], v[228:229], v[96:97], -v[6:7]
	v_add_f64 v[4:5], v[4:5], v[6:7]
	v_mul_f64 v[6:7], v[234:235], v[102:103]
	v_fma_f64 v[6:7], v[232:233], v[100:101], -v[6:7]
	v_add_f64 v[4:5], v[4:5], v[6:7]
	v_mul_f64 v[6:7], v[238:239], v[106:107]
	s_waitcnt vmcnt(6) lgkmcnt(1)
	v_mul_f64 v[186:187], v[156:157], v[138:139]
	v_fma_f64 v[6:7], v[236:237], v[104:105], -v[6:7]
	v_fmac_f64_e32 v[186:187], v[158:159], v[136:137]
	v_add_f64 v[4:5], v[4:5], v[6:7]
	v_mul_f64 v[6:7], v[142:143], v[110:111]
	v_add_f64 v[192:193], v[184:185], v[186:187]
	ds_read_b128 v[184:187], v2 offset:1312
	ds_read_b128 v[164:167], v2 offset:1328
	v_fma_f64 v[6:7], v[140:141], v[108:109], -v[6:7]
	v_add_f64 v[4:5], v[4:5], v[6:7]
	v_mul_f64 v[6:7], v[146:147], v[114:115]
	v_fma_f64 v[6:7], v[144:145], v[112:113], -v[6:7]
	s_waitcnt vmcnt(5) lgkmcnt(2)
	v_mul_f64 v[194:195], v[160:161], v[134:135]
	v_add_f64 v[4:5], v[4:5], v[6:7]
	v_mul_f64 v[6:7], v[202:203], v[118:119]
	v_fmac_f64_e32 v[194:195], v[162:163], v[132:133]
	v_fma_f64 v[6:7], v[200:201], v[116:117], -v[6:7]
	v_add_f64 v[192:193], v[192:193], v[194:195]
	s_waitcnt vmcnt(4) lgkmcnt(1)
	v_mul_f64 v[194:195], v[184:185], v[174:175]
	v_add_f64 v[4:5], v[4:5], v[6:7]
	v_mul_f64 v[6:7], v[150:151], v[122:123]
	v_fmac_f64_e32 v[194:195], v[186:187], v[172:173]
	v_fma_f64 v[6:7], v[148:149], v[120:121], -v[6:7]
	v_add_f64 v[192:193], v[192:193], v[194:195]
	;; [unrolled: 7-line block ×3, first 2 shown]
	ds_read_b128 v[192:195], v2 offset:1344
	v_add_f64 v[4:5], v[4:5], v[6:7]
	v_mul_f64 v[6:7], v[190:191], v[130:131]
	v_fma_f64 v[6:7], v[188:189], v[128:129], -v[6:7]
	v_add_f64 v[4:5], v[4:5], v[6:7]
	v_mul_f64 v[6:7], v[158:159], v[138:139]
	v_fma_f64 v[6:7], v[156:157], v[136:137], -v[6:7]
	v_add_f64 v[4:5], v[4:5], v[6:7]
	v_mul_f64 v[6:7], v[162:163], v[134:135]
	s_waitcnt vmcnt(2) lgkmcnt(0)
	v_mul_f64 v[198:199], v[192:193], v[182:183]
	v_fma_f64 v[6:7], v[160:161], v[132:133], -v[6:7]
	v_fmac_f64_e32 v[198:199], v[194:195], v[180:181]
	v_add_f64 v[4:5], v[4:5], v[6:7]
	v_mul_f64 v[6:7], v[186:187], v[174:175]
	v_add_f64 v[252:253], v[196:197], v[198:199]
	ds_read_b128 v[196:199], v2 offset:1360
	v_fma_f64 v[6:7], v[184:185], v[172:173], -v[6:7]
	v_add_f64 v[4:5], v[4:5], v[6:7]
	v_mul_f64 v[6:7], v[166:167], v[178:179]
	v_fma_f64 v[6:7], v[164:165], v[176:177], -v[6:7]
	v_add_f64 v[4:5], v[4:5], v[6:7]
	v_mul_f64 v[6:7], v[194:195], v[182:183]
	v_fma_f64 v[6:7], v[192:193], v[180:181], -v[6:7]
	s_waitcnt vmcnt(1) lgkmcnt(0)
	v_mul_f64 v[2:3], v[196:197], v[206:207]
	v_add_f64 v[4:5], v[4:5], v[6:7]
	v_mul_f64 v[6:7], v[198:199], v[206:207]
	v_fmac_f64_e32 v[2:3], v[198:199], v[204:205]
	v_fma_f64 v[6:7], v[196:197], v[204:205], -v[6:7]
	v_add_f64 v[2:3], v[252:253], v[2:3]
	v_add_f64 v[4:5], v[4:5], v[6:7]
	s_waitcnt vmcnt(0)
	v_add_f64 v[4:5], v[248:249], -v[4:5]
	v_add_f64 v[6:7], v[250:251], -v[2:3]
	scratch_store_dwordx4 off, v[4:7], off offset:112
	s_and_saveexec_b64 s[0:1], vcc
	s_cbranch_execz .LBB42_261
; %bb.260:
	scratch_load_dwordx4 v[2:5], off, s20
	v_mov_b32_e32 v6, 0
	v_mov_b32_e32 v7, v6
	;; [unrolled: 1-line block ×4, first 2 shown]
	v_accvgpr_read_b32 v0, a87
	scratch_store_dwordx4 off, v[6:9], off offset:96
	s_waitcnt vmcnt(1)
	ds_write_b128 v0, v[2:5]
.LBB42_261:
	s_or_b64 exec, exec, s[0:1]
	s_waitcnt lgkmcnt(0)
	; wave barrier
	scratch_load_dwordx4 v[168:171], off, off offset:112
	scratch_load_dwordx4 v[172:175], off, off offset:128
	;; [unrolled: 1-line block ×32, first 2 shown]
	v_mov_b32_e32 v2, 0
	ds_read_b128 v[176:179], v2 offset:784
	ds_read_b128 v[188:191], v2 offset:800
	;; [unrolled: 1-line block ×17, first 2 shown]
	v_accvgpr_read_b32 v0, a86
	v_cmp_lt_u32_e32 vcc, 4, v0
	s_waitcnt vmcnt(31) lgkmcnt(14)
	v_mul_f64 v[104:105], v[176:177], v[170:171]
	s_waitcnt vmcnt(30)
	v_mul_f64 v[106:107], v[188:189], v[174:175]
	v_fmac_f64_e32 v[104:105], v[178:179], v[168:169]
	s_waitcnt vmcnt(29)
	v_mul_f64 v[108:109], v[200:201], v[182:183]
	v_fmac_f64_e32 v[106:107], v[190:191], v[172:173]
	v_add_f64 v[104:105], v[104:105], 0
	s_waitcnt vmcnt(28) lgkmcnt(13)
	v_mul_f64 v[110:111], v[212:213], v[186:187]
	v_fmac_f64_e32 v[108:109], v[202:203], v[180:181]
	v_add_f64 v[104:105], v[104:105], v[106:107]
	s_waitcnt vmcnt(27) lgkmcnt(12)
	;; [unrolled: 4-line block ×12, first 2 shown]
	v_mul_f64 v[156:157], v[112:113], v[26:27]
	v_fmac_f64_e32 v[154:155], v[118:119], v[20:21]
	v_add_f64 v[104:105], v[104:105], v[152:153]
	v_fmac_f64_e32 v[156:157], v[114:115], v[24:25]
	v_add_f64 v[104:105], v[104:105], v[154:155]
	s_waitcnt vmcnt(16) lgkmcnt(1)
	v_mul_f64 v[106:107], v[100:101], v[30:31]
	v_add_f64 v[104:105], v[104:105], v[156:157]
	v_fmac_f64_e32 v[106:107], v[102:103], v[28:29]
	v_add_f64 v[108:109], v[104:105], v[106:107]
	ds_read_b128 v[144:147], v2 offset:1056
	ds_read_b128 v[148:151], v2 offset:1072
	scratch_load_dwordx4 v[104:107], off, off offset:624
	s_waitcnt vmcnt(16) lgkmcnt(2)
	v_mul_f64 v[110:111], v[96:97], v[34:35]
	v_fmac_f64_e32 v[110:111], v[98:99], v[32:33]
	v_add_f64 v[120:121], v[108:109], v[110:111]
	scratch_load_dwordx4 v[108:111], off, off offset:640
	s_waitcnt vmcnt(16) lgkmcnt(1)
	v_mul_f64 v[122:123], v[144:145], v[38:39]
	v_fmac_f64_e32 v[122:123], v[146:147], v[36:37]
	v_add_f64 v[132:133], v[120:121], v[122:123]
	s_waitcnt vmcnt(15) lgkmcnt(0)
	v_mul_f64 v[134:135], v[148:149], v[42:43]
	scratch_load_dwordx4 v[120:123], off, off offset:656
	v_fmac_f64_e32 v[134:135], v[150:151], v[40:41]
	v_add_f64 v[160:161], v[132:133], v[134:135]
	scratch_load_dwordx4 v[132:135], off, off offset:672
	ds_read_b128 v[152:155], v2 offset:1088
	ds_read_b128 v[156:159], v2 offset:1104
	v_mul_f64 v[170:171], v[178:179], v[170:171]
	v_fma_f64 v[240:241], v[176:177], v[168:169], -v[170:171]
	ds_read_b128 v[168:171], v2 offset:1152
	s_waitcnt vmcnt(16) lgkmcnt(2)
	v_mul_f64 v[162:163], v[152:153], v[46:47]
	v_fmac_f64_e32 v[162:163], v[154:155], v[44:45]
	s_waitcnt vmcnt(15) lgkmcnt(1)
	v_mul_f64 v[166:167], v[156:157], v[50:51]
	v_add_f64 v[164:165], v[160:161], v[162:163]
	ds_read_b128 v[160:163], v2 offset:1120
	v_fmac_f64_e32 v[166:167], v[158:159], v[48:49]
	v_add_f64 v[232:233], v[164:165], v[166:167]
	ds_read_b128 v[164:167], v2 offset:1136
	v_mul_f64 v[174:175], v[190:191], v[174:175]
	s_waitcnt vmcnt(14) lgkmcnt(1)
	v_mul_f64 v[234:235], v[160:161], v[54:55]
	v_fmac_f64_e32 v[234:235], v[162:163], v[52:53]
	v_add_f64 v[232:233], v[232:233], v[234:235]
	s_waitcnt vmcnt(13) lgkmcnt(0)
	v_mul_f64 v[176:177], v[164:165], v[58:59]
	v_fmac_f64_e32 v[176:177], v[166:167], v[56:57]
	v_fma_f64 v[242:243], v[188:189], v[172:173], -v[174:175]
	ds_read_b128 v[172:175], v2 offset:1168
	s_waitcnt vmcnt(12)
	v_mul_f64 v[178:179], v[168:169], v[62:63]
	v_add_f64 v[176:177], v[232:233], v[176:177]
	v_fmac_f64_e32 v[178:179], v[170:171], v[60:61]
	v_add_f64 v[188:189], v[176:177], v[178:179]
	ds_read_b128 v[176:179], v2 offset:1184
	v_mul_f64 v[182:183], v[202:203], v[182:183]
	v_fma_f64 v[254:255], v[200:201], v[180:181], -v[182:183]
	ds_read_b128 v[180:183], v2 offset:1200
	s_waitcnt vmcnt(11) lgkmcnt(2)
	v_mul_f64 v[190:191], v[172:173], v[66:67]
	v_fmac_f64_e32 v[190:191], v[174:175], v[64:65]
	v_add_f64 v[188:189], v[188:189], v[190:191]
	s_waitcnt vmcnt(10) lgkmcnt(1)
	v_mul_f64 v[190:191], v[176:177], v[70:71]
	v_fmac_f64_e32 v[190:191], v[178:179], v[68:69]
	v_mul_f64 v[186:187], v[214:215], v[186:187]
	v_fma_f64 v[244:245], v[212:213], v[184:185], -v[186:187]
	ds_read_b128 v[184:187], v2 offset:1216
	v_add_f64 v[188:189], v[188:189], v[190:191]
	s_waitcnt vmcnt(9) lgkmcnt(1)
	v_mul_f64 v[190:191], v[180:181], v[74:75]
	v_fmac_f64_e32 v[190:191], v[182:183], v[72:73]
	v_add_f64 v[200:201], v[188:189], v[190:191]
	ds_read_b128 v[188:191], v2 offset:1232
	v_mul_f64 v[194:195], v[222:223], v[194:195]
	v_fma_f64 v[232:233], v[220:221], v[192:193], -v[194:195]
	ds_read_b128 v[192:195], v2 offset:1248
	s_waitcnt vmcnt(8) lgkmcnt(2)
	v_mul_f64 v[202:203], v[184:185], v[78:79]
	v_fmac_f64_e32 v[202:203], v[186:187], v[76:77]
	v_add_f64 v[200:201], v[200:201], v[202:203]
	s_waitcnt vmcnt(7) lgkmcnt(1)
	v_mul_f64 v[202:203], v[188:189], v[82:83]
	v_fmac_f64_e32 v[202:203], v[190:191], v[80:81]
	v_mul_f64 v[198:199], v[226:227], v[198:199]
	v_add_f64 v[200:201], v[200:201], v[202:203]
	v_fma_f64 v[234:235], v[224:225], v[196:197], -v[198:199]
	ds_read_b128 v[196:199], v2 offset:1264
	s_waitcnt vmcnt(6) lgkmcnt(1)
	v_mul_f64 v[202:203], v[192:193], v[86:87]
	v_fmac_f64_e32 v[202:203], v[194:195], v[84:85]
	v_add_f64 v[212:213], v[200:201], v[202:203]
	ds_read_b128 v[200:203], v2 offset:1280
	v_mul_f64 v[206:207], v[230:231], v[206:207]
	v_fma_f64 v[236:237], v[228:229], v[204:205], -v[206:207]
	ds_read_b128 v[204:207], v2 offset:1296
	s_waitcnt vmcnt(5) lgkmcnt(2)
	v_mul_f64 v[214:215], v[196:197], v[94:95]
	v_fmac_f64_e32 v[214:215], v[198:199], v[92:93]
	v_add_f64 v[212:213], v[212:213], v[214:215]
	s_waitcnt vmcnt(4) lgkmcnt(1)
	v_mul_f64 v[214:215], v[200:201], v[90:91]
	v_fmac_f64_e32 v[214:215], v[202:203], v[88:89]
	v_mul_f64 v[210:211], v[248:249], v[210:211]
	v_fma_f64 v[238:239], v[246:247], v[208:209], -v[210:211]
	ds_read_b128 v[208:211], v2 offset:1312
	v_add_f64 v[212:213], v[212:213], v[214:215]
	s_waitcnt vmcnt(3) lgkmcnt(1)
	v_mul_f64 v[214:215], v[204:205], v[106:107]
	v_fmac_f64_e32 v[214:215], v[206:207], v[104:105]
	v_add_f64 v[220:221], v[212:213], v[214:215]
	ds_read_b128 v[212:215], v2 offset:1328
	v_mul_f64 v[218:219], v[252:253], v[218:219]
	v_fma_f64 v[246:247], v[250:251], v[216:217], -v[218:219]
	ds_read_b128 v[216:219], v2 offset:1344
	ds_read_b128 v[224:227], v2 offset:1360
	s_waitcnt vmcnt(2) lgkmcnt(3)
	v_mul_f64 v[222:223], v[208:209], v[110:111]
	v_fmac_f64_e32 v[222:223], v[210:211], v[108:109]
	v_add_f64 v[220:221], v[220:221], v[222:223]
	s_waitcnt vmcnt(1) lgkmcnt(2)
	v_mul_f64 v[222:223], v[212:213], v[122:123]
	v_fmac_f64_e32 v[222:223], v[214:215], v[120:121]
	v_add_f64 v[220:221], v[220:221], v[222:223]
	;; [unrolled: 4-line block ×3, first 2 shown]
	scratch_load_dwordx4 v[220:223], off, off offset:688
	v_mul_f64 v[6:7], v[142:143], v[6:7]
	v_fma_f64 v[4:5], v[140:141], v[4:5], -v[6:7]
	v_mul_f64 v[6:7], v[138:139], v[10:11]
	v_fma_f64 v[6:7], v[136:137], v[8:9], -v[6:7]
	s_waitcnt vmcnt(0) lgkmcnt(0)
	v_mul_f64 v[230:231], v[224:225], v[222:223]
	v_fmac_f64_e32 v[230:231], v[226:227], v[220:221]
	v_add_f64 v[250:251], v[228:229], v[230:231]
	v_add_f64 v[228:229], v[240:241], 0
	;; [unrolled: 1-line block ×6, first 2 shown]
	scratch_load_dwordx4 v[228:231], off, off offset:96
	v_add_f64 v[232:233], v[248:249], v[234:235]
	v_add_f64 v[232:233], v[232:233], v[236:237]
	;; [unrolled: 1-line block ×6, first 2 shown]
	v_mul_f64 v[6:7], v[130:131], v[14:15]
	v_fma_f64 v[6:7], v[128:129], v[12:13], -v[6:7]
	v_add_f64 v[4:5], v[4:5], v[6:7]
	v_mul_f64 v[6:7], v[126:127], v[18:19]
	v_fma_f64 v[6:7], v[124:125], v[16:17], -v[6:7]
	v_add_f64 v[4:5], v[4:5], v[6:7]
	;; [unrolled: 3-line block ×26, first 2 shown]
	s_waitcnt vmcnt(0)
	v_add_f64 v[4:5], v[228:229], -v[4:5]
	v_add_f64 v[6:7], v[230:231], -v[250:251]
	scratch_store_dwordx4 off, v[4:7], off offset:96
	s_and_saveexec_b64 s[0:1], vcc
	s_cbranch_execz .LBB42_263
; %bb.262:
	scratch_load_dwordx4 v[6:9], off, s14
	v_mov_b32_e32 v3, v2
	v_mov_b32_e32 v4, v2
	;; [unrolled: 1-line block ×3, first 2 shown]
	v_accvgpr_read_b32 v0, a87
	scratch_store_dwordx4 off, v[2:5], off offset:80
	s_waitcnt vmcnt(1)
	ds_write_b128 v0, v[6:9]
.LBB42_263:
	s_or_b64 exec, exec, s[0:1]
	s_waitcnt lgkmcnt(0)
	; wave barrier
	scratch_load_dwordx4 v[168:171], off, off offset:96
	scratch_load_dwordx4 v[172:175], off, off offset:112
	;; [unrolled: 1-line block ×16, first 2 shown]
	ds_read_b128 v[232:235], v2 offset:768
	ds_read_b128 v[176:179], v2 offset:784
	scratch_load_dwordx4 v[32:35], off, off offset:352
	ds_read_b128 v[236:239], v2 offset:800
	ds_read_b128 v[188:191], v2 offset:816
	;; [unrolled: 1-line block ×5, first 2 shown]
	scratch_load_dwordx4 v[36:39], off, off offset:368
	ds_read_b128 v[224:227], v2 offset:880
	ds_read_b128 v[220:223], v2 offset:896
	;; [unrolled: 1-line block ×3, first 2 shown]
	scratch_load_dwordx4 v[40:43], off, off offset:384
	ds_read_b128 v[64:67], v2 offset:928
	ds_read_b128 v[60:63], v2 offset:944
	;; [unrolled: 1-line block ×4, first 2 shown]
	scratch_load_dwordx4 v[48:51], off, off offset:400
	ds_read_b128 v[80:83], v2 offset:992
	ds_read_b128 v[72:75], v2 offset:1008
	;; [unrolled: 1-line block ×3, first 2 shown]
	scratch_load_dwordx4 v[76:79], off, off offset:416
	scratch_load_dwordx4 v[84:87], off, off offset:432
	;; [unrolled: 1-line block ×12, first 2 shown]
	v_accvgpr_read_b32 v0, a86
	v_cmp_lt_u32_e32 vcc, 3, v0
	s_waitcnt vmcnt(31) lgkmcnt(14)
	v_mul_f64 v[128:129], v[232:233], v[170:171]
	s_waitcnt vmcnt(30)
	v_mul_f64 v[130:131], v[176:177], v[174:175]
	v_fmac_f64_e32 v[128:129], v[234:235], v[168:169]
	s_waitcnt vmcnt(29)
	v_mul_f64 v[132:133], v[236:237], v[182:183]
	v_fmac_f64_e32 v[130:131], v[178:179], v[172:173]
	v_add_f64 v[128:129], v[128:129], 0
	s_waitcnt vmcnt(28) lgkmcnt(13)
	v_mul_f64 v[134:135], v[188:189], v[186:187]
	v_fmac_f64_e32 v[132:133], v[238:239], v[180:181]
	v_add_f64 v[128:129], v[128:129], v[130:131]
	s_waitcnt vmcnt(27) lgkmcnt(12)
	;; [unrolled: 4-line block ×13, first 2 shown]
	v_mul_f64 v[158:159], v[72:73], v[30:31]
	v_fmac_f64_e32 v[156:157], v[82:83], v[24:25]
	v_add_f64 v[128:129], v[128:129], v[154:155]
	v_add_f64 v[128:129], v[128:129], v[156:157]
	v_fmac_f64_e32 v[158:159], v[74:75], v[28:29]
	v_add_f64 v[132:133], v[128:129], v[158:159]
	ds_read_b128 v[144:147], v2 offset:1040
	ds_read_b128 v[148:151], v2 offset:1056
	scratch_load_dwordx4 v[128:131], off, off offset:608
	s_waitcnt vmcnt(16) lgkmcnt(2)
	v_mul_f64 v[134:135], v[68:69], v[34:35]
	v_fmac_f64_e32 v[134:135], v[70:71], v[32:33]
	s_waitcnt vmcnt(15) lgkmcnt(1)
	v_mul_f64 v[138:139], v[144:145], v[38:39]
	v_add_f64 v[136:137], v[132:133], v[134:135]
	scratch_load_dwordx4 v[132:135], off, off offset:624
	v_fmac_f64_e32 v[138:139], v[146:147], v[36:37]
	v_add_f64 v[140:141], v[136:137], v[138:139]
	s_waitcnt vmcnt(15) lgkmcnt(0)
	v_mul_f64 v[142:143], v[148:149], v[42:43]
	scratch_load_dwordx4 v[136:139], off, off offset:640
	v_fmac_f64_e32 v[142:143], v[150:151], v[40:41]
	v_add_f64 v[160:161], v[140:141], v[142:143]
	scratch_load_dwordx4 v[140:143], off, off offset:656
	ds_read_b128 v[152:155], v2 offset:1072
	ds_read_b128 v[156:159], v2 offset:1088
	v_mul_f64 v[170:171], v[234:235], v[170:171]
	v_mul_f64 v[174:175], v[178:179], v[174:175]
	;; [unrolled: 1-line block ×3, first 2 shown]
	s_waitcnt vmcnt(16) lgkmcnt(1)
	v_mul_f64 v[162:163], v[152:153], v[50:51]
	v_fmac_f64_e32 v[162:163], v[154:155], v[48:49]
	v_add_f64 v[164:165], v[160:161], v[162:163]
	ds_read_b128 v[160:163], v2 offset:1104
	s_waitcnt vmcnt(15) lgkmcnt(1)
	v_mul_f64 v[166:167], v[156:157], v[78:79]
	v_fmac_f64_e32 v[166:167], v[158:159], v[76:77]
	v_add_f64 v[240:241], v[164:165], v[166:167]
	ds_read_b128 v[164:167], v2 offset:1120
	s_waitcnt vmcnt(14) lgkmcnt(1)
	v_mul_f64 v[242:243], v[160:161], v[86:87]
	v_fmac_f64_e32 v[242:243], v[162:163], v[84:85]
	v_add_f64 v[240:241], v[240:241], v[242:243]
	v_fma_f64 v[242:243], v[232:233], v[168:169], -v[170:171]
	ds_read_b128 v[168:171], v2 offset:1136
	s_waitcnt vmcnt(13) lgkmcnt(1)
	v_mul_f64 v[232:233], v[164:165], v[90:91]
	v_fmac_f64_e32 v[232:233], v[166:167], v[88:89]
	v_add_f64 v[232:233], v[240:241], v[232:233]
	v_fma_f64 v[240:241], v[176:177], v[172:173], -v[174:175]
	ds_read_b128 v[172:175], v2 offset:1152
	s_waitcnt vmcnt(12) lgkmcnt(1)
	v_mul_f64 v[176:177], v[168:169], v[94:95]
	v_fmac_f64_e32 v[176:177], v[170:171], v[92:93]
	v_add_f64 v[232:233], v[232:233], v[176:177]
	ds_read_b128 v[176:179], v2 offset:1168
	v_fma_f64 v[236:237], v[236:237], v[180:181], -v[182:183]
	ds_read_b128 v[180:183], v2 offset:1184
	s_waitcnt vmcnt(11) lgkmcnt(2)
	v_mul_f64 v[234:235], v[172:173], v[98:99]
	v_fmac_f64_e32 v[234:235], v[174:175], v[96:97]
	v_add_f64 v[232:233], v[232:233], v[234:235]
	s_waitcnt vmcnt(10) lgkmcnt(1)
	v_mul_f64 v[234:235], v[176:177], v[102:103]
	v_fmac_f64_e32 v[234:235], v[178:179], v[100:101]
	v_mul_f64 v[186:187], v[190:191], v[186:187]
	s_waitcnt vmcnt(9) lgkmcnt(0)
	v_mul_f64 v[190:191], v[180:181], v[106:107]
	v_fma_f64 v[238:239], v[188:189], v[184:185], -v[186:187]
	ds_read_b128 v[184:187], v2 offset:1200
	v_add_f64 v[188:189], v[232:233], v[234:235]
	v_fmac_f64_e32 v[190:191], v[182:183], v[104:105]
	v_add_f64 v[232:233], v[188:189], v[190:191]
	ds_read_b128 v[188:191], v2 offset:1216
	v_mul_f64 v[194:195], v[230:231], v[194:195]
	v_fma_f64 v[244:245], v[228:229], v[192:193], -v[194:195]
	ds_read_b128 v[192:195], v2 offset:1232
	s_waitcnt vmcnt(8) lgkmcnt(2)
	v_mul_f64 v[234:235], v[184:185], v[110:111]
	v_fmac_f64_e32 v[234:235], v[186:187], v[108:109]
	s_waitcnt vmcnt(7) lgkmcnt(1)
	v_mul_f64 v[228:229], v[188:189], v[114:115]
	v_mul_f64 v[198:199], v[202:203], v[198:199]
	v_add_f64 v[232:233], v[232:233], v[234:235]
	v_fmac_f64_e32 v[228:229], v[190:191], v[112:113]
	v_fma_f64 v[250:251], v[200:201], v[196:197], -v[198:199]
	ds_read_b128 v[196:199], v2 offset:1248
	s_waitcnt vmcnt(6) lgkmcnt(1)
	v_mul_f64 v[200:201], v[192:193], v[118:119]
	v_add_f64 v[228:229], v[232:233], v[228:229]
	v_fmac_f64_e32 v[200:201], v[194:195], v[116:117]
	v_add_f64 v[228:229], v[228:229], v[200:201]
	ds_read_b128 v[200:203], v2 offset:1264
	v_mul_f64 v[206:207], v[214:215], v[206:207]
	v_add_f64 v[242:243], v[242:243], 0
	v_fma_f64 v[252:253], v[212:213], v[204:205], -v[206:207]
	ds_read_b128 v[204:207], v2 offset:1280
	v_add_f64 v[240:241], v[242:243], v[240:241]
	v_add_f64 v[236:237], v[240:241], v[236:237]
	;; [unrolled: 1-line block ×3, first 2 shown]
	s_waitcnt vmcnt(5) lgkmcnt(2)
	v_mul_f64 v[230:231], v[196:197], v[126:127]
	v_add_f64 v[236:237], v[236:237], v[244:245]
	v_fmac_f64_e32 v[230:231], v[198:199], v[124:125]
	s_waitcnt vmcnt(4) lgkmcnt(1)
	v_mul_f64 v[212:213], v[200:201], v[122:123]
	v_add_f64 v[236:237], v[236:237], v[250:251]
	v_add_f64 v[228:229], v[228:229], v[230:231]
	v_fmac_f64_e32 v[212:213], v[202:203], v[120:121]
	v_mul_f64 v[210:211], v[226:227], v[210:211]
	v_add_f64 v[250:251], v[236:237], v[252:253]
	scratch_load_dwordx4 v[236:239], off, off offset:80
	s_waitcnt vmcnt(4) lgkmcnt(0)
	v_mul_f64 v[214:215], v[204:205], v[130:131]
	v_fma_f64 v[246:247], v[224:225], v[208:209], -v[210:211]
	ds_read_b128 v[208:211], v2 offset:1296
	v_add_f64 v[212:213], v[228:229], v[212:213]
	v_fmac_f64_e32 v[214:215], v[206:207], v[128:129]
	v_add_f64 v[224:225], v[212:213], v[214:215]
	ds_read_b128 v[212:215], v2 offset:1312
	v_mul_f64 v[218:219], v[222:223], v[218:219]
	v_fma_f64 v[248:249], v[220:221], v[216:217], -v[218:219]
	ds_read_b128 v[216:219], v2 offset:1328
	s_waitcnt vmcnt(3) lgkmcnt(2)
	v_mul_f64 v[220:221], v[208:209], v[134:135]
	v_fmac_f64_e32 v[220:221], v[210:211], v[132:133]
	s_waitcnt vmcnt(2) lgkmcnt(1)
	v_mul_f64 v[222:223], v[212:213], v[138:139]
	v_add_f64 v[220:221], v[224:225], v[220:221]
	v_fmac_f64_e32 v[222:223], v[214:215], v[136:137]
	v_add_f64 v[220:221], v[220:221], v[222:223]
	ds_read_b128 v[224:227], v2 offset:1344
	scratch_load_dwordx4 v[232:235], off, off offset:688
	s_waitcnt vmcnt(2) lgkmcnt(1)
	v_mul_f64 v[222:223], v[216:217], v[142:143]
	v_fmac_f64_e32 v[222:223], v[218:219], v[140:141]
	v_add_f64 v[228:229], v[220:221], v[222:223]
	scratch_load_dwordx4 v[220:223], off, off offset:672
	v_add_f64 v[240:241], v[250:251], v[246:247]
	v_mul_f64 v[6:7], v[46:47], v[6:7]
	v_add_f64 v[240:241], v[240:241], v[248:249]
	v_fma_f64 v[4:5], v[44:45], v[4:5], -v[6:7]
	v_mul_f64 v[6:7], v[66:67], v[10:11]
	v_add_f64 v[4:5], v[240:241], v[4:5]
	v_fma_f64 v[6:7], v[64:65], v[8:9], -v[6:7]
	v_add_f64 v[4:5], v[4:5], v[6:7]
	v_mul_f64 v[6:7], v[62:63], v[14:15]
	v_fma_f64 v[6:7], v[60:61], v[12:13], -v[6:7]
	v_add_f64 v[4:5], v[4:5], v[6:7]
	v_mul_f64 v[6:7], v[58:59], v[18:19]
	;; [unrolled: 3-line block ×24, first 2 shown]
	v_fma_f64 v[6:7], v[212:213], v[136:137], -v[6:7]
	s_waitcnt vmcnt(0) lgkmcnt(0)
	v_mul_f64 v[230:231], v[224:225], v[222:223]
	v_fmac_f64_e32 v[230:231], v[226:227], v[220:221]
	v_add_f64 v[254:255], v[228:229], v[230:231]
	ds_read_b128 v[228:231], v2 offset:1360
	v_add_f64 v[4:5], v[4:5], v[6:7]
	v_mul_f64 v[6:7], v[218:219], v[142:143]
	v_fma_f64 v[6:7], v[216:217], v[140:141], -v[6:7]
	v_add_f64 v[4:5], v[4:5], v[6:7]
	v_mul_f64 v[6:7], v[226:227], v[222:223]
	v_fma_f64 v[6:7], v[224:225], v[220:221], -v[6:7]
	s_waitcnt lgkmcnt(0)
	v_mul_f64 v[2:3], v[228:229], v[234:235]
	v_add_f64 v[4:5], v[4:5], v[6:7]
	v_mul_f64 v[6:7], v[230:231], v[234:235]
	v_fmac_f64_e32 v[2:3], v[230:231], v[232:233]
	v_fma_f64 v[6:7], v[228:229], v[232:233], -v[6:7]
	v_add_f64 v[2:3], v[254:255], v[2:3]
	v_add_f64 v[4:5], v[4:5], v[6:7]
	v_add_f64 v[4:5], v[236:237], -v[4:5]
	v_add_f64 v[6:7], v[238:239], -v[2:3]
	scratch_store_dwordx4 off, v[4:7], off offset:80
	s_and_saveexec_b64 s[0:1], vcc
	s_cbranch_execz .LBB42_265
; %bb.264:
	scratch_load_dwordx4 v[2:5], off, s13
	v_mov_b32_e32 v6, 0
	v_mov_b32_e32 v7, v6
	;; [unrolled: 1-line block ×4, first 2 shown]
	v_accvgpr_read_b32 v0, a87
	scratch_store_dwordx4 off, v[6:9], off offset:64
	s_waitcnt vmcnt(1)
	ds_write_b128 v0, v[2:5]
.LBB42_265:
	s_or_b64 exec, exec, s[0:1]
	s_waitcnt lgkmcnt(0)
	; wave barrier
	scratch_load_dwordx4 v[80:83], off, off offset:80
	scratch_load_dwordx4 v[84:87], off, off offset:96
	;; [unrolled: 1-line block ×31, first 2 shown]
	v_mov_b32_e32 v2, 0
	ds_read_b128 v[196:199], v2 offset:752
	ds_read_b128 v[200:203], v2 offset:768
	;; [unrolled: 1-line block ×20, first 2 shown]
	s_waitcnt vmcnt(30) lgkmcnt(14)
	v_mul_f64 v[140:141], v[196:197], v[82:83]
	s_waitcnt vmcnt(29)
	v_mul_f64 v[142:143], v[200:201], v[86:87]
	v_fmac_f64_e32 v[140:141], v[198:199], v[80:81]
	s_waitcnt vmcnt(28)
	v_mul_f64 v[152:153], v[204:205], v[90:91]
	v_fmac_f64_e32 v[142:143], v[202:203], v[84:85]
	v_add_f64 v[140:141], v[140:141], 0
	s_waitcnt vmcnt(27)
	v_mul_f64 v[154:155], v[208:209], v[94:95]
	v_fmac_f64_e32 v[152:153], v[206:207], v[88:89]
	v_add_f64 v[140:141], v[140:141], v[142:143]
	;; [unrolled: 4-line block ×4, first 2 shown]
	s_waitcnt vmcnt(24) lgkmcnt(13)
	v_mul_f64 v[164:165], v[220:221], v[106:107]
	v_fmac_f64_e32 v[162:163], v[218:219], v[100:101]
	v_add_f64 v[140:141], v[140:141], v[160:161]
	s_waitcnt vmcnt(23) lgkmcnt(12)
	v_mul_f64 v[166:167], v[224:225], v[110:111]
	v_fmac_f64_e32 v[164:165], v[222:223], v[104:105]
	v_add_f64 v[140:141], v[140:141], v[162:163]
	;; [unrolled: 4-line block ×8, first 2 shown]
	v_fmac_f64_e32 v[178:179], v[146:147], v[12:13]
	v_add_f64 v[140:141], v[140:141], v[176:177]
	v_add_f64 v[140:141], v[140:141], v[178:179]
	ds_read_b128 v[176:179], v2 offset:1024
	s_waitcnt vmcnt(16) lgkmcnt(6)
	v_mul_f64 v[180:181], v[136:137], v[18:19]
	s_waitcnt vmcnt(15) lgkmcnt(5)
	v_mul_f64 v[182:183], v[132:133], v[22:23]
	v_fmac_f64_e32 v[180:181], v[138:139], v[16:17]
	v_add_f64 v[152:153], v[140:141], v[180:181]
	v_fmac_f64_e32 v[182:183], v[134:135], v[20:21]
	scratch_load_dwordx4 v[140:143], off, off offset:576
	s_waitcnt vmcnt(15) lgkmcnt(4)
	v_mul_f64 v[154:155], v[128:129], v[26:27]
	v_add_f64 v[152:153], v[152:153], v[182:183]
	v_fmac_f64_e32 v[154:155], v[130:131], v[24:25]
	v_add_f64 v[160:161], v[152:153], v[154:155]
	ds_read_b128 v[180:183], v2 offset:1040
	s_waitcnt vmcnt(14) lgkmcnt(1)
	v_mul_f64 v[162:163], v[176:177], v[30:31]
	scratch_load_dwordx4 v[152:155], off, off offset:592
	v_fmac_f64_e32 v[162:163], v[178:179], v[28:29]
	v_add_f64 v[164:165], v[160:161], v[162:163]
	scratch_load_dwordx4 v[160:163], off, off offset:608
	s_waitcnt vmcnt(15) lgkmcnt(0)
	v_mul_f64 v[166:167], v[180:181], v[34:35]
	v_fmac_f64_e32 v[166:167], v[182:183], v[32:33]
	v_add_f64 v[168:169], v[164:165], v[166:167]
	s_waitcnt vmcnt(14)
	v_mul_f64 v[170:171], v[184:185], v[38:39]
	scratch_load_dwordx4 v[164:167], off, off offset:624
	v_fmac_f64_e32 v[170:171], v[186:187], v[36:37]
	v_add_f64 v[168:169], v[168:169], v[170:171]
	s_waitcnt vmcnt(14)
	v_mul_f64 v[170:171], v[188:189], v[42:43]
	scratch_load_dwordx4 v[172:175], off, off offset:640
	v_fmac_f64_e32 v[170:171], v[190:191], v[40:41]
	v_add_f64 v[232:233], v[168:169], v[170:171]
	scratch_load_dwordx4 v[168:171], off, off offset:656
	v_mul_f64 v[82:83], v[198:199], v[82:83]
	v_fma_f64 v[240:241], v[196:197], v[80:81], -v[82:83]
	ds_read_b128 v[196:199], v2 offset:1104
	s_waitcnt vmcnt(15)
	v_mul_f64 v[80:81], v[192:193], v[46:47]
	v_fmac_f64_e32 v[80:81], v[194:195], v[44:45]
	v_add_f64 v[232:233], v[232:233], v[80:81]
	v_mul_f64 v[80:81], v[202:203], v[86:87]
	v_fma_f64 v[242:243], v[200:201], v[84:85], -v[80:81]
	scratch_load_dwordx4 v[80:83], off, off offset:672
	ds_read_b128 v[84:87], v2 offset:1120
	v_mul_f64 v[90:91], v[206:207], v[90:91]
	v_fma_f64 v[244:245], v[204:205], v[88:89], -v[90:91]
	ds_read_b128 v[88:91], v2 offset:1136
	s_waitcnt vmcnt(15) lgkmcnt(2)
	v_mul_f64 v[200:201], v[196:197], v[50:51]
	v_fmac_f64_e32 v[200:201], v[198:199], v[48:49]
	s_waitcnt vmcnt(14) lgkmcnt(1)
	v_mul_f64 v[202:203], v[84:85], v[54:55]
	v_add_f64 v[200:201], v[232:233], v[200:201]
	v_fmac_f64_e32 v[202:203], v[86:87], v[52:53]
	v_mul_f64 v[94:95], v[210:211], v[94:95]
	v_fma_f64 v[254:255], v[208:209], v[92:93], -v[94:95]
	ds_read_b128 v[92:95], v2 offset:1152
	v_add_f64 v[200:201], v[200:201], v[202:203]
	s_waitcnt vmcnt(13) lgkmcnt(1)
	v_mul_f64 v[202:203], v[88:89], v[58:59]
	v_fmac_f64_e32 v[202:203], v[90:91], v[56:57]
	v_add_f64 v[204:205], v[200:201], v[202:203]
	ds_read_b128 v[200:203], v2 offset:1168
	v_mul_f64 v[98:99], v[214:215], v[98:99]
	v_fma_f64 v[232:233], v[212:213], v[96:97], -v[98:99]
	ds_read_b128 v[96:99], v2 offset:1184
	s_waitcnt vmcnt(12) lgkmcnt(2)
	v_mul_f64 v[206:207], v[92:93], v[62:63]
	v_fmac_f64_e32 v[206:207], v[94:95], v[60:61]
	v_add_f64 v[204:205], v[204:205], v[206:207]
	s_waitcnt vmcnt(11) lgkmcnt(1)
	v_mul_f64 v[206:207], v[200:201], v[66:67]
	v_fmac_f64_e32 v[206:207], v[202:203], v[64:65]
	v_mul_f64 v[102:103], v[218:219], v[102:103]
	v_add_f64 v[204:205], v[204:205], v[206:207]
	v_fma_f64 v[4:5], v[216:217], v[100:101], -v[102:103]
	ds_read_b128 v[100:103], v2 offset:1200
	s_waitcnt vmcnt(10) lgkmcnt(1)
	v_mul_f64 v[206:207], v[96:97], v[70:71]
	v_fmac_f64_e32 v[206:207], v[98:99], v[68:69]
	v_add_f64 v[208:209], v[204:205], v[206:207]
	ds_read_b128 v[204:207], v2 offset:1216
	v_mul_f64 v[106:107], v[222:223], v[106:107]
	v_fma_f64 v[0:1], v[220:221], v[104:105], -v[106:107]
	ds_read_b128 v[104:107], v2 offset:1232
	s_waitcnt vmcnt(9) lgkmcnt(2)
	v_mul_f64 v[210:211], v[100:101], v[74:75]
	v_fmac_f64_e32 v[210:211], v[102:103], v[72:73]
	v_add_f64 v[208:209], v[208:209], v[210:211]
	s_waitcnt vmcnt(8) lgkmcnt(1)
	v_mul_f64 v[210:211], v[204:205], v[78:79]
	v_fmac_f64_e32 v[210:211], v[206:207], v[76:77]
	v_mul_f64 v[6:7], v[226:227], v[110:111]
	v_fma_f64 v[6:7], v[224:225], v[108:109], -v[6:7]
	ds_read_b128 v[108:111], v2 offset:1248
	v_add_f64 v[208:209], v[208:209], v[210:211]
	s_waitcnt vmcnt(7) lgkmcnt(1)
	v_mul_f64 v[210:211], v[104:105], v[126:127]
	v_fmac_f64_e32 v[210:211], v[106:107], v[124:125]
	v_mul_f64 v[114:115], v[230:231], v[114:115]
	v_add_f64 v[212:213], v[208:209], v[210:211]
	ds_read_b128 v[208:211], v2 offset:1264
	v_fma_f64 v[112:113], v[228:229], v[112:113], -v[114:115]
	v_accvgpr_write_b32 a88, v112
	v_accvgpr_write_b32 a89, v113
	ds_read_b128 v[112:115], v2 offset:1280
	s_waitcnt vmcnt(6) lgkmcnt(2)
	v_mul_f64 v[214:215], v[108:109], v[142:143]
	v_fmac_f64_e32 v[214:215], v[110:111], v[140:141]
	v_add_f64 v[212:213], v[212:213], v[214:215]
	s_waitcnt vmcnt(5) lgkmcnt(1)
	v_mul_f64 v[214:215], v[208:209], v[154:155]
	v_fmac_f64_e32 v[214:215], v[210:211], v[152:153]
	v_mul_f64 v[118:119], v[248:249], v[118:119]
	v_add_f64 v[212:213], v[212:213], v[214:215]
	v_fma_f64 v[238:239], v[246:247], v[116:117], -v[118:119]
	ds_read_b128 v[116:119], v2 offset:1296
	s_waitcnt vmcnt(4) lgkmcnt(1)
	v_mul_f64 v[214:215], v[112:113], v[162:163]
	v_fmac_f64_e32 v[214:215], v[114:115], v[160:161]
	v_add_f64 v[216:217], v[212:213], v[214:215]
	ds_read_b128 v[212:215], v2 offset:1312
	v_mul_f64 v[122:123], v[252:253], v[122:123]
	v_fma_f64 v[246:247], v[250:251], v[120:121], -v[122:123]
	ds_read_b128 v[120:123], v2 offset:1328
	s_waitcnt vmcnt(3) lgkmcnt(2)
	v_mul_f64 v[218:219], v[116:117], v[166:167]
	v_fmac_f64_e32 v[218:219], v[118:119], v[164:165]
	v_add_f64 v[216:217], v[216:217], v[218:219]
	s_waitcnt vmcnt(2) lgkmcnt(1)
	v_mul_f64 v[218:219], v[212:213], v[174:175]
	v_fmac_f64_e32 v[218:219], v[214:215], v[172:173]
	v_add_f64 v[216:217], v[216:217], v[218:219]
	;; [unrolled: 4-line block ×3, first 2 shown]
	ds_read_b128 v[216:219], v2 offset:1344
	ds_read_b128 v[224:227], v2 offset:1360
	s_waitcnt vmcnt(0) lgkmcnt(1)
	v_mul_f64 v[222:223], v[216:217], v[82:83]
	v_fmac_f64_e32 v[222:223], v[218:219], v[80:81]
	v_add_f64 v[228:229], v[220:221], v[222:223]
	scratch_load_dwordx4 v[220:223], off, off offset:688
	s_waitcnt vmcnt(0) lgkmcnt(0)
	v_mul_f64 v[230:231], v[224:225], v[222:223]
	v_fmac_f64_e32 v[230:231], v[226:227], v[220:221]
	v_add_f64 v[250:251], v[228:229], v[230:231]
	v_add_f64 v[228:229], v[240:241], 0
	;; [unrolled: 1-line block ×7, first 2 shown]
	scratch_load_dwordx4 v[228:231], off, off offset:64
	v_add_f64 v[248:249], v[4:5], v[0:1]
	v_accvgpr_read_b32 v4, a88
	v_add_f64 v[0:1], v[248:249], v[6:7]
	v_accvgpr_read_b32 v5, a89
	v_add_f64 v[0:1], v[0:1], v[4:5]
	v_add_f64 v[0:1], v[0:1], v[238:239]
	v_mul_f64 v[4:5], v[158:159], v[236:237]
	v_add_f64 v[0:1], v[0:1], v[246:247]
	v_fma_f64 v[4:5], v[156:157], v[234:235], -v[4:5]
	v_add_f64 v[0:1], v[0:1], v[4:5]
	v_mul_f64 v[4:5], v[150:151], v[10:11]
	v_fma_f64 v[4:5], v[148:149], v[8:9], -v[4:5]
	v_add_f64 v[0:1], v[0:1], v[4:5]
	v_mul_f64 v[4:5], v[146:147], v[14:15]
	;; [unrolled: 3-line block ×27, first 2 shown]
	v_fma_f64 v[4:5], v[224:225], v[220:221], -v[4:5]
	v_add_f64 v[0:1], v[0:1], v[4:5]
	s_waitcnt vmcnt(0)
	v_add_f64 v[4:5], v[228:229], -v[0:1]
	v_accvgpr_read_b32 v0, a86
	v_add_f64 v[6:7], v[230:231], -v[250:251]
	v_cmp_lt_u32_e32 vcc, 2, v0
	scratch_store_dwordx4 off, v[4:7], off offset:64
	s_and_saveexec_b64 s[0:1], vcc
	s_cbranch_execz .LBB42_267
; %bb.266:
	scratch_load_dwordx4 v[6:9], off, s12
	v_mov_b32_e32 v3, v2
	v_mov_b32_e32 v4, v2
	;; [unrolled: 1-line block ×3, first 2 shown]
	v_accvgpr_read_b32 v0, a87
	scratch_store_dwordx4 off, v[2:5], off offset:48
	s_waitcnt vmcnt(1)
	ds_write_b128 v0, v[6:9]
.LBB42_267:
	s_or_b64 exec, exec, s[0:1]
	s_waitcnt lgkmcnt(0)
	; wave barrier
	scratch_load_dwordx4 v[132:135], off, off offset:64
	scratch_load_dwordx4 v[160:163], off, off offset:80
	scratch_load_dwordx4 v[164:167], off, off offset:96
	scratch_load_dwordx4 v[168:171], off, off offset:112
	scratch_load_dwordx4 v[176:179], off, off offset:128
	scratch_load_dwordx4 v[180:183], off, off offset:144
	scratch_load_dwordx4 v[188:191], off, off offset:160
	scratch_load_dwordx4 v[192:195], off, off offset:176
	scratch_load_dwordx4 v[200:203], off, off offset:192
	scratch_load_dwordx4 v[204:207], off, off offset:208
	scratch_load_dwordx4 v[212:215], off, off offset:224
	scratch_load_dwordx4 v[4:7], off, off offset:240
	scratch_load_dwordx4 v[8:11], off, off offset:256
	scratch_load_dwordx4 v[12:15], off, off offset:272
	scratch_load_dwordx4 v[16:19], off, off offset:288
	scratch_load_dwordx4 v[20:23], off, off offset:304
	ds_read_b128 v[156:159], v2 offset:736
	ds_read_b128 v[172:175], v2 offset:752
	scratch_load_dwordx4 v[24:27], off, off offset:320
	ds_read_b128 v[232:235], v2 offset:768
	ds_read_b128 v[228:231], v2 offset:784
	scratch_load_dwordx4 v[28:31], off, off offset:336
	ds_read_b128 v[236:239], v2 offset:800
	ds_read_b128 v[184:187], v2 offset:816
	;; [unrolled: 1-line block ×5, first 2 shown]
	scratch_load_dwordx4 v[32:35], off, off offset:352
	ds_read_b128 v[220:223], v2 offset:880
	ds_read_b128 v[216:219], v2 offset:896
	;; [unrolled: 1-line block ×3, first 2 shown]
	scratch_load_dwordx4 v[36:39], off, off offset:368
	ds_read_b128 v[64:67], v2 offset:928
	ds_read_b128 v[60:63], v2 offset:944
	;; [unrolled: 1-line block ×5, first 2 shown]
	scratch_load_dwordx4 v[52:55], off, off offset:384
	scratch_load_dwordx4 v[68:71], off, off offset:400
	;; [unrolled: 1-line block ×11, first 2 shown]
	ds_read_b128 v[144:147], v2 offset:1040
	ds_read_b128 v[148:151], v2 offset:1056
	;; [unrolled: 1-line block ×3, first 2 shown]
	s_waitcnt vmcnt(30) lgkmcnt(14)
	v_mul_f64 v[0:1], v[156:157], v[134:135]
	s_waitcnt vmcnt(29)
	v_mul_f64 v[108:109], v[172:173], v[162:163]
	v_fmac_f64_e32 v[0:1], v[158:159], v[132:133]
	s_waitcnt vmcnt(28)
	v_mul_f64 v[110:111], v[232:233], v[166:167]
	v_fmac_f64_e32 v[108:109], v[174:175], v[160:161]
	v_add_f64 v[0:1], v[0:1], 0
	s_waitcnt vmcnt(27)
	v_mul_f64 v[112:113], v[228:229], v[170:171]
	v_fmac_f64_e32 v[110:111], v[234:235], v[164:165]
	v_add_f64 v[0:1], v[0:1], v[108:109]
	;; [unrolled: 4-line block ×4, first 2 shown]
	s_waitcnt vmcnt(24) lgkmcnt(13)
	v_mul_f64 v[118:119], v[224:225], v[190:191]
	v_fmac_f64_e32 v[116:117], v[186:187], v[180:181]
	v_add_f64 v[0:1], v[0:1], v[114:115]
	s_waitcnt vmcnt(23) lgkmcnt(12)
	v_mul_f64 v[120:121], v[196:197], v[194:195]
	v_fmac_f64_e32 v[118:119], v[226:227], v[188:189]
	v_add_f64 v[0:1], v[0:1], v[116:117]
	;; [unrolled: 4-line block ×9, first 2 shown]
	v_fmac_f64_e32 v[138:139], v[58:59], v[16:17]
	v_add_f64 v[0:1], v[0:1], v[136:137]
	v_add_f64 v[0:1], v[0:1], v[138:139]
	ds_read_b128 v[136:139], v2 offset:1008
	s_waitcnt vmcnt(15) lgkmcnt(5)
	v_mul_f64 v[140:141], v[48:49], v[22:23]
	v_fmac_f64_e32 v[140:141], v[50:51], v[20:21]
	s_waitcnt vmcnt(14) lgkmcnt(4)
	v_mul_f64 v[112:113], v[44:45], v[26:27]
	scratch_load_dwordx4 v[108:111], off, off offset:560
	v_add_f64 v[0:1], v[0:1], v[140:141]
	v_fmac_f64_e32 v[112:113], v[46:47], v[24:25]
	v_add_f64 v[0:1], v[0:1], v[112:113]
	scratch_load_dwordx4 v[112:115], off, off offset:576
	ds_read_b128 v[140:143], v2 offset:1024
	s_waitcnt vmcnt(15) lgkmcnt(1)
	v_mul_f64 v[116:117], v[136:137], v[30:31]
	v_fmac_f64_e32 v[116:117], v[138:139], v[28:29]
	v_add_f64 v[0:1], v[0:1], v[116:117]
	scratch_load_dwordx4 v[116:119], off, off offset:592
	s_waitcnt vmcnt(15) lgkmcnt(0)
	v_mul_f64 v[120:121], v[140:141], v[34:35]
	v_fmac_f64_e32 v[120:121], v[142:143], v[32:33]
	s_waitcnt vmcnt(14)
	v_mul_f64 v[124:125], v[144:145], v[38:39]
	v_add_f64 v[0:1], v[0:1], v[120:121]
	scratch_load_dwordx4 v[120:123], off, off offset:608
	v_fmac_f64_e32 v[124:125], v[146:147], v[36:37]
	v_add_f64 v[0:1], v[0:1], v[124:125]
	s_waitcnt vmcnt(14)
	v_mul_f64 v[124:125], v[148:149], v[54:55]
	scratch_load_dwordx4 v[128:131], off, off offset:624
	v_fmac_f64_e32 v[124:125], v[150:151], v[52:53]
	v_add_f64 v[0:1], v[0:1], v[124:125]
	scratch_load_dwordx4 v[124:127], off, off offset:640
	v_mul_f64 v[134:135], v[158:159], v[134:135]
	v_fma_f64 v[240:241], v[156:157], v[132:133], -v[134:135]
	ds_read_b128 v[156:159], v2 offset:1088
	s_waitcnt vmcnt(15)
	v_mul_f64 v[132:133], v[152:153], v[70:71]
	v_fmac_f64_e32 v[132:133], v[154:155], v[68:69]
	v_add_f64 v[0:1], v[0:1], v[132:133]
	v_mul_f64 v[132:133], v[174:175], v[162:163]
	v_fma_f64 v[242:243], v[172:173], v[160:161], -v[132:133]
	scratch_load_dwordx4 v[132:135], off, off offset:656
	ds_read_b128 v[160:163], v2 offset:1104
	v_mul_f64 v[166:167], v[234:235], v[166:167]
	v_fma_f64 v[244:245], v[232:233], v[164:165], -v[166:167]
	ds_read_b128 v[164:167], v2 offset:1120
	s_waitcnt vmcnt(15) lgkmcnt(2)
	v_mul_f64 v[172:173], v[156:157], v[74:75]
	v_fmac_f64_e32 v[172:173], v[158:159], v[72:73]
	v_add_f64 v[0:1], v[0:1], v[172:173]
	s_waitcnt vmcnt(14) lgkmcnt(1)
	v_mul_f64 v[172:173], v[160:161], v[78:79]
	v_fmac_f64_e32 v[172:173], v[162:163], v[76:77]
	v_mul_f64 v[170:171], v[230:231], v[170:171]
	v_fma_f64 v[250:251], v[228:229], v[168:169], -v[170:171]
	ds_read_b128 v[168:171], v2 offset:1136
	v_add_f64 v[0:1], v[0:1], v[172:173]
	s_waitcnt vmcnt(13) lgkmcnt(1)
	v_mul_f64 v[172:173], v[164:165], v[82:83]
	v_fmac_f64_e32 v[172:173], v[166:167], v[80:81]
	v_add_f64 v[0:1], v[0:1], v[172:173]
	ds_read_b128 v[172:175], v2 offset:1152
	v_mul_f64 v[178:179], v[238:239], v[178:179]
	v_fma_f64 v[236:237], v[236:237], v[176:177], -v[178:179]
	ds_read_b128 v[176:179], v2 offset:1168
	s_waitcnt vmcnt(12) lgkmcnt(2)
	v_mul_f64 v[228:229], v[168:169], v[86:87]
	v_fmac_f64_e32 v[228:229], v[170:171], v[84:85]
	v_add_f64 v[0:1], v[0:1], v[228:229]
	s_waitcnt vmcnt(11) lgkmcnt(1)
	v_mul_f64 v[228:229], v[172:173], v[90:91]
	v_mul_f64 v[182:183], v[186:187], v[182:183]
	v_fmac_f64_e32 v[228:229], v[174:175], v[88:89]
	v_fma_f64 v[238:239], v[184:185], v[180:181], -v[182:183]
	ds_read_b128 v[180:183], v2 offset:1184
	s_waitcnt vmcnt(10) lgkmcnt(1)
	v_mul_f64 v[184:185], v[176:177], v[94:95]
	v_add_f64 v[0:1], v[0:1], v[228:229]
	v_fmac_f64_e32 v[184:185], v[178:179], v[92:93]
	v_add_f64 v[0:1], v[0:1], v[184:185]
	ds_read_b128 v[184:187], v2 offset:1200
	v_mul_f64 v[190:191], v[226:227], v[190:191]
	v_fma_f64 v[252:253], v[224:225], v[188:189], -v[190:191]
	ds_read_b128 v[188:191], v2 offset:1216
	s_waitcnt vmcnt(9) lgkmcnt(2)
	v_mul_f64 v[228:229], v[180:181], v[98:99]
	v_fmac_f64_e32 v[228:229], v[182:183], v[96:97]
	s_waitcnt vmcnt(8) lgkmcnt(1)
	v_mul_f64 v[224:225], v[184:185], v[102:103]
	v_mul_f64 v[194:195], v[198:199], v[194:195]
	v_add_f64 v[0:1], v[0:1], v[228:229]
	v_fmac_f64_e32 v[224:225], v[186:187], v[100:101]
	v_fma_f64 v[254:255], v[196:197], v[192:193], -v[194:195]
	s_waitcnt vmcnt(7) lgkmcnt(0)
	v_mul_f64 v[196:197], v[188:189], v[106:107]
	ds_read_b128 v[192:195], v2 offset:1232
	v_add_f64 v[0:1], v[0:1], v[224:225]
	v_fmac_f64_e32 v[196:197], v[190:191], v[104:105]
	v_add_f64 v[0:1], v[0:1], v[196:197]
	ds_read_b128 v[196:199], v2 offset:1248
	v_mul_f64 v[202:203], v[210:211], v[202:203]
	v_fma_f64 v[246:247], v[208:209], v[200:201], -v[202:203]
	ds_read_b128 v[200:203], v2 offset:1264
	s_waitcnt vmcnt(6) lgkmcnt(2)
	v_mul_f64 v[224:225], v[192:193], v[110:111]
	v_fmac_f64_e32 v[224:225], v[194:195], v[108:109]
	s_waitcnt vmcnt(5) lgkmcnt(1)
	v_mul_f64 v[208:209], v[196:197], v[114:115]
	v_add_f64 v[0:1], v[0:1], v[224:225]
	v_fmac_f64_e32 v[208:209], v[198:199], v[112:113]
	v_add_f64 v[208:209], v[0:1], v[208:209]
	v_mul_f64 v[0:1], v[222:223], v[206:207]
	v_fma_f64 v[0:1], v[220:221], v[204:205], -v[0:1]
	ds_read_b128 v[204:207], v2 offset:1280
	s_waitcnt vmcnt(4) lgkmcnt(1)
	v_mul_f64 v[210:211], v[200:201], v[118:119]
	v_fmac_f64_e32 v[210:211], v[202:203], v[116:117]
	v_add_f64 v[220:221], v[208:209], v[210:211]
	ds_read_b128 v[208:211], v2 offset:1296
	v_mul_f64 v[214:215], v[218:219], v[214:215]
	v_fma_f64 v[248:249], v[216:217], v[212:213], -v[214:215]
	ds_read_b128 v[212:215], v2 offset:1312
	s_waitcnt vmcnt(3) lgkmcnt(2)
	v_mul_f64 v[216:217], v[204:205], v[122:123]
	v_fmac_f64_e32 v[216:217], v[206:207], v[120:121]
	s_waitcnt vmcnt(2) lgkmcnt(1)
	v_mul_f64 v[218:219], v[208:209], v[130:131]
	v_add_f64 v[216:217], v[220:221], v[216:217]
	v_fmac_f64_e32 v[218:219], v[210:211], v[128:129]
	v_add_f64 v[216:217], v[216:217], v[218:219]
	s_waitcnt vmcnt(1) lgkmcnt(0)
	v_mul_f64 v[218:219], v[212:213], v[126:127]
	v_fmac_f64_e32 v[218:219], v[214:215], v[124:125]
	v_add_f64 v[220:221], v[216:217], v[218:219]
	ds_read_b128 v[216:219], v2 offset:1328
	ds_read_b128 v[224:227], v2 offset:1344
	scratch_load_dwordx4 v[232:235], off, off offset:688
	v_accvgpr_write_b32 a89, v1
	v_accvgpr_write_b32 a88, v0
	s_waitcnt vmcnt(1) lgkmcnt(1)
	v_mul_f64 v[222:223], v[216:217], v[134:135]
	v_fmac_f64_e32 v[222:223], v[218:219], v[132:133]
	v_add_f64 v[228:229], v[220:221], v[222:223]
	scratch_load_dwordx4 v[220:223], off, off offset:672
	v_mul_f64 v[6:7], v[42:43], v[6:7]
	v_fma_f64 v[4:5], v[40:41], v[4:5], -v[6:7]
	s_waitcnt vmcnt(0) lgkmcnt(0)
	v_mul_f64 v[230:231], v[224:225], v[222:223]
	v_fmac_f64_e32 v[230:231], v[226:227], v[220:221]
	v_add_f64 v[0:1], v[228:229], v[230:231]
	ds_read_b128 v[228:231], v2 offset:1360
	s_waitcnt lgkmcnt(0)
	v_mul_f64 v[2:3], v[228:229], v[234:235]
	v_fmac_f64_e32 v[2:3], v[230:231], v[232:233]
	v_add_f64 v[2:3], v[0:1], v[2:3]
	v_add_f64 v[0:1], v[240:241], 0
	;; [unrolled: 1-line block ×7, first 2 shown]
	scratch_load_dwordx4 v[236:239], off, off offset:48
	v_add_f64 v[0:1], v[0:1], v[252:253]
	v_add_f64 v[0:1], v[0:1], v[254:255]
	;; [unrolled: 1-line block ×3, first 2 shown]
	v_accvgpr_read_b32 v0, a88
	v_accvgpr_read_b32 v1, a89
	v_add_f64 v[0:1], v[250:251], v[0:1]
	v_add_f64 v[0:1], v[0:1], v[248:249]
	;; [unrolled: 1-line block ×3, first 2 shown]
	v_mul_f64 v[4:5], v[66:67], v[10:11]
	v_fma_f64 v[4:5], v[64:65], v[8:9], -v[4:5]
	v_add_f64 v[0:1], v[0:1], v[4:5]
	v_mul_f64 v[4:5], v[62:63], v[14:15]
	v_fma_f64 v[4:5], v[60:61], v[12:13], -v[4:5]
	v_add_f64 v[0:1], v[0:1], v[4:5]
	;; [unrolled: 3-line block ×28, first 2 shown]
	s_waitcnt vmcnt(0)
	v_add_f64 v[4:5], v[236:237], -v[0:1]
	v_accvgpr_read_b32 v0, a86
	v_add_f64 v[6:7], v[238:239], -v[2:3]
	v_cmp_lt_u32_e32 vcc, 1, v0
	scratch_store_dwordx4 off, v[4:7], off offset:48
	s_and_saveexec_b64 s[0:1], vcc
	s_cbranch_execz .LBB42_269
; %bb.268:
	scratch_load_dwordx4 v[2:5], off, s15
	v_mov_b32_e32 v6, 0
	v_mov_b32_e32 v7, v6
	v_mov_b32_e32 v8, v6
	v_mov_b32_e32 v9, v6
	v_accvgpr_read_b32 v0, a87
	scratch_store_dwordx4 off, v[6:9], off offset:32
	s_waitcnt vmcnt(1)
	ds_write_b128 v0, v[2:5]
.LBB42_269:
	s_or_b64 exec, exec, s[0:1]
	s_waitcnt lgkmcnt(0)
	; wave barrier
	scratch_load_dwordx4 v[112:115], off, off offset:48
	scratch_load_dwordx4 v[116:119], off, off offset:64
	;; [unrolled: 1-line block ×30, first 2 shown]
	v_mov_b32_e32 v2, 0
	ds_read_b128 v[144:147], v2 offset:720
	ds_read_b128 v[156:159], v2 offset:736
	;; [unrolled: 1-line block ×20, first 2 shown]
	s_waitcnt vmcnt(29) lgkmcnt(14)
	v_mul_f64 v[0:1], v[144:145], v[114:115]
	s_waitcnt vmcnt(28)
	v_mul_f64 v[88:89], v[156:157], v[118:119]
	v_fmac_f64_e32 v[0:1], v[146:147], v[112:113]
	s_waitcnt vmcnt(27)
	v_mul_f64 v[90:91], v[168:169], v[122:123]
	v_fmac_f64_e32 v[88:89], v[158:159], v[116:117]
	v_add_f64 v[0:1], v[0:1], 0
	s_waitcnt vmcnt(26)
	v_mul_f64 v[92:93], v[180:181], v[154:155]
	v_fmac_f64_e32 v[90:91], v[170:171], v[120:121]
	v_add_f64 v[0:1], v[0:1], v[88:89]
	;; [unrolled: 4-line block ×4, first 2 shown]
	s_waitcnt vmcnt(23) lgkmcnt(13)
	v_mul_f64 v[98:99], v[212:213], v[174:175]
	v_fmac_f64_e32 v[96:97], v[206:207], v[164:165]
	v_add_f64 v[0:1], v[0:1], v[94:95]
	s_waitcnt vmcnt(22) lgkmcnt(12)
	v_mul_f64 v[100:101], v[216:217], v[178:179]
	v_fmac_f64_e32 v[98:99], v[214:215], v[172:173]
	v_add_f64 v[0:1], v[0:1], v[96:97]
	s_waitcnt vmcnt(21) lgkmcnt(11)
	v_mul_f64 v[102:103], v[220:221], v[186:187]
	v_fmac_f64_e32 v[100:101], v[218:219], v[176:177]
	v_add_f64 v[0:1], v[0:1], v[98:99]
	s_waitcnt vmcnt(20) lgkmcnt(10)
	v_mul_f64 v[104:105], v[224:225], v[190:191]
	v_fmac_f64_e32 v[102:103], v[222:223], v[184:185]
	v_add_f64 v[0:1], v[0:1], v[100:101]
	s_waitcnt vmcnt(19) lgkmcnt(9)
	v_mul_f64 v[106:107], v[228:229], v[198:199]
	v_fmac_f64_e32 v[104:105], v[226:227], v[188:189]
	v_add_f64 v[0:1], v[0:1], v[102:103]
	s_waitcnt vmcnt(18) lgkmcnt(8)
	v_mul_f64 v[108:109], v[246:247], v[202:203]
	v_fmac_f64_e32 v[106:107], v[230:231], v[196:197]
	v_add_f64 v[0:1], v[0:1], v[104:105]
	s_waitcnt vmcnt(17) lgkmcnt(7)
	v_mul_f64 v[110:111], v[250:251], v[210:211]
	v_fmac_f64_e32 v[108:109], v[248:249], v[200:201]
	v_add_f64 v[0:1], v[0:1], v[106:107]
	s_waitcnt vmcnt(16) lgkmcnt(6)
	v_mul_f64 v[124:125], v[84:85], v[6:7]
	v_fmac_f64_e32 v[110:111], v[252:253], v[208:209]
	v_add_f64 v[0:1], v[0:1], v[108:109]
	s_waitcnt vmcnt(15) lgkmcnt(5)
	v_mul_f64 v[126:127], v[80:81], v[10:11]
	v_fmac_f64_e32 v[124:125], v[86:87], v[4:5]
	v_add_f64 v[0:1], v[0:1], v[110:111]
	v_fmac_f64_e32 v[126:127], v[82:83], v[8:9]
	v_add_f64 v[0:1], v[0:1], v[124:125]
	scratch_load_dwordx4 v[88:91], off, off offset:528
	s_waitcnt vmcnt(15) lgkmcnt(4)
	v_mul_f64 v[128:129], v[76:77], v[236:237]
	v_add_f64 v[0:1], v[0:1], v[126:127]
	ds_read_b128 v[124:127], v2 offset:992
	v_fmac_f64_e32 v[128:129], v[78:79], v[234:235]
	v_add_f64 v[0:1], v[0:1], v[128:129]
	ds_read_b128 v[128:131], v2 offset:1008
	s_waitcnt vmcnt(14) lgkmcnt(5)
	v_mul_f64 v[92:93], v[72:73], v[18:19]
	v_fmac_f64_e32 v[92:93], v[74:75], v[16:17]
	v_add_f64 v[0:1], v[0:1], v[92:93]
	s_waitcnt vmcnt(13) lgkmcnt(1)
	v_mul_f64 v[96:97], v[124:125], v[22:23]
	scratch_load_dwordx4 v[92:95], off, off offset:544
	v_fmac_f64_e32 v[96:97], v[126:127], v[20:21]
	v_add_f64 v[0:1], v[0:1], v[96:97]
	s_waitcnt vmcnt(13) lgkmcnt(0)
	v_mul_f64 v[100:101], v[128:129], v[26:27]
	scratch_load_dwordx4 v[96:99], off, off offset:560
	v_fmac_f64_e32 v[100:101], v[130:131], v[24:25]
	v_add_f64 v[0:1], v[0:1], v[100:101]
	scratch_load_dwordx4 v[100:103], off, off offset:576
	s_waitcnt vmcnt(14)
	v_mul_f64 v[104:105], v[132:133], v[30:31]
	v_fmac_f64_e32 v[104:105], v[134:135], v[28:29]
	v_add_f64 v[0:1], v[0:1], v[104:105]
	s_waitcnt vmcnt(13)
	v_mul_f64 v[104:105], v[136:137], v[34:35]
	v_fmac_f64_e32 v[104:105], v[138:139], v[32:33]
	v_add_f64 v[0:1], v[0:1], v[104:105]
	scratch_load_dwordx4 v[104:107], off, off offset:592
	s_waitcnt vmcnt(13)
	v_mul_f64 v[108:109], v[140:141], v[38:39]
	v_fmac_f64_e32 v[108:109], v[142:143], v[36:37]
	v_add_f64 v[0:1], v[0:1], v[108:109]
	scratch_load_dwordx4 v[108:111], off, off offset:608
	v_mul_f64 v[114:115], v[146:147], v[114:115]
	v_fma_f64 v[240:241], v[144:145], v[112:113], -v[114:115]
	v_mul_f64 v[112:113], v[158:159], v[118:119]
	ds_read_b128 v[148:151], v2 offset:1072
	ds_read_b128 v[144:147], v2 offset:1088
	v_fma_f64 v[242:243], v[156:157], v[116:117], -v[112:113]
	scratch_load_dwordx4 v[116:119], off, off offset:624
	scratch_load_dwordx4 v[112:115], off, off offset:640
	v_mul_f64 v[122:123], v[170:171], v[122:123]
	v_fma_f64 v[244:245], v[168:169], v[120:121], -v[122:123]
	scratch_load_dwordx4 v[120:123], off, off offset:656
	s_waitcnt vmcnt(16) lgkmcnt(1)
	v_mul_f64 v[156:157], v[148:149], v[42:43]
	v_fmac_f64_e32 v[156:157], v[150:151], v[40:41]
	v_mul_f64 v[154:155], v[182:183], v[154:155]
	v_add_f64 v[0:1], v[0:1], v[156:157]
	v_fma_f64 v[254:255], v[180:181], v[152:153], -v[154:155]
	ds_read_b128 v[152:155], v2 offset:1104
	s_waitcnt vmcnt(15) lgkmcnt(1)
	v_mul_f64 v[156:157], v[144:145], v[46:47]
	v_fmac_f64_e32 v[156:157], v[146:147], v[44:45]
	v_add_f64 v[0:1], v[0:1], v[156:157]
	ds_read_b128 v[156:159], v2 offset:1120
	v_mul_f64 v[162:163], v[194:195], v[162:163]
	v_fma_f64 v[232:233], v[192:193], v[160:161], -v[162:163]
	ds_read_b128 v[160:163], v2 offset:1136
	s_waitcnt vmcnt(14) lgkmcnt(2)
	v_mul_f64 v[168:169], v[152:153], v[50:51]
	v_fmac_f64_e32 v[168:169], v[154:155], v[48:49]
	v_mul_f64 v[166:167], v[206:207], v[166:167]
	v_add_f64 v[0:1], v[0:1], v[168:169]
	s_waitcnt vmcnt(13) lgkmcnt(1)
	v_mul_f64 v[168:169], v[156:157], v[54:55]
	v_fma_f64 v[12:13], v[204:205], v[164:165], -v[166:167]
	ds_read_b128 v[164:167], v2 offset:1152
	v_accvgpr_write_b32 a91, v7
	v_fmac_f64_e32 v[168:169], v[158:159], v[52:53]
	v_accvgpr_write_b32 a90, v6
	v_accvgpr_write_b32 a89, v5
	;; [unrolled: 1-line block ×3, first 2 shown]
	v_add_f64 v[0:1], v[0:1], v[168:169]
	s_waitcnt vmcnt(12) lgkmcnt(1)
	v_mul_f64 v[6:7], v[160:161], v[58:59]
	ds_read_b128 v[168:171], v2 offset:1168
	v_fmac_f64_e32 v[6:7], v[162:163], v[56:57]
	v_accvgpr_write_b32 a95, v11
	v_add_f64 v[0:1], v[0:1], v[6:7]
	v_mul_f64 v[6:7], v[214:215], v[174:175]
	v_accvgpr_write_b32 a94, v10
	v_accvgpr_write_b32 a93, v9
	;; [unrolled: 1-line block ×3, first 2 shown]
	v_fma_f64 v[8:9], v[212:213], v[172:173], -v[6:7]
	s_waitcnt vmcnt(11) lgkmcnt(1)
	v_mul_f64 v[6:7], v[164:165], v[62:63]
	v_fmac_f64_e32 v[6:7], v[166:167], v[60:61]
	ds_read_b128 v[172:175], v2 offset:1184
	v_add_f64 v[0:1], v[0:1], v[6:7]
	s_waitcnt vmcnt(10) lgkmcnt(1)
	v_mul_f64 v[6:7], v[168:169], v[66:67]
	v_fmac_f64_e32 v[6:7], v[170:171], v[64:65]
	v_add_f64 v[0:1], v[0:1], v[6:7]
	v_mul_f64 v[6:7], v[218:219], v[178:179]
	v_fma_f64 v[10:11], v[216:217], v[176:177], -v[6:7]
	ds_read_b128 v[176:179], v2 offset:1200
	ds_read_b128 v[180:183], v2 offset:1216
	s_waitcnt vmcnt(9) lgkmcnt(2)
	v_mul_f64 v[6:7], v[172:173], v[70:71]
	v_fmac_f64_e32 v[6:7], v[174:175], v[68:69]
	v_add_f64 v[0:1], v[0:1], v[6:7]
	s_waitcnt vmcnt(8) lgkmcnt(1)
	v_mul_f64 v[6:7], v[176:177], v[90:91]
	v_fmac_f64_e32 v[6:7], v[178:179], v[88:89]
	v_add_f64 v[0:1], v[0:1], v[6:7]
	v_mul_f64 v[6:7], v[222:223], v[186:187]
	v_fma_f64 v[4:5], v[220:221], v[184:185], -v[6:7]
	ds_read_b128 v[184:187], v2 offset:1232
	v_mul_f64 v[6:7], v[226:227], v[190:191]
	v_fma_f64 v[6:7], v[224:225], v[188:189], -v[6:7]
	ds_read_b128 v[188:191], v2 offset:1248
	s_waitcnt vmcnt(7) lgkmcnt(2)
	v_mul_f64 v[14:15], v[180:181], v[94:95]
	v_fmac_f64_e32 v[14:15], v[182:183], v[92:93]
	v_add_f64 v[0:1], v[0:1], v[14:15]
	s_waitcnt vmcnt(6) lgkmcnt(1)
	v_mul_f64 v[14:15], v[184:185], v[98:99]
	v_fmac_f64_e32 v[14:15], v[186:187], v[96:97]
	v_add_f64 v[0:1], v[0:1], v[14:15]
	s_waitcnt vmcnt(5) lgkmcnt(0)
	v_mul_f64 v[14:15], v[188:189], v[102:103]
	ds_read_b128 v[192:195], v2 offset:1264
	v_fmac_f64_e32 v[14:15], v[190:191], v[100:101]
	v_add_f64 v[14:15], v[0:1], v[14:15]
	v_mul_f64 v[0:1], v[230:231], v[198:199]
	v_fma_f64 v[0:1], v[228:229], v[196:197], -v[0:1]
	ds_read_b128 v[196:199], v2 offset:1280
	v_mul_f64 v[202:203], v[248:249], v[202:203]
	s_waitcnt vmcnt(4) lgkmcnt(1)
	v_mul_f64 v[204:205], v[192:193], v[106:107]
	v_fma_f64 v[238:239], v[246:247], v[200:201], -v[202:203]
	ds_read_b128 v[200:203], v2 offset:1296
	v_fmac_f64_e32 v[204:205], v[194:195], v[104:105]
	v_add_f64 v[14:15], v[14:15], v[204:205]
	ds_read_b128 v[204:207], v2 offset:1312
	s_waitcnt vmcnt(3) lgkmcnt(2)
	v_mul_f64 v[212:213], v[196:197], v[110:111]
	v_mul_f64 v[210:211], v[252:253], v[210:211]
	v_fmac_f64_e32 v[212:213], v[198:199], v[108:109]
	v_fma_f64 v[246:247], v[250:251], v[208:209], -v[210:211]
	ds_read_b128 v[208:211], v2 offset:1328
	ds_read_b128 v[216:219], v2 offset:1344
	v_add_f64 v[14:15], v[14:15], v[212:213]
	s_waitcnt vmcnt(2) lgkmcnt(3)
	v_mul_f64 v[212:213], v[200:201], v[118:119]
	v_fmac_f64_e32 v[212:213], v[202:203], v[116:117]
	v_add_f64 v[14:15], v[14:15], v[212:213]
	s_waitcnt vmcnt(1) lgkmcnt(2)
	v_mul_f64 v[212:213], v[204:205], v[114:115]
	v_fmac_f64_e32 v[212:213], v[206:207], v[112:113]
	v_add_f64 v[14:15], v[14:15], v[212:213]
	s_waitcnt vmcnt(0) lgkmcnt(1)
	v_mul_f64 v[212:213], v[208:209], v[122:123]
	v_fmac_f64_e32 v[212:213], v[210:211], v[120:121]
	v_add_f64 v[14:15], v[14:15], v[212:213]
	scratch_load_dwordx4 v[212:215], off, off offset:672
	ds_read_b128 v[224:227], v2 offset:1360
	s_waitcnt vmcnt(0) lgkmcnt(1)
	v_mul_f64 v[220:221], v[216:217], v[214:215]
	v_fmac_f64_e32 v[220:221], v[218:219], v[212:213]
	v_add_f64 v[14:15], v[14:15], v[220:221]
	scratch_load_dwordx4 v[220:223], off, off offset:688
	s_waitcnt vmcnt(0) lgkmcnt(0)
	v_mul_f64 v[228:229], v[224:225], v[222:223]
	v_fmac_f64_e32 v[228:229], v[226:227], v[220:221]
	v_add_f64 v[250:251], v[14:15], v[228:229]
	scratch_load_dwordx4 v[228:231], off, off offset:32
	v_add_f64 v[14:15], v[240:241], 0
	v_add_f64 v[14:15], v[14:15], v[242:243]
	;; [unrolled: 1-line block ×10, first 2 shown]
	v_accvgpr_read_b32 v6, a88
	v_accvgpr_read_b32 v8, a90
	;; [unrolled: 1-line block ×3, first 2 shown]
	v_add_f64 v[0:1], v[4:5], v[0:1]
	v_accvgpr_read_b32 v7, a89
	v_mul_f64 v[4:5], v[86:87], v[8:9]
	v_add_f64 v[0:1], v[0:1], v[238:239]
	v_fma_f64 v[4:5], v[84:85], v[6:7], -v[4:5]
	v_accvgpr_read_b32 v6, a92
	v_add_f64 v[0:1], v[0:1], v[246:247]
	v_accvgpr_read_b32 v8, a94
	v_accvgpr_read_b32 v9, a95
	v_add_f64 v[0:1], v[0:1], v[4:5]
	v_accvgpr_read_b32 v7, a93
	v_mul_f64 v[4:5], v[82:83], v[8:9]
	v_fma_f64 v[4:5], v[80:81], v[6:7], -v[4:5]
	v_add_f64 v[0:1], v[0:1], v[4:5]
	v_mul_f64 v[4:5], v[78:79], v[236:237]
	v_fma_f64 v[4:5], v[76:77], v[234:235], -v[4:5]
	v_add_f64 v[0:1], v[0:1], v[4:5]
	;; [unrolled: 3-line block ×27, first 2 shown]
	s_waitcnt vmcnt(0)
	v_add_f64 v[4:5], v[228:229], -v[0:1]
	v_accvgpr_read_b32 v0, a86
	v_add_f64 v[6:7], v[230:231], -v[250:251]
	v_cmp_ne_u32_e32 vcc, 0, v0
	scratch_store_dwordx4 off, v[4:7], off offset:32
	s_and_saveexec_b64 s[0:1], vcc
	s_cbranch_execz .LBB42_271
; %bb.270:
	scratch_load_dwordx4 v[6:9], off, off offset:16
	v_mov_b32_e32 v3, v2
	v_mov_b32_e32 v4, v2
	;; [unrolled: 1-line block ×3, first 2 shown]
	v_accvgpr_read_b32 v0, a87
	scratch_store_dwordx4 off, v[2:5], off offset:16
	s_waitcnt vmcnt(1)
	ds_write_b128 v0, v[6:9]
.LBB42_271:
	s_or_b64 exec, exec, s[0:1]
	s_waitcnt lgkmcnt(0)
	; wave barrier
	scratch_load_dwordx4 v[88:91], off, off offset:32
	scratch_load_dwordx4 v[92:95], off, off offset:48
	;; [unrolled: 1-line block ×17, first 2 shown]
	ds_read_b128 v[220:223], v2 offset:704
	ds_read_b128 v[212:215], v2 offset:720
	;; [unrolled: 1-line block ×5, first 2 shown]
	scratch_load_dwordx4 v[20:23], off, off offset:304
	ds_read_b128 v[208:211], v2 offset:784
	ds_read_b128 v[192:195], v2 offset:800
	ds_read_b128 v[176:179], v2 offset:816
	scratch_load_dwordx4 v[24:27], off, off offset:320
	ds_read_b128 v[196:199], v2 offset:832
	ds_read_b128 v[180:183], v2 offset:848
	ds_read_b128 v[168:171], v2 offset:864
	;; [unrolled: 4-line block ×3, first 2 shown]
	ds_read_b128 v[40:43], v2 offset:928
	ds_read_b128 v[32:35], v2 offset:944
	scratch_load_dwordx4 v[36:39], off, off offset:352
	ds_read_b128 v[48:51], v2 offset:960
	scratch_load_dwordx4 v[52:55], off, off offset:368
	scratch_load_dwordx4 v[56:59], off, off offset:384
	;; [unrolled: 1-line block ×9, first 2 shown]
	ds_read_b128 v[140:143], v2 offset:976
	ds_read_b128 v[232:235], v2 offset:1040
	;; [unrolled: 1-line block ×3, first 2 shown]
	s_and_b64 vcc, exec, s[18:19]
	ds_read_b128 v[228:231], v2 offset:1024
	s_waitcnt vmcnt(29) lgkmcnt(14)
	v_mul_f64 v[0:1], v[220:221], v[90:91]
	s_waitcnt vmcnt(28)
	v_mul_f64 v[144:145], v[212:213], v[94:95]
	v_fmac_f64_e32 v[0:1], v[222:223], v[88:89]
	s_waitcnt vmcnt(27)
	v_mul_f64 v[146:147], v[204:205], v[98:99]
	v_fmac_f64_e32 v[144:145], v[214:215], v[92:93]
	v_add_f64 v[0:1], v[0:1], 0
	s_waitcnt vmcnt(26)
	v_mul_f64 v[148:149], v[200:201], v[102:103]
	v_fmac_f64_e32 v[146:147], v[206:207], v[96:97]
	v_add_f64 v[0:1], v[0:1], v[144:145]
	s_waitcnt vmcnt(25)
	v_mul_f64 v[150:151], v[188:189], v[106:107]
	v_fmac_f64_e32 v[148:149], v[202:203], v[100:101]
	v_add_f64 v[0:1], v[0:1], v[146:147]
	s_waitcnt vmcnt(24)
	v_mul_f64 v[152:153], v[208:209], v[110:111]
	v_fmac_f64_e32 v[150:151], v[190:191], v[104:105]
	v_add_f64 v[0:1], v[0:1], v[148:149]
	s_waitcnt vmcnt(23)
	v_mul_f64 v[154:155], v[192:193], v[114:115]
	v_fmac_f64_e32 v[152:153], v[210:211], v[108:109]
	v_add_f64 v[0:1], v[0:1], v[150:151]
	s_waitcnt vmcnt(22) lgkmcnt(13)
	v_mul_f64 v[156:157], v[176:177], v[118:119]
	v_fmac_f64_e32 v[154:155], v[194:195], v[112:113]
	v_add_f64 v[0:1], v[0:1], v[152:153]
	s_waitcnt vmcnt(21) lgkmcnt(12)
	v_mul_f64 v[158:159], v[196:197], v[122:123]
	v_fmac_f64_e32 v[156:157], v[178:179], v[116:117]
	v_add_f64 v[0:1], v[0:1], v[154:155]
	;; [unrolled: 4-line block ×8, first 2 shown]
	v_fmac_f64_e32 v[218:219], v[42:43], v[8:9]
	v_add_f64 v[0:1], v[0:1], v[216:217]
	s_waitcnt vmcnt(14) lgkmcnt(5)
	v_mul_f64 v[224:225], v[32:33], v[14:15]
	v_add_f64 v[0:1], v[0:1], v[218:219]
	ds_read_b128 v[216:219], v2 offset:992
	v_fmac_f64_e32 v[224:225], v[34:35], v[12:13]
	s_waitcnt vmcnt(13) lgkmcnt(5)
	v_mul_f64 v[148:149], v[48:49], v[18:19]
	scratch_load_dwordx4 v[144:147], off, off offset:512
	v_add_f64 v[0:1], v[0:1], v[224:225]
	v_fmac_f64_e32 v[148:149], v[50:51], v[16:17]
	s_waitcnt vmcnt(13) lgkmcnt(4)
	v_mul_f64 v[152:153], v[140:141], v[22:23]
	ds_read_b128 v[224:227], v2 offset:1008
	v_add_f64 v[0:1], v[0:1], v[148:149]
	scratch_load_dwordx4 v[148:151], off, off offset:528
	v_fmac_f64_e32 v[152:153], v[142:143], v[20:21]
	v_add_f64 v[0:1], v[0:1], v[152:153]
	scratch_load_dwordx4 v[152:155], off, off offset:544
	s_waitcnt vmcnt(14) lgkmcnt(1)
	v_mul_f64 v[156:157], v[216:217], v[26:27]
	v_fmac_f64_e32 v[156:157], v[218:219], v[24:25]
	v_add_f64 v[0:1], v[0:1], v[156:157]
	s_waitcnt vmcnt(13) lgkmcnt(0)
	v_mul_f64 v[160:161], v[224:225], v[30:31]
	scratch_load_dwordx4 v[156:159], off, off offset:560
	v_fmac_f64_e32 v[160:161], v[226:227], v[28:29]
	v_add_f64 v[0:1], v[0:1], v[160:161]
	scratch_load_dwordx4 v[160:163], off, off offset:576
	s_waitcnt vmcnt(14)
	v_mul_f64 v[164:165], v[228:229], v[38:39]
	v_fmac_f64_e32 v[164:165], v[230:231], v[36:37]
	s_waitcnt vmcnt(13)
	v_mul_f64 v[240:241], v[232:233], v[54:55]
	v_add_f64 v[0:1], v[0:1], v[164:165]
	v_fmac_f64_e32 v[240:241], v[234:235], v[52:53]
	v_mul_f64 v[90:91], v[222:223], v[90:91]
	scratch_load_dwordx4 v[164:167], off, off offset:592
	v_add_f64 v[0:1], v[0:1], v[240:241]
	v_fma_f64 v[240:241], v[220:221], v[88:89], -v[90:91]
	v_mul_f64 v[88:89], v[214:215], v[94:95]
	v_fma_f64 v[244:245], v[212:213], v[92:93], -v[88:89]
	scratch_load_dwordx4 v[92:95], off, off offset:608
	scratch_load_dwordx4 v[88:91], off, off offset:624
	s_waitcnt vmcnt(15)
	v_mul_f64 v[242:243], v[236:237], v[58:59]
	v_fmac_f64_e32 v[242:243], v[238:239], v[56:57]
	v_mul_f64 v[98:99], v[206:207], v[98:99]
	v_add_f64 v[0:1], v[0:1], v[242:243]
	v_fma_f64 v[242:243], v[204:205], v[96:97], -v[98:99]
	scratch_load_dwordx4 v[96:99], off, off offset:640
	ds_read_b128 v[220:223], v2 offset:1072
	v_mul_f64 v[102:103], v[202:203], v[102:103]
	v_fma_f64 v[248:249], v[200:201], v[100:101], -v[102:103]
	ds_read_b128 v[100:103], v2 offset:1088
	ds_read_b128 v[200:203], v2 offset:1104
	v_mul_f64 v[106:107], v[190:191], v[106:107]
	s_waitcnt vmcnt(15) lgkmcnt(2)
	v_mul_f64 v[204:205], v[220:221], v[62:63]
	v_fma_f64 v[250:251], v[188:189], v[104:105], -v[106:107]
	ds_read_b128 v[104:107], v2 offset:1120
	v_fmac_f64_e32 v[204:205], v[222:223], v[60:61]
	v_add_f64 v[0:1], v[0:1], v[204:205]
	s_waitcnt vmcnt(14) lgkmcnt(2)
	v_mul_f64 v[204:205], v[100:101], v[66:67]
	v_fmac_f64_e32 v[204:205], v[102:103], v[64:65]
	s_waitcnt vmcnt(13) lgkmcnt(1)
	v_mul_f64 v[188:189], v[200:201], v[70:71]
	v_add_f64 v[0:1], v[0:1], v[204:205]
	v_fmac_f64_e32 v[188:189], v[202:203], v[68:69]
	v_add_f64 v[0:1], v[0:1], v[188:189]
	v_mul_f64 v[110:111], v[210:211], v[110:111]
	s_waitcnt vmcnt(12) lgkmcnt(0)
	v_mul_f64 v[188:189], v[104:105], v[74:75]
	v_fma_f64 v[208:209], v[208:209], v[108:109], -v[110:111]
	ds_read_b128 v[108:111], v2 offset:1136
	v_fmac_f64_e32 v[188:189], v[106:107], v[72:73]
	v_add_f64 v[0:1], v[0:1], v[188:189]
	ds_read_b128 v[188:191], v2 offset:1152
	v_mul_f64 v[114:115], v[194:195], v[114:115]
	v_fma_f64 v[210:211], v[192:193], v[112:113], -v[114:115]
	ds_read_b128 v[112:115], v2 offset:1168
	v_mul_f64 v[118:119], v[178:179], v[118:119]
	s_waitcnt vmcnt(11) lgkmcnt(2)
	v_mul_f64 v[204:205], v[108:109], v[78:79]
	v_fma_f64 v[252:253], v[176:177], v[116:117], -v[118:119]
	ds_read_b128 v[116:119], v2 offset:1184
	v_fmac_f64_e32 v[204:205], v[110:111], v[76:77]
	s_waitcnt vmcnt(10) lgkmcnt(2)
	v_mul_f64 v[192:193], v[188:189], v[82:83]
	v_add_f64 v[0:1], v[0:1], v[204:205]
	v_fmac_f64_e32 v[192:193], v[190:191], v[80:81]
	ds_read_b128 v[176:179], v2 offset:1200
	v_mul_f64 v[122:123], v[198:199], v[122:123]
	v_add_f64 v[0:1], v[0:1], v[192:193]
	s_waitcnt vmcnt(9) lgkmcnt(2)
	v_mul_f64 v[192:193], v[112:113], v[86:87]
	v_fma_f64 v[254:255], v[196:197], v[120:121], -v[122:123]
	ds_read_b128 v[120:123], v2 offset:1216
	v_fmac_f64_e32 v[192:193], v[114:115], v[84:85]
	v_accvgpr_write_b32 a89, v7
	v_add_f64 v[0:1], v[0:1], v[192:193]
	s_waitcnt vmcnt(8) lgkmcnt(2)
	v_mul_f64 v[192:193], v[116:117], v[146:147]
	v_mul_f64 v[126:127], v[182:183], v[126:127]
	v_accvgpr_write_b32 a88, v6
	v_accvgpr_write_b32 a87, v5
	;; [unrolled: 1-line block ×3, first 2 shown]
	v_fmac_f64_e32 v[192:193], v[118:119], v[144:145]
	v_fma_f64 v[4:5], v[180:181], v[124:125], -v[126:127]
	ds_read_b128 v[124:127], v2 offset:1232
	ds_read_b128 v[180:183], v2 offset:1248
	v_add_f64 v[0:1], v[0:1], v[192:193]
	s_waitcnt vmcnt(7) lgkmcnt(3)
	v_mul_f64 v[192:193], v[176:177], v[150:151]
	v_fmac_f64_e32 v[192:193], v[178:179], v[148:149]
	s_waitcnt vmcnt(6) lgkmcnt(2)
	v_mul_f64 v[6:7], v[120:121], v[154:155]
	v_add_f64 v[0:1], v[0:1], v[192:193]
	v_fmac_f64_e32 v[6:7], v[122:123], v[152:153]
	v_add_f64 v[0:1], v[0:1], v[6:7]
	v_mul_f64 v[6:7], v[170:171], v[130:131]
	v_fma_f64 v[6:7], v[168:169], v[128:129], -v[6:7]
	s_waitcnt vmcnt(5) lgkmcnt(1)
	v_mul_f64 v[168:169], v[124:125], v[158:159]
	v_fmac_f64_e32 v[168:169], v[126:127], v[156:157]
	v_add_f64 v[0:1], v[0:1], v[168:169]
	s_waitcnt vmcnt(4) lgkmcnt(0)
	v_mul_f64 v[168:169], v[180:181], v[162:163]
	ds_read_b128 v[128:131], v2 offset:1264
	v_fmac_f64_e32 v[168:169], v[182:183], v[160:161]
	v_mul_f64 v[134:135], v[186:187], v[134:135]
	v_add_f64 v[0:1], v[0:1], v[168:169]
	v_fma_f64 v[132:133], v[184:185], v[132:133], -v[134:135]
	ds_read_b128 v[168:171], v2 offset:1280
	v_accvgpr_write_b32 a90, v132
	v_accvgpr_write_b32 a91, v133
	ds_read_b128 v[132:135], v2 offset:1296
	v_mul_f64 v[138:139], v[174:175], v[138:139]
	s_waitcnt vmcnt(3) lgkmcnt(2)
	v_mul_f64 v[192:193], v[128:129], v[166:167]
	v_fma_f64 v[246:247], v[172:173], v[136:137], -v[138:139]
	ds_read_b128 v[136:139], v2 offset:1312
	v_fmac_f64_e32 v[192:193], v[130:131], v[164:165]
	s_waitcnt vmcnt(2) lgkmcnt(2)
	v_mul_f64 v[172:173], v[168:169], v[94:95]
	v_add_f64 v[0:1], v[0:1], v[192:193]
	v_fmac_f64_e32 v[172:173], v[170:171], v[92:93]
	v_add_f64 v[0:1], v[0:1], v[172:173]
	s_waitcnt vmcnt(1) lgkmcnt(1)
	v_mul_f64 v[172:173], v[132:133], v[90:91]
	v_fmac_f64_e32 v[172:173], v[134:135], v[88:89]
	v_add_f64 v[0:1], v[0:1], v[172:173]
	s_waitcnt vmcnt(0) lgkmcnt(0)
	v_mul_f64 v[172:173], v[136:137], v[98:99]
	v_fmac_f64_e32 v[172:173], v[138:139], v[96:97]
	v_add_f64 v[0:1], v[0:1], v[172:173]
	scratch_load_dwordx4 v[172:175], off, off offset:656
	ds_read_b128 v[184:187], v2 offset:1328
	ds_read_b128 v[196:199], v2 offset:1344
	s_waitcnt vmcnt(0) lgkmcnt(1)
	v_mul_f64 v[192:193], v[184:185], v[174:175]
	v_fmac_f64_e32 v[192:193], v[186:187], v[172:173]
	v_add_f64 v[0:1], v[0:1], v[192:193]
	scratch_load_dwordx4 v[192:195], off, off offset:672
	s_waitcnt vmcnt(0) lgkmcnt(0)
	v_mul_f64 v[204:205], v[196:197], v[194:195]
	v_fmac_f64_e32 v[204:205], v[198:199], v[192:193]
	v_add_f64 v[212:213], v[0:1], v[204:205]
	scratch_load_dwordx4 v[204:207], off, off offset:688
	ds_read_b128 v[0:3], v2 offset:1360
	s_waitcnt vmcnt(0) lgkmcnt(0)
	v_mul_f64 v[214:215], v[0:1], v[206:207]
	v_fmac_f64_e32 v[214:215], v[2:3], v[204:205]
	v_add_f64 v[212:213], v[212:213], v[214:215]
	v_add_f64 v[214:215], v[240:241], 0
	;; [unrolled: 1-line block ×11, first 2 shown]
	scratch_load_dwordx4 v[208:211], off, off offset:16
	v_add_f64 v[248:249], v[4:5], v[6:7]
	v_accvgpr_read_b32 v4, a90
	v_accvgpr_read_b32 v243, a89
	;; [unrolled: 1-line block ×4, first 2 shown]
	v_add_f64 v[4:5], v[248:249], v[4:5]
	v_accvgpr_read_b32 v241, a87
	v_accvgpr_read_b32 v240, a86
	v_mul_f64 v[6:7], v[46:47], v[242:243]
	v_add_f64 v[4:5], v[4:5], v[246:247]
	v_fma_f64 v[6:7], v[44:45], v[240:241], -v[6:7]
	v_add_f64 v[4:5], v[4:5], v[6:7]
	v_mul_f64 v[6:7], v[42:43], v[10:11]
	v_fma_f64 v[6:7], v[40:41], v[8:9], -v[6:7]
	v_add_f64 v[4:5], v[4:5], v[6:7]
	v_mul_f64 v[6:7], v[34:35], v[14:15]
	;; [unrolled: 3-line block ×27, first 2 shown]
	v_fma_f64 v[6:7], v[196:197], v[192:193], -v[6:7]
	v_mul_f64 v[2:3], v[2:3], v[206:207]
	v_add_f64 v[4:5], v[4:5], v[6:7]
	v_fma_f64 v[0:1], v[0:1], v[204:205], -v[2:3]
	v_add_f64 v[0:1], v[4:5], v[0:1]
	s_waitcnt vmcnt(0)
	v_add_f64 v[0:1], v[208:209], -v[0:1]
	v_add_f64 v[2:3], v[210:211], -v[212:213]
	scratch_store_dwordx4 off, v[0:3], off offset:16
	s_cbranch_vccz .LBB42_356
; %bb.272:
	s_nop 0
	v_mov_b32_e32 v0, 0
	global_load_dword v1, v0, s[16:17] offset:164
	s_waitcnt vmcnt(0)
	v_readfirstlane_b32 s0, v1
	s_add_i32 s0, s0, -1
	s_cmp_lg_u32 s0, 41
	s_cbranch_scc0 .LBB42_274
; %bb.273:
	s_lshl_b32 s0, s0, 4
	s_add_i32 s0, s0, 16
	scratch_load_dwordx4 v[2:5], off, s0
	scratch_load_dwordx4 v[6:9], off, s22
	s_waitcnt vmcnt(1)
	scratch_store_dwordx4 off, v[2:5], s22
	s_waitcnt vmcnt(1)
	scratch_store_dwordx4 off, v[6:9], s0
.LBB42_274:
	global_load_dword v0, v0, s[16:17] offset:160
	s_waitcnt vmcnt(0)
	v_readfirstlane_b32 s0, v0
	s_add_i32 s0, s0, -1
	s_cmp_eq_u32 s0, 40
	s_cbranch_scc1 .LBB42_276
; %bb.275:
	s_lshl_b32 s0, s0, 4
	s_add_i32 s0, s0, 16
	scratch_load_dwordx4 v[0:3], off, s0
	scratch_load_dwordx4 v[4:7], off, s56
	s_waitcnt vmcnt(1)
	scratch_store_dwordx4 off, v[0:3], s56
	s_waitcnt vmcnt(1)
	scratch_store_dwordx4 off, v[4:7], s0
.LBB42_276:
	v_mov_b32_e32 v0, 0
	global_load_dword v1, v0, s[16:17] offset:156
	s_waitcnt vmcnt(0)
	v_readfirstlane_b32 s0, v1
	s_add_i32 s0, s0, -1
	s_cmp_eq_u32 s0, 39
	s_cbranch_scc1 .LBB42_278
; %bb.277:
	s_lshl_b32 s0, s0, 4
	s_add_i32 s0, s0, 16
	scratch_load_dwordx4 v[2:5], off, s0
	scratch_load_dwordx4 v[6:9], off, s55
	s_waitcnt vmcnt(1)
	scratch_store_dwordx4 off, v[2:5], s55
	s_waitcnt vmcnt(1)
	scratch_store_dwordx4 off, v[6:9], s0
.LBB42_278:
	global_load_dword v0, v0, s[16:17] offset:152
	s_waitcnt vmcnt(0)
	v_readfirstlane_b32 s0, v0
	s_add_i32 s0, s0, -1
	s_cmp_eq_u32 s0, 38
	s_cbranch_scc1 .LBB42_280
; %bb.279:
	s_lshl_b32 s0, s0, 4
	s_add_i32 s0, s0, 16
	scratch_load_dwordx4 v[0:3], off, s0
	scratch_load_dwordx4 v[4:7], off, s54
	s_waitcnt vmcnt(1)
	scratch_store_dwordx4 off, v[0:3], s54
	s_waitcnt vmcnt(1)
	scratch_store_dwordx4 off, v[4:7], s0
.LBB42_280:
	v_mov_b32_e32 v0, 0
	global_load_dword v1, v0, s[16:17] offset:148
	s_waitcnt vmcnt(0)
	v_readfirstlane_b32 s0, v1
	s_add_i32 s0, s0, -1
	s_cmp_eq_u32 s0, 37
	s_cbranch_scc1 .LBB42_282
; %bb.281:
	s_lshl_b32 s0, s0, 4
	s_add_i32 s0, s0, 16
	scratch_load_dwordx4 v[2:5], off, s0
	scratch_load_dwordx4 v[6:9], off, s53
	s_waitcnt vmcnt(1)
	scratch_store_dwordx4 off, v[2:5], s53
	s_waitcnt vmcnt(1)
	scratch_store_dwordx4 off, v[6:9], s0
.LBB42_282:
	;; [unrolled: 33-line block ×20, first 2 shown]
	global_load_dword v0, v0, s[16:17]
	s_waitcnt vmcnt(0)
	v_readfirstlane_b32 s0, v0
	s_add_i32 s0, s0, -1
	s_cmp_eq_u32 s0, 0
	s_cbranch_scc1 .LBB42_356
; %bb.355:
	s_lshl_b32 s0, s0, 4
	s_add_i32 s0, s0, 16
	scratch_load_dwordx4 v[0:3], off, s0
	scratch_load_dwordx4 v[4:7], off, off offset:16
	s_waitcnt vmcnt(1)
	scratch_store_dwordx4 off, v[0:3], off offset:16
	s_waitcnt vmcnt(1)
	scratch_store_dwordx4 off, v[4:7], s0
.LBB42_356:
	scratch_load_dwordx4 v[0:3], off, off offset:16
	s_nop 0
	scratch_load_dwordx4 v[4:7], off, s15
	scratch_load_dwordx4 v[8:11], off, s12
	;; [unrolled: 1-line block ×9, first 2 shown]
                                        ; kill: killed $sgpr15
                                        ; kill: killed $sgpr58
                                        ; kill: killed $sgpr24
                                        ; kill: killed $sgpr20
                                        ; kill: killed $sgpr14
                                        ; kill: killed $sgpr13
                                        ; kill: killed $sgpr57
                                        ; kill: killed $sgpr12
                                        ; kill: killed $sgpr21
	scratch_load_dwordx4 v[40:43], off, s25
	scratch_load_dwordx4 v[44:47], off, s26
	;; [unrolled: 1-line block ×31, first 2 shown]
	v_accvgpr_read_b32 v165, a1
	v_accvgpr_read_b32 v164, a0
	;; [unrolled: 1-line block ×4, first 2 shown]
	s_waitcnt vmcnt(40)
	global_store_dwordx4 v[164:165], v[0:3], off
	scratch_load_dwordx4 v[0:3], off, s22
	s_nop 0
	scratch_load_dwordx4 v[164:167], off, s23
	s_waitcnt vmcnt(42)
	global_store_dwordx4 v[168:169], v[4:7], off
	s_nop 1
	v_accvgpr_read_b32 v4, a4
	v_accvgpr_read_b32 v5, a5
	s_waitcnt vmcnt(42)
	global_store_dwordx4 v[4:5], v[8:11], off
	v_accvgpr_read_b32 v4, a6
	v_accvgpr_read_b32 v5, a7
	s_waitcnt vmcnt(42)
	global_store_dwordx4 v[4:5], v[12:15], off
	;; [unrolled: 4-line block ×40, first 2 shown]
	s_nop 1
	v_accvgpr_read_b32 v0, a84
	v_accvgpr_read_b32 v1, a85
	s_waitcnt vmcnt(41)
	global_store_dwordx4 v[0:1], v[164:167], off
	s_endpgm
	.section	.rodata,"a",@progbits
	.p2align	6, 0x0
	.amdhsa_kernel _ZN9rocsolver6v33100L18getri_kernel_smallILi43E19rocblas_complex_numIdEPS3_EEvT1_iilPiilS6_bb
		.amdhsa_group_segment_fixed_size 1384
		.amdhsa_private_segment_fixed_size 720
		.amdhsa_kernarg_size 60
		.amdhsa_user_sgpr_count 2
		.amdhsa_user_sgpr_dispatch_ptr 0
		.amdhsa_user_sgpr_queue_ptr 0
		.amdhsa_user_sgpr_kernarg_segment_ptr 1
		.amdhsa_user_sgpr_dispatch_id 0
		.amdhsa_user_sgpr_kernarg_preload_length 0
		.amdhsa_user_sgpr_kernarg_preload_offset 0
		.amdhsa_user_sgpr_private_segment_size 0
		.amdhsa_uses_dynamic_stack 0
		.amdhsa_enable_private_segment 1
		.amdhsa_system_sgpr_workgroup_id_x 1
		.amdhsa_system_sgpr_workgroup_id_y 0
		.amdhsa_system_sgpr_workgroup_id_z 0
		.amdhsa_system_sgpr_workgroup_info 0
		.amdhsa_system_vgpr_workitem_id 0
		.amdhsa_next_free_vgpr 352
		.amdhsa_next_free_sgpr 59
		.amdhsa_accum_offset 256
		.amdhsa_reserve_vcc 1
		.amdhsa_float_round_mode_32 0
		.amdhsa_float_round_mode_16_64 0
		.amdhsa_float_denorm_mode_32 3
		.amdhsa_float_denorm_mode_16_64 3
		.amdhsa_dx10_clamp 1
		.amdhsa_ieee_mode 1
		.amdhsa_fp16_overflow 0
		.amdhsa_tg_split 0
		.amdhsa_exception_fp_ieee_invalid_op 0
		.amdhsa_exception_fp_denorm_src 0
		.amdhsa_exception_fp_ieee_div_zero 0
		.amdhsa_exception_fp_ieee_overflow 0
		.amdhsa_exception_fp_ieee_underflow 0
		.amdhsa_exception_fp_ieee_inexact 0
		.amdhsa_exception_int_div_zero 0
	.end_amdhsa_kernel
	.section	.text._ZN9rocsolver6v33100L18getri_kernel_smallILi43E19rocblas_complex_numIdEPS3_EEvT1_iilPiilS6_bb,"axG",@progbits,_ZN9rocsolver6v33100L18getri_kernel_smallILi43E19rocblas_complex_numIdEPS3_EEvT1_iilPiilS6_bb,comdat
.Lfunc_end42:
	.size	_ZN9rocsolver6v33100L18getri_kernel_smallILi43E19rocblas_complex_numIdEPS3_EEvT1_iilPiilS6_bb, .Lfunc_end42-_ZN9rocsolver6v33100L18getri_kernel_smallILi43E19rocblas_complex_numIdEPS3_EEvT1_iilPiilS6_bb
                                        ; -- End function
	.set _ZN9rocsolver6v33100L18getri_kernel_smallILi43E19rocblas_complex_numIdEPS3_EEvT1_iilPiilS6_bb.num_vgpr, 256
	.set _ZN9rocsolver6v33100L18getri_kernel_smallILi43E19rocblas_complex_numIdEPS3_EEvT1_iilPiilS6_bb.num_agpr, 96
	.set _ZN9rocsolver6v33100L18getri_kernel_smallILi43E19rocblas_complex_numIdEPS3_EEvT1_iilPiilS6_bb.numbered_sgpr, 59
	.set _ZN9rocsolver6v33100L18getri_kernel_smallILi43E19rocblas_complex_numIdEPS3_EEvT1_iilPiilS6_bb.num_named_barrier, 0
	.set _ZN9rocsolver6v33100L18getri_kernel_smallILi43E19rocblas_complex_numIdEPS3_EEvT1_iilPiilS6_bb.private_seg_size, 720
	.set _ZN9rocsolver6v33100L18getri_kernel_smallILi43E19rocblas_complex_numIdEPS3_EEvT1_iilPiilS6_bb.uses_vcc, 1
	.set _ZN9rocsolver6v33100L18getri_kernel_smallILi43E19rocblas_complex_numIdEPS3_EEvT1_iilPiilS6_bb.uses_flat_scratch, 0
	.set _ZN9rocsolver6v33100L18getri_kernel_smallILi43E19rocblas_complex_numIdEPS3_EEvT1_iilPiilS6_bb.has_dyn_sized_stack, 0
	.set _ZN9rocsolver6v33100L18getri_kernel_smallILi43E19rocblas_complex_numIdEPS3_EEvT1_iilPiilS6_bb.has_recursion, 0
	.set _ZN9rocsolver6v33100L18getri_kernel_smallILi43E19rocblas_complex_numIdEPS3_EEvT1_iilPiilS6_bb.has_indirect_call, 0
	.section	.AMDGPU.csdata,"",@progbits
; Kernel info:
; codeLenInByte = 80084
; TotalNumSgprs: 65
; NumVgprs: 256
; NumAgprs: 96
; TotalNumVgprs: 352
; ScratchSize: 720
; MemoryBound: 0
; FloatMode: 240
; IeeeMode: 1
; LDSByteSize: 1384 bytes/workgroup (compile time only)
; SGPRBlocks: 8
; VGPRBlocks: 43
; NumSGPRsForWavesPerEU: 65
; NumVGPRsForWavesPerEU: 352
; AccumOffset: 256
; Occupancy: 1
; WaveLimiterHint : 1
; COMPUTE_PGM_RSRC2:SCRATCH_EN: 1
; COMPUTE_PGM_RSRC2:USER_SGPR: 2
; COMPUTE_PGM_RSRC2:TRAP_HANDLER: 0
; COMPUTE_PGM_RSRC2:TGID_X_EN: 1
; COMPUTE_PGM_RSRC2:TGID_Y_EN: 0
; COMPUTE_PGM_RSRC2:TGID_Z_EN: 0
; COMPUTE_PGM_RSRC2:TIDIG_COMP_CNT: 0
; COMPUTE_PGM_RSRC3_GFX90A:ACCUM_OFFSET: 63
; COMPUTE_PGM_RSRC3_GFX90A:TG_SPLIT: 0
	.section	.text._ZN9rocsolver6v33100L18getri_kernel_smallILi44E19rocblas_complex_numIdEPS3_EEvT1_iilPiilS6_bb,"axG",@progbits,_ZN9rocsolver6v33100L18getri_kernel_smallILi44E19rocblas_complex_numIdEPS3_EEvT1_iilPiilS6_bb,comdat
	.globl	_ZN9rocsolver6v33100L18getri_kernel_smallILi44E19rocblas_complex_numIdEPS3_EEvT1_iilPiilS6_bb ; -- Begin function _ZN9rocsolver6v33100L18getri_kernel_smallILi44E19rocblas_complex_numIdEPS3_EEvT1_iilPiilS6_bb
	.p2align	8
	.type	_ZN9rocsolver6v33100L18getri_kernel_smallILi44E19rocblas_complex_numIdEPS3_EEvT1_iilPiilS6_bb,@function
_ZN9rocsolver6v33100L18getri_kernel_smallILi44E19rocblas_complex_numIdEPS3_EEvT1_iilPiilS6_bb: ; @_ZN9rocsolver6v33100L18getri_kernel_smallILi44E19rocblas_complex_numIdEPS3_EEvT1_iilPiilS6_bb
; %bb.0:
	v_mov_b32_e32 v246, v0
	v_cmp_gt_u32_e32 vcc, 44, v246
	s_and_saveexec_b64 s[4:5], vcc
	s_cbranch_execz .LBB43_190
; %bb.1:
	s_load_dword s8, s[0:1], 0x38
	s_load_dwordx4 s[12:15], s[0:1], 0x10
	s_load_dwordx4 s[4:7], s[0:1], 0x28
                                        ; implicit-def: $sgpr16_sgpr17
	s_waitcnt lgkmcnt(0)
	s_bitcmp1_b32 s8, 8
	s_cselect_b64 s[18:19], -1, 0
	s_ashr_i32 s3, s2, 31
	s_bfe_u32 s8, s8, 0x10008
	s_cmp_eq_u32 s8, 0
	s_cbranch_scc1 .LBB43_3
; %bb.2:
	s_load_dword s8, s[0:1], 0x20
	s_mul_i32 s9, s4, s3
	s_mul_hi_u32 s10, s4, s2
	s_mul_i32 s5, s5, s2
	s_add_i32 s10, s10, s9
	s_add_i32 s5, s10, s5
	s_mul_i32 s4, s4, s2
	s_waitcnt lgkmcnt(0)
	s_ashr_i32 s9, s8, 31
	s_lshl_b64 s[4:5], s[4:5], 2
	s_add_u32 s10, s14, s4
	s_addc_u32 s11, s15, s5
	s_lshl_b64 s[4:5], s[8:9], 2
	s_add_u32 s16, s10, s4
	s_addc_u32 s17, s11, s5
.LBB43_3:
	s_load_dwordx4 s[8:11], s[0:1], 0x0
	s_load_dword s4, s[0:1], 0x38
	s_mul_i32 s5, s12, s3
	s_mul_hi_u32 s14, s12, s2
	s_add_i32 s5, s14, s5
	s_waitcnt lgkmcnt(0)
	s_ashr_i32 s1, s10, 31
	s_mov_b32 s0, s10
	s_mul_i32 s10, s13, s2
	s_add_i32 s13, s5, s10
	s_mul_i32 s12, s12, s2
	s_lshl_b64 s[12:13], s[12:13], 4
	s_add_u32 s5, s8, s12
	s_addc_u32 s8, s9, s13
	s_lshl_b64 s[0:1], s[0:1], 4
	s_add_u32 s0, s5, s0
	s_addc_u32 s1, s8, s1
	v_lshlrev_b32_e32 v62, 4, v246
	v_mov_b32_e32 v63, 0
	s_add_i32 s5, s11, s11
	v_lshl_add_u64 v[0:1], s[0:1], 0, v[62:63]
	v_add_u32_e32 v2, s5, v246
	s_ashr_i32 s9, s11, 31
	s_mov_b32 s8, s11
	v_accvgpr_write_b32 a0, v0
	v_ashrrev_i32_e32 v3, 31, v2
	global_load_dwordx4 v[54:57], v62, s[0:1]
	v_accvgpr_write_b32 a1, v1
	v_lshl_add_u64 v[0:1], s[8:9], 4, v[0:1]
	v_lshl_add_u64 v[4:5], v[2:3], 4, s[0:1]
	v_add_u32_e32 v2, s11, v2
	v_accvgpr_write_b32 a3, v1
	global_load_dwordx4 v[58:61], v[0:1], off
	v_ashrrev_i32_e32 v3, 31, v2
	v_accvgpr_write_b32 a2, v0
	global_load_dwordx4 v[64:67], v[4:5], off
	v_lshl_add_u64 v[0:1], v[2:3], 4, s[0:1]
	global_load_dwordx4 v[68:71], v[0:1], off
	v_add_u32_e32 v2, s11, v2
	v_add_u32_e32 v6, s11, v2
	;; [unrolled: 1-line block ×3, first 2 shown]
	v_accvgpr_write_b32 a7, v1
	v_ashrrev_i32_e32 v3, 31, v2
	v_ashrrev_i32_e32 v9, 31, v8
	v_add_u32_e32 v14, s11, v8
	v_accvgpr_write_b32 a6, v0
	v_lshl_add_u64 v[0:1], v[2:3], 4, s[0:1]
	v_lshl_add_u64 v[10:11], v[8:9], 4, s[0:1]
	v_add_u32_e32 v16, s11, v14
	v_accvgpr_write_b32 a4, v4
	v_ashrrev_i32_e32 v7, 31, v6
	v_accvgpr_write_b32 a9, v1
	v_accvgpr_write_b32 a13, v11
	v_ashrrev_i32_e32 v17, 31, v16
	v_add_u32_e32 v22, s11, v16
	v_accvgpr_write_b32 a5, v5
	v_accvgpr_write_b32 a8, v0
	global_load_dwordx4 v[2:5], v[0:1], off
	v_accvgpr_write_b32 a12, v10
	global_load_dwordx4 v[10:13], v[10:11], off
	v_lshl_add_u64 v[0:1], v[6:7], 4, s[0:1]
	v_lshl_add_u64 v[18:19], v[16:17], 4, s[0:1]
	v_add_u32_e32 v24, s11, v22
	v_ashrrev_i32_e32 v15, 31, v14
	v_accvgpr_write_b32 a11, v1
	v_accvgpr_write_b32 a16, v18
	v_ashrrev_i32_e32 v25, 31, v24
	v_add_u32_e32 v30, s11, v24
	v_accvgpr_write_b32 a10, v0
	global_load_dwordx4 v[6:9], v[0:1], off
	v_accvgpr_write_b32 a17, v19
	global_load_dwordx4 v[18:21], v[18:19], off
	v_lshl_add_u64 v[0:1], v[14:15], 4, s[0:1]
	v_lshl_add_u64 v[26:27], v[24:25], 4, s[0:1]
	v_add_u32_e32 v32, s11, v30
	v_ashrrev_i32_e32 v23, 31, v22
	v_accvgpr_write_b32 a15, v1
	v_accvgpr_write_b32 a20, v26
	v_ashrrev_i32_e32 v33, 31, v32
	v_add_u32_e32 v38, s11, v32
	;; [unrolled: 12-line block ×3, first 2 shown]
	v_accvgpr_write_b32 a18, v0
	global_load_dwordx4 v[22:25], v[0:1], off
	v_accvgpr_write_b32 a25, v35
	global_load_dwordx4 v[34:37], v[34:35], off
	v_lshl_add_u64 v[0:1], v[30:31], 4, s[0:1]
	v_lshl_add_u64 v[42:43], v[40:41], 4, s[0:1]
	v_add_u32_e32 v48, s11, v46
	v_ashrrev_i32_e32 v39, 31, v38
	v_accvgpr_write_b32 a23, v1
	v_accvgpr_write_b32 a28, v42
	v_ashrrev_i32_e32 v49, 31, v48
	v_accvgpr_write_b32 a22, v0
	global_load_dwordx4 v[30:33], v[0:1], off
	v_accvgpr_write_b32 a29, v43
	global_load_dwordx4 v[42:45], v[42:43], off
	v_lshl_add_u64 v[0:1], v[38:39], 4, s[0:1]
	v_lshl_add_u64 v[50:51], v[48:49], 4, s[0:1]
	v_ashrrev_i32_e32 v47, 31, v46
	v_accvgpr_write_b32 a27, v1
	v_add_u32_e32 v72, s11, v48
	v_accvgpr_write_b32 a32, v50
	v_accvgpr_write_b32 a26, v0
	global_load_dwordx4 v[38:41], v[0:1], off
	v_add_u32_e32 v74, s11, v72
	v_accvgpr_write_b32 a33, v51
	global_load_dwordx4 v[50:53], v[50:51], off
	v_lshl_add_u64 v[0:1], v[46:47], 4, s[0:1]
	v_ashrrev_i32_e32 v73, 31, v72
	v_accvgpr_write_b32 a31, v1
	v_ashrrev_i32_e32 v75, 31, v74
	v_accvgpr_write_b32 a30, v0
	global_load_dwordx4 v[46:49], v[0:1], off
	v_lshl_add_u64 v[0:1], v[72:73], 4, s[0:1]
	v_lshl_add_u64 v[72:73], v[74:75], 4, s[0:1]
	s_waitcnt vmcnt(16)
	scratch_store_dwordx4 off, v[54:57], off offset:16
	s_waitcnt vmcnt(16)
	scratch_store_dwordx4 off, v[58:61], off offset:32
	;; [unrolled: 2-line block ×4, first 2 shown]
	v_accvgpr_write_b32 a36, v72
	v_add_u32_e32 v64, s11, v74
	v_accvgpr_write_b32 a37, v73
	global_load_dwordx4 v[58:61], v[72:73], off
	v_add_u32_e32 v72, s11, v64
	v_ashrrev_i32_e32 v73, 31, v72
	v_lshl_add_u64 v[68:69], v[72:73], 4, s[0:1]
	v_add_u32_e32 v72, s11, v72
	v_add_u32_e32 v80, s11, v72
	v_ashrrev_i32_e32 v81, 31, v80
	v_lshl_add_u64 v[76:77], v[80:81], 4, s[0:1]
	v_add_u32_e32 v80, s11, v80
	;; [unrolled: 4-line block ×4, first 2 shown]
	v_add_u32_e32 v104, s11, v96
	v_ashrrev_i32_e32 v105, 31, v104
	v_accvgpr_write_b32 a35, v1
	global_load_dwordx4 v[54:57], v[0:1], off
	v_ashrrev_i32_e32 v65, 31, v64
	v_accvgpr_write_b32 a40, v68
	v_lshl_add_u64 v[100:101], v[104:105], 4, s[0:1]
	v_add_u32_e32 v104, s11, v104
	v_accvgpr_write_b32 a34, v0
	v_accvgpr_write_b32 a41, v69
	global_load_dwordx4 v[68:71], v[68:69], off
	v_lshl_add_u64 v[0:1], v[64:65], 4, s[0:1]
	v_add_u32_e32 v112, s11, v104
	v_accvgpr_write_b32 a39, v1
	global_load_dwordx4 v[64:67], v[0:1], off
	v_ashrrev_i32_e32 v73, 31, v72
	v_accvgpr_write_b32 a44, v76
	v_ashrrev_i32_e32 v113, 31, v112
	v_accvgpr_write_b32 a38, v0
	v_accvgpr_write_b32 a45, v77
	global_load_dwordx4 v[76:79], v[76:77], off
	v_lshl_add_u64 v[0:1], v[72:73], 4, s[0:1]
	v_lshl_add_u64 v[108:109], v[112:113], 4, s[0:1]
	v_add_u32_e32 v112, s11, v112
	v_accvgpr_write_b32 a43, v1
	global_load_dwordx4 v[72:75], v[0:1], off
	v_ashrrev_i32_e32 v81, 31, v80
	v_accvgpr_write_b32 a48, v84
	v_add_u32_e32 v120, s11, v112
	v_accvgpr_write_b32 a42, v0
	v_accvgpr_write_b32 a49, v85
	global_load_dwordx4 v[84:87], v[84:85], off
	v_lshl_add_u64 v[0:1], v[80:81], 4, s[0:1]
	v_ashrrev_i32_e32 v121, 31, v120
	v_accvgpr_write_b32 a47, v1
	global_load_dwordx4 v[80:83], v[0:1], off
	v_ashrrev_i32_e32 v89, 31, v88
	v_accvgpr_write_b32 a52, v92
	v_lshl_add_u64 v[116:117], v[120:121], 4, s[0:1]
	v_add_u32_e32 v120, s11, v120
	v_accvgpr_write_b32 a46, v0
	v_accvgpr_write_b32 a53, v93
	global_load_dwordx4 v[92:95], v[92:93], off
	v_lshl_add_u64 v[0:1], v[88:89], 4, s[0:1]
	v_add_u32_e32 v128, s11, v120
	v_accvgpr_write_b32 a51, v1
	global_load_dwordx4 v[88:91], v[0:1], off
	v_ashrrev_i32_e32 v97, 31, v96
	v_accvgpr_write_b32 a56, v100
	v_ashrrev_i32_e32 v129, 31, v128
	v_accvgpr_write_b32 a50, v0
	v_accvgpr_write_b32 a57, v101
	global_load_dwordx4 v[100:103], v[100:101], off
	v_lshl_add_u64 v[0:1], v[96:97], 4, s[0:1]
	v_lshl_add_u64 v[124:125], v[128:129], 4, s[0:1]
	v_add_u32_e32 v128, s11, v128
	v_accvgpr_write_b32 a55, v1
	global_load_dwordx4 v[96:99], v[0:1], off
	v_ashrrev_i32_e32 v105, 31, v104
	v_accvgpr_write_b32 a60, v108
	v_add_u32_e32 v136, s11, v128
	v_accvgpr_write_b32 a54, v0
	v_accvgpr_write_b32 a61, v109
	global_load_dwordx4 v[108:111], v[108:109], off
	v_lshl_add_u64 v[0:1], v[104:105], 4, s[0:1]
	;; [unrolled: 32-line block ×3, first 2 shown]
	v_ashrrev_i32_e32 v153, 31, v152
	v_accvgpr_write_b32 a71, v1
	global_load_dwordx4 v[128:131], v[0:1], off
	v_ashrrev_i32_e32 v137, 31, v136
	v_accvgpr_write_b32 a76, v140
	v_lshl_add_u64 v[148:149], v[152:153], 4, s[0:1]
	v_add_u32_e32 v152, s11, v152
	v_accvgpr_write_b32 a70, v0
	v_accvgpr_write_b32 a77, v141
	global_load_dwordx4 v[140:143], v[140:141], off
	v_lshl_add_u64 v[0:1], v[136:137], 4, s[0:1]
	v_add_u32_e32 v160, s11, v152
	v_accvgpr_write_b32 a75, v1
	global_load_dwordx4 v[136:139], v[0:1], off
	v_ashrrev_i32_e32 v145, 31, v144
	v_accvgpr_write_b32 a80, v148
	v_ashrrev_i32_e32 v161, 31, v160
	v_accvgpr_write_b32 a74, v0
	v_accvgpr_write_b32 a81, v149
	global_load_dwordx4 v[148:151], v[148:149], off
	v_lshl_add_u64 v[0:1], v[144:145], 4, s[0:1]
	v_lshl_add_u64 v[156:157], v[160:161], 4, s[0:1]
	v_accvgpr_write_b32 a79, v1
	global_load_dwordx4 v[144:147], v[0:1], off
	v_ashrrev_i32_e32 v153, 31, v152
	v_accvgpr_write_b32 a84, v156
	v_accvgpr_write_b32 a78, v0
	;; [unrolled: 1-line block ×3, first 2 shown]
	global_load_dwordx4 v[156:159], v[156:157], off
	v_lshl_add_u64 v[0:1], v[152:153], 4, s[0:1]
	v_add_u32_e32 v160, s11, v160
	v_accvgpr_write_b32 a83, v1
	global_load_dwordx4 v[152:155], v[0:1], off
	v_ashrrev_i32_e32 v161, 31, v160
	v_accvgpr_write_b32 a82, v0
	v_lshl_add_u64 v[0:1], v[160:161], 4, s[0:1]
	global_load_dwordx4 v[160:163], v[0:1], off
	s_movk_i32 s0, 0x50
	s_add_i32 s24, s0, 16
	s_movk_i32 s0, 0x60
	s_add_i32 s26, s0, 16
	;; [unrolled: 2-line block ×38, first 2 shown]
	s_movk_i32 s0, 0x2b0
	v_accvgpr_write_b32 a87, v1
	s_add_i32 s57, s0, 16
	v_accvgpr_write_b32 a86, v0
	s_mov_b32 s23, 32
	s_mov_b32 s12, 48
	;; [unrolled: 1-line block ×3, first 2 shown]
	s_movk_i32 s22, 0x50
	s_bitcmp0_b32 s4, 0
	s_mov_b64 s[4:5], -1
	s_waitcnt vmcnt(43)
	scratch_store_dwordx4 off, v[2:5], off offset:80
	s_waitcnt vmcnt(42)
	scratch_store_dwordx4 off, v[6:9], off offset:96
	scratch_store_dwordx4 off, v[10:13], off offset:112
	s_waitcnt vmcnt(42)
	scratch_store_dwordx4 off, v[14:17], off offset:128
	;; [unrolled: 3-line block ×20, first 2 shown]
	s_cbranch_scc1 .LBB43_188
; %bb.4:
	v_cmp_eq_u32_e64 s[0:1], 0, v246
	s_and_saveexec_b64 s[4:5], s[0:1]
; %bb.5:
	v_mov_b32_e32 v0, 0
	ds_write_b32 v0, v0 offset:1408
; %bb.6:
	s_or_b64 exec, exec, s[4:5]
	s_waitcnt lgkmcnt(0)
	; wave barrier
	scratch_load_dwordx4 v[2:5], v62, off offset:16
	s_waitcnt vmcnt(0)
	v_cmp_eq_f64_e32 vcc, 0, v[2:3]
	v_cmp_eq_f64_e64 s[4:5], 0, v[4:5]
	s_and_b64 s[4:5], vcc, s[4:5]
	s_and_saveexec_b64 s[8:9], s[4:5]
	s_cbranch_execz .LBB43_10
; %bb.7:
	v_mov_b32_e32 v1, 0
	ds_read_b32 v0, v1 offset:1408
	v_add_u32_e32 v2, 1, v246
	s_waitcnt lgkmcnt(0)
	v_readfirstlane_b32 s4, v0
	s_cmp_eq_u32 s4, 0
	s_cselect_b64 s[10:11], -1, 0
	v_cmp_gt_i32_e32 vcc, s4, v2
	s_or_b64 s[10:11], s[10:11], vcc
	s_and_b64 exec, exec, s[10:11]
	s_cbranch_execz .LBB43_10
; %bb.8:
	s_mov_b64 s[10:11], 0
	v_mov_b32_e32 v3, s4
.LBB43_9:                               ; =>This Inner Loop Header: Depth=1
	ds_cmpst_rtn_b32 v3, v1, v3, v2 offset:1408
	s_waitcnt lgkmcnt(0)
	v_cmp_ne_u32_e32 vcc, 0, v3
	v_cmp_le_i32_e64 s[4:5], v3, v2
	s_and_b64 s[4:5], vcc, s[4:5]
	s_and_b64 s[4:5], exec, s[4:5]
	s_or_b64 s[10:11], s[4:5], s[10:11]
	s_andn2_b64 exec, exec, s[10:11]
	s_cbranch_execnz .LBB43_9
.LBB43_10:
	s_or_b64 exec, exec, s[8:9]
	v_mov_b32_e32 v2, 0
	; wave barrier
	ds_read_b32 v1, v2 offset:1408
	s_and_saveexec_b64 s[4:5], s[0:1]
	s_cbranch_execz .LBB43_12
; %bb.11:
	s_lshl_b64 s[8:9], s[2:3], 2
	s_add_u32 s8, s6, s8
	s_addc_u32 s9, s7, s9
	s_waitcnt lgkmcnt(0)
	global_store_dword v2, v1, s[8:9]
.LBB43_12:
	s_or_b64 exec, exec, s[4:5]
	s_waitcnt lgkmcnt(0)
	v_cmp_ne_u32_e32 vcc, 0, v1
	s_mov_b64 s[4:5], 0
	s_cbranch_vccnz .LBB43_188
; %bb.13:
	v_add_u32_e32 v14, 16, v62
	scratch_load_dwordx4 v[2:5], v14, off
                                        ; implicit-def: $vgpr6_vgpr7
                                        ; implicit-def: $vgpr10_vgpr11
	s_waitcnt vmcnt(0)
	v_cmp_ngt_f64_e64 s[4:5], |v[2:3]|, |v[4:5]|
	s_and_saveexec_b64 s[8:9], s[4:5]
	s_xor_b64 s[4:5], exec, s[8:9]
	s_cbranch_execz .LBB43_15
; %bb.14:
	v_div_scale_f64 v[6:7], s[8:9], v[4:5], v[4:5], v[2:3]
	v_rcp_f64_e32 v[8:9], v[6:7]
	v_div_scale_f64 v[10:11], vcc, v[2:3], v[4:5], v[2:3]
	v_fma_f64 v[12:13], -v[6:7], v[8:9], 1.0
	v_fmac_f64_e32 v[8:9], v[8:9], v[12:13]
	v_fma_f64 v[12:13], -v[6:7], v[8:9], 1.0
	v_fmac_f64_e32 v[8:9], v[8:9], v[12:13]
	v_mul_f64 v[12:13], v[10:11], v[8:9]
	v_fma_f64 v[6:7], -v[6:7], v[12:13], v[10:11]
	v_div_fmas_f64 v[6:7], v[6:7], v[8:9], v[12:13]
	v_div_fixup_f64 v[6:7], v[6:7], v[4:5], v[2:3]
	v_fmac_f64_e32 v[4:5], v[2:3], v[6:7]
	v_div_scale_f64 v[2:3], s[8:9], v[4:5], v[4:5], 1.0
	v_rcp_f64_e32 v[8:9], v[2:3]
	s_nop 0
	v_fma_f64 v[10:11], -v[2:3], v[8:9], 1.0
	v_fmac_f64_e32 v[8:9], v[8:9], v[10:11]
	v_fma_f64 v[10:11], -v[2:3], v[8:9], 1.0
	v_fmac_f64_e32 v[8:9], v[8:9], v[10:11]
	v_div_scale_f64 v[10:11], vcc, 1.0, v[4:5], 1.0
	v_mul_f64 v[12:13], v[10:11], v[8:9]
	v_fma_f64 v[2:3], -v[2:3], v[12:13], v[10:11]
	s_nop 1
	v_div_fmas_f64 v[2:3], v[2:3], v[8:9], v[12:13]
	v_div_fixup_f64 v[8:9], v[2:3], v[4:5], 1.0
	v_mul_f64 v[6:7], v[6:7], v[8:9]
	v_xor_b32_e32 v9, 0x80000000, v9
	v_xor_b32_e32 v11, 0x80000000, v7
	v_mov_b32_e32 v10, v6
                                        ; implicit-def: $vgpr2_vgpr3
.LBB43_15:
	s_andn2_saveexec_b64 s[4:5], s[4:5]
	s_cbranch_execz .LBB43_17
; %bb.16:
	v_div_scale_f64 v[6:7], s[8:9], v[2:3], v[2:3], v[4:5]
	v_rcp_f64_e32 v[8:9], v[6:7]
	v_div_scale_f64 v[10:11], vcc, v[4:5], v[2:3], v[4:5]
	v_fma_f64 v[12:13], -v[6:7], v[8:9], 1.0
	v_fmac_f64_e32 v[8:9], v[8:9], v[12:13]
	v_fma_f64 v[12:13], -v[6:7], v[8:9], 1.0
	v_fmac_f64_e32 v[8:9], v[8:9], v[12:13]
	v_mul_f64 v[12:13], v[10:11], v[8:9]
	v_fma_f64 v[6:7], -v[6:7], v[12:13], v[10:11]
	v_div_fmas_f64 v[6:7], v[6:7], v[8:9], v[12:13]
	v_div_fixup_f64 v[8:9], v[6:7], v[2:3], v[4:5]
	v_fmac_f64_e32 v[2:3], v[4:5], v[8:9]
	v_div_scale_f64 v[4:5], s[8:9], v[2:3], v[2:3], 1.0
	v_rcp_f64_e32 v[6:7], v[4:5]
	s_nop 0
	v_fma_f64 v[10:11], -v[4:5], v[6:7], 1.0
	v_fmac_f64_e32 v[6:7], v[6:7], v[10:11]
	v_fma_f64 v[10:11], -v[4:5], v[6:7], 1.0
	v_fmac_f64_e32 v[6:7], v[6:7], v[10:11]
	v_div_scale_f64 v[10:11], vcc, 1.0, v[2:3], 1.0
	v_mul_f64 v[12:13], v[10:11], v[6:7]
	v_fma_f64 v[4:5], -v[4:5], v[12:13], v[10:11]
	s_nop 1
	v_div_fmas_f64 v[4:5], v[4:5], v[6:7], v[12:13]
	v_div_fixup_f64 v[6:7], v[4:5], v[2:3], 1.0
	v_xor_b32_e32 v11, 0x80000000, v7
	v_mov_b32_e32 v10, v6
	v_mul_f64 v[8:9], v[8:9], -v[6:7]
.LBB43_17:
	s_or_b64 exec, exec, s[4:5]
	scratch_store_dwordx4 v14, v[6:9], off
	scratch_load_dwordx4 v[2:5], off, s23
	v_xor_b32_e32 v13, 0x80000000, v9
	v_mov_b32_e32 v12, v8
	v_add_u32_e32 v1, 0x2c0, v62
	ds_write_b128 v62, v[10:13]
	s_waitcnt vmcnt(0)
	ds_write_b128 v62, v[2:5] offset:704
	s_waitcnt lgkmcnt(0)
	; wave barrier
	s_and_saveexec_b64 s[4:5], s[0:1]
	s_cbranch_execz .LBB43_19
; %bb.18:
	scratch_load_dwordx4 v[2:5], v14, off
	ds_read_b128 v[6:9], v1
	v_mov_b32_e32 v0, 0
	ds_read_b128 v[10:13], v0 offset:16
	s_waitcnt vmcnt(0) lgkmcnt(1)
	v_mul_f64 v[16:17], v[8:9], v[4:5]
	v_mul_f64 v[4:5], v[6:7], v[4:5]
	v_fma_f64 v[6:7], v[6:7], v[2:3], -v[16:17]
	v_fmac_f64_e32 v[4:5], v[8:9], v[2:3]
	v_add_f64 v[2:3], v[6:7], 0
	v_add_f64 v[6:7], v[4:5], 0
	s_waitcnt lgkmcnt(0)
	v_mul_f64 v[8:9], v[6:7], v[12:13]
	v_mul_f64 v[4:5], v[2:3], v[12:13]
	v_fma_f64 v[2:3], v[2:3], v[10:11], -v[8:9]
	v_fmac_f64_e32 v[4:5], v[6:7], v[10:11]
	scratch_store_dwordx4 off, v[2:5], off offset:32
.LBB43_19:
	s_or_b64 exec, exec, s[4:5]
	; wave barrier
	scratch_load_dwordx4 v[2:5], off, s12
	v_cmp_gt_u32_e32 vcc, 2, v246
	s_waitcnt vmcnt(0)
	ds_write_b128 v1, v[2:5]
	s_waitcnt lgkmcnt(0)
	; wave barrier
	s_and_saveexec_b64 s[4:5], vcc
	s_cbranch_execz .LBB43_23
; %bb.20:
	scratch_load_dwordx4 v[2:5], v14, off
	ds_read_b128 v[6:9], v1
	s_waitcnt vmcnt(0) lgkmcnt(0)
	v_mul_f64 v[10:11], v[8:9], v[4:5]
	v_mul_f64 v[12:13], v[6:7], v[4:5]
	v_fma_f64 v[4:5], v[6:7], v[2:3], -v[10:11]
	v_fmac_f64_e32 v[12:13], v[8:9], v[2:3]
	v_add_f64 v[4:5], v[4:5], 0
	v_add_f64 v[2:3], v[12:13], 0
	s_and_saveexec_b64 s[8:9], s[0:1]
	s_cbranch_execz .LBB43_22
; %bb.21:
	scratch_load_dwordx4 v[6:9], off, off offset:32
	v_mov_b32_e32 v0, 0
	ds_read_b128 v[10:13], v0 offset:720
	s_waitcnt vmcnt(0) lgkmcnt(0)
	v_mul_f64 v[14:15], v[10:11], v[8:9]
	v_mul_f64 v[8:9], v[12:13], v[8:9]
	v_fmac_f64_e32 v[14:15], v[12:13], v[6:7]
	v_fma_f64 v[6:7], v[10:11], v[6:7], -v[8:9]
	v_add_f64 v[2:3], v[2:3], v[14:15]
	v_add_f64 v[4:5], v[4:5], v[6:7]
.LBB43_22:
	s_or_b64 exec, exec, s[8:9]
	v_mov_b32_e32 v0, 0
	ds_read_b128 v[6:9], v0 offset:32
	s_waitcnt lgkmcnt(0)
	v_mul_f64 v[12:13], v[2:3], v[8:9]
	v_mul_f64 v[10:11], v[4:5], v[8:9]
	v_fma_f64 v[8:9], v[4:5], v[6:7], -v[12:13]
	v_fmac_f64_e32 v[10:11], v[2:3], v[6:7]
	scratch_store_dwordx4 off, v[8:11], off offset:48
.LBB43_23:
	s_or_b64 exec, exec, s[4:5]
	; wave barrier
	scratch_load_dwordx4 v[2:5], off, s20
	v_cmp_gt_u32_e32 vcc, 3, v246
	v_add_u32_e32 v6, -1, v246
	s_waitcnt vmcnt(0)
	ds_write_b128 v1, v[2:5]
	s_waitcnt lgkmcnt(0)
	; wave barrier
	s_and_saveexec_b64 s[0:1], vcc
	s_cbranch_execz .LBB43_27
; %bb.24:
	v_add_u32_e32 v7, -1, v246
	v_add_u32_e32 v8, 0x2c0, v62
	v_add_u32_e32 v9, 16, v62
	v_mov_b64_e32 v[2:3], 0
	s_mov_b64 s[4:5], 0
	v_mov_b64_e32 v[4:5], 0
.LBB43_25:                              ; =>This Inner Loop Header: Depth=1
	scratch_load_dwordx4 v[10:13], v9, off
	ds_read_b128 v[14:17], v8
	v_add_u32_e32 v7, 1, v7
	v_cmp_lt_u32_e32 vcc, 1, v7
	v_add_u32_e32 v8, 16, v8
	v_add_u32_e32 v9, 16, v9
	s_or_b64 s[4:5], vcc, s[4:5]
	s_waitcnt vmcnt(0) lgkmcnt(0)
	v_mul_f64 v[18:19], v[16:17], v[12:13]
	v_mul_f64 v[12:13], v[14:15], v[12:13]
	v_fma_f64 v[14:15], v[14:15], v[10:11], -v[18:19]
	v_fmac_f64_e32 v[12:13], v[16:17], v[10:11]
	v_add_f64 v[4:5], v[4:5], v[14:15]
	v_add_f64 v[2:3], v[2:3], v[12:13]
	s_andn2_b64 exec, exec, s[4:5]
	s_cbranch_execnz .LBB43_25
; %bb.26:
	s_or_b64 exec, exec, s[4:5]
	v_mov_b32_e32 v0, 0
	ds_read_b128 v[8:11], v0 offset:48
	s_waitcnt lgkmcnt(0)
	v_mul_f64 v[14:15], v[2:3], v[10:11]
	v_mul_f64 v[12:13], v[4:5], v[10:11]
	v_fma_f64 v[10:11], v[4:5], v[8:9], -v[14:15]
	v_fmac_f64_e32 v[12:13], v[2:3], v[8:9]
	scratch_store_dwordx4 off, v[10:13], off offset:64
.LBB43_27:
	s_or_b64 exec, exec, s[0:1]
	; wave barrier
	scratch_load_dwordx4 v[2:5], off, s22
	v_cmp_gt_u32_e32 vcc, 4, v246
	s_waitcnt vmcnt(0)
	ds_write_b128 v1, v[2:5]
	s_waitcnt lgkmcnt(0)
	; wave barrier
	s_and_saveexec_b64 s[0:1], vcc
	s_cbranch_execz .LBB43_31
; %bb.28:
	v_add_u32_e32 v7, -1, v246
	v_add_u32_e32 v8, 0x2c0, v62
	v_add_u32_e32 v9, 16, v62
	v_mov_b64_e32 v[2:3], 0
	s_mov_b64 s[4:5], 0
	v_mov_b64_e32 v[4:5], 0
.LBB43_29:                              ; =>This Inner Loop Header: Depth=1
	scratch_load_dwordx4 v[10:13], v9, off
	ds_read_b128 v[14:17], v8
	v_add_u32_e32 v7, 1, v7
	v_cmp_lt_u32_e32 vcc, 2, v7
	v_add_u32_e32 v8, 16, v8
	v_add_u32_e32 v9, 16, v9
	s_or_b64 s[4:5], vcc, s[4:5]
	s_waitcnt vmcnt(0) lgkmcnt(0)
	v_mul_f64 v[18:19], v[16:17], v[12:13]
	v_mul_f64 v[12:13], v[14:15], v[12:13]
	v_fma_f64 v[14:15], v[14:15], v[10:11], -v[18:19]
	v_fmac_f64_e32 v[12:13], v[16:17], v[10:11]
	v_add_f64 v[4:5], v[4:5], v[14:15]
	v_add_f64 v[2:3], v[2:3], v[12:13]
	s_andn2_b64 exec, exec, s[4:5]
	s_cbranch_execnz .LBB43_29
; %bb.30:
	s_or_b64 exec, exec, s[4:5]
	v_mov_b32_e32 v0, 0
	ds_read_b128 v[8:11], v0 offset:64
	s_waitcnt lgkmcnt(0)
	v_mul_f64 v[14:15], v[2:3], v[10:11]
	v_mul_f64 v[12:13], v[4:5], v[10:11]
	v_fma_f64 v[10:11], v[4:5], v[8:9], -v[14:15]
	v_fmac_f64_e32 v[12:13], v[2:3], v[8:9]
	scratch_store_dwordx4 off, v[10:13], off offset:80
.LBB43_31:
	s_or_b64 exec, exec, s[0:1]
	; wave barrier
	scratch_load_dwordx4 v[2:5], off, s24
	v_cmp_gt_u32_e32 vcc, 5, v246
	;; [unrolled: 45-line block ×19, first 2 shown]
	s_waitcnt vmcnt(0)
	ds_write_b128 v1, v[2:5]
	s_waitcnt lgkmcnt(0)
	; wave barrier
	s_and_saveexec_b64 s[0:1], vcc
	s_cbranch_execz .LBB43_103
; %bb.100:
	v_add_u32_e32 v7, -1, v246
	v_add_u32_e32 v8, 0x2c0, v62
	v_add_u32_e32 v9, 16, v62
	v_mov_b64_e32 v[2:3], 0
	s_mov_b64 s[4:5], 0
	v_mov_b64_e32 v[4:5], 0
.LBB43_101:                             ; =>This Inner Loop Header: Depth=1
	scratch_load_dwordx4 v[10:13], v9, off
	ds_read_b128 v[14:17], v8
	v_add_u32_e32 v7, 1, v7
	v_cmp_lt_u32_e32 vcc, 20, v7
	v_add_u32_e32 v8, 16, v8
	v_add_u32_e32 v9, 16, v9
	s_or_b64 s[4:5], vcc, s[4:5]
	s_waitcnt vmcnt(0) lgkmcnt(0)
	v_mul_f64 v[18:19], v[16:17], v[12:13]
	v_mul_f64 v[12:13], v[14:15], v[12:13]
	v_fma_f64 v[14:15], v[14:15], v[10:11], -v[18:19]
	v_fmac_f64_e32 v[12:13], v[16:17], v[10:11]
	v_add_f64 v[4:5], v[4:5], v[14:15]
	v_add_f64 v[2:3], v[2:3], v[12:13]
	s_andn2_b64 exec, exec, s[4:5]
	s_cbranch_execnz .LBB43_101
; %bb.102:
	s_or_b64 exec, exec, s[4:5]
	v_mov_b32_e32 v0, 0
	ds_read_b128 v[8:11], v0 offset:352
	s_waitcnt lgkmcnt(0)
	v_mul_f64 v[14:15], v[2:3], v[10:11]
	v_mul_f64 v[12:13], v[4:5], v[10:11]
	v_fma_f64 v[10:11], v[4:5], v[8:9], -v[14:15]
	v_fmac_f64_e32 v[12:13], v[2:3], v[8:9]
	scratch_store_dwordx4 off, v[10:13], off offset:368
.LBB43_103:
	s_or_b64 exec, exec, s[0:1]
	; wave barrier
	scratch_load_dwordx4 v[2:5], off, s41
	v_cmp_gt_u32_e32 vcc, 23, v246
	s_waitcnt vmcnt(0)
	ds_write_b128 v1, v[2:5]
	s_waitcnt lgkmcnt(0)
	; wave barrier
	s_and_saveexec_b64 s[0:1], vcc
	s_cbranch_execz .LBB43_107
; %bb.104:
	v_add_u32_e32 v7, -1, v246
	v_add_u32_e32 v8, 0x2c0, v62
	v_add_u32_e32 v9, 16, v62
	v_mov_b64_e32 v[2:3], 0
	s_mov_b64 s[4:5], 0
	v_mov_b64_e32 v[4:5], 0
.LBB43_105:                             ; =>This Inner Loop Header: Depth=1
	scratch_load_dwordx4 v[10:13], v9, off
	ds_read_b128 v[14:17], v8
	v_add_u32_e32 v7, 1, v7
	v_cmp_lt_u32_e32 vcc, 21, v7
	v_add_u32_e32 v8, 16, v8
	v_add_u32_e32 v9, 16, v9
	s_or_b64 s[4:5], vcc, s[4:5]
	s_waitcnt vmcnt(0) lgkmcnt(0)
	v_mul_f64 v[18:19], v[16:17], v[12:13]
	v_mul_f64 v[12:13], v[14:15], v[12:13]
	v_fma_f64 v[14:15], v[14:15], v[10:11], -v[18:19]
	v_fmac_f64_e32 v[12:13], v[16:17], v[10:11]
	v_add_f64 v[4:5], v[4:5], v[14:15]
	v_add_f64 v[2:3], v[2:3], v[12:13]
	s_andn2_b64 exec, exec, s[4:5]
	s_cbranch_execnz .LBB43_105
; %bb.106:
	s_or_b64 exec, exec, s[4:5]
	v_mov_b32_e32 v0, 0
	ds_read_b128 v[8:11], v0 offset:368
	s_waitcnt lgkmcnt(0)
	v_mul_f64 v[14:15], v[2:3], v[10:11]
	v_mul_f64 v[12:13], v[4:5], v[10:11]
	v_fma_f64 v[10:11], v[4:5], v[8:9], -v[14:15]
	v_fmac_f64_e32 v[12:13], v[2:3], v[8:9]
	scratch_store_dwordx4 off, v[10:13], off offset:384
.LBB43_107:
	s_or_b64 exec, exec, s[0:1]
	; wave barrier
	scratch_load_dwordx4 v[2:5], off, s42
	v_cmp_gt_u32_e32 vcc, 24, v246
	;; [unrolled: 45-line block ×20, first 2 shown]
	s_waitcnt vmcnt(0)
	ds_write_b128 v1, v[2:5]
	s_waitcnt lgkmcnt(0)
	; wave barrier
	s_and_saveexec_b64 s[0:1], vcc
	s_cbranch_execz .LBB43_183
; %bb.180:
	v_add_u32_e32 v7, -1, v246
	v_add_u32_e32 v8, 0x2c0, v62
	v_add_u32_e32 v9, 16, v62
	v_mov_b64_e32 v[2:3], 0
	s_mov_b64 s[4:5], 0
	v_mov_b64_e32 v[4:5], 0
.LBB43_181:                             ; =>This Inner Loop Header: Depth=1
	scratch_load_dwordx4 v[10:13], v9, off
	ds_read_b128 v[14:17], v8
	v_add_u32_e32 v7, 1, v7
	v_cmp_lt_u32_e32 vcc, 40, v7
	v_add_u32_e32 v8, 16, v8
	v_add_u32_e32 v9, 16, v9
	s_or_b64 s[4:5], vcc, s[4:5]
	s_waitcnt vmcnt(0) lgkmcnt(0)
	v_mul_f64 v[18:19], v[16:17], v[12:13]
	v_mul_f64 v[12:13], v[14:15], v[12:13]
	v_fma_f64 v[14:15], v[14:15], v[10:11], -v[18:19]
	v_fmac_f64_e32 v[12:13], v[16:17], v[10:11]
	v_add_f64 v[4:5], v[4:5], v[14:15]
	v_add_f64 v[2:3], v[2:3], v[12:13]
	s_andn2_b64 exec, exec, s[4:5]
	s_cbranch_execnz .LBB43_181
; %bb.182:
	s_or_b64 exec, exec, s[4:5]
	v_mov_b32_e32 v0, 0
	ds_read_b128 v[8:11], v0 offset:672
	s_waitcnt lgkmcnt(0)
	v_mul_f64 v[14:15], v[2:3], v[10:11]
	v_mul_f64 v[12:13], v[4:5], v[10:11]
	v_fma_f64 v[10:11], v[4:5], v[8:9], -v[14:15]
	v_fmac_f64_e32 v[12:13], v[2:3], v[8:9]
	scratch_store_dwordx4 off, v[10:13], off offset:688
.LBB43_183:
	s_or_b64 exec, exec, s[0:1]
	; wave barrier
	scratch_load_dwordx4 v[2:5], off, s57
	v_cmp_ne_u32_e32 vcc, 43, v246
	s_waitcnt vmcnt(0)
	ds_write_b128 v1, v[2:5]
	s_waitcnt lgkmcnt(0)
	; wave barrier
	s_and_saveexec_b64 s[0:1], vcc
	s_cbranch_execz .LBB43_187
; %bb.184:
	v_add_u32_e32 v1, 0x2c0, v62
	v_add_u32_e32 v7, 16, v62
	v_mov_b64_e32 v[2:3], 0
	s_mov_b64 s[4:5], 0
	v_mov_b64_e32 v[4:5], 0
.LBB43_185:                             ; =>This Inner Loop Header: Depth=1
	scratch_load_dwordx4 v[8:11], v7, off
	ds_read_b128 v[12:15], v1
	v_add_u32_e32 v6, 1, v6
	v_cmp_lt_u32_e32 vcc, 41, v6
	v_add_u32_e32 v1, 16, v1
	v_add_u32_e32 v7, 16, v7
	s_or_b64 s[4:5], vcc, s[4:5]
	s_waitcnt vmcnt(0) lgkmcnt(0)
	v_mul_f64 v[16:17], v[14:15], v[10:11]
	v_mul_f64 v[10:11], v[12:13], v[10:11]
	v_fma_f64 v[12:13], v[12:13], v[8:9], -v[16:17]
	v_fmac_f64_e32 v[10:11], v[14:15], v[8:9]
	v_add_f64 v[4:5], v[4:5], v[12:13]
	v_add_f64 v[2:3], v[2:3], v[10:11]
	s_andn2_b64 exec, exec, s[4:5]
	s_cbranch_execnz .LBB43_185
; %bb.186:
	s_or_b64 exec, exec, s[4:5]
	v_mov_b32_e32 v0, 0
	ds_read_b128 v[6:9], v0 offset:688
	s_waitcnt lgkmcnt(0)
	v_mul_f64 v[12:13], v[2:3], v[8:9]
	v_mul_f64 v[10:11], v[4:5], v[8:9]
	v_fma_f64 v[8:9], v[4:5], v[6:7], -v[12:13]
	v_fmac_f64_e32 v[10:11], v[2:3], v[6:7]
	scratch_store_dwordx4 off, v[8:11], off offset:704
.LBB43_187:
	s_or_b64 exec, exec, s[0:1]
	s_mov_b64 s[4:5], -1
	; wave barrier
.LBB43_188:
	s_and_b64 vcc, exec, s[4:5]
	s_cbranch_vccz .LBB43_190
; %bb.189:
	s_lshl_b64 s[0:1], s[2:3], 2
	s_add_u32 s0, s6, s0
	s_addc_u32 s1, s7, s1
	v_mov_b32_e32 v0, 0
	global_load_dword v0, v0, s[0:1]
	s_waitcnt vmcnt(0)
	v_cmp_ne_u32_e32 vcc, 0, v0
	s_cbranch_vccz .LBB43_191
.LBB43_190:
	s_endpgm
.LBB43_191:
	v_mov_b32_e32 v0, 0x2c0
	v_lshl_add_u32 v0, v246, 4, v0
	v_accvgpr_write_b32 a89, v0
	v_cmp_eq_u32_e32 vcc, 43, v246
	s_and_saveexec_b64 s[0:1], vcc
	s_cbranch_execz .LBB43_193
; %bb.192:
	scratch_load_dwordx4 v[2:5], off, s21
	v_mov_b32_e32 v6, 0
	v_mov_b32_e32 v7, v6
	;; [unrolled: 1-line block ×4, first 2 shown]
	v_accvgpr_read_b32 v0, a89
	scratch_store_dwordx4 off, v[6:9], off offset:688
	s_waitcnt vmcnt(1)
	ds_write_b128 v0, v[2:5]
.LBB43_193:
	s_or_b64 exec, exec, s[0:1]
	s_waitcnt lgkmcnt(0)
	; wave barrier
	scratch_load_dwordx4 v[4:7], off, off offset:704
	scratch_load_dwordx4 v[8:11], off, off offset:688
	v_mov_b32_e32 v2, 0
	ds_read_b128 v[12:15], v2 offset:1392
	v_cmp_lt_u32_e32 vcc, 41, v246
	s_waitcnt vmcnt(1) lgkmcnt(0)
	v_mul_f64 v[16:17], v[12:13], v[6:7]
	v_mul_f64 v[6:7], v[14:15], v[6:7]
	v_fmac_f64_e32 v[16:17], v[14:15], v[4:5]
	v_fma_f64 v[4:5], v[12:13], v[4:5], -v[6:7]
	v_add_f64 v[6:7], v[16:17], 0
	v_add_f64 v[4:5], v[4:5], 0
	s_waitcnt vmcnt(0)
	v_add_f64 v[4:5], v[8:9], -v[4:5]
	v_add_f64 v[6:7], v[10:11], -v[6:7]
	scratch_store_dwordx4 off, v[4:7], off offset:688
	s_and_saveexec_b64 s[0:1], vcc
	s_cbranch_execz .LBB43_195
; %bb.194:
	scratch_load_dwordx4 v[6:9], off, s15
	v_mov_b32_e32 v3, v2
	v_mov_b32_e32 v4, v2
	;; [unrolled: 1-line block ×3, first 2 shown]
	v_accvgpr_read_b32 v0, a89
	scratch_store_dwordx4 off, v[2:5], off offset:672
	s_waitcnt vmcnt(1)
	ds_write_b128 v0, v[6:9]
.LBB43_195:
	s_or_b64 exec, exec, s[0:1]
	s_waitcnt lgkmcnt(0)
	; wave barrier
	scratch_load_dwordx4 v[4:7], off, off offset:688
	scratch_load_dwordx4 v[8:11], off, off offset:704
	;; [unrolled: 1-line block ×3, first 2 shown]
	ds_read_b128 v[16:19], v2 offset:1376
	ds_read_b128 v[20:23], v2 offset:1392
	v_cmp_lt_u32_e32 vcc, 40, v246
	s_waitcnt vmcnt(2) lgkmcnt(1)
	v_mul_f64 v[2:3], v[16:17], v[6:7]
	v_mul_f64 v[6:7], v[18:19], v[6:7]
	s_waitcnt vmcnt(1) lgkmcnt(0)
	v_mul_f64 v[24:25], v[20:21], v[10:11]
	v_mul_f64 v[10:11], v[22:23], v[10:11]
	v_fmac_f64_e32 v[2:3], v[18:19], v[4:5]
	v_fma_f64 v[4:5], v[16:17], v[4:5], -v[6:7]
	v_fmac_f64_e32 v[24:25], v[22:23], v[8:9]
	v_fma_f64 v[6:7], v[20:21], v[8:9], -v[10:11]
	v_add_f64 v[2:3], v[2:3], 0
	v_add_f64 v[4:5], v[4:5], 0
	;; [unrolled: 1-line block ×4, first 2 shown]
	s_waitcnt vmcnt(0)
	v_add_f64 v[2:3], v[12:13], -v[2:3]
	v_add_f64 v[4:5], v[14:15], -v[8:9]
	scratch_store_dwordx4 off, v[2:5], off offset:672
	s_and_saveexec_b64 s[0:1], vcc
	s_cbranch_execz .LBB43_197
; %bb.196:
	scratch_load_dwordx4 v[2:5], off, s14
	v_mov_b32_e32 v6, 0
	v_mov_b32_e32 v7, v6
	;; [unrolled: 1-line block ×4, first 2 shown]
	v_accvgpr_read_b32 v0, a89
	scratch_store_dwordx4 off, v[6:9], off offset:656
	s_waitcnt vmcnt(1)
	ds_write_b128 v0, v[2:5]
.LBB43_197:
	s_or_b64 exec, exec, s[0:1]
	s_waitcnt lgkmcnt(0)
	; wave barrier
	scratch_load_dwordx4 v[4:7], off, off offset:672
	scratch_load_dwordx4 v[8:11], off, off offset:688
	;; [unrolled: 1-line block ×4, first 2 shown]
	v_mov_b32_e32 v2, 0
	ds_read_b128 v[20:23], v2 offset:1360
	ds_read_b128 v[24:27], v2 offset:1376
	;; [unrolled: 1-line block ×3, first 2 shown]
	v_cmp_lt_u32_e32 vcc, 39, v246
	s_waitcnt vmcnt(3) lgkmcnt(2)
	v_mul_f64 v[32:33], v[20:21], v[6:7]
	v_mul_f64 v[6:7], v[22:23], v[6:7]
	s_waitcnt vmcnt(2) lgkmcnt(1)
	v_mul_f64 v[34:35], v[24:25], v[10:11]
	v_mul_f64 v[10:11], v[26:27], v[10:11]
	v_fmac_f64_e32 v[32:33], v[22:23], v[4:5]
	v_fma_f64 v[4:5], v[20:21], v[4:5], -v[6:7]
	s_waitcnt vmcnt(1) lgkmcnt(0)
	v_mul_f64 v[36:37], v[28:29], v[14:15]
	v_mul_f64 v[14:15], v[30:31], v[14:15]
	v_fmac_f64_e32 v[34:35], v[26:27], v[8:9]
	v_fma_f64 v[6:7], v[24:25], v[8:9], -v[10:11]
	v_add_f64 v[10:11], v[32:33], 0
	v_add_f64 v[4:5], v[4:5], 0
	v_fmac_f64_e32 v[36:37], v[30:31], v[12:13]
	v_fma_f64 v[8:9], v[28:29], v[12:13], -v[14:15]
	v_add_f64 v[10:11], v[10:11], v[34:35]
	v_add_f64 v[4:5], v[4:5], v[6:7]
	;; [unrolled: 1-line block ×4, first 2 shown]
	s_waitcnt vmcnt(0)
	v_add_f64 v[4:5], v[16:17], -v[4:5]
	v_add_f64 v[6:7], v[18:19], -v[6:7]
	scratch_store_dwordx4 off, v[4:7], off offset:656
	s_and_saveexec_b64 s[0:1], vcc
	s_cbranch_execz .LBB43_199
; %bb.198:
	scratch_load_dwordx4 v[6:9], off, s13
	v_mov_b32_e32 v3, v2
	v_mov_b32_e32 v4, v2
	;; [unrolled: 1-line block ×3, first 2 shown]
	v_accvgpr_read_b32 v0, a89
	scratch_store_dwordx4 off, v[2:5], off offset:640
	s_waitcnt vmcnt(1)
	ds_write_b128 v0, v[6:9]
.LBB43_199:
	s_or_b64 exec, exec, s[0:1]
	s_waitcnt lgkmcnt(0)
	; wave barrier
	ds_read_b128 v[4:7], v2 offset:1344
	ds_read_b128 v[8:11], v2 offset:1360
	;; [unrolled: 1-line block ×4, first 2 shown]
	scratch_load_dwordx4 v[20:23], off, off offset:656
	scratch_load_dwordx4 v[24:27], off, off offset:672
	v_cmp_lt_u32_e32 vcc, 38, v246
	s_waitcnt vmcnt(1) lgkmcnt(3)
	v_mul_f64 v[2:3], v[4:5], v[22:23]
	v_fmac_f64_e32 v[2:3], v[6:7], v[20:21]
	s_waitcnt vmcnt(0) lgkmcnt(2)
	v_mul_f64 v[28:29], v[8:9], v[26:27]
	v_add_f64 v[2:3], v[2:3], 0
	v_fmac_f64_e32 v[28:29], v[10:11], v[24:25]
	v_add_f64 v[2:3], v[2:3], v[28:29]
	scratch_load_dwordx4 v[28:31], off, off offset:688
	s_waitcnt vmcnt(0) lgkmcnt(1)
	v_mul_f64 v[32:33], v[12:13], v[30:31]
	v_fmac_f64_e32 v[32:33], v[14:15], v[28:29]
	v_add_f64 v[2:3], v[2:3], v[32:33]
	scratch_load_dwordx4 v[32:35], off, off offset:704
	s_waitcnt vmcnt(0) lgkmcnt(0)
	v_mul_f64 v[36:37], v[16:17], v[34:35]
	v_fmac_f64_e32 v[36:37], v[18:19], v[32:33]
	v_add_f64 v[36:37], v[2:3], v[36:37]
	v_mul_f64 v[2:3], v[6:7], v[22:23]
	v_fma_f64 v[2:3], v[4:5], v[20:21], -v[2:3]
	v_mul_f64 v[4:5], v[10:11], v[26:27]
	v_add_f64 v[2:3], v[2:3], 0
	v_fma_f64 v[4:5], v[8:9], v[24:25], -v[4:5]
	v_add_f64 v[2:3], v[2:3], v[4:5]
	v_mul_f64 v[4:5], v[14:15], v[30:31]
	v_fma_f64 v[4:5], v[12:13], v[28:29], -v[4:5]
	v_add_f64 v[2:3], v[2:3], v[4:5]
	v_mul_f64 v[4:5], v[18:19], v[34:35]
	v_fma_f64 v[4:5], v[16:17], v[32:33], -v[4:5]
	v_add_f64 v[6:7], v[2:3], v[4:5]
	scratch_load_dwordx4 v[2:5], off, off offset:640
	s_waitcnt vmcnt(0)
	v_add_f64 v[2:3], v[2:3], -v[6:7]
	v_add_f64 v[4:5], v[4:5], -v[36:37]
	scratch_store_dwordx4 off, v[2:5], off offset:640
	s_and_saveexec_b64 s[0:1], vcc
	s_cbranch_execz .LBB43_201
; %bb.200:
	scratch_load_dwordx4 v[2:5], off, s56
	v_mov_b32_e32 v6, 0
	v_mov_b32_e32 v7, v6
	;; [unrolled: 1-line block ×4, first 2 shown]
	v_accvgpr_read_b32 v0, a89
	scratch_store_dwordx4 off, v[6:9], off offset:624
	s_waitcnt vmcnt(1)
	ds_write_b128 v0, v[2:5]
.LBB43_201:
	s_or_b64 exec, exec, s[0:1]
	s_waitcnt lgkmcnt(0)
	; wave barrier
	scratch_load_dwordx4 v[4:7], off, off offset:640
	scratch_load_dwordx4 v[8:11], off, off offset:656
	;; [unrolled: 1-line block ×6, first 2 shown]
	v_mov_b32_e32 v2, 0
	ds_read_b128 v[28:31], v2 offset:1328
	ds_read_b128 v[32:35], v2 offset:1344
	;; [unrolled: 1-line block ×5, first 2 shown]
	v_cmp_lt_u32_e32 vcc, 37, v246
	s_waitcnt vmcnt(5) lgkmcnt(4)
	v_mul_f64 v[48:49], v[28:29], v[6:7]
	v_mul_f64 v[6:7], v[30:31], v[6:7]
	s_waitcnt vmcnt(4) lgkmcnt(3)
	v_mul_f64 v[50:51], v[32:33], v[10:11]
	s_waitcnt vmcnt(3) lgkmcnt(2)
	v_mul_f64 v[52:53], v[36:37], v[14:15]
	v_mul_f64 v[10:11], v[34:35], v[10:11]
	;; [unrolled: 1-line block ×3, first 2 shown]
	v_fmac_f64_e32 v[48:49], v[30:31], v[4:5]
	v_fma_f64 v[4:5], v[28:29], v[4:5], -v[6:7]
	v_fmac_f64_e32 v[50:51], v[34:35], v[8:9]
	v_fma_f64 v[6:7], v[32:33], v[8:9], -v[10:11]
	v_fma_f64 v[8:9], v[36:37], v[12:13], -v[14:15]
	v_add_f64 v[14:15], v[48:49], 0
	v_add_f64 v[4:5], v[4:5], 0
	s_waitcnt vmcnt(2) lgkmcnt(1)
	v_mul_f64 v[54:55], v[40:41], v[18:19]
	v_mul_f64 v[18:19], v[42:43], v[18:19]
	v_fmac_f64_e32 v[52:53], v[38:39], v[12:13]
	v_add_f64 v[14:15], v[14:15], v[50:51]
	v_add_f64 v[4:5], v[4:5], v[6:7]
	s_waitcnt vmcnt(1) lgkmcnt(0)
	v_mul_f64 v[56:57], v[44:45], v[22:23]
	v_mul_f64 v[22:23], v[46:47], v[22:23]
	v_fmac_f64_e32 v[54:55], v[42:43], v[16:17]
	v_fma_f64 v[10:11], v[40:41], v[16:17], -v[18:19]
	v_add_f64 v[6:7], v[14:15], v[52:53]
	v_add_f64 v[4:5], v[4:5], v[8:9]
	v_fmac_f64_e32 v[56:57], v[46:47], v[20:21]
	v_fma_f64 v[12:13], v[44:45], v[20:21], -v[22:23]
	v_add_f64 v[6:7], v[6:7], v[54:55]
	v_add_f64 v[4:5], v[4:5], v[10:11]
	;; [unrolled: 1-line block ×4, first 2 shown]
	s_waitcnt vmcnt(0)
	v_add_f64 v[4:5], v[24:25], -v[4:5]
	v_add_f64 v[6:7], v[26:27], -v[6:7]
	scratch_store_dwordx4 off, v[4:7], off offset:624
	s_and_saveexec_b64 s[0:1], vcc
	s_cbranch_execz .LBB43_203
; %bb.202:
	scratch_load_dwordx4 v[6:9], off, s55
	v_mov_b32_e32 v3, v2
	v_mov_b32_e32 v4, v2
	;; [unrolled: 1-line block ×3, first 2 shown]
	v_accvgpr_read_b32 v0, a89
	scratch_store_dwordx4 off, v[2:5], off offset:608
	s_waitcnt vmcnt(1)
	ds_write_b128 v0, v[6:9]
.LBB43_203:
	s_or_b64 exec, exec, s[0:1]
	s_waitcnt lgkmcnt(0)
	; wave barrier
	scratch_load_dwordx4 v[4:7], off, off offset:624
	scratch_load_dwordx4 v[8:11], off, off offset:640
	;; [unrolled: 1-line block ×7, first 2 shown]
	ds_read_b128 v[32:35], v2 offset:1312
	ds_read_b128 v[36:39], v2 offset:1328
	;; [unrolled: 1-line block ×6, first 2 shown]
	v_cmp_lt_u32_e32 vcc, 36, v246
	s_waitcnt vmcnt(6) lgkmcnt(5)
	v_mul_f64 v[2:3], v[32:33], v[6:7]
	v_mul_f64 v[6:7], v[34:35], v[6:7]
	s_waitcnt vmcnt(5) lgkmcnt(4)
	v_mul_f64 v[56:57], v[36:37], v[10:11]
	v_mul_f64 v[10:11], v[38:39], v[10:11]
	v_fmac_f64_e32 v[2:3], v[34:35], v[4:5]
	v_fma_f64 v[4:5], v[32:33], v[4:5], -v[6:7]
	s_waitcnt vmcnt(4) lgkmcnt(3)
	v_mul_f64 v[58:59], v[40:41], v[14:15]
	v_mul_f64 v[14:15], v[42:43], v[14:15]
	v_fmac_f64_e32 v[56:57], v[38:39], v[8:9]
	v_fma_f64 v[6:7], v[36:37], v[8:9], -v[10:11]
	v_add_f64 v[2:3], v[2:3], 0
	v_add_f64 v[4:5], v[4:5], 0
	s_waitcnt vmcnt(3) lgkmcnt(2)
	v_mul_f64 v[60:61], v[44:45], v[18:19]
	v_mul_f64 v[18:19], v[46:47], v[18:19]
	v_fmac_f64_e32 v[58:59], v[42:43], v[12:13]
	v_fma_f64 v[8:9], v[40:41], v[12:13], -v[14:15]
	v_add_f64 v[2:3], v[2:3], v[56:57]
	v_add_f64 v[4:5], v[4:5], v[6:7]
	;; [unrolled: 7-line block ×4, first 2 shown]
	v_fmac_f64_e32 v[64:65], v[54:55], v[24:25]
	v_fma_f64 v[14:15], v[52:53], v[24:25], -v[26:27]
	v_add_f64 v[2:3], v[2:3], v[62:63]
	v_add_f64 v[4:5], v[4:5], v[12:13]
	;; [unrolled: 1-line block ×4, first 2 shown]
	s_waitcnt vmcnt(0)
	v_add_f64 v[2:3], v[28:29], -v[2:3]
	v_add_f64 v[4:5], v[30:31], -v[6:7]
	scratch_store_dwordx4 off, v[2:5], off offset:608
	s_and_saveexec_b64 s[0:1], vcc
	s_cbranch_execz .LBB43_205
; %bb.204:
	scratch_load_dwordx4 v[2:5], off, s54
	v_mov_b32_e32 v6, 0
	v_mov_b32_e32 v7, v6
	;; [unrolled: 1-line block ×4, first 2 shown]
	v_accvgpr_read_b32 v0, a89
	scratch_store_dwordx4 off, v[6:9], off offset:592
	s_waitcnt vmcnt(1)
	ds_write_b128 v0, v[2:5]
.LBB43_205:
	s_or_b64 exec, exec, s[0:1]
	s_waitcnt lgkmcnt(0)
	; wave barrier
	scratch_load_dwordx4 v[4:7], off, off offset:608
	scratch_load_dwordx4 v[8:11], off, off offset:624
	;; [unrolled: 1-line block ×8, first 2 shown]
	v_mov_b32_e32 v2, 0
	ds_read_b128 v[36:39], v2 offset:1296
	ds_read_b128 v[40:43], v2 offset:1312
	;; [unrolled: 1-line block ×7, first 2 shown]
	v_cmp_lt_u32_e32 vcc, 35, v246
	s_waitcnt vmcnt(7) lgkmcnt(6)
	v_mul_f64 v[64:65], v[36:37], v[6:7]
	v_mul_f64 v[6:7], v[38:39], v[6:7]
	s_waitcnt vmcnt(6) lgkmcnt(5)
	v_mul_f64 v[66:67], v[40:41], v[10:11]
	s_waitcnt vmcnt(4) lgkmcnt(3)
	v_mul_f64 v[70:71], v[48:49], v[18:19]
	v_mul_f64 v[10:11], v[42:43], v[10:11]
	;; [unrolled: 1-line block ×3, first 2 shown]
	v_fmac_f64_e32 v[64:65], v[38:39], v[4:5]
	v_fma_f64 v[4:5], v[36:37], v[4:5], -v[6:7]
	v_mul_f64 v[68:69], v[44:45], v[14:15]
	v_mul_f64 v[14:15], v[46:47], v[14:15]
	v_fmac_f64_e32 v[66:67], v[42:43], v[8:9]
	v_fma_f64 v[6:7], v[40:41], v[8:9], -v[10:11]
	v_fma_f64 v[10:11], v[48:49], v[16:17], -v[18:19]
	v_add_f64 v[18:19], v[64:65], 0
	v_add_f64 v[4:5], v[4:5], 0
	v_fmac_f64_e32 v[68:69], v[46:47], v[12:13]
	v_fma_f64 v[8:9], v[44:45], v[12:13], -v[14:15]
	v_add_f64 v[18:19], v[18:19], v[66:67]
	v_add_f64 v[4:5], v[4:5], v[6:7]
	s_waitcnt vmcnt(3) lgkmcnt(2)
	v_mul_f64 v[72:73], v[52:53], v[22:23]
	v_mul_f64 v[22:23], v[54:55], v[22:23]
	v_fmac_f64_e32 v[70:71], v[50:51], v[16:17]
	v_add_f64 v[6:7], v[18:19], v[68:69]
	v_add_f64 v[4:5], v[4:5], v[8:9]
	s_waitcnt vmcnt(2) lgkmcnt(1)
	v_mul_f64 v[74:75], v[56:57], v[26:27]
	v_mul_f64 v[26:27], v[58:59], v[26:27]
	v_fmac_f64_e32 v[72:73], v[54:55], v[20:21]
	v_fma_f64 v[12:13], v[52:53], v[20:21], -v[22:23]
	v_add_f64 v[6:7], v[6:7], v[70:71]
	v_add_f64 v[4:5], v[4:5], v[10:11]
	s_waitcnt vmcnt(1) lgkmcnt(0)
	v_mul_f64 v[76:77], v[60:61], v[30:31]
	v_mul_f64 v[30:31], v[62:63], v[30:31]
	v_fmac_f64_e32 v[74:75], v[58:59], v[24:25]
	v_fma_f64 v[14:15], v[56:57], v[24:25], -v[26:27]
	v_add_f64 v[6:7], v[6:7], v[72:73]
	v_add_f64 v[4:5], v[4:5], v[12:13]
	v_fmac_f64_e32 v[76:77], v[62:63], v[28:29]
	v_fma_f64 v[16:17], v[60:61], v[28:29], -v[30:31]
	v_add_f64 v[6:7], v[6:7], v[74:75]
	v_add_f64 v[4:5], v[4:5], v[14:15]
	;; [unrolled: 1-line block ×4, first 2 shown]
	s_waitcnt vmcnt(0)
	v_add_f64 v[4:5], v[32:33], -v[4:5]
	v_add_f64 v[6:7], v[34:35], -v[6:7]
	scratch_store_dwordx4 off, v[4:7], off offset:592
	s_and_saveexec_b64 s[0:1], vcc
	s_cbranch_execz .LBB43_207
; %bb.206:
	scratch_load_dwordx4 v[6:9], off, s53
	v_mov_b32_e32 v3, v2
	v_mov_b32_e32 v4, v2
	;; [unrolled: 1-line block ×3, first 2 shown]
	v_accvgpr_read_b32 v0, a89
	scratch_store_dwordx4 off, v[2:5], off offset:576
	s_waitcnt vmcnt(1)
	ds_write_b128 v0, v[6:9]
.LBB43_207:
	s_or_b64 exec, exec, s[0:1]
	s_waitcnt lgkmcnt(0)
	; wave barrier
	ds_read_b128 v[4:7], v2 offset:1280
	ds_read_b128 v[8:11], v2 offset:1296
	;; [unrolled: 1-line block ×4, first 2 shown]
	scratch_load_dwordx4 v[20:23], off, off offset:592
	scratch_load_dwordx4 v[40:43], off, off offset:656
	v_cmp_lt_u32_e32 vcc, 34, v246
	scratch_load_dwordx4 v[48:51], off, off offset:672
	scratch_load_dwordx4 v[56:59], off, off offset:688
	;; [unrolled: 1-line block ×3, first 2 shown]
	s_waitcnt vmcnt(4) lgkmcnt(3)
	v_mul_f64 v[24:25], v[4:5], v[22:23]
	v_fmac_f64_e32 v[24:25], v[6:7], v[20:21]
	v_add_f64 v[28:29], v[24:25], 0
	scratch_load_dwordx4 v[24:27], off, off offset:608
	s_waitcnt vmcnt(0) lgkmcnt(2)
	v_mul_f64 v[30:31], v[8:9], v[26:27]
	v_fmac_f64_e32 v[30:31], v[10:11], v[24:25]
	v_add_f64 v[32:33], v[28:29], v[30:31]
	scratch_load_dwordx4 v[28:31], off, off offset:624
	;; [unrolled: 5-line block ×3, first 2 shown]
	s_waitcnt vmcnt(0) lgkmcnt(0)
	v_mul_f64 v[38:39], v[16:17], v[34:35]
	v_fmac_f64_e32 v[38:39], v[18:19], v[32:33]
	v_add_f64 v[44:45], v[36:37], v[38:39]
	ds_read_b128 v[36:39], v2 offset:1344
	s_waitcnt lgkmcnt(0)
	v_mul_f64 v[46:47], v[36:37], v[42:43]
	v_fmac_f64_e32 v[46:47], v[38:39], v[40:41]
	v_add_f64 v[52:53], v[44:45], v[46:47]
	ds_read_b128 v[44:47], v2 offset:1360
	s_waitcnt lgkmcnt(0)
	;; [unrolled: 5-line block ×4, first 2 shown]
	v_mul_f64 v[2:3], v[60:61], v[66:67]
	v_fmac_f64_e32 v[2:3], v[62:63], v[64:65]
	v_add_f64 v[68:69], v[68:69], v[2:3]
	v_mul_f64 v[2:3], v[6:7], v[22:23]
	v_fma_f64 v[2:3], v[4:5], v[20:21], -v[2:3]
	v_mul_f64 v[4:5], v[10:11], v[26:27]
	v_add_f64 v[2:3], v[2:3], 0
	v_fma_f64 v[4:5], v[8:9], v[24:25], -v[4:5]
	v_add_f64 v[2:3], v[2:3], v[4:5]
	v_mul_f64 v[4:5], v[14:15], v[30:31]
	v_fma_f64 v[4:5], v[12:13], v[28:29], -v[4:5]
	v_add_f64 v[2:3], v[2:3], v[4:5]
	v_mul_f64 v[4:5], v[18:19], v[34:35]
	;; [unrolled: 3-line block ×6, first 2 shown]
	v_fma_f64 v[4:5], v[60:61], v[64:65], -v[4:5]
	v_add_f64 v[6:7], v[2:3], v[4:5]
	scratch_load_dwordx4 v[2:5], off, off offset:576
	s_waitcnt vmcnt(0)
	v_add_f64 v[2:3], v[2:3], -v[6:7]
	v_add_f64 v[4:5], v[4:5], -v[68:69]
	scratch_store_dwordx4 off, v[2:5], off offset:576
	s_and_saveexec_b64 s[0:1], vcc
	s_cbranch_execz .LBB43_209
; %bb.208:
	scratch_load_dwordx4 v[2:5], off, s52
	v_mov_b32_e32 v6, 0
	v_mov_b32_e32 v7, v6
	;; [unrolled: 1-line block ×4, first 2 shown]
	v_accvgpr_read_b32 v0, a89
	scratch_store_dwordx4 off, v[6:9], off offset:560
	s_waitcnt vmcnt(1)
	ds_write_b128 v0, v[2:5]
.LBB43_209:
	s_or_b64 exec, exec, s[0:1]
	s_waitcnt lgkmcnt(0)
	; wave barrier
	scratch_load_dwordx4 v[4:7], off, off offset:576
	scratch_load_dwordx4 v[8:11], off, off offset:592
	;; [unrolled: 1-line block ×10, first 2 shown]
	v_mov_b32_e32 v2, 0
	ds_read_b128 v[44:47], v2 offset:1264
	ds_read_b128 v[48:51], v2 offset:1280
	;; [unrolled: 1-line block ×9, first 2 shown]
	v_cmp_lt_u32_e32 vcc, 33, v246
	s_waitcnt vmcnt(9) lgkmcnt(8)
	v_mul_f64 v[80:81], v[44:45], v[6:7]
	v_mul_f64 v[6:7], v[46:47], v[6:7]
	s_waitcnt vmcnt(8) lgkmcnt(7)
	v_mul_f64 v[82:83], v[48:49], v[10:11]
	s_waitcnt vmcnt(7) lgkmcnt(6)
	;; [unrolled: 2-line block ×3, first 2 shown]
	v_mul_f64 v[88:89], v[60:61], v[22:23]
	v_mul_f64 v[10:11], v[50:51], v[10:11]
	;; [unrolled: 1-line block ×4, first 2 shown]
	v_fmac_f64_e32 v[80:81], v[46:47], v[4:5]
	v_fma_f64 v[4:5], v[44:45], v[4:5], -v[6:7]
	v_fmac_f64_e32 v[82:83], v[50:51], v[8:9]
	v_fmac_f64_e32 v[84:85], v[54:55], v[12:13]
	v_fma_f64 v[6:7], v[48:49], v[8:9], -v[10:11]
	v_fma_f64 v[8:9], v[52:53], v[12:13], -v[14:15]
	;; [unrolled: 1-line block ×3, first 2 shown]
	v_add_f64 v[22:23], v[80:81], 0
	v_add_f64 v[4:5], v[4:5], 0
	v_mul_f64 v[86:87], v[56:57], v[18:19]
	v_mul_f64 v[18:19], v[58:59], v[18:19]
	v_add_f64 v[22:23], v[22:23], v[82:83]
	v_add_f64 v[4:5], v[4:5], v[6:7]
	v_fmac_f64_e32 v[86:87], v[58:59], v[16:17]
	v_fma_f64 v[10:11], v[56:57], v[16:17], -v[18:19]
	v_add_f64 v[6:7], v[22:23], v[84:85]
	v_add_f64 v[4:5], v[4:5], v[8:9]
	s_waitcnt vmcnt(4) lgkmcnt(3)
	v_mul_f64 v[90:91], v[64:65], v[26:27]
	v_mul_f64 v[26:27], v[66:67], v[26:27]
	v_fmac_f64_e32 v[88:89], v[62:63], v[20:21]
	v_add_f64 v[6:7], v[6:7], v[86:87]
	v_add_f64 v[4:5], v[4:5], v[10:11]
	s_waitcnt vmcnt(3) lgkmcnt(2)
	v_mul_f64 v[92:93], v[68:69], v[30:31]
	v_mul_f64 v[30:31], v[70:71], v[30:31]
	v_fmac_f64_e32 v[90:91], v[66:67], v[24:25]
	v_fma_f64 v[14:15], v[64:65], v[24:25], -v[26:27]
	v_add_f64 v[6:7], v[6:7], v[88:89]
	v_add_f64 v[4:5], v[4:5], v[12:13]
	s_waitcnt vmcnt(2) lgkmcnt(1)
	v_mul_f64 v[94:95], v[72:73], v[34:35]
	v_mul_f64 v[34:35], v[74:75], v[34:35]
	v_fmac_f64_e32 v[92:93], v[70:71], v[28:29]
	v_fma_f64 v[16:17], v[68:69], v[28:29], -v[30:31]
	;; [unrolled: 7-line block ×3, first 2 shown]
	v_add_f64 v[6:7], v[6:7], v[92:93]
	v_add_f64 v[4:5], v[4:5], v[16:17]
	v_fmac_f64_e32 v[96:97], v[78:79], v[36:37]
	v_fma_f64 v[20:21], v[76:77], v[36:37], -v[38:39]
	v_add_f64 v[6:7], v[6:7], v[94:95]
	v_add_f64 v[4:5], v[4:5], v[18:19]
	;; [unrolled: 1-line block ×4, first 2 shown]
	s_waitcnt vmcnt(0)
	v_add_f64 v[4:5], v[40:41], -v[4:5]
	v_add_f64 v[6:7], v[42:43], -v[6:7]
	scratch_store_dwordx4 off, v[4:7], off offset:560
	s_and_saveexec_b64 s[0:1], vcc
	s_cbranch_execz .LBB43_211
; %bb.210:
	scratch_load_dwordx4 v[6:9], off, s51
	v_mov_b32_e32 v3, v2
	v_mov_b32_e32 v4, v2
	v_mov_b32_e32 v5, v2
	v_accvgpr_read_b32 v0, a89
	scratch_store_dwordx4 off, v[2:5], off offset:544
	s_waitcnt vmcnt(1)
	ds_write_b128 v0, v[6:9]
.LBB43_211:
	s_or_b64 exec, exec, s[0:1]
	s_waitcnt lgkmcnt(0)
	; wave barrier
	scratch_load_dwordx4 v[4:7], off, off offset:560
	scratch_load_dwordx4 v[8:11], off, off offset:576
	;; [unrolled: 1-line block ×11, first 2 shown]
	ds_read_b128 v[48:51], v2 offset:1248
	ds_read_b128 v[52:55], v2 offset:1264
	;; [unrolled: 1-line block ×10, first 2 shown]
	v_cmp_lt_u32_e32 vcc, 32, v246
	s_waitcnt vmcnt(10) lgkmcnt(9)
	v_mul_f64 v[2:3], v[48:49], v[6:7]
	v_mul_f64 v[6:7], v[50:51], v[6:7]
	s_waitcnt vmcnt(9) lgkmcnt(8)
	v_mul_f64 v[88:89], v[52:53], v[10:11]
	v_mul_f64 v[10:11], v[54:55], v[10:11]
	v_fmac_f64_e32 v[2:3], v[50:51], v[4:5]
	v_fma_f64 v[4:5], v[48:49], v[4:5], -v[6:7]
	s_waitcnt vmcnt(8) lgkmcnt(7)
	v_mul_f64 v[90:91], v[56:57], v[14:15]
	v_mul_f64 v[14:15], v[58:59], v[14:15]
	v_fmac_f64_e32 v[88:89], v[54:55], v[8:9]
	v_fma_f64 v[6:7], v[52:53], v[8:9], -v[10:11]
	v_add_f64 v[2:3], v[2:3], 0
	v_add_f64 v[4:5], v[4:5], 0
	s_waitcnt vmcnt(7) lgkmcnt(6)
	v_mul_f64 v[92:93], v[60:61], v[18:19]
	v_mul_f64 v[18:19], v[62:63], v[18:19]
	v_fmac_f64_e32 v[90:91], v[58:59], v[12:13]
	v_fma_f64 v[8:9], v[56:57], v[12:13], -v[14:15]
	v_add_f64 v[2:3], v[2:3], v[88:89]
	v_add_f64 v[4:5], v[4:5], v[6:7]
	s_waitcnt vmcnt(6) lgkmcnt(5)
	v_mul_f64 v[94:95], v[64:65], v[22:23]
	v_mul_f64 v[22:23], v[66:67], v[22:23]
	v_fmac_f64_e32 v[92:93], v[62:63], v[16:17]
	v_fma_f64 v[10:11], v[60:61], v[16:17], -v[18:19]
	v_add_f64 v[2:3], v[2:3], v[90:91]
	v_add_f64 v[4:5], v[4:5], v[8:9]
	s_waitcnt vmcnt(5) lgkmcnt(4)
	v_mul_f64 v[96:97], v[68:69], v[26:27]
	v_mul_f64 v[26:27], v[70:71], v[26:27]
	v_fmac_f64_e32 v[94:95], v[66:67], v[20:21]
	v_fma_f64 v[12:13], v[64:65], v[20:21], -v[22:23]
	v_add_f64 v[2:3], v[2:3], v[92:93]
	v_add_f64 v[4:5], v[4:5], v[10:11]
	s_waitcnt vmcnt(4) lgkmcnt(3)
	v_mul_f64 v[98:99], v[72:73], v[30:31]
	v_mul_f64 v[30:31], v[74:75], v[30:31]
	v_fmac_f64_e32 v[96:97], v[70:71], v[24:25]
	v_fma_f64 v[14:15], v[68:69], v[24:25], -v[26:27]
	v_add_f64 v[2:3], v[2:3], v[94:95]
	v_add_f64 v[4:5], v[4:5], v[12:13]
	s_waitcnt vmcnt(3) lgkmcnt(2)
	v_mul_f64 v[100:101], v[76:77], v[34:35]
	v_mul_f64 v[34:35], v[78:79], v[34:35]
	v_fmac_f64_e32 v[98:99], v[74:75], v[28:29]
	v_fma_f64 v[16:17], v[72:73], v[28:29], -v[30:31]
	v_add_f64 v[2:3], v[2:3], v[96:97]
	v_add_f64 v[4:5], v[4:5], v[14:15]
	s_waitcnt vmcnt(2) lgkmcnt(1)
	v_mul_f64 v[102:103], v[80:81], v[38:39]
	v_mul_f64 v[38:39], v[82:83], v[38:39]
	v_fmac_f64_e32 v[100:101], v[78:79], v[32:33]
	v_fma_f64 v[18:19], v[76:77], v[32:33], -v[34:35]
	v_add_f64 v[2:3], v[2:3], v[98:99]
	v_add_f64 v[4:5], v[4:5], v[16:17]
	s_waitcnt vmcnt(1) lgkmcnt(0)
	v_mul_f64 v[104:105], v[84:85], v[42:43]
	v_mul_f64 v[42:43], v[86:87], v[42:43]
	v_fmac_f64_e32 v[102:103], v[82:83], v[36:37]
	v_fma_f64 v[20:21], v[80:81], v[36:37], -v[38:39]
	v_add_f64 v[2:3], v[2:3], v[100:101]
	v_add_f64 v[4:5], v[4:5], v[18:19]
	v_fmac_f64_e32 v[104:105], v[86:87], v[40:41]
	v_fma_f64 v[22:23], v[84:85], v[40:41], -v[42:43]
	v_add_f64 v[2:3], v[2:3], v[102:103]
	v_add_f64 v[4:5], v[4:5], v[20:21]
	;; [unrolled: 1-line block ×4, first 2 shown]
	s_waitcnt vmcnt(0)
	v_add_f64 v[2:3], v[44:45], -v[2:3]
	v_add_f64 v[4:5], v[46:47], -v[6:7]
	scratch_store_dwordx4 off, v[2:5], off offset:544
	s_and_saveexec_b64 s[0:1], vcc
	s_cbranch_execz .LBB43_213
; %bb.212:
	scratch_load_dwordx4 v[2:5], off, s50
	v_mov_b32_e32 v6, 0
	v_mov_b32_e32 v7, v6
	;; [unrolled: 1-line block ×4, first 2 shown]
	v_accvgpr_read_b32 v0, a89
	scratch_store_dwordx4 off, v[6:9], off offset:528
	s_waitcnt vmcnt(1)
	ds_write_b128 v0, v[2:5]
.LBB43_213:
	s_or_b64 exec, exec, s[0:1]
	s_waitcnt lgkmcnt(0)
	; wave barrier
	scratch_load_dwordx4 v[4:7], off, off offset:544
	scratch_load_dwordx4 v[8:11], off, off offset:560
	;; [unrolled: 1-line block ×12, first 2 shown]
	v_mov_b32_e32 v2, 0
	ds_read_b128 v[52:55], v2 offset:1232
	ds_read_b128 v[56:59], v2 offset:1248
	;; [unrolled: 1-line block ×11, first 2 shown]
	v_cmp_lt_u32_e32 vcc, 31, v246
	s_waitcnt vmcnt(11) lgkmcnt(10)
	v_mul_f64 v[96:97], v[52:53], v[6:7]
	v_mul_f64 v[6:7], v[54:55], v[6:7]
	s_waitcnt vmcnt(10) lgkmcnt(9)
	v_mul_f64 v[98:99], v[56:57], v[10:11]
	s_waitcnt vmcnt(9) lgkmcnt(8)
	v_mul_f64 v[100:101], v[60:61], v[14:15]
	v_mul_f64 v[10:11], v[58:59], v[10:11]
	s_waitcnt vmcnt(6) lgkmcnt(5)
	v_mul_f64 v[106:107], v[72:73], v[26:27]
	v_mul_f64 v[14:15], v[62:63], v[14:15]
	;; [unrolled: 1-line block ×3, first 2 shown]
	v_fmac_f64_e32 v[96:97], v[54:55], v[4:5]
	v_fma_f64 v[4:5], v[52:53], v[4:5], -v[6:7]
	v_fmac_f64_e32 v[98:99], v[58:59], v[8:9]
	v_fma_f64 v[6:7], v[56:57], v[8:9], -v[10:11]
	v_fma_f64 v[8:9], v[60:61], v[12:13], -v[14:15]
	;; [unrolled: 1-line block ×3, first 2 shown]
	v_add_f64 v[26:27], v[96:97], 0
	v_add_f64 v[4:5], v[4:5], 0
	v_mul_f64 v[102:103], v[64:65], v[18:19]
	v_mul_f64 v[18:19], v[66:67], v[18:19]
	v_fmac_f64_e32 v[100:101], v[62:63], v[12:13]
	v_add_f64 v[26:27], v[26:27], v[98:99]
	v_add_f64 v[4:5], v[4:5], v[6:7]
	v_mul_f64 v[104:105], v[68:69], v[22:23]
	v_mul_f64 v[22:23], v[70:71], v[22:23]
	v_fmac_f64_e32 v[102:103], v[66:67], v[16:17]
	v_fma_f64 v[10:11], v[64:65], v[16:17], -v[18:19]
	v_add_f64 v[6:7], v[26:27], v[100:101]
	v_add_f64 v[4:5], v[4:5], v[8:9]
	v_fmac_f64_e32 v[104:105], v[70:71], v[20:21]
	v_fma_f64 v[12:13], v[68:69], v[20:21], -v[22:23]
	v_add_f64 v[6:7], v[6:7], v[102:103]
	v_add_f64 v[4:5], v[4:5], v[10:11]
	s_waitcnt vmcnt(5) lgkmcnt(4)
	v_mul_f64 v[108:109], v[76:77], v[30:31]
	v_mul_f64 v[30:31], v[78:79], v[30:31]
	v_fmac_f64_e32 v[106:107], v[74:75], v[24:25]
	v_add_f64 v[6:7], v[6:7], v[104:105]
	v_add_f64 v[4:5], v[4:5], v[12:13]
	s_waitcnt vmcnt(4) lgkmcnt(3)
	v_mul_f64 v[110:111], v[80:81], v[34:35]
	v_mul_f64 v[34:35], v[82:83], v[34:35]
	v_fmac_f64_e32 v[108:109], v[78:79], v[28:29]
	v_fma_f64 v[16:17], v[76:77], v[28:29], -v[30:31]
	v_add_f64 v[6:7], v[6:7], v[106:107]
	v_add_f64 v[4:5], v[4:5], v[14:15]
	s_waitcnt vmcnt(3) lgkmcnt(2)
	v_mul_f64 v[112:113], v[84:85], v[38:39]
	v_mul_f64 v[38:39], v[86:87], v[38:39]
	v_fmac_f64_e32 v[110:111], v[82:83], v[32:33]
	v_fma_f64 v[18:19], v[80:81], v[32:33], -v[34:35]
	;; [unrolled: 7-line block ×4, first 2 shown]
	v_add_f64 v[6:7], v[6:7], v[112:113]
	v_add_f64 v[4:5], v[4:5], v[20:21]
	v_fmac_f64_e32 v[116:117], v[94:95], v[44:45]
	v_fma_f64 v[24:25], v[92:93], v[44:45], -v[46:47]
	v_add_f64 v[6:7], v[6:7], v[114:115]
	v_add_f64 v[4:5], v[4:5], v[22:23]
	;; [unrolled: 1-line block ×4, first 2 shown]
	s_waitcnt vmcnt(0)
	v_add_f64 v[4:5], v[48:49], -v[4:5]
	v_add_f64 v[6:7], v[50:51], -v[6:7]
	scratch_store_dwordx4 off, v[4:7], off offset:528
	s_and_saveexec_b64 s[0:1], vcc
	s_cbranch_execz .LBB43_215
; %bb.214:
	scratch_load_dwordx4 v[6:9], off, s49
	v_mov_b32_e32 v3, v2
	v_mov_b32_e32 v4, v2
	;; [unrolled: 1-line block ×3, first 2 shown]
	v_accvgpr_read_b32 v0, a89
	scratch_store_dwordx4 off, v[2:5], off offset:512
	s_waitcnt vmcnt(1)
	ds_write_b128 v0, v[6:9]
.LBB43_215:
	s_or_b64 exec, exec, s[0:1]
	s_waitcnt lgkmcnt(0)
	; wave barrier
	scratch_load_dwordx4 v[4:7], off, off offset:528
	scratch_load_dwordx4 v[8:11], off, off offset:544
	;; [unrolled: 1-line block ×12, first 2 shown]
	ds_read_b128 v[52:55], v2 offset:1216
	ds_read_b128 v[56:59], v2 offset:1232
	;; [unrolled: 1-line block ×4, first 2 shown]
	scratch_load_dwordx4 v[68:71], off, off offset:512
	ds_read_b128 v[72:75], v2 offset:1280
	ds_read_b128 v[76:79], v2 offset:1296
	;; [unrolled: 1-line block ×8, first 2 shown]
	v_cmp_lt_u32_e32 vcc, 30, v246
	s_waitcnt vmcnt(12) lgkmcnt(11)
	v_mul_f64 v[2:3], v[52:53], v[6:7]
	s_waitcnt vmcnt(11) lgkmcnt(10)
	v_mul_f64 v[104:105], v[56:57], v[10:11]
	v_fmac_f64_e32 v[2:3], v[54:55], v[4:5]
	s_waitcnt vmcnt(10) lgkmcnt(9)
	v_mul_f64 v[106:107], v[60:61], v[14:15]
	v_mul_f64 v[6:7], v[54:55], v[6:7]
	v_fmac_f64_e32 v[104:105], v[58:59], v[8:9]
	v_add_f64 v[2:3], v[2:3], 0
	s_waitcnt vmcnt(9) lgkmcnt(8)
	v_mul_f64 v[108:109], v[64:65], v[18:19]
	v_mul_f64 v[10:11], v[58:59], v[10:11]
	v_fmac_f64_e32 v[106:107], v[62:63], v[12:13]
	v_fma_f64 v[4:5], v[52:53], v[4:5], -v[6:7]
	v_add_f64 v[2:3], v[2:3], v[104:105]
	s_waitcnt vmcnt(8) lgkmcnt(7)
	v_mul_f64 v[110:111], v[72:73], v[22:23]
	v_mul_f64 v[14:15], v[62:63], v[14:15]
	v_fmac_f64_e32 v[108:109], v[66:67], v[16:17]
	v_fma_f64 v[6:7], v[56:57], v[8:9], -v[10:11]
	v_add_f64 v[4:5], v[4:5], 0
	v_add_f64 v[2:3], v[2:3], v[106:107]
	s_waitcnt vmcnt(7) lgkmcnt(6)
	v_mul_f64 v[112:113], v[76:77], v[26:27]
	v_mul_f64 v[18:19], v[66:67], v[18:19]
	v_fmac_f64_e32 v[110:111], v[74:75], v[20:21]
	v_fma_f64 v[8:9], v[60:61], v[12:13], -v[14:15]
	v_add_f64 v[4:5], v[4:5], v[6:7]
	;; [unrolled: 7-line block ×8, first 2 shown]
	v_add_f64 v[2:3], v[2:3], v[120:121]
	v_mul_f64 v[46:47], v[98:99], v[46:47]
	v_fmac_f64_e32 v[124:125], v[102:103], v[48:49]
	v_fma_f64 v[22:23], v[92:93], v[40:41], -v[42:43]
	v_add_f64 v[4:5], v[4:5], v[20:21]
	v_add_f64 v[2:3], v[2:3], v[122:123]
	;; [unrolled: 1-line block ×4, first 2 shown]
	v_fma_f64 v[2:3], v[96:97], v[44:45], -v[46:47]
	v_add_f64 v[2:3], v[4:5], v[2:3]
	v_mul_f64 v[4:5], v[102:103], v[50:51]
	v_fma_f64 v[4:5], v[100:101], v[48:49], -v[4:5]
	v_add_f64 v[2:3], v[2:3], v[4:5]
	s_waitcnt vmcnt(0)
	v_add_f64 v[2:3], v[68:69], -v[2:3]
	v_add_f64 v[4:5], v[70:71], -v[6:7]
	scratch_store_dwordx4 off, v[2:5], off offset:512
	s_and_saveexec_b64 s[0:1], vcc
	s_cbranch_execz .LBB43_217
; %bb.216:
	scratch_load_dwordx4 v[2:5], off, s48
	v_mov_b32_e32 v6, 0
	v_mov_b32_e32 v7, v6
	;; [unrolled: 1-line block ×4, first 2 shown]
	v_accvgpr_read_b32 v0, a89
	scratch_store_dwordx4 off, v[6:9], off offset:496
	s_waitcnt vmcnt(1)
	ds_write_b128 v0, v[2:5]
.LBB43_217:
	s_or_b64 exec, exec, s[0:1]
	s_waitcnt lgkmcnt(0)
	; wave barrier
	scratch_load_dwordx4 v[4:7], off, off offset:512
	scratch_load_dwordx4 v[8:11], off, off offset:528
	;; [unrolled: 1-line block ×14, first 2 shown]
	v_mov_b32_e32 v2, 0
	ds_read_b128 v[60:63], v2 offset:1200
	ds_read_b128 v[64:67], v2 offset:1216
	;; [unrolled: 1-line block ×13, first 2 shown]
	v_cmp_lt_u32_e32 vcc, 29, v246
	s_waitcnt vmcnt(13) lgkmcnt(12)
	v_mul_f64 v[112:113], v[60:61], v[6:7]
	v_mul_f64 v[6:7], v[62:63], v[6:7]
	s_waitcnt vmcnt(12) lgkmcnt(11)
	v_mul_f64 v[114:115], v[64:65], v[10:11]
	v_mul_f64 v[10:11], v[66:67], v[10:11]
	v_fmac_f64_e32 v[112:113], v[62:63], v[4:5]
	v_fma_f64 v[4:5], v[60:61], v[4:5], -v[6:7]
	s_waitcnt vmcnt(11) lgkmcnt(10)
	v_mul_f64 v[116:117], v[68:69], v[14:15]
	v_mul_f64 v[14:15], v[70:71], v[14:15]
	v_fma_f64 v[6:7], v[64:65], v[8:9], -v[10:11]
	v_add_f64 v[4:5], v[4:5], 0
	s_waitcnt vmcnt(10) lgkmcnt(9)
	v_mul_f64 v[118:119], v[72:73], v[18:19]
	v_mul_f64 v[18:19], v[74:75], v[18:19]
	v_fmac_f64_e32 v[114:115], v[66:67], v[8:9]
	v_fma_f64 v[8:9], v[68:69], v[12:13], -v[14:15]
	v_add_f64 v[4:5], v[4:5], v[6:7]
	s_waitcnt vmcnt(9) lgkmcnt(8)
	v_mul_f64 v[120:121], v[76:77], v[22:23]
	v_mul_f64 v[22:23], v[78:79], v[22:23]
	v_fma_f64 v[10:11], v[72:73], v[16:17], -v[18:19]
	v_add_f64 v[4:5], v[4:5], v[8:9]
	s_waitcnt vmcnt(8) lgkmcnt(7)
	v_mul_f64 v[122:123], v[80:81], v[26:27]
	v_mul_f64 v[26:27], v[82:83], v[26:27]
	v_fmac_f64_e32 v[116:117], v[70:71], v[12:13]
	v_fma_f64 v[12:13], v[76:77], v[20:21], -v[22:23]
	v_add_f64 v[22:23], v[112:113], 0
	v_add_f64 v[4:5], v[4:5], v[10:11]
	s_waitcnt vmcnt(7) lgkmcnt(6)
	v_mul_f64 v[124:125], v[84:85], v[30:31]
	v_mul_f64 v[30:31], v[86:87], v[30:31]
	v_fma_f64 v[14:15], v[80:81], v[24:25], -v[26:27]
	v_add_f64 v[22:23], v[22:23], v[114:115]
	v_add_f64 v[4:5], v[4:5], v[12:13]
	s_waitcnt vmcnt(6) lgkmcnt(5)
	v_mul_f64 v[126:127], v[88:89], v[34:35]
	v_mul_f64 v[34:35], v[90:91], v[34:35]
	v_fmac_f64_e32 v[118:119], v[74:75], v[16:17]
	v_fma_f64 v[16:17], v[84:85], v[28:29], -v[30:31]
	v_add_f64 v[6:7], v[22:23], v[116:117]
	v_add_f64 v[4:5], v[4:5], v[14:15]
	s_waitcnt vmcnt(5) lgkmcnt(4)
	v_mul_f64 v[128:129], v[92:93], v[38:39]
	v_mul_f64 v[38:39], v[94:95], v[38:39]
	v_fmac_f64_e32 v[120:121], v[78:79], v[20:21]
	v_fma_f64 v[18:19], v[88:89], v[32:33], -v[34:35]
	v_add_f64 v[6:7], v[6:7], v[118:119]
	v_add_f64 v[4:5], v[4:5], v[16:17]
	v_fmac_f64_e32 v[122:123], v[82:83], v[24:25]
	v_fma_f64 v[20:21], v[92:93], v[36:37], -v[38:39]
	v_add_f64 v[6:7], v[6:7], v[120:121]
	v_add_f64 v[4:5], v[4:5], v[18:19]
	s_waitcnt vmcnt(4) lgkmcnt(3)
	v_mul_f64 v[8:9], v[98:99], v[42:43]
	v_fmac_f64_e32 v[124:125], v[86:87], v[28:29]
	v_add_f64 v[6:7], v[6:7], v[122:123]
	v_add_f64 v[4:5], v[4:5], v[20:21]
	v_fma_f64 v[8:9], v[96:97], v[40:41], -v[8:9]
	v_fmac_f64_e32 v[126:127], v[90:91], v[32:33]
	v_add_f64 v[6:7], v[6:7], v[124:125]
	v_add_f64 v[4:5], v[4:5], v[8:9]
	s_waitcnt vmcnt(3) lgkmcnt(2)
	v_mul_f64 v[8:9], v[102:103], v[46:47]
	v_mul_f64 v[130:131], v[96:97], v[42:43]
	v_fmac_f64_e32 v[128:129], v[94:95], v[36:37]
	v_add_f64 v[6:7], v[6:7], v[126:127]
	v_fma_f64 v[8:9], v[100:101], v[44:45], -v[8:9]
	v_mul_f64 v[132:133], v[100:101], v[46:47]
	v_fmac_f64_e32 v[130:131], v[98:99], v[40:41]
	v_add_f64 v[6:7], v[6:7], v[128:129]
	v_add_f64 v[4:5], v[4:5], v[8:9]
	s_waitcnt vmcnt(2) lgkmcnt(1)
	v_mul_f64 v[8:9], v[106:107], v[50:51]
	v_mul_f64 v[134:135], v[104:105], v[50:51]
	v_fmac_f64_e32 v[132:133], v[102:103], v[44:45]
	v_add_f64 v[6:7], v[6:7], v[130:131]
	v_fma_f64 v[8:9], v[104:105], v[48:49], -v[8:9]
	s_waitcnt vmcnt(1) lgkmcnt(0)
	v_mul_f64 v[136:137], v[108:109], v[54:55]
	v_fmac_f64_e32 v[134:135], v[106:107], v[48:49]
	v_add_f64 v[6:7], v[6:7], v[132:133]
	v_add_f64 v[4:5], v[4:5], v[8:9]
	v_mul_f64 v[8:9], v[110:111], v[54:55]
	v_fmac_f64_e32 v[136:137], v[110:111], v[52:53]
	v_add_f64 v[6:7], v[6:7], v[134:135]
	v_fma_f64 v[8:9], v[108:109], v[52:53], -v[8:9]
	v_add_f64 v[6:7], v[6:7], v[136:137]
	v_add_f64 v[4:5], v[4:5], v[8:9]
	s_waitcnt vmcnt(0)
	v_add_f64 v[4:5], v[56:57], -v[4:5]
	v_add_f64 v[6:7], v[58:59], -v[6:7]
	scratch_store_dwordx4 off, v[4:7], off offset:496
	s_and_saveexec_b64 s[0:1], vcc
	s_cbranch_execz .LBB43_219
; %bb.218:
	scratch_load_dwordx4 v[6:9], off, s47
	v_mov_b32_e32 v3, v2
	v_mov_b32_e32 v4, v2
	;; [unrolled: 1-line block ×3, first 2 shown]
	v_accvgpr_read_b32 v0, a89
	scratch_store_dwordx4 off, v[2:5], off offset:480
	s_waitcnt vmcnt(1)
	ds_write_b128 v0, v[6:9]
.LBB43_219:
	s_or_b64 exec, exec, s[0:1]
	s_waitcnt lgkmcnt(0)
	; wave barrier
	scratch_load_dwordx4 v[4:7], off, off offset:496
	scratch_load_dwordx4 v[8:11], off, off offset:512
	scratch_load_dwordx4 v[12:15], off, off offset:528
	scratch_load_dwordx4 v[16:19], off, off offset:544
	scratch_load_dwordx4 v[20:23], off, off offset:560
	scratch_load_dwordx4 v[24:27], off, off offset:576
	scratch_load_dwordx4 v[28:31], off, off offset:592
	scratch_load_dwordx4 v[32:35], off, off offset:608
	scratch_load_dwordx4 v[36:39], off, off offset:624
	scratch_load_dwordx4 v[40:43], off, off offset:640
	scratch_load_dwordx4 v[44:47], off, off offset:656
	scratch_load_dwordx4 v[48:51], off, off offset:672
	scratch_load_dwordx4 v[52:55], off, off offset:688
	scratch_load_dwordx4 v[56:59], off, off offset:704
	ds_read_b128 v[60:63], v2 offset:1184
	ds_read_b128 v[64:67], v2 offset:1200
	;; [unrolled: 1-line block ×14, first 2 shown]
	scratch_load_dwordx4 v[116:119], off, off offset:480
	v_cmp_lt_u32_e32 vcc, 28, v246
	s_waitcnt vmcnt(14) lgkmcnt(13)
	v_mul_f64 v[2:3], v[60:61], v[6:7]
	s_waitcnt vmcnt(13) lgkmcnt(12)
	v_mul_f64 v[120:121], v[64:65], v[10:11]
	v_fmac_f64_e32 v[2:3], v[62:63], v[4:5]
	s_waitcnt vmcnt(12) lgkmcnt(11)
	v_mul_f64 v[122:123], v[68:69], v[14:15]
	v_fmac_f64_e32 v[120:121], v[66:67], v[8:9]
	v_add_f64 v[2:3], v[2:3], 0
	s_waitcnt vmcnt(11) lgkmcnt(10)
	v_mul_f64 v[124:125], v[72:73], v[18:19]
	v_fmac_f64_e32 v[122:123], v[70:71], v[12:13]
	v_add_f64 v[2:3], v[2:3], v[120:121]
	;; [unrolled: 4-line block ×4, first 2 shown]
	s_waitcnt vmcnt(8) lgkmcnt(7)
	v_mul_f64 v[130:131], v[84:85], v[30:31]
	v_mul_f64 v[6:7], v[62:63], v[6:7]
	v_fmac_f64_e32 v[128:129], v[82:83], v[24:25]
	v_add_f64 v[2:3], v[2:3], v[126:127]
	s_waitcnt vmcnt(7) lgkmcnt(6)
	v_mul_f64 v[132:133], v[88:89], v[34:35]
	v_mul_f64 v[10:11], v[66:67], v[10:11]
	v_fmac_f64_e32 v[130:131], v[86:87], v[28:29]
	v_fma_f64 v[4:5], v[60:61], v[4:5], -v[6:7]
	v_add_f64 v[2:3], v[2:3], v[128:129]
	s_waitcnt vmcnt(6) lgkmcnt(5)
	v_mul_f64 v[134:135], v[92:93], v[38:39]
	v_mul_f64 v[14:15], v[70:71], v[14:15]
	v_fmac_f64_e32 v[132:133], v[90:91], v[32:33]
	v_fma_f64 v[6:7], v[64:65], v[8:9], -v[10:11]
	v_add_f64 v[4:5], v[4:5], 0
	v_add_f64 v[2:3], v[2:3], v[130:131]
	s_waitcnt vmcnt(5) lgkmcnt(4)
	v_mul_f64 v[136:137], v[96:97], v[42:43]
	v_mul_f64 v[18:19], v[74:75], v[18:19]
	v_fmac_f64_e32 v[134:135], v[94:95], v[36:37]
	v_fma_f64 v[8:9], v[68:69], v[12:13], -v[14:15]
	v_add_f64 v[4:5], v[4:5], v[6:7]
	;; [unrolled: 7-line block ×6, first 2 shown]
	v_add_f64 v[2:3], v[2:3], v[140:141]
	v_fmac_f64_e32 v[144:145], v[114:115], v[56:57]
	v_fma_f64 v[18:19], v[88:89], v[32:33], -v[34:35]
	v_add_f64 v[4:5], v[4:5], v[16:17]
	v_add_f64 v[2:3], v[2:3], v[142:143]
	;; [unrolled: 1-line block ×4, first 2 shown]
	v_mul_f64 v[4:5], v[94:95], v[38:39]
	v_fma_f64 v[4:5], v[92:93], v[36:37], -v[4:5]
	v_add_f64 v[2:3], v[2:3], v[4:5]
	v_mul_f64 v[4:5], v[98:99], v[42:43]
	v_fma_f64 v[4:5], v[96:97], v[40:41], -v[4:5]
	v_add_f64 v[2:3], v[2:3], v[4:5]
	;; [unrolled: 3-line block ×6, first 2 shown]
	s_waitcnt vmcnt(0)
	v_add_f64 v[2:3], v[116:117], -v[2:3]
	v_add_f64 v[4:5], v[118:119], -v[6:7]
	scratch_store_dwordx4 off, v[2:5], off offset:480
	s_and_saveexec_b64 s[0:1], vcc
	s_cbranch_execz .LBB43_221
; %bb.220:
	scratch_load_dwordx4 v[2:5], off, s46
	v_mov_b32_e32 v6, 0
	v_mov_b32_e32 v7, v6
	;; [unrolled: 1-line block ×4, first 2 shown]
	v_accvgpr_read_b32 v0, a89
	scratch_store_dwordx4 off, v[6:9], off offset:464
	s_waitcnt vmcnt(1)
	ds_write_b128 v0, v[2:5]
.LBB43_221:
	s_or_b64 exec, exec, s[0:1]
	s_waitcnt lgkmcnt(0)
	; wave barrier
	scratch_load_dwordx4 v[4:7], off, off offset:480
	scratch_load_dwordx4 v[8:11], off, off offset:496
	;; [unrolled: 1-line block ×16, first 2 shown]
	v_mov_b32_e32 v2, 0
	ds_read_b128 v[68:71], v2 offset:1168
	ds_read_b128 v[72:75], v2 offset:1184
	;; [unrolled: 1-line block ×15, first 2 shown]
	v_cmp_lt_u32_e32 vcc, 27, v246
	s_waitcnt vmcnt(15) lgkmcnt(14)
	v_mul_f64 v[128:129], v[68:69], v[6:7]
	v_mul_f64 v[6:7], v[70:71], v[6:7]
	s_waitcnt vmcnt(14) lgkmcnt(13)
	v_mul_f64 v[130:131], v[72:73], v[10:11]
	v_mul_f64 v[10:11], v[74:75], v[10:11]
	v_fmac_f64_e32 v[128:129], v[70:71], v[4:5]
	v_fma_f64 v[4:5], v[68:69], v[4:5], -v[6:7]
	s_waitcnt vmcnt(13) lgkmcnt(12)
	v_mul_f64 v[132:133], v[76:77], v[14:15]
	v_mul_f64 v[14:15], v[78:79], v[14:15]
	v_fma_f64 v[6:7], v[72:73], v[8:9], -v[10:11]
	v_add_f64 v[4:5], v[4:5], 0
	s_waitcnt vmcnt(12) lgkmcnt(11)
	v_mul_f64 v[134:135], v[80:81], v[18:19]
	v_mul_f64 v[18:19], v[82:83], v[18:19]
	v_fmac_f64_e32 v[130:131], v[74:75], v[8:9]
	v_fma_f64 v[8:9], v[76:77], v[12:13], -v[14:15]
	v_add_f64 v[4:5], v[4:5], v[6:7]
	s_waitcnt vmcnt(11) lgkmcnt(10)
	v_mul_f64 v[136:137], v[84:85], v[22:23]
	v_mul_f64 v[22:23], v[86:87], v[22:23]
	v_fma_f64 v[10:11], v[80:81], v[16:17], -v[18:19]
	v_add_f64 v[4:5], v[4:5], v[8:9]
	s_waitcnt vmcnt(10) lgkmcnt(9)
	v_mul_f64 v[138:139], v[88:89], v[26:27]
	v_mul_f64 v[26:27], v[90:91], v[26:27]
	v_fmac_f64_e32 v[132:133], v[78:79], v[12:13]
	v_fma_f64 v[12:13], v[84:85], v[20:21], -v[22:23]
	v_add_f64 v[4:5], v[4:5], v[10:11]
	v_fma_f64 v[14:15], v[88:89], v[24:25], -v[26:27]
	v_add_f64 v[4:5], v[4:5], v[12:13]
	s_waitcnt vmcnt(9) lgkmcnt(8)
	v_mul_f64 v[8:9], v[94:95], v[30:31]
	v_add_f64 v[4:5], v[4:5], v[14:15]
	v_fma_f64 v[8:9], v[92:93], v[28:29], -v[8:9]
	v_add_f64 v[4:5], v[4:5], v[8:9]
	s_waitcnt vmcnt(8) lgkmcnt(7)
	v_mul_f64 v[8:9], v[98:99], v[34:35]
	v_fma_f64 v[8:9], v[96:97], v[32:33], -v[8:9]
	v_fmac_f64_e32 v[134:135], v[82:83], v[16:17]
	v_add_f64 v[16:17], v[128:129], 0
	v_add_f64 v[4:5], v[4:5], v[8:9]
	s_waitcnt vmcnt(7) lgkmcnt(6)
	v_mul_f64 v[8:9], v[102:103], v[38:39]
	v_add_f64 v[16:17], v[16:17], v[130:131]
	v_fma_f64 v[8:9], v[100:101], v[36:37], -v[8:9]
	v_add_f64 v[6:7], v[16:17], v[132:133]
	v_add_f64 v[4:5], v[4:5], v[8:9]
	s_waitcnt vmcnt(6) lgkmcnt(5)
	v_mul_f64 v[8:9], v[106:107], v[42:43]
	v_fmac_f64_e32 v[136:137], v[86:87], v[20:21]
	v_add_f64 v[6:7], v[6:7], v[134:135]
	v_fma_f64 v[8:9], v[104:105], v[40:41], -v[8:9]
	v_mul_f64 v[140:141], v[92:93], v[30:31]
	v_fmac_f64_e32 v[138:139], v[90:91], v[24:25]
	v_add_f64 v[6:7], v[6:7], v[136:137]
	v_add_f64 v[4:5], v[4:5], v[8:9]
	s_waitcnt vmcnt(5) lgkmcnt(4)
	v_mul_f64 v[8:9], v[110:111], v[46:47]
	v_mul_f64 v[142:143], v[96:97], v[34:35]
	v_fmac_f64_e32 v[140:141], v[94:95], v[28:29]
	v_add_f64 v[6:7], v[6:7], v[138:139]
	v_fma_f64 v[8:9], v[108:109], v[44:45], -v[8:9]
	v_mul_f64 v[144:145], v[100:101], v[38:39]
	v_fmac_f64_e32 v[142:143], v[98:99], v[32:33]
	v_add_f64 v[6:7], v[6:7], v[140:141]
	v_add_f64 v[4:5], v[4:5], v[8:9]
	s_waitcnt vmcnt(4) lgkmcnt(3)
	v_mul_f64 v[8:9], v[114:115], v[50:51]
	;; [unrolled: 10-line block ×4, first 2 shown]
	v_mul_f64 v[154:155], v[120:121], v[58:59]
	v_fmac_f64_e32 v[152:153], v[118:119], v[52:53]
	v_add_f64 v[6:7], v[6:7], v[150:151]
	v_fma_f64 v[8:9], v[120:121], v[56:57], -v[8:9]
	s_waitcnt vmcnt(1) lgkmcnt(0)
	v_mul_f64 v[156:157], v[124:125], v[62:63]
	v_fmac_f64_e32 v[154:155], v[122:123], v[56:57]
	v_add_f64 v[6:7], v[6:7], v[152:153]
	v_add_f64 v[4:5], v[4:5], v[8:9]
	v_mul_f64 v[8:9], v[126:127], v[62:63]
	v_fmac_f64_e32 v[156:157], v[126:127], v[60:61]
	v_add_f64 v[6:7], v[6:7], v[154:155]
	v_fma_f64 v[8:9], v[124:125], v[60:61], -v[8:9]
	v_add_f64 v[6:7], v[6:7], v[156:157]
	v_add_f64 v[4:5], v[4:5], v[8:9]
	s_waitcnt vmcnt(0)
	v_add_f64 v[4:5], v[64:65], -v[4:5]
	v_add_f64 v[6:7], v[66:67], -v[6:7]
	scratch_store_dwordx4 off, v[4:7], off offset:464
	s_and_saveexec_b64 s[0:1], vcc
	s_cbranch_execz .LBB43_223
; %bb.222:
	scratch_load_dwordx4 v[6:9], off, s45
	v_mov_b32_e32 v3, v2
	v_mov_b32_e32 v4, v2
	;; [unrolled: 1-line block ×3, first 2 shown]
	v_accvgpr_read_b32 v0, a89
	scratch_store_dwordx4 off, v[2:5], off offset:448
	s_waitcnt vmcnt(1)
	ds_write_b128 v0, v[6:9]
.LBB43_223:
	s_or_b64 exec, exec, s[0:1]
	s_waitcnt lgkmcnt(0)
	; wave barrier
	scratch_load_dwordx4 v[4:7], off, off offset:464
	scratch_load_dwordx4 v[8:11], off, off offset:480
	;; [unrolled: 1-line block ×16, first 2 shown]
	ds_read_b128 v[68:71], v2 offset:1152
	ds_read_b128 v[72:75], v2 offset:1168
	;; [unrolled: 1-line block ×16, first 2 shown]
	scratch_load_dwordx4 v[132:135], off, off offset:448
	v_cmp_lt_u32_e32 vcc, 26, v246
	s_waitcnt vmcnt(16) lgkmcnt(14)
	v_mul_f64 v[2:3], v[68:69], v[6:7]
	s_waitcnt vmcnt(15)
	v_mul_f64 v[136:137], v[72:73], v[10:11]
	v_fmac_f64_e32 v[2:3], v[70:71], v[4:5]
	s_waitcnt vmcnt(14) lgkmcnt(13)
	v_mul_f64 v[138:139], v[76:77], v[14:15]
	v_fmac_f64_e32 v[136:137], v[74:75], v[8:9]
	v_add_f64 v[2:3], v[2:3], 0
	s_waitcnt vmcnt(13) lgkmcnt(12)
	v_mul_f64 v[140:141], v[80:81], v[18:19]
	v_fmac_f64_e32 v[138:139], v[78:79], v[12:13]
	v_add_f64 v[2:3], v[2:3], v[136:137]
	;; [unrolled: 4-line block ×10, first 2 shown]
	s_waitcnt vmcnt(4) lgkmcnt(3)
	v_mul_f64 v[158:159], v[116:117], v[54:55]
	v_mul_f64 v[6:7], v[70:71], v[6:7]
	v_fmac_f64_e32 v[156:157], v[114:115], v[48:49]
	v_add_f64 v[2:3], v[2:3], v[154:155]
	s_waitcnt vmcnt(3) lgkmcnt(2)
	v_mul_f64 v[160:161], v[120:121], v[58:59]
	v_mul_f64 v[10:11], v[74:75], v[10:11]
	v_fmac_f64_e32 v[158:159], v[118:119], v[52:53]
	v_fma_f64 v[4:5], v[68:69], v[4:5], -v[6:7]
	v_add_f64 v[2:3], v[2:3], v[156:157]
	s_waitcnt vmcnt(2) lgkmcnt(1)
	v_mul_f64 v[162:163], v[124:125], v[62:63]
	v_mul_f64 v[14:15], v[78:79], v[14:15]
	v_fmac_f64_e32 v[160:161], v[122:123], v[56:57]
	v_fma_f64 v[6:7], v[72:73], v[8:9], -v[10:11]
	v_add_f64 v[4:5], v[4:5], 0
	v_add_f64 v[2:3], v[2:3], v[158:159]
	s_waitcnt vmcnt(1) lgkmcnt(0)
	v_mul_f64 v[164:165], v[128:129], v[66:67]
	v_mul_f64 v[18:19], v[82:83], v[18:19]
	v_fmac_f64_e32 v[162:163], v[126:127], v[60:61]
	v_fma_f64 v[8:9], v[76:77], v[12:13], -v[14:15]
	v_add_f64 v[4:5], v[4:5], v[6:7]
	v_add_f64 v[2:3], v[2:3], v[160:161]
	v_mul_f64 v[26:27], v[86:87], v[26:27]
	v_fmac_f64_e32 v[164:165], v[130:131], v[64:65]
	v_fma_f64 v[10:11], v[80:81], v[16:17], -v[18:19]
	v_add_f64 v[4:5], v[4:5], v[8:9]
	v_add_f64 v[2:3], v[2:3], v[162:163]
	v_fma_f64 v[12:13], v[84:85], v[24:25], -v[26:27]
	v_add_f64 v[4:5], v[4:5], v[10:11]
	v_add_f64 v[6:7], v[2:3], v[164:165]
	v_mul_f64 v[2:3], v[90:91], v[22:23]
	v_add_f64 v[4:5], v[4:5], v[12:13]
	v_fma_f64 v[2:3], v[88:89], v[20:21], -v[2:3]
	v_add_f64 v[2:3], v[4:5], v[2:3]
	v_mul_f64 v[4:5], v[94:95], v[30:31]
	v_fma_f64 v[4:5], v[92:93], v[28:29], -v[4:5]
	v_add_f64 v[2:3], v[2:3], v[4:5]
	v_mul_f64 v[4:5], v[98:99], v[34:35]
	;; [unrolled: 3-line block ×10, first 2 shown]
	v_fma_f64 v[4:5], v[128:129], v[64:65], -v[4:5]
	v_add_f64 v[2:3], v[2:3], v[4:5]
	s_waitcnt vmcnt(0)
	v_add_f64 v[2:3], v[132:133], -v[2:3]
	v_add_f64 v[4:5], v[134:135], -v[6:7]
	scratch_store_dwordx4 off, v[2:5], off offset:448
	s_and_saveexec_b64 s[0:1], vcc
	s_cbranch_execz .LBB43_225
; %bb.224:
	scratch_load_dwordx4 v[2:5], off, s44
	v_mov_b32_e32 v6, 0
	v_mov_b32_e32 v7, v6
	;; [unrolled: 1-line block ×4, first 2 shown]
	v_accvgpr_read_b32 v0, a89
	scratch_store_dwordx4 off, v[6:9], off offset:432
	s_waitcnt vmcnt(1)
	ds_write_b128 v0, v[2:5]
.LBB43_225:
	s_or_b64 exec, exec, s[0:1]
	v_mov_b32_e32 v2, 0
	s_waitcnt lgkmcnt(0)
	; wave barrier
	ds_read_b128 v[16:19], v2 offset:1136
	ds_read_b128 v[12:15], v2 offset:1152
	;; [unrolled: 1-line block ×4, first 2 shown]
	scratch_load_dwordx4 v[20:23], off, off offset:448
	scratch_load_dwordx4 v[40:43], off, off offset:512
	;; [unrolled: 1-line block ×11, first 2 shown]
	v_cmp_lt_u32_e32 vcc, 25, v246
	scratch_load_dwordx4 v[48:51], off, off offset:528
	scratch_load_dwordx4 v[56:59], off, off offset:544
	;; [unrolled: 1-line block ×3, first 2 shown]
	s_waitcnt vmcnt(13) lgkmcnt(3)
	v_mul_f64 v[24:25], v[16:17], v[22:23]
	v_fmac_f64_e32 v[24:25], v[18:19], v[20:21]
	v_add_f64 v[28:29], v[24:25], 0
	scratch_load_dwordx4 v[24:27], off, off offset:464
	v_mul_f64 v[18:19], v[18:19], v[22:23]
	v_fma_f64 v[16:17], v[16:17], v[20:21], -v[18:19]
	v_add_f64 v[16:17], v[16:17], 0
	s_waitcnt vmcnt(0) lgkmcnt(2)
	v_mul_f64 v[30:31], v[12:13], v[26:27]
	v_fmac_f64_e32 v[30:31], v[14:15], v[24:25]
	v_add_f64 v[32:33], v[28:29], v[30:31]
	scratch_load_dwordx4 v[28:31], off, off offset:480
	v_mul_f64 v[14:15], v[14:15], v[26:27]
	v_fma_f64 v[12:13], v[12:13], v[24:25], -v[14:15]
	v_add_f64 v[12:13], v[16:17], v[12:13]
	;; [unrolled: 8-line block ×3, first 2 shown]
	s_waitcnt vmcnt(0) lgkmcnt(0)
	v_mul_f64 v[38:39], v[4:5], v[34:35]
	v_fmac_f64_e32 v[38:39], v[6:7], v[32:33]
	v_add_f64 v[44:45], v[36:37], v[38:39]
	ds_read_b128 v[36:39], v2 offset:1200
	v_mul_f64 v[6:7], v[6:7], v[34:35]
	v_fma_f64 v[4:5], v[4:5], v[32:33], -v[6:7]
	v_add_f64 v[4:5], v[8:9], v[4:5]
	s_waitcnt lgkmcnt(0)
	v_mul_f64 v[46:47], v[36:37], v[42:43]
	v_fmac_f64_e32 v[46:47], v[38:39], v[40:41]
	v_add_f64 v[52:53], v[44:45], v[46:47]
	ds_read_b128 v[44:47], v2 offset:1216
	v_mul_f64 v[6:7], v[38:39], v[42:43]
	v_fma_f64 v[6:7], v[36:37], v[40:41], -v[6:7]
	v_add_f64 v[4:5], v[4:5], v[6:7]
	s_waitcnt lgkmcnt(0)
	;; [unrolled: 8-line block ×13, first 2 shown]
	v_mul_f64 v[6:7], v[136:137], v[140:141]
	v_fma_f64 v[6:7], v[134:135], v[138:139], -v[6:7]
	v_add_f64 v[8:9], v[4:5], v[6:7]
	scratch_load_dwordx4 v[4:7], off, off offset:432
	v_mul_f64 v[142:143], v[134:135], v[140:141]
	v_fmac_f64_e32 v[142:143], v[136:137], v[138:139]
	v_add_f64 v[72:73], v[72:73], v[142:143]
	s_waitcnt vmcnt(0)
	v_add_f64 v[4:5], v[4:5], -v[8:9]
	v_add_f64 v[6:7], v[6:7], -v[72:73]
	scratch_store_dwordx4 off, v[4:7], off offset:432
	s_and_saveexec_b64 s[0:1], vcc
	s_cbranch_execz .LBB43_227
; %bb.226:
	scratch_load_dwordx4 v[6:9], off, s43
	v_mov_b32_e32 v3, v2
	v_mov_b32_e32 v4, v2
	;; [unrolled: 1-line block ×3, first 2 shown]
	v_accvgpr_read_b32 v0, a89
	scratch_store_dwordx4 off, v[2:5], off offset:416
	s_waitcnt vmcnt(1)
	ds_write_b128 v0, v[6:9]
.LBB43_227:
	s_or_b64 exec, exec, s[0:1]
	s_waitcnt lgkmcnt(0)
	; wave barrier
	ds_read_b128 v[16:19], v2 offset:1120
	ds_read_b128 v[12:15], v2 offset:1136
	;; [unrolled: 1-line block ×4, first 2 shown]
	scratch_load_dwordx4 v[20:23], off, off offset:432
	scratch_load_dwordx4 v[40:43], off, off offset:496
	;; [unrolled: 1-line block ×12, first 2 shown]
	v_cmp_lt_u32_e32 vcc, 24, v246
	scratch_load_dwordx4 v[48:51], off, off offset:512
	scratch_load_dwordx4 v[56:59], off, off offset:528
	;; [unrolled: 1-line block ×3, first 2 shown]
	s_waitcnt vmcnt(14) lgkmcnt(3)
	v_mul_f64 v[24:25], v[16:17], v[22:23]
	v_fmac_f64_e32 v[24:25], v[18:19], v[20:21]
	v_add_f64 v[28:29], v[24:25], 0
	scratch_load_dwordx4 v[24:27], off, off offset:448
	s_waitcnt vmcnt(0) lgkmcnt(2)
	v_mul_f64 v[30:31], v[12:13], v[26:27]
	v_fmac_f64_e32 v[30:31], v[14:15], v[24:25]
	v_add_f64 v[32:33], v[28:29], v[30:31]
	scratch_load_dwordx4 v[28:31], off, off offset:464
	v_mul_f64 v[14:15], v[14:15], v[26:27]
	v_fma_f64 v[12:13], v[12:13], v[24:25], -v[14:15]
	s_waitcnt vmcnt(0) lgkmcnt(1)
	v_mul_f64 v[34:35], v[8:9], v[30:31]
	v_fmac_f64_e32 v[34:35], v[10:11], v[28:29]
	v_add_f64 v[36:37], v[32:33], v[34:35]
	scratch_load_dwordx4 v[32:35], off, off offset:480
	v_mul_f64 v[10:11], v[10:11], v[30:31]
	v_fma_f64 v[8:9], v[8:9], v[28:29], -v[10:11]
	s_waitcnt vmcnt(0) lgkmcnt(0)
	v_mul_f64 v[38:39], v[4:5], v[34:35]
	v_fmac_f64_e32 v[38:39], v[6:7], v[32:33]
	v_add_f64 v[44:45], v[36:37], v[38:39]
	ds_read_b128 v[36:39], v2 offset:1184
	v_mul_f64 v[6:7], v[6:7], v[34:35]
	v_fma_f64 v[4:5], v[4:5], v[32:33], -v[6:7]
	s_waitcnt lgkmcnt(0)
	v_mul_f64 v[46:47], v[36:37], v[42:43]
	v_fmac_f64_e32 v[46:47], v[38:39], v[40:41]
	v_add_f64 v[52:53], v[44:45], v[46:47]
	ds_read_b128 v[44:47], v2 offset:1200
	s_waitcnt lgkmcnt(0)
	v_mul_f64 v[54:55], v[44:45], v[50:51]
	v_fmac_f64_e32 v[54:55], v[46:47], v[48:49]
	v_add_f64 v[60:61], v[52:53], v[54:55]
	ds_read_b128 v[52:55], v2 offset:1216
	;; [unrolled: 5-line block ×13, first 2 shown]
	s_waitcnt lgkmcnt(0)
	v_mul_f64 v[2:3], v[142:143], v[148:149]
	v_fmac_f64_e32 v[2:3], v[144:145], v[146:147]
	v_add_f64 v[80:81], v[80:81], v[2:3]
	v_mul_f64 v[2:3], v[18:19], v[22:23]
	v_fma_f64 v[2:3], v[16:17], v[20:21], -v[2:3]
	v_add_f64 v[2:3], v[2:3], 0
	v_add_f64 v[2:3], v[2:3], v[12:13]
	;; [unrolled: 1-line block ×4, first 2 shown]
	v_mul_f64 v[4:5], v[38:39], v[42:43]
	v_fma_f64 v[4:5], v[36:37], v[40:41], -v[4:5]
	v_add_f64 v[2:3], v[2:3], v[4:5]
	v_mul_f64 v[4:5], v[46:47], v[50:51]
	v_fma_f64 v[4:5], v[44:45], v[48:49], -v[4:5]
	v_add_f64 v[2:3], v[2:3], v[4:5]
	;; [unrolled: 3-line block ×14, first 2 shown]
	scratch_load_dwordx4 v[2:5], off, off offset:416
	s_waitcnt vmcnt(0)
	v_add_f64 v[2:3], v[2:3], -v[6:7]
	v_add_f64 v[4:5], v[4:5], -v[80:81]
	scratch_store_dwordx4 off, v[2:5], off offset:416
	s_and_saveexec_b64 s[0:1], vcc
	s_cbranch_execz .LBB43_229
; %bb.228:
	scratch_load_dwordx4 v[2:5], off, s42
	v_mov_b32_e32 v6, 0
	v_mov_b32_e32 v7, v6
	;; [unrolled: 1-line block ×4, first 2 shown]
	v_accvgpr_read_b32 v0, a89
	scratch_store_dwordx4 off, v[6:9], off offset:400
	s_waitcnt vmcnt(1)
	ds_write_b128 v0, v[2:5]
.LBB43_229:
	s_or_b64 exec, exec, s[0:1]
	v_mov_b32_e32 v2, 0
	s_waitcnt lgkmcnt(0)
	; wave barrier
	ds_read_b128 v[16:19], v2 offset:1104
	ds_read_b128 v[12:15], v2 offset:1120
	;; [unrolled: 1-line block ×4, first 2 shown]
	scratch_load_dwordx4 v[20:23], off, off offset:416
	scratch_load_dwordx4 v[40:43], off, off offset:480
	;; [unrolled: 1-line block ×13, first 2 shown]
	v_cmp_lt_u32_e32 vcc, 23, v246
	scratch_load_dwordx4 v[48:51], off, off offset:496
	scratch_load_dwordx4 v[56:59], off, off offset:512
	;; [unrolled: 1-line block ×3, first 2 shown]
	s_waitcnt vmcnt(15) lgkmcnt(3)
	v_mul_f64 v[24:25], v[16:17], v[22:23]
	v_fmac_f64_e32 v[24:25], v[18:19], v[20:21]
	v_add_f64 v[28:29], v[24:25], 0
	scratch_load_dwordx4 v[24:27], off, off offset:432
	v_mul_f64 v[18:19], v[18:19], v[22:23]
	v_fma_f64 v[16:17], v[16:17], v[20:21], -v[18:19]
	v_add_f64 v[16:17], v[16:17], 0
	s_waitcnt vmcnt(0) lgkmcnt(2)
	v_mul_f64 v[30:31], v[12:13], v[26:27]
	v_fmac_f64_e32 v[30:31], v[14:15], v[24:25]
	v_add_f64 v[32:33], v[28:29], v[30:31]
	scratch_load_dwordx4 v[28:31], off, off offset:448
	v_mul_f64 v[14:15], v[14:15], v[26:27]
	v_fma_f64 v[12:13], v[12:13], v[24:25], -v[14:15]
	v_add_f64 v[12:13], v[16:17], v[12:13]
	;; [unrolled: 8-line block ×3, first 2 shown]
	s_waitcnt vmcnt(0) lgkmcnt(0)
	v_mul_f64 v[38:39], v[4:5], v[34:35]
	v_fmac_f64_e32 v[38:39], v[6:7], v[32:33]
	v_add_f64 v[44:45], v[36:37], v[38:39]
	ds_read_b128 v[36:39], v2 offset:1168
	v_mul_f64 v[6:7], v[6:7], v[34:35]
	v_fma_f64 v[4:5], v[4:5], v[32:33], -v[6:7]
	v_add_f64 v[4:5], v[8:9], v[4:5]
	s_waitcnt lgkmcnt(0)
	v_mul_f64 v[46:47], v[36:37], v[42:43]
	v_fmac_f64_e32 v[46:47], v[38:39], v[40:41]
	v_add_f64 v[52:53], v[44:45], v[46:47]
	ds_read_b128 v[44:47], v2 offset:1184
	v_mul_f64 v[6:7], v[38:39], v[42:43]
	v_fma_f64 v[6:7], v[36:37], v[40:41], -v[6:7]
	v_add_f64 v[4:5], v[4:5], v[6:7]
	s_waitcnt lgkmcnt(0)
	;; [unrolled: 8-line block ×15, first 2 shown]
	v_mul_f64 v[6:7], v[152:153], v[156:157]
	v_fma_f64 v[6:7], v[150:151], v[154:155], -v[6:7]
	v_add_f64 v[8:9], v[4:5], v[6:7]
	scratch_load_dwordx4 v[4:7], off, off offset:400
	v_mul_f64 v[158:159], v[150:151], v[156:157]
	v_fmac_f64_e32 v[158:159], v[152:153], v[154:155]
	v_add_f64 v[88:89], v[88:89], v[158:159]
	s_waitcnt vmcnt(0)
	v_add_f64 v[4:5], v[4:5], -v[8:9]
	v_add_f64 v[6:7], v[6:7], -v[88:89]
	scratch_store_dwordx4 off, v[4:7], off offset:400
	s_and_saveexec_b64 s[0:1], vcc
	s_cbranch_execz .LBB43_231
; %bb.230:
	scratch_load_dwordx4 v[6:9], off, s41
	v_mov_b32_e32 v3, v2
	v_mov_b32_e32 v4, v2
	v_mov_b32_e32 v5, v2
	v_accvgpr_read_b32 v0, a89
	scratch_store_dwordx4 off, v[2:5], off offset:384
	s_waitcnt vmcnt(1)
	ds_write_b128 v0, v[6:9]
.LBB43_231:
	s_or_b64 exec, exec, s[0:1]
	s_waitcnt lgkmcnt(0)
	; wave barrier
	ds_read_b128 v[16:19], v2 offset:1088
	ds_read_b128 v[12:15], v2 offset:1104
	;; [unrolled: 1-line block ×4, first 2 shown]
	scratch_load_dwordx4 v[20:23], off, off offset:400
	scratch_load_dwordx4 v[40:43], off, off offset:464
	;; [unrolled: 1-line block ×14, first 2 shown]
	v_cmp_lt_u32_e32 vcc, 22, v246
	scratch_load_dwordx4 v[48:51], off, off offset:480
	scratch_load_dwordx4 v[56:59], off, off offset:496
	;; [unrolled: 1-line block ×3, first 2 shown]
	s_waitcnt vmcnt(16) lgkmcnt(3)
	v_mul_f64 v[24:25], v[16:17], v[22:23]
	v_fmac_f64_e32 v[24:25], v[18:19], v[20:21]
	v_add_f64 v[28:29], v[24:25], 0
	scratch_load_dwordx4 v[24:27], off, off offset:416
	s_waitcnt vmcnt(0) lgkmcnt(2)
	v_mul_f64 v[30:31], v[12:13], v[26:27]
	v_fmac_f64_e32 v[30:31], v[14:15], v[24:25]
	v_add_f64 v[32:33], v[28:29], v[30:31]
	scratch_load_dwordx4 v[28:31], off, off offset:432
	v_mul_f64 v[14:15], v[14:15], v[26:27]
	v_fma_f64 v[12:13], v[12:13], v[24:25], -v[14:15]
	s_waitcnt vmcnt(0) lgkmcnt(1)
	v_mul_f64 v[34:35], v[8:9], v[30:31]
	v_fmac_f64_e32 v[34:35], v[10:11], v[28:29]
	v_add_f64 v[36:37], v[32:33], v[34:35]
	scratch_load_dwordx4 v[32:35], off, off offset:448
	v_mul_f64 v[10:11], v[10:11], v[30:31]
	v_fma_f64 v[8:9], v[8:9], v[28:29], -v[10:11]
	s_waitcnt vmcnt(0) lgkmcnt(0)
	v_mul_f64 v[38:39], v[4:5], v[34:35]
	v_fmac_f64_e32 v[38:39], v[6:7], v[32:33]
	v_add_f64 v[44:45], v[36:37], v[38:39]
	ds_read_b128 v[36:39], v2 offset:1152
	v_mul_f64 v[6:7], v[6:7], v[34:35]
	v_fma_f64 v[4:5], v[4:5], v[32:33], -v[6:7]
	s_waitcnt lgkmcnt(0)
	v_mul_f64 v[46:47], v[36:37], v[42:43]
	v_fmac_f64_e32 v[46:47], v[38:39], v[40:41]
	v_add_f64 v[52:53], v[44:45], v[46:47]
	ds_read_b128 v[44:47], v2 offset:1168
	s_waitcnt lgkmcnt(0)
	v_mul_f64 v[54:55], v[44:45], v[50:51]
	v_fmac_f64_e32 v[54:55], v[46:47], v[48:49]
	v_add_f64 v[60:61], v[52:53], v[54:55]
	ds_read_b128 v[52:55], v2 offset:1184
	;; [unrolled: 5-line block ×15, first 2 shown]
	s_waitcnt lgkmcnt(0)
	v_mul_f64 v[2:3], v[158:159], v[164:165]
	v_fmac_f64_e32 v[2:3], v[160:161], v[162:163]
	v_add_f64 v[96:97], v[96:97], v[2:3]
	v_mul_f64 v[2:3], v[18:19], v[22:23]
	v_fma_f64 v[2:3], v[16:17], v[20:21], -v[2:3]
	v_add_f64 v[2:3], v[2:3], 0
	v_add_f64 v[2:3], v[2:3], v[12:13]
	;; [unrolled: 1-line block ×4, first 2 shown]
	v_mul_f64 v[4:5], v[38:39], v[42:43]
	v_fma_f64 v[4:5], v[36:37], v[40:41], -v[4:5]
	v_add_f64 v[2:3], v[2:3], v[4:5]
	v_mul_f64 v[4:5], v[46:47], v[50:51]
	v_fma_f64 v[4:5], v[44:45], v[48:49], -v[4:5]
	v_add_f64 v[2:3], v[2:3], v[4:5]
	;; [unrolled: 3-line block ×16, first 2 shown]
	scratch_load_dwordx4 v[2:5], off, off offset:384
	s_waitcnt vmcnt(0)
	v_add_f64 v[2:3], v[2:3], -v[6:7]
	v_add_f64 v[4:5], v[4:5], -v[96:97]
	scratch_store_dwordx4 off, v[2:5], off offset:384
	s_and_saveexec_b64 s[0:1], vcc
	s_cbranch_execz .LBB43_233
; %bb.232:
	scratch_load_dwordx4 v[2:5], off, s40
	v_mov_b32_e32 v6, 0
	v_mov_b32_e32 v7, v6
	;; [unrolled: 1-line block ×4, first 2 shown]
	v_accvgpr_read_b32 v0, a89
	scratch_store_dwordx4 off, v[6:9], off offset:368
	s_waitcnt vmcnt(1)
	ds_write_b128 v0, v[2:5]
.LBB43_233:
	s_or_b64 exec, exec, s[0:1]
	v_mov_b32_e32 v2, 0
	s_waitcnt lgkmcnt(0)
	; wave barrier
	ds_read_b128 v[16:19], v2 offset:1072
	ds_read_b128 v[12:15], v2 offset:1088
	;; [unrolled: 1-line block ×4, first 2 shown]
	scratch_load_dwordx4 v[20:23], off, off offset:384
	scratch_load_dwordx4 v[40:43], off, off offset:448
	;; [unrolled: 1-line block ×15, first 2 shown]
	v_cmp_lt_u32_e32 vcc, 21, v246
	scratch_load_dwordx4 v[48:51], off, off offset:464
	scratch_load_dwordx4 v[56:59], off, off offset:480
	;; [unrolled: 1-line block ×3, first 2 shown]
	s_waitcnt vmcnt(17) lgkmcnt(3)
	v_mul_f64 v[24:25], v[16:17], v[22:23]
	v_fmac_f64_e32 v[24:25], v[18:19], v[20:21]
	v_add_f64 v[28:29], v[24:25], 0
	scratch_load_dwordx4 v[24:27], off, off offset:400
	v_mul_f64 v[18:19], v[18:19], v[22:23]
	v_fma_f64 v[16:17], v[16:17], v[20:21], -v[18:19]
	v_add_f64 v[16:17], v[16:17], 0
	s_waitcnt vmcnt(0) lgkmcnt(2)
	v_mul_f64 v[30:31], v[12:13], v[26:27]
	v_fmac_f64_e32 v[30:31], v[14:15], v[24:25]
	v_add_f64 v[32:33], v[28:29], v[30:31]
	scratch_load_dwordx4 v[28:31], off, off offset:416
	v_mul_f64 v[14:15], v[14:15], v[26:27]
	v_fma_f64 v[12:13], v[12:13], v[24:25], -v[14:15]
	v_add_f64 v[12:13], v[16:17], v[12:13]
	;; [unrolled: 8-line block ×3, first 2 shown]
	s_waitcnt vmcnt(0) lgkmcnt(0)
	v_mul_f64 v[38:39], v[4:5], v[34:35]
	v_fmac_f64_e32 v[38:39], v[6:7], v[32:33]
	v_add_f64 v[44:45], v[36:37], v[38:39]
	ds_read_b128 v[36:39], v2 offset:1136
	v_mul_f64 v[6:7], v[6:7], v[34:35]
	v_fma_f64 v[4:5], v[4:5], v[32:33], -v[6:7]
	v_add_f64 v[4:5], v[8:9], v[4:5]
	s_waitcnt lgkmcnt(0)
	v_mul_f64 v[46:47], v[36:37], v[42:43]
	v_fmac_f64_e32 v[46:47], v[38:39], v[40:41]
	v_add_f64 v[52:53], v[44:45], v[46:47]
	ds_read_b128 v[44:47], v2 offset:1152
	v_mul_f64 v[6:7], v[38:39], v[42:43]
	v_fma_f64 v[6:7], v[36:37], v[40:41], -v[6:7]
	v_add_f64 v[4:5], v[4:5], v[6:7]
	s_waitcnt lgkmcnt(0)
	;; [unrolled: 8-line block ×17, first 2 shown]
	v_mul_f64 v[6:7], v[168:169], v[172:173]
	v_fma_f64 v[6:7], v[166:167], v[170:171], -v[6:7]
	v_add_f64 v[8:9], v[4:5], v[6:7]
	scratch_load_dwordx4 v[4:7], off, off offset:368
	v_mul_f64 v[174:175], v[166:167], v[172:173]
	v_fmac_f64_e32 v[174:175], v[168:169], v[170:171]
	v_add_f64 v[104:105], v[104:105], v[174:175]
	s_waitcnt vmcnt(0)
	v_add_f64 v[4:5], v[4:5], -v[8:9]
	v_add_f64 v[6:7], v[6:7], -v[104:105]
	scratch_store_dwordx4 off, v[4:7], off offset:368
	s_and_saveexec_b64 s[0:1], vcc
	s_cbranch_execz .LBB43_235
; %bb.234:
	scratch_load_dwordx4 v[6:9], off, s39
	v_mov_b32_e32 v3, v2
	v_mov_b32_e32 v4, v2
	;; [unrolled: 1-line block ×3, first 2 shown]
	v_accvgpr_read_b32 v0, a89
	scratch_store_dwordx4 off, v[2:5], off offset:352
	s_waitcnt vmcnt(1)
	ds_write_b128 v0, v[6:9]
.LBB43_235:
	s_or_b64 exec, exec, s[0:1]
	s_waitcnt lgkmcnt(0)
	; wave barrier
	ds_read_b128 v[16:19], v2 offset:1056
	ds_read_b128 v[12:15], v2 offset:1072
	;; [unrolled: 1-line block ×4, first 2 shown]
	scratch_load_dwordx4 v[20:23], off, off offset:368
	scratch_load_dwordx4 v[40:43], off, off offset:432
	;; [unrolled: 1-line block ×16, first 2 shown]
	v_cmp_lt_u32_e32 vcc, 20, v246
	scratch_load_dwordx4 v[48:51], off, off offset:448
	scratch_load_dwordx4 v[56:59], off, off offset:464
	;; [unrolled: 1-line block ×3, first 2 shown]
	s_waitcnt vmcnt(18) lgkmcnt(3)
	v_mul_f64 v[24:25], v[16:17], v[22:23]
	v_fmac_f64_e32 v[24:25], v[18:19], v[20:21]
	v_add_f64 v[28:29], v[24:25], 0
	scratch_load_dwordx4 v[24:27], off, off offset:384
	s_waitcnt vmcnt(0) lgkmcnt(2)
	v_mul_f64 v[30:31], v[12:13], v[26:27]
	v_fmac_f64_e32 v[30:31], v[14:15], v[24:25]
	v_add_f64 v[32:33], v[28:29], v[30:31]
	scratch_load_dwordx4 v[28:31], off, off offset:400
	v_mul_f64 v[14:15], v[14:15], v[26:27]
	v_fma_f64 v[12:13], v[12:13], v[24:25], -v[14:15]
	s_waitcnt vmcnt(0) lgkmcnt(1)
	v_mul_f64 v[34:35], v[8:9], v[30:31]
	v_fmac_f64_e32 v[34:35], v[10:11], v[28:29]
	v_add_f64 v[36:37], v[32:33], v[34:35]
	scratch_load_dwordx4 v[32:35], off, off offset:416
	v_mul_f64 v[10:11], v[10:11], v[30:31]
	v_fma_f64 v[8:9], v[8:9], v[28:29], -v[10:11]
	s_waitcnt vmcnt(0) lgkmcnt(0)
	v_mul_f64 v[38:39], v[4:5], v[34:35]
	v_fmac_f64_e32 v[38:39], v[6:7], v[32:33]
	v_add_f64 v[44:45], v[36:37], v[38:39]
	ds_read_b128 v[36:39], v2 offset:1120
	v_mul_f64 v[6:7], v[6:7], v[34:35]
	v_fma_f64 v[4:5], v[4:5], v[32:33], -v[6:7]
	s_waitcnt lgkmcnt(0)
	v_mul_f64 v[46:47], v[36:37], v[42:43]
	v_fmac_f64_e32 v[46:47], v[38:39], v[40:41]
	v_add_f64 v[52:53], v[44:45], v[46:47]
	ds_read_b128 v[44:47], v2 offset:1136
	s_waitcnt lgkmcnt(0)
	v_mul_f64 v[54:55], v[44:45], v[50:51]
	v_fmac_f64_e32 v[54:55], v[46:47], v[48:49]
	v_add_f64 v[60:61], v[52:53], v[54:55]
	ds_read_b128 v[52:55], v2 offset:1152
	s_waitcnt lgkmcnt(0)
	v_mul_f64 v[62:63], v[52:53], v[58:59]
	v_fmac_f64_e32 v[62:63], v[54:55], v[56:57]
	v_add_f64 v[68:69], v[60:61], v[62:63]
	ds_read_b128 v[60:63], v2 offset:1168
	s_waitcnt lgkmcnt(0)
	v_mul_f64 v[70:71], v[60:61], v[66:67]
	v_fmac_f64_e32 v[70:71], v[62:63], v[64:65]
	v_add_f64 v[76:77], v[68:69], v[70:71]
	ds_read_b128 v[68:71], v2 offset:1184
	s_waitcnt lgkmcnt(0)
	v_mul_f64 v[78:79], v[68:69], v[74:75]
	v_fmac_f64_e32 v[78:79], v[70:71], v[72:73]
	v_add_f64 v[84:85], v[76:77], v[78:79]
	ds_read_b128 v[76:79], v2 offset:1200
	s_waitcnt lgkmcnt(0)
	v_mul_f64 v[86:87], v[76:77], v[82:83]
	v_fmac_f64_e32 v[86:87], v[78:79], v[80:81]
	v_add_f64 v[92:93], v[84:85], v[86:87]
	ds_read_b128 v[84:87], v2 offset:1216
	s_waitcnt lgkmcnt(0)
	v_mul_f64 v[94:95], v[84:85], v[90:91]
	v_fmac_f64_e32 v[94:95], v[86:87], v[88:89]
	v_add_f64 v[100:101], v[92:93], v[94:95]
	ds_read_b128 v[92:95], v2 offset:1232
	s_waitcnt lgkmcnt(0)
	v_mul_f64 v[102:103], v[92:93], v[98:99]
	v_fmac_f64_e32 v[102:103], v[94:95], v[96:97]
	v_add_f64 v[108:109], v[100:101], v[102:103]
	ds_read_b128 v[100:103], v2 offset:1248
	s_waitcnt lgkmcnt(0)
	v_mul_f64 v[110:111], v[100:101], v[106:107]
	v_fmac_f64_e32 v[110:111], v[102:103], v[104:105]
	v_add_f64 v[116:117], v[108:109], v[110:111]
	ds_read_b128 v[108:111], v2 offset:1264
	s_waitcnt lgkmcnt(0)
	v_mul_f64 v[118:119], v[108:109], v[114:115]
	v_fmac_f64_e32 v[118:119], v[110:111], v[112:113]
	v_add_f64 v[120:121], v[116:117], v[118:119]
	ds_read_b128 v[116:119], v2 offset:1280
	s_waitcnt lgkmcnt(0)
	v_mul_f64 v[126:127], v[116:117], v[124:125]
	v_fmac_f64_e32 v[126:127], v[118:119], v[122:123]
	v_add_f64 v[120:121], v[120:121], v[126:127]
	ds_read_b128 v[126:129], v2 offset:1296
	s_waitcnt lgkmcnt(0)
	v_mul_f64 v[134:135], v[126:127], v[132:133]
	v_fmac_f64_e32 v[134:135], v[128:129], v[130:131]
	v_add_f64 v[120:121], v[120:121], v[134:135]
	ds_read_b128 v[134:137], v2 offset:1312
	s_waitcnt lgkmcnt(0)
	v_mul_f64 v[142:143], v[134:135], v[140:141]
	v_fmac_f64_e32 v[142:143], v[136:137], v[138:139]
	v_add_f64 v[120:121], v[120:121], v[142:143]
	ds_read_b128 v[142:145], v2 offset:1328
	s_waitcnt lgkmcnt(0)
	v_mul_f64 v[150:151], v[142:143], v[148:149]
	v_fmac_f64_e32 v[150:151], v[144:145], v[146:147]
	v_add_f64 v[120:121], v[120:121], v[150:151]
	ds_read_b128 v[150:153], v2 offset:1344
	s_waitcnt lgkmcnt(0)
	v_mul_f64 v[158:159], v[150:151], v[156:157]
	v_fmac_f64_e32 v[158:159], v[152:153], v[154:155]
	v_add_f64 v[120:121], v[120:121], v[158:159]
	ds_read_b128 v[158:161], v2 offset:1360
	s_waitcnt lgkmcnt(0)
	v_mul_f64 v[166:167], v[158:159], v[164:165]
	v_fmac_f64_e32 v[166:167], v[160:161], v[162:163]
	v_add_f64 v[120:121], v[120:121], v[166:167]
	ds_read_b128 v[166:169], v2 offset:1376
	s_waitcnt lgkmcnt(0)
	v_mul_f64 v[174:175], v[166:167], v[172:173]
	v_fmac_f64_e32 v[174:175], v[168:169], v[170:171]
	v_add_f64 v[120:121], v[120:121], v[174:175]
	ds_read_b128 v[174:177], v2 offset:1392
	s_waitcnt lgkmcnt(0)
	v_mul_f64 v[2:3], v[174:175], v[180:181]
	v_fmac_f64_e32 v[2:3], v[176:177], v[178:179]
	v_add_f64 v[120:121], v[120:121], v[2:3]
	v_mul_f64 v[2:3], v[18:19], v[22:23]
	v_fma_f64 v[2:3], v[16:17], v[20:21], -v[2:3]
	v_add_f64 v[2:3], v[2:3], 0
	v_add_f64 v[2:3], v[2:3], v[12:13]
	;; [unrolled: 1-line block ×4, first 2 shown]
	v_mul_f64 v[4:5], v[38:39], v[42:43]
	v_fma_f64 v[4:5], v[36:37], v[40:41], -v[4:5]
	v_add_f64 v[2:3], v[2:3], v[4:5]
	v_mul_f64 v[4:5], v[46:47], v[50:51]
	v_fma_f64 v[4:5], v[44:45], v[48:49], -v[4:5]
	v_add_f64 v[2:3], v[2:3], v[4:5]
	;; [unrolled: 3-line block ×18, first 2 shown]
	scratch_load_dwordx4 v[2:5], off, off offset:352
	s_waitcnt vmcnt(0)
	v_add_f64 v[2:3], v[2:3], -v[6:7]
	v_add_f64 v[4:5], v[4:5], -v[120:121]
	scratch_store_dwordx4 off, v[2:5], off offset:352
	s_and_saveexec_b64 s[0:1], vcc
	s_cbranch_execz .LBB43_237
; %bb.236:
	scratch_load_dwordx4 v[2:5], off, s38
	v_mov_b32_e32 v6, 0
	v_mov_b32_e32 v7, v6
	;; [unrolled: 1-line block ×4, first 2 shown]
	v_accvgpr_read_b32 v0, a89
	scratch_store_dwordx4 off, v[6:9], off offset:336
	s_waitcnt vmcnt(1)
	ds_write_b128 v0, v[2:5]
.LBB43_237:
	s_or_b64 exec, exec, s[0:1]
	v_mov_b32_e32 v2, 0
	s_waitcnt lgkmcnt(0)
	; wave barrier
	ds_read_b128 v[16:19], v2 offset:1040
	ds_read_b128 v[12:15], v2 offset:1056
	;; [unrolled: 1-line block ×4, first 2 shown]
	scratch_load_dwordx4 v[20:23], off, off offset:352
	scratch_load_dwordx4 v[40:43], off, off offset:416
	;; [unrolled: 1-line block ×17, first 2 shown]
	v_cmp_lt_u32_e32 vcc, 19, v246
	scratch_load_dwordx4 v[48:51], off, off offset:432
	scratch_load_dwordx4 v[56:59], off, off offset:448
	;; [unrolled: 1-line block ×3, first 2 shown]
	s_waitcnt vmcnt(19) lgkmcnt(3)
	v_mul_f64 v[24:25], v[16:17], v[22:23]
	v_fmac_f64_e32 v[24:25], v[18:19], v[20:21]
	v_add_f64 v[28:29], v[24:25], 0
	scratch_load_dwordx4 v[24:27], off, off offset:368
	v_mul_f64 v[18:19], v[18:19], v[22:23]
	v_fma_f64 v[16:17], v[16:17], v[20:21], -v[18:19]
	v_add_f64 v[16:17], v[16:17], 0
	s_waitcnt vmcnt(0) lgkmcnt(2)
	v_mul_f64 v[30:31], v[12:13], v[26:27]
	v_fmac_f64_e32 v[30:31], v[14:15], v[24:25]
	v_add_f64 v[32:33], v[28:29], v[30:31]
	scratch_load_dwordx4 v[28:31], off, off offset:384
	v_mul_f64 v[14:15], v[14:15], v[26:27]
	v_fma_f64 v[12:13], v[12:13], v[24:25], -v[14:15]
	v_add_f64 v[12:13], v[16:17], v[12:13]
	;; [unrolled: 8-line block ×3, first 2 shown]
	s_waitcnt vmcnt(0) lgkmcnt(0)
	v_mul_f64 v[38:39], v[4:5], v[34:35]
	v_fmac_f64_e32 v[38:39], v[6:7], v[32:33]
	v_add_f64 v[44:45], v[36:37], v[38:39]
	ds_read_b128 v[36:39], v2 offset:1104
	v_mul_f64 v[6:7], v[6:7], v[34:35]
	v_fma_f64 v[4:5], v[4:5], v[32:33], -v[6:7]
	v_add_f64 v[4:5], v[8:9], v[4:5]
	s_waitcnt lgkmcnt(0)
	v_mul_f64 v[46:47], v[36:37], v[42:43]
	v_fmac_f64_e32 v[46:47], v[38:39], v[40:41]
	v_add_f64 v[52:53], v[44:45], v[46:47]
	ds_read_b128 v[44:47], v2 offset:1120
	v_mul_f64 v[6:7], v[38:39], v[42:43]
	v_fma_f64 v[6:7], v[36:37], v[40:41], -v[6:7]
	v_add_f64 v[4:5], v[4:5], v[6:7]
	s_waitcnt lgkmcnt(0)
	;; [unrolled: 8-line block ×19, first 2 shown]
	v_mul_f64 v[6:7], v[184:185], v[188:189]
	v_fma_f64 v[6:7], v[182:183], v[186:187], -v[6:7]
	v_add_f64 v[8:9], v[4:5], v[6:7]
	scratch_load_dwordx4 v[4:7], off, off offset:336
	v_mul_f64 v[190:191], v[182:183], v[188:189]
	v_fmac_f64_e32 v[190:191], v[184:185], v[186:187]
	v_add_f64 v[128:129], v[128:129], v[190:191]
	s_waitcnt vmcnt(0)
	v_add_f64 v[4:5], v[4:5], -v[8:9]
	v_add_f64 v[6:7], v[6:7], -v[128:129]
	scratch_store_dwordx4 off, v[4:7], off offset:336
	s_and_saveexec_b64 s[0:1], vcc
	s_cbranch_execz .LBB43_239
; %bb.238:
	scratch_load_dwordx4 v[6:9], off, s37
	v_mov_b32_e32 v3, v2
	v_mov_b32_e32 v4, v2
	;; [unrolled: 1-line block ×3, first 2 shown]
	v_accvgpr_read_b32 v0, a89
	scratch_store_dwordx4 off, v[2:5], off offset:320
	s_waitcnt vmcnt(1)
	ds_write_b128 v0, v[6:9]
.LBB43_239:
	s_or_b64 exec, exec, s[0:1]
	s_waitcnt lgkmcnt(0)
	; wave barrier
	ds_read_b128 v[16:19], v2 offset:1024
	ds_read_b128 v[12:15], v2 offset:1040
	ds_read_b128 v[8:11], v2 offset:1056
	ds_read_b128 v[4:7], v2 offset:1072
	scratch_load_dwordx4 v[20:23], off, off offset:336
	scratch_load_dwordx4 v[40:43], off, off offset:400
	;; [unrolled: 1-line block ×18, first 2 shown]
	v_cmp_lt_u32_e32 vcc, 18, v246
	scratch_load_dwordx4 v[48:51], off, off offset:416
	scratch_load_dwordx4 v[56:59], off, off offset:432
	;; [unrolled: 1-line block ×3, first 2 shown]
	s_waitcnt vmcnt(20) lgkmcnt(3)
	v_mul_f64 v[24:25], v[16:17], v[22:23]
	v_fmac_f64_e32 v[24:25], v[18:19], v[20:21]
	v_add_f64 v[28:29], v[24:25], 0
	scratch_load_dwordx4 v[24:27], off, off offset:352
	s_waitcnt vmcnt(0) lgkmcnt(2)
	v_mul_f64 v[30:31], v[12:13], v[26:27]
	v_fmac_f64_e32 v[30:31], v[14:15], v[24:25]
	v_add_f64 v[32:33], v[28:29], v[30:31]
	scratch_load_dwordx4 v[28:31], off, off offset:368
	v_mul_f64 v[14:15], v[14:15], v[26:27]
	v_fma_f64 v[12:13], v[12:13], v[24:25], -v[14:15]
	s_waitcnt vmcnt(0) lgkmcnt(1)
	v_mul_f64 v[34:35], v[8:9], v[30:31]
	v_fmac_f64_e32 v[34:35], v[10:11], v[28:29]
	v_add_f64 v[36:37], v[32:33], v[34:35]
	scratch_load_dwordx4 v[32:35], off, off offset:384
	v_mul_f64 v[10:11], v[10:11], v[30:31]
	v_fma_f64 v[8:9], v[8:9], v[28:29], -v[10:11]
	s_waitcnt vmcnt(0) lgkmcnt(0)
	v_mul_f64 v[38:39], v[4:5], v[34:35]
	v_fmac_f64_e32 v[38:39], v[6:7], v[32:33]
	v_add_f64 v[44:45], v[36:37], v[38:39]
	ds_read_b128 v[36:39], v2 offset:1088
	v_mul_f64 v[6:7], v[6:7], v[34:35]
	v_fma_f64 v[4:5], v[4:5], v[32:33], -v[6:7]
	s_waitcnt lgkmcnt(0)
	v_mul_f64 v[46:47], v[36:37], v[42:43]
	v_fmac_f64_e32 v[46:47], v[38:39], v[40:41]
	v_add_f64 v[52:53], v[44:45], v[46:47]
	ds_read_b128 v[44:47], v2 offset:1104
	s_waitcnt lgkmcnt(0)
	v_mul_f64 v[54:55], v[44:45], v[50:51]
	v_fmac_f64_e32 v[54:55], v[46:47], v[48:49]
	v_add_f64 v[60:61], v[52:53], v[54:55]
	ds_read_b128 v[52:55], v2 offset:1120
	;; [unrolled: 5-line block ×19, first 2 shown]
	s_waitcnt lgkmcnt(0)
	v_mul_f64 v[2:3], v[190:191], v[196:197]
	v_fmac_f64_e32 v[2:3], v[192:193], v[194:195]
	v_add_f64 v[148:149], v[148:149], v[2:3]
	v_mul_f64 v[2:3], v[18:19], v[22:23]
	v_fma_f64 v[2:3], v[16:17], v[20:21], -v[2:3]
	v_add_f64 v[2:3], v[2:3], 0
	v_add_f64 v[2:3], v[2:3], v[12:13]
	;; [unrolled: 1-line block ×4, first 2 shown]
	v_mul_f64 v[4:5], v[38:39], v[42:43]
	v_fma_f64 v[4:5], v[36:37], v[40:41], -v[4:5]
	v_add_f64 v[2:3], v[2:3], v[4:5]
	v_mul_f64 v[4:5], v[46:47], v[50:51]
	v_fma_f64 v[4:5], v[44:45], v[48:49], -v[4:5]
	v_add_f64 v[2:3], v[2:3], v[4:5]
	;; [unrolled: 3-line block ×20, first 2 shown]
	scratch_load_dwordx4 v[2:5], off, off offset:320
	s_waitcnt vmcnt(0)
	v_add_f64 v[2:3], v[2:3], -v[6:7]
	v_add_f64 v[4:5], v[4:5], -v[148:149]
	scratch_store_dwordx4 off, v[2:5], off offset:320
	s_and_saveexec_b64 s[0:1], vcc
	s_cbranch_execz .LBB43_241
; %bb.240:
	scratch_load_dwordx4 v[2:5], off, s36
	v_mov_b32_e32 v6, 0
	v_mov_b32_e32 v7, v6
	;; [unrolled: 1-line block ×4, first 2 shown]
	v_accvgpr_read_b32 v0, a89
	scratch_store_dwordx4 off, v[6:9], off offset:304
	s_waitcnt vmcnt(1)
	ds_write_b128 v0, v[2:5]
.LBB43_241:
	s_or_b64 exec, exec, s[0:1]
	v_mov_b32_e32 v2, 0
	s_waitcnt lgkmcnt(0)
	; wave barrier
	ds_read_b128 v[16:19], v2 offset:1008
	ds_read_b128 v[12:15], v2 offset:1024
	;; [unrolled: 1-line block ×4, first 2 shown]
	scratch_load_dwordx4 v[20:23], off, off offset:320
	scratch_load_dwordx4 v[40:43], off, off offset:384
	;; [unrolled: 1-line block ×19, first 2 shown]
	v_cmp_lt_u32_e32 vcc, 17, v246
	scratch_load_dwordx4 v[48:51], off, off offset:400
	scratch_load_dwordx4 v[56:59], off, off offset:416
	;; [unrolled: 1-line block ×3, first 2 shown]
	s_waitcnt vmcnt(21) lgkmcnt(3)
	v_mul_f64 v[24:25], v[16:17], v[22:23]
	v_fmac_f64_e32 v[24:25], v[18:19], v[20:21]
	v_add_f64 v[28:29], v[24:25], 0
	scratch_load_dwordx4 v[24:27], off, off offset:336
	v_mul_f64 v[18:19], v[18:19], v[22:23]
	v_fma_f64 v[16:17], v[16:17], v[20:21], -v[18:19]
	v_add_f64 v[16:17], v[16:17], 0
	s_waitcnt vmcnt(0) lgkmcnt(2)
	v_mul_f64 v[30:31], v[12:13], v[26:27]
	v_fmac_f64_e32 v[30:31], v[14:15], v[24:25]
	v_add_f64 v[32:33], v[28:29], v[30:31]
	scratch_load_dwordx4 v[28:31], off, off offset:352
	v_mul_f64 v[14:15], v[14:15], v[26:27]
	v_fma_f64 v[12:13], v[12:13], v[24:25], -v[14:15]
	v_add_f64 v[12:13], v[16:17], v[12:13]
	;; [unrolled: 8-line block ×3, first 2 shown]
	s_waitcnt vmcnt(0) lgkmcnt(0)
	v_mul_f64 v[38:39], v[4:5], v[34:35]
	v_fmac_f64_e32 v[38:39], v[6:7], v[32:33]
	v_add_f64 v[44:45], v[36:37], v[38:39]
	ds_read_b128 v[36:39], v2 offset:1072
	v_mul_f64 v[6:7], v[6:7], v[34:35]
	v_fma_f64 v[4:5], v[4:5], v[32:33], -v[6:7]
	v_add_f64 v[4:5], v[8:9], v[4:5]
	s_waitcnt lgkmcnt(0)
	v_mul_f64 v[46:47], v[36:37], v[42:43]
	v_fmac_f64_e32 v[46:47], v[38:39], v[40:41]
	v_add_f64 v[52:53], v[44:45], v[46:47]
	ds_read_b128 v[44:47], v2 offset:1088
	v_mul_f64 v[6:7], v[38:39], v[42:43]
	v_fma_f64 v[6:7], v[36:37], v[40:41], -v[6:7]
	v_add_f64 v[4:5], v[4:5], v[6:7]
	s_waitcnt lgkmcnt(0)
	;; [unrolled: 8-line block ×21, first 2 shown]
	v_mul_f64 v[6:7], v[200:201], v[204:205]
	v_fma_f64 v[6:7], v[198:199], v[202:203], -v[6:7]
	v_add_f64 v[8:9], v[4:5], v[6:7]
	scratch_load_dwordx4 v[4:7], off, off offset:304
	v_mul_f64 v[206:207], v[198:199], v[204:205]
	v_fmac_f64_e32 v[206:207], v[200:201], v[202:203]
	v_add_f64 v[144:145], v[144:145], v[206:207]
	s_waitcnt vmcnt(0)
	v_add_f64 v[4:5], v[4:5], -v[8:9]
	v_add_f64 v[6:7], v[6:7], -v[144:145]
	scratch_store_dwordx4 off, v[4:7], off offset:304
	s_and_saveexec_b64 s[0:1], vcc
	s_cbranch_execz .LBB43_243
; %bb.242:
	scratch_load_dwordx4 v[6:9], off, s35
	v_mov_b32_e32 v3, v2
	v_mov_b32_e32 v4, v2
	;; [unrolled: 1-line block ×3, first 2 shown]
	v_accvgpr_read_b32 v0, a89
	scratch_store_dwordx4 off, v[2:5], off offset:288
	s_waitcnt vmcnt(1)
	ds_write_b128 v0, v[6:9]
.LBB43_243:
	s_or_b64 exec, exec, s[0:1]
	s_waitcnt lgkmcnt(0)
	; wave barrier
	ds_read_b128 v[16:19], v2 offset:992
	ds_read_b128 v[12:15], v2 offset:1008
	;; [unrolled: 1-line block ×4, first 2 shown]
	scratch_load_dwordx4 v[20:23], off, off offset:304
	scratch_load_dwordx4 v[40:43], off, off offset:368
	;; [unrolled: 1-line block ×20, first 2 shown]
	v_cmp_lt_u32_e32 vcc, 16, v246
	scratch_load_dwordx4 v[48:51], off, off offset:384
	scratch_load_dwordx4 v[56:59], off, off offset:400
	;; [unrolled: 1-line block ×3, first 2 shown]
	s_waitcnt vmcnt(22) lgkmcnt(3)
	v_mul_f64 v[24:25], v[16:17], v[22:23]
	v_fmac_f64_e32 v[24:25], v[18:19], v[20:21]
	v_add_f64 v[28:29], v[24:25], 0
	scratch_load_dwordx4 v[24:27], off, off offset:320
	s_waitcnt vmcnt(0) lgkmcnt(2)
	v_mul_f64 v[30:31], v[12:13], v[26:27]
	v_fmac_f64_e32 v[30:31], v[14:15], v[24:25]
	v_add_f64 v[32:33], v[28:29], v[30:31]
	scratch_load_dwordx4 v[28:31], off, off offset:336
	v_mul_f64 v[14:15], v[14:15], v[26:27]
	v_fma_f64 v[12:13], v[12:13], v[24:25], -v[14:15]
	s_waitcnt vmcnt(0) lgkmcnt(1)
	v_mul_f64 v[34:35], v[8:9], v[30:31]
	v_fmac_f64_e32 v[34:35], v[10:11], v[28:29]
	v_add_f64 v[36:37], v[32:33], v[34:35]
	scratch_load_dwordx4 v[32:35], off, off offset:352
	v_mul_f64 v[10:11], v[10:11], v[30:31]
	v_fma_f64 v[8:9], v[8:9], v[28:29], -v[10:11]
	s_waitcnt vmcnt(0) lgkmcnt(0)
	v_mul_f64 v[38:39], v[4:5], v[34:35]
	v_fmac_f64_e32 v[38:39], v[6:7], v[32:33]
	v_add_f64 v[44:45], v[36:37], v[38:39]
	ds_read_b128 v[36:39], v2 offset:1056
	v_mul_f64 v[6:7], v[6:7], v[34:35]
	v_fma_f64 v[4:5], v[4:5], v[32:33], -v[6:7]
	s_waitcnt lgkmcnt(0)
	v_mul_f64 v[46:47], v[36:37], v[42:43]
	v_fmac_f64_e32 v[46:47], v[38:39], v[40:41]
	v_add_f64 v[52:53], v[44:45], v[46:47]
	ds_read_b128 v[44:47], v2 offset:1072
	s_waitcnt lgkmcnt(0)
	v_mul_f64 v[54:55], v[44:45], v[50:51]
	v_fmac_f64_e32 v[54:55], v[46:47], v[48:49]
	v_add_f64 v[60:61], v[52:53], v[54:55]
	ds_read_b128 v[52:55], v2 offset:1088
	;; [unrolled: 5-line block ×21, first 2 shown]
	s_waitcnt lgkmcnt(0)
	v_mul_f64 v[2:3], v[206:207], v[212:213]
	v_fmac_f64_e32 v[2:3], v[208:209], v[210:211]
	v_add_f64 v[168:169], v[168:169], v[2:3]
	v_mul_f64 v[2:3], v[18:19], v[22:23]
	v_fma_f64 v[2:3], v[16:17], v[20:21], -v[2:3]
	v_add_f64 v[2:3], v[2:3], 0
	v_add_f64 v[2:3], v[2:3], v[12:13]
	;; [unrolled: 1-line block ×4, first 2 shown]
	v_mul_f64 v[4:5], v[38:39], v[42:43]
	v_fma_f64 v[4:5], v[36:37], v[40:41], -v[4:5]
	v_add_f64 v[2:3], v[2:3], v[4:5]
	v_mul_f64 v[4:5], v[46:47], v[50:51]
	v_fma_f64 v[4:5], v[44:45], v[48:49], -v[4:5]
	v_add_f64 v[2:3], v[2:3], v[4:5]
	;; [unrolled: 3-line block ×22, first 2 shown]
	scratch_load_dwordx4 v[2:5], off, off offset:288
	s_waitcnt vmcnt(0)
	v_add_f64 v[2:3], v[2:3], -v[6:7]
	v_add_f64 v[4:5], v[4:5], -v[168:169]
	scratch_store_dwordx4 off, v[2:5], off offset:288
	s_and_saveexec_b64 s[0:1], vcc
	s_cbranch_execz .LBB43_245
; %bb.244:
	scratch_load_dwordx4 v[2:5], off, s34
	v_mov_b32_e32 v6, 0
	v_mov_b32_e32 v7, v6
	;; [unrolled: 1-line block ×4, first 2 shown]
	v_accvgpr_read_b32 v0, a89
	scratch_store_dwordx4 off, v[6:9], off offset:272
	s_waitcnt vmcnt(1)
	ds_write_b128 v0, v[2:5]
.LBB43_245:
	s_or_b64 exec, exec, s[0:1]
	v_mov_b32_e32 v2, 0
	s_waitcnt lgkmcnt(0)
	; wave barrier
	ds_read_b128 v[16:19], v2 offset:976
	ds_read_b128 v[12:15], v2 offset:992
	;; [unrolled: 1-line block ×4, first 2 shown]
	scratch_load_dwordx4 v[20:23], off, off offset:288
	scratch_load_dwordx4 v[40:43], off, off offset:352
	scratch_load_dwordx4 v[72:75], off, off offset:416
	scratch_load_dwordx4 v[80:83], off, off offset:432
	scratch_load_dwordx4 v[88:91], off, off offset:448
	scratch_load_dwordx4 v[96:99], off, off offset:464
	scratch_load_dwordx4 v[104:107], off, off offset:480
	scratch_load_dwordx4 v[112:115], off, off offset:496
	scratch_load_dwordx4 v[120:123], off, off offset:512
	scratch_load_dwordx4 v[128:131], off, off offset:528
	scratch_load_dwordx4 v[136:139], off, off offset:544
	scratch_load_dwordx4 v[144:147], off, off offset:560
	scratch_load_dwordx4 v[152:155], off, off offset:576
	scratch_load_dwordx4 v[162:165], off, off offset:592
	scratch_load_dwordx4 v[170:173], off, off offset:608
	scratch_load_dwordx4 v[178:181], off, off offset:624
	scratch_load_dwordx4 v[186:189], off, off offset:640
	scratch_load_dwordx4 v[194:197], off, off offset:656
	scratch_load_dwordx4 v[202:205], off, off offset:672
	scratch_load_dwordx4 v[210:213], off, off offset:688
	scratch_load_dwordx4 v[218:221], off, off offset:704
	v_cmp_lt_u32_e32 vcc, 15, v246
	scratch_load_dwordx4 v[48:51], off, off offset:368
	scratch_load_dwordx4 v[56:59], off, off offset:384
	;; [unrolled: 1-line block ×3, first 2 shown]
	s_waitcnt vmcnt(23) lgkmcnt(3)
	v_mul_f64 v[24:25], v[16:17], v[22:23]
	v_fmac_f64_e32 v[24:25], v[18:19], v[20:21]
	v_add_f64 v[28:29], v[24:25], 0
	scratch_load_dwordx4 v[24:27], off, off offset:304
	v_mul_f64 v[18:19], v[18:19], v[22:23]
	v_fma_f64 v[16:17], v[16:17], v[20:21], -v[18:19]
	v_add_f64 v[16:17], v[16:17], 0
	s_waitcnt vmcnt(0) lgkmcnt(2)
	v_mul_f64 v[30:31], v[12:13], v[26:27]
	v_fmac_f64_e32 v[30:31], v[14:15], v[24:25]
	v_add_f64 v[32:33], v[28:29], v[30:31]
	scratch_load_dwordx4 v[28:31], off, off offset:320
	v_mul_f64 v[14:15], v[14:15], v[26:27]
	v_fma_f64 v[12:13], v[12:13], v[24:25], -v[14:15]
	v_add_f64 v[12:13], v[16:17], v[12:13]
	;; [unrolled: 8-line block ×3, first 2 shown]
	s_waitcnt vmcnt(0) lgkmcnt(0)
	v_mul_f64 v[38:39], v[4:5], v[34:35]
	v_fmac_f64_e32 v[38:39], v[6:7], v[32:33]
	v_add_f64 v[44:45], v[36:37], v[38:39]
	ds_read_b128 v[36:39], v2 offset:1040
	v_mul_f64 v[6:7], v[6:7], v[34:35]
	v_fma_f64 v[4:5], v[4:5], v[32:33], -v[6:7]
	v_add_f64 v[4:5], v[8:9], v[4:5]
	s_waitcnt lgkmcnt(0)
	v_mul_f64 v[46:47], v[36:37], v[42:43]
	v_fmac_f64_e32 v[46:47], v[38:39], v[40:41]
	v_add_f64 v[52:53], v[44:45], v[46:47]
	ds_read_b128 v[44:47], v2 offset:1056
	v_mul_f64 v[6:7], v[38:39], v[42:43]
	v_fma_f64 v[6:7], v[36:37], v[40:41], -v[6:7]
	v_add_f64 v[4:5], v[4:5], v[6:7]
	s_waitcnt lgkmcnt(0)
	;; [unrolled: 8-line block ×23, first 2 shown]
	v_mul_f64 v[6:7], v[216:217], v[220:221]
	v_fma_f64 v[6:7], v[214:215], v[218:219], -v[6:7]
	v_add_f64 v[8:9], v[4:5], v[6:7]
	scratch_load_dwordx4 v[4:7], off, off offset:272
	v_mul_f64 v[222:223], v[214:215], v[220:221]
	v_fmac_f64_e32 v[222:223], v[216:217], v[218:219]
	v_add_f64 v[160:161], v[160:161], v[222:223]
	s_waitcnt vmcnt(0)
	v_add_f64 v[4:5], v[4:5], -v[8:9]
	v_add_f64 v[6:7], v[6:7], -v[160:161]
	scratch_store_dwordx4 off, v[4:7], off offset:272
	s_and_saveexec_b64 s[0:1], vcc
	s_cbranch_execz .LBB43_247
; %bb.246:
	scratch_load_dwordx4 v[6:9], off, s33
	v_mov_b32_e32 v3, v2
	v_mov_b32_e32 v4, v2
	;; [unrolled: 1-line block ×3, first 2 shown]
	v_accvgpr_read_b32 v0, a89
	scratch_store_dwordx4 off, v[2:5], off offset:256
	s_waitcnt vmcnt(1)
	ds_write_b128 v0, v[6:9]
.LBB43_247:
	s_or_b64 exec, exec, s[0:1]
	s_waitcnt lgkmcnt(0)
	; wave barrier
	ds_read_b128 v[16:19], v2 offset:960
	ds_read_b128 v[12:15], v2 offset:976
	;; [unrolled: 1-line block ×4, first 2 shown]
	scratch_load_dwordx4 v[20:23], off, off offset:272
	scratch_load_dwordx4 v[40:43], off, off offset:336
	;; [unrolled: 1-line block ×22, first 2 shown]
	v_cmp_lt_u32_e32 vcc, 14, v246
	scratch_load_dwordx4 v[48:51], off, off offset:352
	scratch_load_dwordx4 v[56:59], off, off offset:368
	;; [unrolled: 1-line block ×3, first 2 shown]
	s_waitcnt vmcnt(24) lgkmcnt(3)
	v_mul_f64 v[24:25], v[16:17], v[22:23]
	v_fmac_f64_e32 v[24:25], v[18:19], v[20:21]
	v_add_f64 v[28:29], v[24:25], 0
	scratch_load_dwordx4 v[24:27], off, off offset:288
	s_waitcnt vmcnt(0) lgkmcnt(2)
	v_mul_f64 v[30:31], v[12:13], v[26:27]
	v_fmac_f64_e32 v[30:31], v[14:15], v[24:25]
	v_add_f64 v[32:33], v[28:29], v[30:31]
	scratch_load_dwordx4 v[28:31], off, off offset:304
	v_mul_f64 v[14:15], v[14:15], v[26:27]
	v_fma_f64 v[12:13], v[12:13], v[24:25], -v[14:15]
	s_waitcnt vmcnt(0) lgkmcnt(1)
	v_mul_f64 v[34:35], v[8:9], v[30:31]
	v_fmac_f64_e32 v[34:35], v[10:11], v[28:29]
	v_add_f64 v[36:37], v[32:33], v[34:35]
	scratch_load_dwordx4 v[32:35], off, off offset:320
	v_mul_f64 v[10:11], v[10:11], v[30:31]
	v_fma_f64 v[8:9], v[8:9], v[28:29], -v[10:11]
	s_waitcnt vmcnt(0) lgkmcnt(0)
	v_mul_f64 v[38:39], v[4:5], v[34:35]
	v_fmac_f64_e32 v[38:39], v[6:7], v[32:33]
	v_add_f64 v[44:45], v[36:37], v[38:39]
	ds_read_b128 v[36:39], v2 offset:1024
	v_mul_f64 v[6:7], v[6:7], v[34:35]
	v_fma_f64 v[4:5], v[4:5], v[32:33], -v[6:7]
	s_waitcnt lgkmcnt(0)
	v_mul_f64 v[46:47], v[36:37], v[42:43]
	v_fmac_f64_e32 v[46:47], v[38:39], v[40:41]
	v_add_f64 v[52:53], v[44:45], v[46:47]
	ds_read_b128 v[44:47], v2 offset:1040
	s_waitcnt lgkmcnt(0)
	v_mul_f64 v[54:55], v[44:45], v[50:51]
	v_fmac_f64_e32 v[54:55], v[46:47], v[48:49]
	v_add_f64 v[60:61], v[52:53], v[54:55]
	ds_read_b128 v[52:55], v2 offset:1056
	s_waitcnt lgkmcnt(0)
	v_mul_f64 v[62:63], v[52:53], v[58:59]
	v_fmac_f64_e32 v[62:63], v[54:55], v[56:57]
	v_add_f64 v[68:69], v[60:61], v[62:63]
	ds_read_b128 v[60:63], v2 offset:1072
	s_waitcnt lgkmcnt(0)
	v_mul_f64 v[70:71], v[60:61], v[66:67]
	v_fmac_f64_e32 v[70:71], v[62:63], v[64:65]
	v_add_f64 v[76:77], v[68:69], v[70:71]
	ds_read_b128 v[68:71], v2 offset:1088
	s_waitcnt lgkmcnt(0)
	v_mul_f64 v[78:79], v[68:69], v[74:75]
	v_fmac_f64_e32 v[78:79], v[70:71], v[72:73]
	v_add_f64 v[84:85], v[76:77], v[78:79]
	ds_read_b128 v[76:79], v2 offset:1104
	s_waitcnt lgkmcnt(0)
	v_mul_f64 v[86:87], v[76:77], v[82:83]
	v_fmac_f64_e32 v[86:87], v[78:79], v[80:81]
	v_add_f64 v[92:93], v[84:85], v[86:87]
	ds_read_b128 v[84:87], v2 offset:1120
	s_waitcnt lgkmcnt(0)
	v_mul_f64 v[94:95], v[84:85], v[90:91]
	v_fmac_f64_e32 v[94:95], v[86:87], v[88:89]
	v_add_f64 v[100:101], v[92:93], v[94:95]
	ds_read_b128 v[92:95], v2 offset:1136
	s_waitcnt lgkmcnt(0)
	v_mul_f64 v[102:103], v[92:93], v[98:99]
	v_fmac_f64_e32 v[102:103], v[94:95], v[96:97]
	v_add_f64 v[108:109], v[100:101], v[102:103]
	ds_read_b128 v[100:103], v2 offset:1152
	s_waitcnt lgkmcnt(0)
	v_mul_f64 v[110:111], v[100:101], v[106:107]
	v_fmac_f64_e32 v[110:111], v[102:103], v[104:105]
	v_add_f64 v[116:117], v[108:109], v[110:111]
	ds_read_b128 v[108:111], v2 offset:1168
	s_waitcnt lgkmcnt(0)
	v_mul_f64 v[118:119], v[108:109], v[114:115]
	v_fmac_f64_e32 v[118:119], v[110:111], v[112:113]
	v_add_f64 v[124:125], v[116:117], v[118:119]
	ds_read_b128 v[116:119], v2 offset:1184
	s_waitcnt lgkmcnt(0)
	v_mul_f64 v[126:127], v[116:117], v[122:123]
	v_fmac_f64_e32 v[126:127], v[118:119], v[120:121]
	v_add_f64 v[132:133], v[124:125], v[126:127]
	ds_read_b128 v[124:127], v2 offset:1200
	s_waitcnt lgkmcnt(0)
	v_mul_f64 v[134:135], v[124:125], v[130:131]
	v_fmac_f64_e32 v[134:135], v[126:127], v[128:129]
	v_add_f64 v[140:141], v[132:133], v[134:135]
	ds_read_b128 v[132:135], v2 offset:1216
	s_waitcnt lgkmcnt(0)
	v_mul_f64 v[142:143], v[132:133], v[138:139]
	v_fmac_f64_e32 v[142:143], v[134:135], v[136:137]
	v_add_f64 v[148:149], v[140:141], v[142:143]
	ds_read_b128 v[140:143], v2 offset:1232
	s_waitcnt lgkmcnt(0)
	v_mul_f64 v[150:151], v[140:141], v[146:147]
	v_fmac_f64_e32 v[150:151], v[142:143], v[144:145]
	v_add_f64 v[156:157], v[148:149], v[150:151]
	ds_read_b128 v[148:151], v2 offset:1248
	s_waitcnt lgkmcnt(0)
	v_mul_f64 v[158:159], v[148:149], v[154:155]
	v_fmac_f64_e32 v[158:159], v[150:151], v[152:153]
	v_add_f64 v[164:165], v[156:157], v[158:159]
	ds_read_b128 v[156:159], v2 offset:1264
	s_waitcnt lgkmcnt(0)
	v_mul_f64 v[166:167], v[156:157], v[162:163]
	v_fmac_f64_e32 v[166:167], v[158:159], v[160:161]
	v_add_f64 v[172:173], v[164:165], v[166:167]
	ds_read_b128 v[164:167], v2 offset:1280
	s_waitcnt lgkmcnt(0)
	v_mul_f64 v[174:175], v[164:165], v[170:171]
	v_fmac_f64_e32 v[174:175], v[166:167], v[168:169]
	v_add_f64 v[176:177], v[172:173], v[174:175]
	ds_read_b128 v[172:175], v2 offset:1296
	s_waitcnt lgkmcnt(0)
	v_mul_f64 v[182:183], v[172:173], v[180:181]
	v_fmac_f64_e32 v[182:183], v[174:175], v[178:179]
	v_add_f64 v[176:177], v[176:177], v[182:183]
	ds_read_b128 v[182:185], v2 offset:1312
	s_waitcnt lgkmcnt(0)
	v_mul_f64 v[190:191], v[182:183], v[188:189]
	v_fmac_f64_e32 v[190:191], v[184:185], v[186:187]
	v_add_f64 v[176:177], v[176:177], v[190:191]
	ds_read_b128 v[190:193], v2 offset:1328
	s_waitcnt lgkmcnt(0)
	v_mul_f64 v[198:199], v[190:191], v[196:197]
	v_fmac_f64_e32 v[198:199], v[192:193], v[194:195]
	v_add_f64 v[176:177], v[176:177], v[198:199]
	ds_read_b128 v[198:201], v2 offset:1344
	s_waitcnt lgkmcnt(0)
	v_mul_f64 v[206:207], v[198:199], v[204:205]
	v_fmac_f64_e32 v[206:207], v[200:201], v[202:203]
	v_add_f64 v[176:177], v[176:177], v[206:207]
	ds_read_b128 v[206:209], v2 offset:1360
	s_waitcnt lgkmcnt(0)
	v_mul_f64 v[214:215], v[206:207], v[212:213]
	v_fmac_f64_e32 v[214:215], v[208:209], v[210:211]
	v_add_f64 v[176:177], v[176:177], v[214:215]
	ds_read_b128 v[214:217], v2 offset:1376
	s_waitcnt lgkmcnt(0)
	v_mul_f64 v[222:223], v[214:215], v[220:221]
	v_fmac_f64_e32 v[222:223], v[216:217], v[218:219]
	v_add_f64 v[176:177], v[176:177], v[222:223]
	ds_read_b128 v[222:225], v2 offset:1392
	s_waitcnt lgkmcnt(0)
	v_mul_f64 v[2:3], v[222:223], v[228:229]
	v_fmac_f64_e32 v[2:3], v[224:225], v[226:227]
	v_add_f64 v[176:177], v[176:177], v[2:3]
	v_mul_f64 v[2:3], v[18:19], v[22:23]
	v_fma_f64 v[2:3], v[16:17], v[20:21], -v[2:3]
	v_add_f64 v[2:3], v[2:3], 0
	v_add_f64 v[2:3], v[2:3], v[12:13]
	;; [unrolled: 1-line block ×4, first 2 shown]
	v_mul_f64 v[4:5], v[38:39], v[42:43]
	v_fma_f64 v[4:5], v[36:37], v[40:41], -v[4:5]
	v_add_f64 v[2:3], v[2:3], v[4:5]
	v_mul_f64 v[4:5], v[46:47], v[50:51]
	v_fma_f64 v[4:5], v[44:45], v[48:49], -v[4:5]
	v_add_f64 v[2:3], v[2:3], v[4:5]
	;; [unrolled: 3-line block ×24, first 2 shown]
	scratch_load_dwordx4 v[2:5], off, off offset:256
	s_waitcnt vmcnt(0)
	v_add_f64 v[2:3], v[2:3], -v[6:7]
	v_add_f64 v[4:5], v[4:5], -v[176:177]
	scratch_store_dwordx4 off, v[2:5], off offset:256
	s_and_saveexec_b64 s[0:1], vcc
	s_cbranch_execz .LBB43_249
; %bb.248:
	scratch_load_dwordx4 v[2:5], off, s31
	v_mov_b32_e32 v6, 0
	v_mov_b32_e32 v7, v6
	;; [unrolled: 1-line block ×4, first 2 shown]
	v_accvgpr_read_b32 v0, a89
	scratch_store_dwordx4 off, v[6:9], off offset:240
	s_waitcnt vmcnt(1)
	ds_write_b128 v0, v[2:5]
.LBB43_249:
	s_or_b64 exec, exec, s[0:1]
	v_mov_b32_e32 v2, 0
	s_waitcnt lgkmcnt(0)
	; wave barrier
	ds_read_b128 v[16:19], v2 offset:944
	ds_read_b128 v[12:15], v2 offset:960
	;; [unrolled: 1-line block ×4, first 2 shown]
	scratch_load_dwordx4 v[20:23], off, off offset:256
	scratch_load_dwordx4 v[40:43], off, off offset:320
	;; [unrolled: 1-line block ×23, first 2 shown]
	v_cmp_lt_u32_e32 vcc, 13, v246
	scratch_load_dwordx4 v[48:51], off, off offset:336
	scratch_load_dwordx4 v[56:59], off, off offset:352
	;; [unrolled: 1-line block ×3, first 2 shown]
	s_waitcnt vmcnt(25) lgkmcnt(3)
	v_mul_f64 v[24:25], v[16:17], v[22:23]
	v_fmac_f64_e32 v[24:25], v[18:19], v[20:21]
	v_add_f64 v[28:29], v[24:25], 0
	scratch_load_dwordx4 v[24:27], off, off offset:272
	v_mul_f64 v[18:19], v[18:19], v[22:23]
	v_fma_f64 v[16:17], v[16:17], v[20:21], -v[18:19]
	v_add_f64 v[16:17], v[16:17], 0
	s_waitcnt vmcnt(0) lgkmcnt(2)
	v_mul_f64 v[30:31], v[12:13], v[26:27]
	v_fmac_f64_e32 v[30:31], v[14:15], v[24:25]
	v_add_f64 v[32:33], v[28:29], v[30:31]
	scratch_load_dwordx4 v[28:31], off, off offset:288
	v_mul_f64 v[14:15], v[14:15], v[26:27]
	v_fma_f64 v[12:13], v[12:13], v[24:25], -v[14:15]
	v_add_f64 v[12:13], v[16:17], v[12:13]
	;; [unrolled: 8-line block ×3, first 2 shown]
	s_waitcnt vmcnt(0) lgkmcnt(0)
	v_mul_f64 v[38:39], v[4:5], v[34:35]
	v_fmac_f64_e32 v[38:39], v[6:7], v[32:33]
	v_add_f64 v[44:45], v[36:37], v[38:39]
	ds_read_b128 v[36:39], v2 offset:1008
	v_mul_f64 v[6:7], v[6:7], v[34:35]
	v_fma_f64 v[4:5], v[4:5], v[32:33], -v[6:7]
	v_add_f64 v[4:5], v[8:9], v[4:5]
	s_waitcnt lgkmcnt(0)
	v_mul_f64 v[46:47], v[36:37], v[42:43]
	v_fmac_f64_e32 v[46:47], v[38:39], v[40:41]
	v_add_f64 v[52:53], v[44:45], v[46:47]
	ds_read_b128 v[44:47], v2 offset:1024
	v_mul_f64 v[6:7], v[38:39], v[42:43]
	v_fma_f64 v[6:7], v[36:37], v[40:41], -v[6:7]
	v_add_f64 v[4:5], v[4:5], v[6:7]
	s_waitcnt lgkmcnt(0)
	;; [unrolled: 8-line block ×25, first 2 shown]
	v_mul_f64 v[6:7], v[232:233], v[236:237]
	v_fma_f64 v[6:7], v[230:231], v[234:235], -v[6:7]
	v_add_f64 v[8:9], v[4:5], v[6:7]
	scratch_load_dwordx4 v[4:7], off, off offset:240
	v_mul_f64 v[238:239], v[230:231], v[236:237]
	v_fmac_f64_e32 v[238:239], v[232:233], v[234:235]
	v_add_f64 v[176:177], v[176:177], v[238:239]
	s_waitcnt vmcnt(0)
	v_add_f64 v[4:5], v[4:5], -v[8:9]
	v_add_f64 v[6:7], v[6:7], -v[176:177]
	scratch_store_dwordx4 off, v[4:7], off offset:240
	s_and_saveexec_b64 s[0:1], vcc
	s_cbranch_execz .LBB43_251
; %bb.250:
	scratch_load_dwordx4 v[6:9], off, s30
	v_mov_b32_e32 v3, v2
	v_mov_b32_e32 v4, v2
	;; [unrolled: 1-line block ×3, first 2 shown]
	v_accvgpr_read_b32 v0, a89
	scratch_store_dwordx4 off, v[2:5], off offset:224
	s_waitcnt vmcnt(1)
	ds_write_b128 v0, v[6:9]
.LBB43_251:
	s_or_b64 exec, exec, s[0:1]
	s_waitcnt lgkmcnt(0)
	; wave barrier
	ds_read_b128 v[16:19], v2 offset:928
	ds_read_b128 v[12:15], v2 offset:944
	;; [unrolled: 1-line block ×4, first 2 shown]
	scratch_load_dwordx4 v[20:23], off, off offset:240
	scratch_load_dwordx4 v[40:43], off, off offset:304
	;; [unrolled: 1-line block ×24, first 2 shown]
	v_cmp_lt_u32_e32 vcc, 12, v246
	scratch_load_dwordx4 v[48:51], off, off offset:320
	scratch_load_dwordx4 v[56:59], off, off offset:336
	;; [unrolled: 1-line block ×3, first 2 shown]
	ds_read_b128 v[248:251], v2 offset:1392
	s_waitcnt vmcnt(26) lgkmcnt(4)
	v_mul_f64 v[24:25], v[16:17], v[22:23]
	v_fmac_f64_e32 v[24:25], v[18:19], v[20:21]
	v_add_f64 v[28:29], v[24:25], 0
	scratch_load_dwordx4 v[24:27], off, off offset:256
	s_waitcnt vmcnt(0) lgkmcnt(3)
	v_mul_f64 v[30:31], v[12:13], v[26:27]
	v_fmac_f64_e32 v[30:31], v[14:15], v[24:25]
	v_add_f64 v[32:33], v[28:29], v[30:31]
	scratch_load_dwordx4 v[28:31], off, off offset:272
	v_mul_f64 v[14:15], v[14:15], v[26:27]
	v_fma_f64 v[12:13], v[12:13], v[24:25], -v[14:15]
	s_waitcnt vmcnt(0) lgkmcnt(2)
	v_mul_f64 v[34:35], v[8:9], v[30:31]
	v_fmac_f64_e32 v[34:35], v[10:11], v[28:29]
	v_add_f64 v[36:37], v[32:33], v[34:35]
	scratch_load_dwordx4 v[32:35], off, off offset:288
	v_mul_f64 v[10:11], v[10:11], v[30:31]
	v_fma_f64 v[8:9], v[8:9], v[28:29], -v[10:11]
	s_waitcnt vmcnt(0) lgkmcnt(1)
	v_mul_f64 v[38:39], v[4:5], v[34:35]
	v_fmac_f64_e32 v[38:39], v[6:7], v[32:33]
	v_add_f64 v[44:45], v[36:37], v[38:39]
	ds_read_b128 v[36:39], v2 offset:992
	v_mul_f64 v[6:7], v[6:7], v[34:35]
	v_fma_f64 v[4:5], v[4:5], v[32:33], -v[6:7]
	s_waitcnt lgkmcnt(0)
	v_mul_f64 v[46:47], v[36:37], v[42:43]
	v_fmac_f64_e32 v[46:47], v[38:39], v[40:41]
	v_add_f64 v[52:53], v[44:45], v[46:47]
	ds_read_b128 v[44:47], v2 offset:1008
	s_waitcnt lgkmcnt(0)
	v_mul_f64 v[54:55], v[44:45], v[50:51]
	v_fmac_f64_e32 v[54:55], v[46:47], v[48:49]
	v_add_f64 v[60:61], v[52:53], v[54:55]
	ds_read_b128 v[52:55], v2 offset:1024
	;; [unrolled: 5-line block ×24, first 2 shown]
	v_mul_f64 v[2:3], v[248:249], v[254:255]
	v_fmac_f64_e32 v[2:3], v[250:251], v[252:253]
	s_waitcnt lgkmcnt(0)
	v_mul_f64 v[238:239], v[230:231], v[236:237]
	v_fmac_f64_e32 v[238:239], v[232:233], v[234:235]
	v_add_f64 v[184:185], v[184:185], v[238:239]
	v_add_f64 v[184:185], v[184:185], v[2:3]
	v_mul_f64 v[2:3], v[18:19], v[22:23]
	v_fma_f64 v[2:3], v[16:17], v[20:21], -v[2:3]
	v_add_f64 v[2:3], v[2:3], 0
	v_add_f64 v[2:3], v[2:3], v[12:13]
	;; [unrolled: 1-line block ×4, first 2 shown]
	v_mul_f64 v[4:5], v[38:39], v[42:43]
	v_fma_f64 v[4:5], v[36:37], v[40:41], -v[4:5]
	v_add_f64 v[2:3], v[2:3], v[4:5]
	v_mul_f64 v[4:5], v[46:47], v[50:51]
	v_fma_f64 v[4:5], v[44:45], v[48:49], -v[4:5]
	v_add_f64 v[2:3], v[2:3], v[4:5]
	;; [unrolled: 3-line block ×26, first 2 shown]
	scratch_load_dwordx4 v[2:5], off, off offset:224
	s_waitcnt vmcnt(0)
	v_add_f64 v[2:3], v[2:3], -v[6:7]
	v_add_f64 v[4:5], v[4:5], -v[184:185]
	scratch_store_dwordx4 off, v[2:5], off offset:224
	s_and_saveexec_b64 s[0:1], vcc
	s_cbranch_execz .LBB43_253
; %bb.252:
	scratch_load_dwordx4 v[2:5], off, s29
	v_mov_b32_e32 v6, 0
	v_mov_b32_e32 v7, v6
	;; [unrolled: 1-line block ×4, first 2 shown]
	v_accvgpr_read_b32 v0, a89
	scratch_store_dwordx4 off, v[6:9], off offset:208
	s_waitcnt vmcnt(1)
	ds_write_b128 v0, v[2:5]
.LBB43_253:
	s_or_b64 exec, exec, s[0:1]
	s_waitcnt lgkmcnt(0)
	; wave barrier
	scratch_load_dwordx4 v[16:19], off, off offset:224
	scratch_load_dwordx4 v[12:15], off, off offset:240
	;; [unrolled: 1-line block ×32, first 2 shown]
	v_mov_b32_e32 v2, 0
	ds_read_b128 v[132:135], v2 offset:912
	ds_read_b128 v[136:139], v2 offset:928
	;; [unrolled: 1-line block ×17, first 2 shown]
	v_cmp_lt_u32_e32 vcc, 11, v246
	s_waitcnt vmcnt(31) lgkmcnt(14)
	v_mul_f64 v[200:201], v[132:133], v[18:19]
	s_waitcnt vmcnt(30)
	v_mul_f64 v[202:203], v[136:137], v[14:15]
	v_fmac_f64_e32 v[200:201], v[134:135], v[16:17]
	s_waitcnt vmcnt(29)
	v_mul_f64 v[204:205], v[140:141], v[10:11]
	v_fmac_f64_e32 v[202:203], v[138:139], v[12:13]
	v_add_f64 v[200:201], v[200:201], 0
	s_waitcnt vmcnt(28) lgkmcnt(13)
	v_mul_f64 v[206:207], v[144:145], v[6:7]
	v_fmac_f64_e32 v[204:205], v[142:143], v[8:9]
	v_add_f64 v[200:201], v[200:201], v[202:203]
	s_waitcnt vmcnt(27) lgkmcnt(12)
	;; [unrolled: 4-line block ×12, first 2 shown]
	v_mul_f64 v[228:229], v[188:189], v[62:63]
	v_fmac_f64_e32 v[226:227], v[186:187], v[56:57]
	v_add_f64 v[200:201], v[200:201], v[224:225]
	v_fmac_f64_e32 v[228:229], v[190:191], v[60:61]
	v_add_f64 v[200:201], v[200:201], v[226:227]
	s_waitcnt vmcnt(16) lgkmcnt(1)
	v_mul_f64 v[202:203], v[192:193], v[66:67]
	v_add_f64 v[200:201], v[200:201], v[228:229]
	v_fmac_f64_e32 v[202:203], v[194:195], v[64:65]
	s_waitcnt vmcnt(15) lgkmcnt(0)
	v_mul_f64 v[206:207], v[196:197], v[70:71]
	v_add_f64 v[204:205], v[200:201], v[202:203]
	ds_read_b128 v[200:203], v2 offset:1184
	v_fmac_f64_e32 v[206:207], v[198:199], v[68:69]
	v_add_f64 v[208:209], v[204:205], v[206:207]
	ds_read_b128 v[204:207], v2 offset:1200
	v_mul_f64 v[18:19], v[134:135], v[18:19]
	s_waitcnt vmcnt(14) lgkmcnt(1)
	v_mul_f64 v[210:211], v[200:201], v[74:75]
	v_fmac_f64_e32 v[210:211], v[202:203], v[72:73]
	v_add_f64 v[212:213], v[208:209], v[210:211]
	s_waitcnt vmcnt(13) lgkmcnt(0)
	v_mul_f64 v[214:215], v[204:205], v[78:79]
	ds_read_b128 v[208:211], v2 offset:1216
	v_fmac_f64_e32 v[214:215], v[206:207], v[76:77]
	v_add_f64 v[216:217], v[212:213], v[214:215]
	ds_read_b128 v[212:215], v2 offset:1232
	v_fma_f64 v[250:251], v[132:133], v[16:17], -v[18:19]
	s_waitcnt vmcnt(12) lgkmcnt(1)
	v_mul_f64 v[218:219], v[208:209], v[82:83]
	v_fmac_f64_e32 v[218:219], v[210:211], v[80:81]
	v_add_f64 v[220:221], v[216:217], v[218:219]
	s_waitcnt vmcnt(11) lgkmcnt(0)
	v_mul_f64 v[222:223], v[212:213], v[86:87]
	ds_read_b128 v[216:219], v2 offset:1248
	v_fmac_f64_e32 v[222:223], v[214:215], v[84:85]
	v_add_f64 v[224:225], v[220:221], v[222:223]
	ds_read_b128 v[220:223], v2 offset:1264
	ds_read_b128 v[16:19], v2 offset:1344
	s_waitcnt vmcnt(10) lgkmcnt(2)
	v_mul_f64 v[226:227], v[216:217], v[90:91]
	v_fmac_f64_e32 v[226:227], v[218:219], v[88:89]
	v_add_f64 v[228:229], v[224:225], v[226:227]
	s_waitcnt vmcnt(9) lgkmcnt(1)
	v_mul_f64 v[230:231], v[220:221], v[94:95]
	ds_read_b128 v[224:227], v2 offset:1280
	v_fmac_f64_e32 v[230:231], v[222:223], v[92:93]
	v_add_f64 v[232:233], v[228:229], v[230:231]
	ds_read_b128 v[228:231], v2 offset:1296
	v_mul_f64 v[14:15], v[138:139], v[14:15]
	s_waitcnt vmcnt(8) lgkmcnt(1)
	v_mul_f64 v[234:235], v[224:225], v[98:99]
	v_fmac_f64_e32 v[234:235], v[226:227], v[96:97]
	v_add_f64 v[236:237], v[232:233], v[234:235]
	s_waitcnt vmcnt(7) lgkmcnt(0)
	v_mul_f64 v[238:239], v[228:229], v[102:103]
	ds_read_b128 v[232:235], v2 offset:1312
	v_fmac_f64_e32 v[238:239], v[230:231], v[100:101]
	v_add_f64 v[248:249], v[236:237], v[238:239]
	ds_read_b128 v[236:239], v2 offset:1328
	v_fma_f64 v[136:137], v[136:137], v[12:13], -v[14:15]
	s_waitcnt vmcnt(6) lgkmcnt(1)
	v_mul_f64 v[132:133], v[232:233], v[106:107]
	v_fmac_f64_e32 v[132:133], v[234:235], v[104:105]
	v_add_f64 v[132:133], v[248:249], v[132:133]
	s_waitcnt vmcnt(5) lgkmcnt(0)
	v_mul_f64 v[134:135], v[236:237], v[110:111]
	v_fmac_f64_e32 v[134:135], v[238:239], v[108:109]
	v_add_f64 v[132:133], v[132:133], v[134:135]
	ds_read_b128 v[12:15], v2 offset:1360
	s_waitcnt vmcnt(4)
	v_mul_f64 v[134:135], v[16:17], v[114:115]
	v_fmac_f64_e32 v[134:135], v[18:19], v[112:113]
	v_add_f64 v[138:139], v[132:133], v[134:135]
	ds_read_b128 v[132:135], v2 offset:1376
	v_mul_f64 v[10:11], v[142:143], v[10:11]
	v_fma_f64 v[140:141], v[140:141], v[8:9], -v[10:11]
	ds_read_b128 v[8:11], v2 offset:1392
	s_waitcnt vmcnt(3) lgkmcnt(2)
	v_mul_f64 v[142:143], v[12:13], v[118:119]
	v_fmac_f64_e32 v[142:143], v[14:15], v[116:117]
	v_add_f64 v[138:139], v[138:139], v[142:143]
	s_waitcnt vmcnt(2) lgkmcnt(1)
	v_mul_f64 v[142:143], v[132:133], v[122:123]
	v_fmac_f64_e32 v[142:143], v[134:135], v[120:121]
	v_add_f64 v[138:139], v[138:139], v[142:143]
	;; [unrolled: 4-line block ×3, first 2 shown]
	v_add_f64 v[142:143], v[250:251], 0
	v_add_f64 v[136:137], v[142:143], v[136:137]
	v_mul_f64 v[6:7], v[146:147], v[6:7]
	v_add_f64 v[136:137], v[136:137], v[140:141]
	v_fma_f64 v[4:5], v[144:145], v[4:5], -v[6:7]
	v_mul_f64 v[6:7], v[150:151], v[22:23]
	v_add_f64 v[4:5], v[136:137], v[4:5]
	v_fma_f64 v[6:7], v[148:149], v[20:21], -v[6:7]
	v_add_f64 v[4:5], v[4:5], v[6:7]
	v_mul_f64 v[6:7], v[154:155], v[26:27]
	v_fma_f64 v[6:7], v[152:153], v[24:25], -v[6:7]
	v_add_f64 v[4:5], v[4:5], v[6:7]
	v_mul_f64 v[6:7], v[158:159], v[30:31]
	v_fma_f64 v[6:7], v[156:157], v[28:29], -v[6:7]
	v_add_f64 v[4:5], v[4:5], v[6:7]
	v_mul_f64 v[6:7], v[162:163], v[34:35]
	v_fma_f64 v[6:7], v[160:161], v[32:33], -v[6:7]
	v_add_f64 v[4:5], v[4:5], v[6:7]
	v_mul_f64 v[6:7], v[166:167], v[38:39]
	v_fma_f64 v[6:7], v[164:165], v[36:37], -v[6:7]
	v_add_f64 v[4:5], v[4:5], v[6:7]
	v_mul_f64 v[6:7], v[170:171], v[42:43]
	v_fma_f64 v[6:7], v[168:169], v[40:41], -v[6:7]
	v_add_f64 v[4:5], v[4:5], v[6:7]
	v_mul_f64 v[6:7], v[174:175], v[46:47]
	v_fma_f64 v[6:7], v[172:173], v[44:45], -v[6:7]
	v_add_f64 v[4:5], v[4:5], v[6:7]
	v_mul_f64 v[6:7], v[178:179], v[50:51]
	v_fma_f64 v[6:7], v[176:177], v[48:49], -v[6:7]
	v_add_f64 v[4:5], v[4:5], v[6:7]
	v_mul_f64 v[6:7], v[182:183], v[54:55]
	v_fma_f64 v[6:7], v[180:181], v[52:53], -v[6:7]
	v_add_f64 v[4:5], v[4:5], v[6:7]
	v_mul_f64 v[6:7], v[186:187], v[58:59]
	v_fma_f64 v[6:7], v[184:185], v[56:57], -v[6:7]
	v_add_f64 v[4:5], v[4:5], v[6:7]
	v_mul_f64 v[6:7], v[190:191], v[62:63]
	v_fma_f64 v[6:7], v[188:189], v[60:61], -v[6:7]
	v_add_f64 v[4:5], v[4:5], v[6:7]
	v_mul_f64 v[6:7], v[194:195], v[66:67]
	v_fma_f64 v[6:7], v[192:193], v[64:65], -v[6:7]
	v_add_f64 v[4:5], v[4:5], v[6:7]
	v_mul_f64 v[6:7], v[198:199], v[70:71]
	v_fma_f64 v[6:7], v[196:197], v[68:69], -v[6:7]
	v_add_f64 v[4:5], v[4:5], v[6:7]
	v_mul_f64 v[6:7], v[202:203], v[74:75]
	v_fma_f64 v[6:7], v[200:201], v[72:73], -v[6:7]
	v_add_f64 v[4:5], v[4:5], v[6:7]
	v_mul_f64 v[6:7], v[206:207], v[78:79]
	v_fma_f64 v[6:7], v[204:205], v[76:77], -v[6:7]
	v_add_f64 v[4:5], v[4:5], v[6:7]
	v_mul_f64 v[6:7], v[210:211], v[82:83]
	v_fma_f64 v[6:7], v[208:209], v[80:81], -v[6:7]
	v_add_f64 v[4:5], v[4:5], v[6:7]
	v_mul_f64 v[6:7], v[214:215], v[86:87]
	v_fma_f64 v[6:7], v[212:213], v[84:85], -v[6:7]
	v_add_f64 v[4:5], v[4:5], v[6:7]
	v_mul_f64 v[6:7], v[218:219], v[90:91]
	v_fma_f64 v[6:7], v[216:217], v[88:89], -v[6:7]
	v_add_f64 v[4:5], v[4:5], v[6:7]
	v_mul_f64 v[6:7], v[222:223], v[94:95]
	v_fma_f64 v[6:7], v[220:221], v[92:93], -v[6:7]
	v_add_f64 v[4:5], v[4:5], v[6:7]
	v_mul_f64 v[6:7], v[226:227], v[98:99]
	v_fma_f64 v[6:7], v[224:225], v[96:97], -v[6:7]
	v_add_f64 v[4:5], v[4:5], v[6:7]
	v_mul_f64 v[6:7], v[230:231], v[102:103]
	v_fma_f64 v[6:7], v[228:229], v[100:101], -v[6:7]
	v_add_f64 v[4:5], v[4:5], v[6:7]
	v_mul_f64 v[6:7], v[234:235], v[106:107]
	v_fma_f64 v[6:7], v[232:233], v[104:105], -v[6:7]
	v_add_f64 v[4:5], v[4:5], v[6:7]
	v_mul_f64 v[6:7], v[238:239], v[110:111]
	v_fma_f64 v[6:7], v[236:237], v[108:109], -v[6:7]
	v_add_f64 v[4:5], v[4:5], v[6:7]
	v_mul_f64 v[6:7], v[18:19], v[114:115]
	v_fma_f64 v[6:7], v[16:17], v[112:113], -v[6:7]
	v_add_f64 v[4:5], v[4:5], v[6:7]
	v_mul_f64 v[6:7], v[14:15], v[118:119]
	v_fma_f64 v[6:7], v[12:13], v[116:117], -v[6:7]
	v_add_f64 v[4:5], v[4:5], v[6:7]
	v_mul_f64 v[6:7], v[134:135], v[122:123]
	v_fma_f64 v[6:7], v[132:133], v[120:121], -v[6:7]
	v_add_f64 v[4:5], v[4:5], v[6:7]
	v_mul_f64 v[6:7], v[10:11], v[126:127]
	v_fma_f64 v[6:7], v[8:9], v[124:125], -v[6:7]
	v_add_f64 v[4:5], v[4:5], v[6:7]
	s_waitcnt vmcnt(0)
	v_add_f64 v[4:5], v[128:129], -v[4:5]
	v_add_f64 v[6:7], v[130:131], -v[138:139]
	scratch_store_dwordx4 off, v[4:7], off offset:208
	s_and_saveexec_b64 s[0:1], vcc
	s_cbranch_execz .LBB43_255
; %bb.254:
	scratch_load_dwordx4 v[6:9], off, s28
	v_mov_b32_e32 v3, v2
	v_mov_b32_e32 v4, v2
	;; [unrolled: 1-line block ×3, first 2 shown]
	v_accvgpr_read_b32 v0, a89
	scratch_store_dwordx4 off, v[2:5], off offset:192
	s_waitcnt vmcnt(1)
	ds_write_b128 v0, v[6:9]
.LBB43_255:
	s_or_b64 exec, exec, s[0:1]
	s_waitcnt lgkmcnt(0)
	; wave barrier
	scratch_load_dwordx4 v[140:143], off, off offset:208
	scratch_load_dwordx4 v[148:151], off, off offset:224
	;; [unrolled: 1-line block ×16, first 2 shown]
	ds_read_b128 v[188:191], v2 offset:896
	ds_read_b128 v[184:187], v2 offset:912
	scratch_load_dwordx4 v[56:59], off, off offset:464
	ds_read_b128 v[192:195], v2 offset:928
	ds_read_b128 v[68:71], v2 offset:944
	scratch_load_dwordx4 v[60:63], off, off offset:480
	ds_read_b128 v[88:91], v2 offset:960
	ds_read_b128 v[84:87], v2 offset:976
	;; [unrolled: 1-line block ×4, first 2 shown]
	scratch_load_dwordx4 v[64:67], off, off offset:496
	ds_read_b128 v[100:103], v2 offset:1024
	ds_read_b128 v[96:99], v2 offset:1040
	scratch_load_dwordx4 v[72:75], off, off offset:512
	ds_read_b128 v[116:119], v2 offset:1056
	ds_read_b128 v[112:115], v2 offset:1072
	;; [unrolled: 1-line block ×4, first 2 shown]
	scratch_load_dwordx4 v[92:95], off, off offset:528
	ds_read_b128 v[132:135], v2 offset:1120
	ds_read_b128 v[128:131], v2 offset:1136
	ds_read_b128 v[124:127], v2 offset:1152
	scratch_load_dwordx4 v[120:123], off, off offset:544
	scratch_load_dwordx4 v[136:139], off, off offset:560
	;; [unrolled: 1-line block ×11, first 2 shown]
	v_cmp_lt_u32_e32 vcc, 10, v246
	s_waitcnt vmcnt(31) lgkmcnt(14)
	v_mul_f64 v[200:201], v[188:189], v[142:143]
	s_waitcnt vmcnt(30)
	v_mul_f64 v[202:203], v[184:185], v[150:151]
	v_fmac_f64_e32 v[200:201], v[190:191], v[140:141]
	s_waitcnt vmcnt(29)
	v_mul_f64 v[204:205], v[192:193], v[154:155]
	v_fmac_f64_e32 v[202:203], v[186:187], v[148:149]
	v_add_f64 v[200:201], v[200:201], 0
	s_waitcnt vmcnt(28) lgkmcnt(13)
	v_mul_f64 v[206:207], v[68:69], v[6:7]
	v_fmac_f64_e32 v[204:205], v[194:195], v[152:153]
	v_add_f64 v[200:201], v[200:201], v[202:203]
	s_waitcnt vmcnt(27) lgkmcnt(12)
	;; [unrolled: 4-line block ×13, first 2 shown]
	v_mul_f64 v[230:231], v[128:129], v[54:55]
	v_fmac_f64_e32 v[228:229], v[134:135], v[48:49]
	v_add_f64 v[200:201], v[200:201], v[226:227]
	v_add_f64 v[200:201], v[200:201], v[228:229]
	v_fmac_f64_e32 v[230:231], v[130:131], v[52:53]
	v_add_f64 v[204:205], v[200:201], v[230:231]
	ds_read_b128 v[200:203], v2 offset:1168
	s_waitcnt vmcnt(15) lgkmcnt(1)
	v_mul_f64 v[206:207], v[124:125], v[58:59]
	v_fmac_f64_e32 v[206:207], v[126:127], v[56:57]
	v_add_f64 v[208:209], v[204:205], v[206:207]
	ds_read_b128 v[204:207], v2 offset:1184
	s_waitcnt vmcnt(14) lgkmcnt(1)
	v_mul_f64 v[210:211], v[200:201], v[62:63]
	;; [unrolled: 5-line block ×10, first 2 shown]
	v_fmac_f64_e32 v[250:251], v[234:235], v[160:161]
	v_mul_f64 v[142:143], v[190:191], v[142:143]
	v_add_f64 v[250:251], v[248:249], v[250:251]
	v_fma_f64 v[248:249], v[188:189], v[140:141], -v[142:143]
	ds_read_b128 v[140:143], v2 offset:1328
	s_waitcnt vmcnt(5) lgkmcnt(1)
	v_mul_f64 v[188:189], v[236:237], v[166:167]
	v_fmac_f64_e32 v[188:189], v[238:239], v[164:165]
	v_mul_f64 v[150:151], v[186:187], v[150:151]
	v_add_f64 v[188:189], v[250:251], v[188:189]
	v_fma_f64 v[250:251], v[184:185], v[148:149], -v[150:151]
	ds_read_b128 v[148:151], v2 offset:1344
	s_waitcnt vmcnt(4) lgkmcnt(1)
	v_mul_f64 v[184:185], v[140:141], v[170:171]
	v_fmac_f64_e32 v[184:185], v[142:143], v[168:169]
	v_add_f64 v[188:189], v[188:189], v[184:185]
	ds_read_b128 v[184:187], v2 offset:1360
	v_mul_f64 v[154:155], v[194:195], v[154:155]
	s_waitcnt vmcnt(3) lgkmcnt(1)
	v_mul_f64 v[190:191], v[148:149], v[174:175]
	v_fma_f64 v[254:255], v[192:193], v[152:153], -v[154:155]
	ds_read_b128 v[152:155], v2 offset:1376
	v_fmac_f64_e32 v[190:191], v[150:151], v[172:173]
	v_add_f64 v[252:253], v[188:189], v[190:191]
	ds_read_b128 v[188:191], v2 offset:1392
	s_waitcnt vmcnt(2) lgkmcnt(2)
	v_mul_f64 v[192:193], v[184:185], v[178:179]
	v_fmac_f64_e32 v[192:193], v[186:187], v[176:177]
	v_add_f64 v[2:3], v[252:253], v[192:193]
	s_waitcnt vmcnt(1) lgkmcnt(1)
	v_mul_f64 v[192:193], v[152:153], v[182:183]
	v_fmac_f64_e32 v[192:193], v[154:155], v[180:181]
	v_add_f64 v[2:3], v[2:3], v[192:193]
	;; [unrolled: 4-line block ×3, first 2 shown]
	scratch_load_dwordx4 v[192:195], off, off offset:192
	v_add_f64 v[248:249], v[248:249], 0
	v_add_f64 v[248:249], v[248:249], v[250:251]
	v_mul_f64 v[6:7], v[70:71], v[6:7]
	v_add_f64 v[248:249], v[248:249], v[254:255]
	v_fma_f64 v[4:5], v[68:69], v[4:5], -v[6:7]
	v_mul_f64 v[6:7], v[90:91], v[10:11]
	v_add_f64 v[4:5], v[248:249], v[4:5]
	v_fma_f64 v[6:7], v[88:89], v[8:9], -v[6:7]
	v_add_f64 v[4:5], v[4:5], v[6:7]
	v_mul_f64 v[6:7], v[86:87], v[14:15]
	v_fma_f64 v[6:7], v[84:85], v[12:13], -v[6:7]
	v_add_f64 v[4:5], v[4:5], v[6:7]
	v_mul_f64 v[6:7], v[82:83], v[18:19]
	;; [unrolled: 3-line block ×27, first 2 shown]
	v_fma_f64 v[6:7], v[188:189], v[196:197], -v[6:7]
	v_add_f64 v[4:5], v[4:5], v[6:7]
	s_waitcnt vmcnt(0)
	v_add_f64 v[4:5], v[192:193], -v[4:5]
	v_add_f64 v[6:7], v[194:195], -v[2:3]
	scratch_store_dwordx4 off, v[4:7], off offset:192
	s_and_saveexec_b64 s[0:1], vcc
	s_cbranch_execz .LBB43_257
; %bb.256:
	scratch_load_dwordx4 v[2:5], off, s27
	v_mov_b32_e32 v6, 0
	v_mov_b32_e32 v7, v6
	;; [unrolled: 1-line block ×4, first 2 shown]
	v_accvgpr_read_b32 v0, a89
	scratch_store_dwordx4 off, v[6:9], off offset:176
	s_waitcnt vmcnt(1)
	ds_write_b128 v0, v[2:5]
.LBB43_257:
	s_or_b64 exec, exec, s[0:1]
	s_waitcnt lgkmcnt(0)
	; wave barrier
	scratch_load_dwordx4 v[108:111], off, off offset:192
	scratch_load_dwordx4 v[116:119], off, off offset:208
	;; [unrolled: 1-line block ×33, first 2 shown]
	v_mov_b32_e32 v2, 0
	ds_read_b128 v[220:223], v2 offset:880
	ds_read_b128 v[224:227], v2 offset:896
	;; [unrolled: 1-line block ×16, first 2 shown]
	v_cmp_lt_u32_e32 vcc, 9, v246
	s_waitcnt vmcnt(32) lgkmcnt(14)
	v_mul_f64 v[180:181], v[220:221], v[110:111]
	s_waitcnt vmcnt(31)
	v_mul_f64 v[182:183], v[224:225], v[118:119]
	v_fmac_f64_e32 v[180:181], v[222:223], v[108:109]
	s_waitcnt vmcnt(30) lgkmcnt(13)
	v_mul_f64 v[184:185], v[234:235], v[122:123]
	v_fmac_f64_e32 v[182:183], v[226:227], v[116:117]
	v_add_f64 v[180:181], v[180:181], 0
	s_waitcnt vmcnt(29) lgkmcnt(12)
	v_mul_f64 v[186:187], v[248:249], v[126:127]
	v_fmac_f64_e32 v[184:185], v[236:237], v[120:121]
	v_add_f64 v[180:181], v[180:181], v[182:183]
	;; [unrolled: 4-line block ×13, first 2 shown]
	v_fmac_f64_e32 v[208:209], v[142:143], v[40:41]
	v_add_f64 v[180:181], v[180:181], v[206:207]
	v_add_f64 v[184:185], v[180:181], v[208:209]
	ds_read_b128 v[180:183], v2 offset:1136
	s_waitcnt vmcnt(17) lgkmcnt(1)
	v_mul_f64 v[186:187], v[136:137], v[46:47]
	v_fmac_f64_e32 v[186:187], v[138:139], v[44:45]
	v_add_f64 v[188:189], v[184:185], v[186:187]
	ds_read_b128 v[184:187], v2 offset:1152
	s_waitcnt vmcnt(16) lgkmcnt(1)
	v_mul_f64 v[190:191], v[180:181], v[50:51]
	v_fmac_f64_e32 v[190:191], v[182:183], v[48:49]
	;; [unrolled: 5-line block ×10, first 2 shown]
	v_mul_f64 v[110:111], v[222:223], v[110:111]
	v_add_f64 v[228:229], v[228:229], v[230:231]
	v_fma_f64 v[230:231], v[220:221], v[108:109], -v[110:111]
	ds_read_b128 v[108:111], v2 offset:1296
	s_waitcnt vmcnt(7) lgkmcnt(1)
	v_mul_f64 v[220:221], v[216:217], v[86:87]
	v_mul_f64 v[118:119], v[226:227], v[118:119]
	v_fmac_f64_e32 v[220:221], v[218:219], v[84:85]
	v_fma_f64 v[232:233], v[224:225], v[116:117], -v[118:119]
	ds_read_b128 v[116:119], v2 offset:1312
	s_waitcnt vmcnt(6) lgkmcnt(1)
	v_mul_f64 v[222:223], v[108:109], v[90:91]
	v_add_f64 v[220:221], v[228:229], v[220:221]
	v_fmac_f64_e32 v[222:223], v[110:111], v[88:89]
	v_add_f64 v[224:225], v[220:221], v[222:223]
	ds_read_b128 v[220:223], v2 offset:1328
	v_mul_f64 v[122:123], v[236:237], v[122:123]
	v_fma_f64 v[234:235], v[234:235], v[120:121], -v[122:123]
	ds_read_b128 v[120:123], v2 offset:1344
	s_waitcnt vmcnt(5) lgkmcnt(2)
	v_mul_f64 v[226:227], v[116:117], v[94:95]
	v_fmac_f64_e32 v[226:227], v[118:119], v[92:93]
	v_mul_f64 v[126:127], v[250:251], v[126:127]
	v_add_f64 v[224:225], v[224:225], v[226:227]
	s_waitcnt vmcnt(4) lgkmcnt(1)
	v_mul_f64 v[226:227], v[220:221], v[98:99]
	v_fma_f64 v[236:237], v[248:249], v[124:125], -v[126:127]
	ds_read_b128 v[124:127], v2 offset:1360
	v_fmac_f64_e32 v[226:227], v[222:223], v[96:97]
	v_add_f64 v[228:229], v[224:225], v[226:227]
	s_waitcnt vmcnt(3) lgkmcnt(1)
	v_mul_f64 v[238:239], v[120:121], v[102:103]
	ds_read_b128 v[224:227], v2 offset:1376
	v_fmac_f64_e32 v[238:239], v[122:123], v[100:101]
	v_mul_f64 v[130:131], v[254:255], v[130:131]
	v_add_f64 v[228:229], v[228:229], v[238:239]
	v_fma_f64 v[238:239], v[252:253], v[128:129], -v[130:131]
	ds_read_b128 v[128:131], v2 offset:1392
	s_waitcnt vmcnt(2) lgkmcnt(2)
	v_mul_f64 v[248:249], v[124:125], v[106:107]
	v_fmac_f64_e32 v[248:249], v[126:127], v[104:105]
	v_add_f64 v[228:229], v[228:229], v[248:249]
	s_waitcnt vmcnt(1) lgkmcnt(1)
	v_mul_f64 v[248:249], v[224:225], v[114:115]
	v_fmac_f64_e32 v[248:249], v[226:227], v[112:113]
	v_add_f64 v[228:229], v[228:229], v[248:249]
	;; [unrolled: 4-line block ×3, first 2 shown]
	scratch_load_dwordx4 v[248:251], off, off offset:176
	v_add_f64 v[230:231], v[230:231], 0
	v_add_f64 v[230:231], v[230:231], v[232:233]
	;; [unrolled: 1-line block ×4, first 2 shown]
	v_mul_f64 v[6:7], v[178:179], v[6:7]
	v_add_f64 v[230:231], v[230:231], v[238:239]
	v_fma_f64 v[4:5], v[176:177], v[4:5], -v[6:7]
	v_mul_f64 v[6:7], v[174:175], v[10:11]
	v_add_f64 v[4:5], v[230:231], v[4:5]
	v_fma_f64 v[6:7], v[172:173], v[8:9], -v[6:7]
	v_add_f64 v[4:5], v[4:5], v[6:7]
	v_mul_f64 v[6:7], v[170:171], v[14:15]
	v_fma_f64 v[6:7], v[168:169], v[12:13], -v[6:7]
	v_add_f64 v[4:5], v[4:5], v[6:7]
	v_mul_f64 v[6:7], v[166:167], v[18:19]
	;; [unrolled: 3-line block ×26, first 2 shown]
	v_fma_f64 v[6:7], v[128:129], v[132:133], -v[6:7]
	v_add_f64 v[4:5], v[4:5], v[6:7]
	s_waitcnt vmcnt(0)
	v_add_f64 v[4:5], v[248:249], -v[4:5]
	v_add_f64 v[6:7], v[250:251], -v[228:229]
	scratch_store_dwordx4 off, v[4:7], off offset:176
	s_and_saveexec_b64 s[0:1], vcc
	s_cbranch_execz .LBB43_259
; %bb.258:
	scratch_load_dwordx4 v[6:9], off, s58
	v_mov_b32_e32 v3, v2
	v_mov_b32_e32 v4, v2
	;; [unrolled: 1-line block ×3, first 2 shown]
	v_accvgpr_read_b32 v0, a89
	scratch_store_dwordx4 off, v[2:5], off offset:160
	s_waitcnt vmcnt(1)
	ds_write_b128 v0, v[6:9]
.LBB43_259:
	s_or_b64 exec, exec, s[0:1]
	s_waitcnt lgkmcnt(0)
	; wave barrier
	scratch_load_dwordx4 v[144:147], off, off offset:176
	scratch_load_dwordx4 v[152:155], off, off offset:192
	;; [unrolled: 1-line block ×16, first 2 shown]
	ds_read_b128 v[196:199], v2 offset:864
	ds_read_b128 v[188:191], v2 offset:880
	ds_read_b128 v[180:183], v2 offset:896
	scratch_load_dwordx4 v[48:51], off, off offset:432
	ds_read_b128 v[192:195], v2 offset:912
	ds_read_b128 v[184:187], v2 offset:928
	ds_read_b128 v[64:67], v2 offset:944
	scratch_load_dwordx4 v[52:55], off, off offset:448
	;; [unrolled: 4-line block ×5, first 2 shown]
	ds_read_b128 v[116:119], v2 offset:1104
	ds_read_b128 v[112:115], v2 offset:1120
	scratch_load_dwordx4 v[108:111], off, off offset:512
	scratch_load_dwordx4 v[120:123], off, off offset:528
	;; [unrolled: 1-line block ×12, first 2 shown]
	v_cmp_lt_u32_e32 vcc, 8, v246
	s_waitcnt vmcnt(32) lgkmcnt(14)
	v_mul_f64 v[204:205], v[196:197], v[146:147]
	s_waitcnt vmcnt(31)
	v_mul_f64 v[206:207], v[188:189], v[154:155]
	v_fmac_f64_e32 v[204:205], v[198:199], v[144:145]
	s_waitcnt vmcnt(30)
	v_mul_f64 v[208:209], v[180:181], v[158:159]
	v_fmac_f64_e32 v[206:207], v[190:191], v[152:153]
	v_add_f64 v[204:205], v[204:205], 0
	s_waitcnt vmcnt(29) lgkmcnt(13)
	v_mul_f64 v[210:211], v[192:193], v[162:163]
	v_fmac_f64_e32 v[208:209], v[182:183], v[156:157]
	v_add_f64 v[204:205], v[204:205], v[206:207]
	s_waitcnt vmcnt(28) lgkmcnt(12)
	;; [unrolled: 4-line block ×12, first 2 shown]
	v_mul_f64 v[232:233], v[96:97], v[42:43]
	v_fmac_f64_e32 v[230:231], v[102:103], v[36:37]
	v_add_f64 v[204:205], v[204:205], v[228:229]
	v_fmac_f64_e32 v[232:233], v[98:99], v[40:41]
	v_add_f64 v[204:205], v[204:205], v[230:231]
	s_waitcnt vmcnt(17) lgkmcnt(1)
	v_mul_f64 v[206:207], v[116:117], v[46:47]
	v_add_f64 v[204:205], v[204:205], v[232:233]
	v_fmac_f64_e32 v[206:207], v[118:119], v[44:45]
	s_waitcnt vmcnt(16) lgkmcnt(0)
	v_mul_f64 v[210:211], v[112:113], v[50:51]
	v_add_f64 v[208:209], v[204:205], v[206:207]
	ds_read_b128 v[204:207], v2 offset:1136
	v_fmac_f64_e32 v[210:211], v[114:115], v[48:49]
	v_add_f64 v[212:213], v[208:209], v[210:211]
	ds_read_b128 v[208:211], v2 offset:1152
	v_mul_f64 v[146:147], v[198:199], v[146:147]
	s_waitcnt vmcnt(15) lgkmcnt(1)
	v_mul_f64 v[214:215], v[204:205], v[54:55]
	v_fmac_f64_e32 v[214:215], v[206:207], v[52:53]
	v_add_f64 v[216:217], v[212:213], v[214:215]
	s_waitcnt vmcnt(14) lgkmcnt(0)
	v_mul_f64 v[218:219], v[208:209], v[58:59]
	ds_read_b128 v[212:215], v2 offset:1168
	v_fmac_f64_e32 v[218:219], v[210:211], v[56:57]
	v_add_f64 v[220:221], v[216:217], v[218:219]
	ds_read_b128 v[216:219], v2 offset:1184
	v_mul_f64 v[154:155], v[190:191], v[154:155]
	s_waitcnt vmcnt(13) lgkmcnt(1)
	v_mul_f64 v[222:223], v[212:213], v[62:63]
	v_fmac_f64_e32 v[222:223], v[214:215], v[60:61]
	v_add_f64 v[224:225], v[220:221], v[222:223]
	s_waitcnt vmcnt(12) lgkmcnt(0)
	v_mul_f64 v[226:227], v[216:217], v[94:95]
	ds_read_b128 v[220:223], v2 offset:1200
	v_fmac_f64_e32 v[226:227], v[218:219], v[92:93]
	v_add_f64 v[228:229], v[224:225], v[226:227]
	ds_read_b128 v[224:227], v2 offset:1216
	v_fma_f64 v[252:253], v[188:189], v[152:153], -v[154:155]
	s_waitcnt vmcnt(11) lgkmcnt(1)
	v_mul_f64 v[230:231], v[220:221], v[110:111]
	v_fmac_f64_e32 v[230:231], v[222:223], v[108:109]
	v_add_f64 v[232:233], v[228:229], v[230:231]
	s_waitcnt vmcnt(10) lgkmcnt(0)
	v_mul_f64 v[234:235], v[224:225], v[122:123]
	ds_read_b128 v[228:231], v2 offset:1232
	v_fmac_f64_e32 v[234:235], v[226:227], v[120:121]
	v_add_f64 v[236:237], v[232:233], v[234:235]
	ds_read_b128 v[232:235], v2 offset:1248
	ds_read_b128 v[152:155], v2 offset:1296
	s_waitcnt vmcnt(9) lgkmcnt(2)
	v_mul_f64 v[238:239], v[228:229], v[126:127]
	v_fmac_f64_e32 v[238:239], v[230:231], v[124:125]
	v_add_f64 v[248:249], v[236:237], v[238:239]
	s_waitcnt vmcnt(8) lgkmcnt(1)
	v_mul_f64 v[250:251], v[232:233], v[130:131]
	ds_read_b128 v[236:239], v2 offset:1264
	v_fmac_f64_e32 v[250:251], v[234:235], v[128:129]
	v_add_f64 v[248:249], v[248:249], v[250:251]
	v_fma_f64 v[250:251], v[196:197], v[144:145], -v[146:147]
	ds_read_b128 v[144:147], v2 offset:1280
	s_waitcnt vmcnt(7) lgkmcnt(1)
	v_mul_f64 v[196:197], v[236:237], v[134:135]
	v_fmac_f64_e32 v[196:197], v[238:239], v[132:133]
	v_add_f64 v[188:189], v[248:249], v[196:197]
	v_mul_f64 v[158:159], v[182:183], v[158:159]
	s_waitcnt vmcnt(6) lgkmcnt(0)
	v_mul_f64 v[190:191], v[144:145], v[138:139]
	v_fmac_f64_e32 v[190:191], v[146:147], v[136:137]
	v_add_f64 v[196:197], v[188:189], v[190:191]
	ds_read_b128 v[188:191], v2 offset:1312
	v_fma_f64 v[248:249], v[180:181], v[156:157], -v[158:159]
	ds_read_b128 v[156:159], v2 offset:1328
	s_waitcnt vmcnt(5)
	v_mul_f64 v[198:199], v[152:153], v[142:143]
	v_fmac_f64_e32 v[198:199], v[154:155], v[140:141]
	s_waitcnt vmcnt(4) lgkmcnt(1)
	v_mul_f64 v[180:181], v[188:189], v[150:151]
	v_add_f64 v[196:197], v[196:197], v[198:199]
	v_fmac_f64_e32 v[180:181], v[190:191], v[148:149]
	v_mul_f64 v[162:163], v[194:195], v[162:163]
	v_add_f64 v[198:199], v[196:197], v[180:181]
	v_fma_f64 v[196:197], v[192:193], v[160:161], -v[162:163]
	ds_read_b128 v[160:163], v2 offset:1344
	s_waitcnt vmcnt(3) lgkmcnt(1)
	v_mul_f64 v[192:193], v[156:157], v[166:167]
	ds_read_b128 v[180:183], v2 offset:1360
	v_fmac_f64_e32 v[192:193], v[158:159], v[164:165]
	v_mul_f64 v[170:171], v[186:187], v[170:171]
	v_add_f64 v[192:193], v[198:199], v[192:193]
	v_fma_f64 v[198:199], v[184:185], v[168:169], -v[170:171]
	ds_read_b128 v[168:171], v2 offset:1376
	s_waitcnt vmcnt(2) lgkmcnt(2)
	v_mul_f64 v[184:185], v[160:161], v[174:175]
	v_fmac_f64_e32 v[184:185], v[162:163], v[172:173]
	s_waitcnt vmcnt(1) lgkmcnt(1)
	v_mul_f64 v[186:187], v[180:181], v[178:179]
	v_add_f64 v[184:185], v[192:193], v[184:185]
	v_fmac_f64_e32 v[186:187], v[182:183], v[176:177]
	v_add_f64 v[184:185], v[184:185], v[186:187]
	s_waitcnt vmcnt(0) lgkmcnt(0)
	v_mul_f64 v[186:187], v[168:169], v[202:203]
	v_fmac_f64_e32 v[186:187], v[170:171], v[200:201]
	v_add_f64 v[254:255], v[184:185], v[186:187]
	scratch_load_dwordx4 v[184:187], off, off offset:704
	v_add_f64 v[250:251], v[250:251], 0
	v_add_f64 v[250:251], v[250:251], v[252:253]
	;; [unrolled: 1-line block ×3, first 2 shown]
	scratch_load_dwordx4 v[250:253], off, off offset:160
	v_add_f64 v[196:197], v[248:249], v[196:197]
	v_mul_f64 v[6:7], v[66:67], v[6:7]
	v_add_f64 v[196:197], v[196:197], v[198:199]
	v_fma_f64 v[4:5], v[64:65], v[4:5], -v[6:7]
	v_mul_f64 v[6:7], v[78:79], v[10:11]
	v_add_f64 v[4:5], v[196:197], v[4:5]
	v_fma_f64 v[6:7], v[76:77], v[8:9], -v[6:7]
	v_add_f64 v[4:5], v[4:5], v[6:7]
	v_mul_f64 v[6:7], v[74:75], v[14:15]
	v_fma_f64 v[6:7], v[72:73], v[12:13], -v[6:7]
	v_add_f64 v[4:5], v[4:5], v[6:7]
	v_mul_f64 v[6:7], v[70:71], v[18:19]
	;; [unrolled: 3-line block ×24, first 2 shown]
	ds_read_b128 v[192:195], v2 offset:1392
	v_fma_f64 v[6:7], v[160:161], v[172:173], -v[6:7]
	v_add_f64 v[4:5], v[4:5], v[6:7]
	v_mul_f64 v[6:7], v[182:183], v[178:179]
	v_fma_f64 v[6:7], v[180:181], v[176:177], -v[6:7]
	v_add_f64 v[4:5], v[4:5], v[6:7]
	v_mul_f64 v[6:7], v[170:171], v[202:203]
	v_fma_f64 v[6:7], v[168:169], v[200:201], -v[6:7]
	s_waitcnt vmcnt(1) lgkmcnt(0)
	v_mul_f64 v[2:3], v[192:193], v[186:187]
	v_add_f64 v[4:5], v[4:5], v[6:7]
	v_mul_f64 v[6:7], v[194:195], v[186:187]
	v_fmac_f64_e32 v[2:3], v[194:195], v[184:185]
	v_fma_f64 v[6:7], v[192:193], v[184:185], -v[6:7]
	v_add_f64 v[2:3], v[254:255], v[2:3]
	v_add_f64 v[4:5], v[4:5], v[6:7]
	s_waitcnt vmcnt(0)
	v_add_f64 v[4:5], v[250:251], -v[4:5]
	v_add_f64 v[6:7], v[252:253], -v[2:3]
	scratch_store_dwordx4 off, v[4:7], off offset:160
	s_and_saveexec_b64 s[0:1], vcc
	s_cbranch_execz .LBB43_261
; %bb.260:
	scratch_load_dwordx4 v[2:5], off, s25
	v_mov_b32_e32 v6, 0
	v_mov_b32_e32 v7, v6
	;; [unrolled: 1-line block ×4, first 2 shown]
	v_accvgpr_read_b32 v0, a89
	scratch_store_dwordx4 off, v[6:9], off offset:144
	s_waitcnt vmcnt(1)
	ds_write_b128 v0, v[2:5]
.LBB43_261:
	s_or_b64 exec, exec, s[0:1]
	s_waitcnt lgkmcnt(0)
	; wave barrier
	scratch_load_dwordx4 v[184:187], off, off offset:160
	scratch_load_dwordx4 v[188:191], off, off offset:176
	;; [unrolled: 1-line block ×32, first 2 shown]
	v_mov_b32_e32 v2, 0
	ds_read_b128 v[192:195], v2 offset:848
	ds_read_b128 v[204:207], v2 offset:864
	;; [unrolled: 1-line block ×16, first 2 shown]
	v_cmp_lt_u32_e32 vcc, 7, v246
	s_waitcnt vmcnt(31) lgkmcnt(14)
	v_mul_f64 v[104:105], v[192:193], v[186:187]
	s_waitcnt vmcnt(30)
	v_mul_f64 v[106:107], v[204:205], v[190:191]
	v_fmac_f64_e32 v[104:105], v[194:195], v[184:185]
	s_waitcnt vmcnt(29) lgkmcnt(13)
	v_mul_f64 v[112:113], v[216:217], v[198:199]
	v_fmac_f64_e32 v[106:107], v[206:207], v[188:189]
	v_add_f64 v[104:105], v[104:105], 0
	s_waitcnt vmcnt(28) lgkmcnt(12)
	v_mul_f64 v[114:115], v[224:225], v[202:203]
	v_fmac_f64_e32 v[112:113], v[218:219], v[196:197]
	v_add_f64 v[104:105], v[104:105], v[106:107]
	;; [unrolled: 4-line block ×10, first 2 shown]
	ds_read_b128 v[152:155], v2 offset:1104
	ds_read_b128 v[156:159], v2 offset:1120
	s_waitcnt vmcnt(19) lgkmcnt(5)
	v_mul_f64 v[164:165], v[124:125], v[26:27]
	v_fmac_f64_e32 v[162:163], v[134:135], v[20:21]
	v_add_f64 v[104:105], v[104:105], v[160:161]
	s_waitcnt vmcnt(18) lgkmcnt(4)
	v_mul_f64 v[166:167], v[120:121], v[30:31]
	v_fmac_f64_e32 v[164:165], v[126:127], v[24:25]
	v_add_f64 v[104:105], v[104:105], v[162:163]
	;; [unrolled: 4-line block ×4, first 2 shown]
	v_add_f64 v[112:113], v[104:105], v[168:169]
	v_fmac_f64_e32 v[170:171], v[110:111], v[36:37]
	scratch_load_dwordx4 v[104:107], off, off offset:672
	s_waitcnt vmcnt(16) lgkmcnt(1)
	v_mul_f64 v[114:115], v[152:153], v[42:43]
	v_add_f64 v[112:113], v[112:113], v[170:171]
	v_fmac_f64_e32 v[114:115], v[154:155], v[40:41]
	v_add_f64 v[128:129], v[112:113], v[114:115]
	scratch_load_dwordx4 v[112:115], off, off offset:688
	s_waitcnt vmcnt(16) lgkmcnt(0)
	v_mul_f64 v[130:131], v[156:157], v[46:47]
	v_fmac_f64_e32 v[130:131], v[158:159], v[44:45]
	v_add_f64 v[168:169], v[128:129], v[130:131]
	scratch_load_dwordx4 v[128:131], off, off offset:704
	ds_read_b128 v[160:163], v2 offset:1136
	ds_read_b128 v[164:167], v2 offset:1152
	v_mul_f64 v[186:187], v[194:195], v[186:187]
	v_fma_f64 v[240:241], v[192:193], v[184:185], -v[186:187]
	ds_read_b128 v[184:187], v2 offset:1232
	s_waitcnt vmcnt(16) lgkmcnt(2)
	v_mul_f64 v[170:171], v[160:161], v[50:51]
	v_fmac_f64_e32 v[170:171], v[162:163], v[48:49]
	s_waitcnt vmcnt(15) lgkmcnt(1)
	v_mul_f64 v[174:175], v[164:165], v[54:55]
	v_add_f64 v[172:173], v[168:169], v[170:171]
	ds_read_b128 v[168:171], v2 offset:1168
	v_fmac_f64_e32 v[174:175], v[166:167], v[52:53]
	v_add_f64 v[176:177], v[172:173], v[174:175]
	ds_read_b128 v[172:175], v2 offset:1184
	v_mul_f64 v[190:191], v[206:207], v[190:191]
	s_waitcnt vmcnt(14) lgkmcnt(1)
	v_mul_f64 v[178:179], v[168:169], v[58:59]
	v_fmac_f64_e32 v[178:179], v[170:171], v[56:57]
	v_add_f64 v[180:181], v[176:177], v[178:179]
	s_waitcnt vmcnt(13) lgkmcnt(0)
	v_mul_f64 v[182:183], v[172:173], v[62:63]
	ds_read_b128 v[176:179], v2 offset:1200
	v_fmac_f64_e32 v[182:183], v[174:175], v[60:61]
	v_add_f64 v[232:233], v[180:181], v[182:183]
	ds_read_b128 v[180:183], v2 offset:1216
	v_fma_f64 v[242:243], v[204:205], v[188:189], -v[190:191]
	s_waitcnt vmcnt(12) lgkmcnt(1)
	v_mul_f64 v[234:235], v[176:177], v[66:67]
	v_fmac_f64_e32 v[234:235], v[178:179], v[64:65]
	v_add_f64 v[232:233], v[232:233], v[234:235]
	s_waitcnt vmcnt(11) lgkmcnt(0)
	v_mul_f64 v[192:193], v[180:181], v[70:71]
	v_fmac_f64_e32 v[192:193], v[182:183], v[68:69]
	ds_read_b128 v[188:191], v2 offset:1248
	s_waitcnt vmcnt(10)
	v_mul_f64 v[194:195], v[184:185], v[74:75]
	v_add_f64 v[192:193], v[232:233], v[192:193]
	v_fmac_f64_e32 v[194:195], v[186:187], v[72:73]
	v_add_f64 v[204:205], v[192:193], v[194:195]
	ds_read_b128 v[192:195], v2 offset:1264
	v_mul_f64 v[198:199], v[218:219], v[198:199]
	v_fma_f64 v[244:245], v[216:217], v[196:197], -v[198:199]
	ds_read_b128 v[196:199], v2 offset:1280
	s_waitcnt vmcnt(9) lgkmcnt(2)
	v_mul_f64 v[206:207], v[188:189], v[78:79]
	v_fmac_f64_e32 v[206:207], v[190:191], v[76:77]
	v_add_f64 v[204:205], v[204:205], v[206:207]
	s_waitcnt vmcnt(8) lgkmcnt(1)
	v_mul_f64 v[206:207], v[192:193], v[82:83]
	v_fmac_f64_e32 v[206:207], v[194:195], v[80:81]
	v_mul_f64 v[202:203], v[226:227], v[202:203]
	v_add_f64 v[204:205], v[204:205], v[206:207]
	v_fma_f64 v[234:235], v[224:225], v[200:201], -v[202:203]
	ds_read_b128 v[200:203], v2 offset:1296
	s_waitcnt vmcnt(7) lgkmcnt(1)
	v_mul_f64 v[206:207], v[196:197], v[86:87]
	v_fmac_f64_e32 v[206:207], v[198:199], v[84:85]
	v_add_f64 v[216:217], v[204:205], v[206:207]
	ds_read_b128 v[204:207], v2 offset:1312
	v_mul_f64 v[210:211], v[230:231], v[210:211]
	v_fma_f64 v[236:237], v[228:229], v[208:209], -v[210:211]
	ds_read_b128 v[208:211], v2 offset:1328
	s_waitcnt vmcnt(6) lgkmcnt(2)
	v_mul_f64 v[218:219], v[200:201], v[90:91]
	v_fmac_f64_e32 v[218:219], v[202:203], v[88:89]
	v_add_f64 v[216:217], v[216:217], v[218:219]
	s_waitcnt vmcnt(5) lgkmcnt(1)
	v_mul_f64 v[218:219], v[204:205], v[94:95]
	v_fmac_f64_e32 v[218:219], v[206:207], v[92:93]
	v_mul_f64 v[214:215], v[250:251], v[214:215]
	v_fma_f64 v[238:239], v[248:249], v[212:213], -v[214:215]
	ds_read_b128 v[212:215], v2 offset:1344
	v_add_f64 v[216:217], v[216:217], v[218:219]
	s_waitcnt vmcnt(4) lgkmcnt(1)
	v_mul_f64 v[218:219], v[208:209], v[102:103]
	v_fmac_f64_e32 v[218:219], v[210:211], v[100:101]
	v_add_f64 v[224:225], v[216:217], v[218:219]
	ds_read_b128 v[216:219], v2 offset:1360
	v_mul_f64 v[222:223], v[254:255], v[222:223]
	v_fma_f64 v[248:249], v[252:253], v[220:221], -v[222:223]
	ds_read_b128 v[220:223], v2 offset:1376
	s_waitcnt vmcnt(3) lgkmcnt(2)
	v_mul_f64 v[226:227], v[212:213], v[98:99]
	v_fmac_f64_e32 v[226:227], v[214:215], v[96:97]
	v_add_f64 v[224:225], v[224:225], v[226:227]
	s_waitcnt vmcnt(2) lgkmcnt(1)
	v_mul_f64 v[226:227], v[216:217], v[106:107]
	v_fmac_f64_e32 v[226:227], v[218:219], v[104:105]
	v_add_f64 v[224:225], v[224:225], v[226:227]
	;; [unrolled: 4-line block ×3, first 2 shown]
	ds_read_b128 v[224:227], v2 offset:1392
	v_mul_f64 v[6:7], v[150:151], v[6:7]
	v_fma_f64 v[4:5], v[148:149], v[4:5], -v[6:7]
	v_mul_f64 v[6:7], v[146:147], v[10:11]
	v_fma_f64 v[6:7], v[144:145], v[8:9], -v[6:7]
	s_waitcnt vmcnt(0) lgkmcnt(0)
	v_mul_f64 v[230:231], v[224:225], v[130:131]
	v_fmac_f64_e32 v[230:231], v[226:227], v[128:129]
	v_add_f64 v[232:233], v[228:229], v[230:231]
	v_add_f64 v[228:229], v[240:241], 0
	;; [unrolled: 1-line block ×4, first 2 shown]
	scratch_load_dwordx4 v[228:231], off, off offset:144
	v_add_f64 v[234:235], v[250:251], v[234:235]
	v_add_f64 v[234:235], v[234:235], v[236:237]
	;; [unrolled: 1-line block ×6, first 2 shown]
	v_mul_f64 v[6:7], v[142:143], v[14:15]
	v_fma_f64 v[6:7], v[140:141], v[12:13], -v[6:7]
	v_add_f64 v[4:5], v[4:5], v[6:7]
	v_mul_f64 v[6:7], v[138:139], v[18:19]
	v_fma_f64 v[6:7], v[136:137], v[16:17], -v[6:7]
	v_add_f64 v[4:5], v[4:5], v[6:7]
	;; [unrolled: 3-line block ×26, first 2 shown]
	s_waitcnt vmcnt(0)
	v_add_f64 v[4:5], v[228:229], -v[4:5]
	v_add_f64 v[6:7], v[230:231], -v[232:233]
	scratch_store_dwordx4 off, v[4:7], off offset:144
	s_and_saveexec_b64 s[0:1], vcc
	s_cbranch_execz .LBB43_263
; %bb.262:
	scratch_load_dwordx4 v[6:9], off, s59
	v_mov_b32_e32 v3, v2
	v_mov_b32_e32 v4, v2
	;; [unrolled: 1-line block ×3, first 2 shown]
	v_accvgpr_read_b32 v0, a89
	scratch_store_dwordx4 off, v[2:5], off offset:128
	s_waitcnt vmcnt(1)
	ds_write_b128 v0, v[6:9]
.LBB43_263:
	s_or_b64 exec, exec, s[0:1]
	s_waitcnt lgkmcnt(0)
	; wave barrier
	scratch_load_dwordx4 v[140:143], off, off offset:144
	scratch_load_dwordx4 v[144:147], off, off offset:160
	;; [unrolled: 1-line block ×16, first 2 shown]
	ds_read_b128 v[208:211], v2 offset:832
	ds_read_b128 v[200:203], v2 offset:848
	;; [unrolled: 1-line block ×3, first 2 shown]
	scratch_load_dwordx4 v[40:43], off, off offset:400
	ds_read_b128 v[204:207], v2 offset:880
	ds_read_b128 v[192:195], v2 offset:896
	;; [unrolled: 1-line block ×3, first 2 shown]
	scratch_load_dwordx4 v[44:47], off, off offset:416
	ds_read_b128 v[196:199], v2 offset:928
	ds_read_b128 v[64:67], v2 offset:944
	;; [unrolled: 1-line block ×4, first 2 shown]
	scratch_load_dwordx4 v[48:51], off, off offset:432
	ds_read_b128 v[72:75], v2 offset:992
	ds_read_b128 v[68:71], v2 offset:1008
	scratch_load_dwordx4 v[56:59], off, off offset:448
	ds_read_b128 v[92:95], v2 offset:1024
	ds_read_b128 v[88:91], v2 offset:1040
	;; [unrolled: 1-line block ×4, first 2 shown]
	scratch_load_dwordx4 v[76:79], off, off offset:464
	scratch_load_dwordx4 v[96:99], off, off offset:480
	;; [unrolled: 1-line block ×12, first 2 shown]
	ds_read_b128 v[168:171], v2 offset:1088
	v_accvgpr_write_b32 a88, v246
	v_cmp_lt_u32_e32 vcc, 6, v246
	s_waitcnt vmcnt(31) lgkmcnt(14)
	v_mul_f64 v[172:173], v[208:209], v[142:143]
	s_waitcnt vmcnt(30)
	v_mul_f64 v[174:175], v[200:201], v[146:147]
	v_fmac_f64_e32 v[172:173], v[210:211], v[140:141]
	s_waitcnt vmcnt(29)
	v_mul_f64 v[176:177], v[188:189], v[150:151]
	v_fmac_f64_e32 v[174:175], v[202:203], v[144:145]
	v_add_f64 v[172:173], v[172:173], 0
	s_waitcnt vmcnt(28) lgkmcnt(13)
	v_mul_f64 v[178:179], v[204:205], v[154:155]
	v_fmac_f64_e32 v[176:177], v[190:191], v[148:149]
	v_add_f64 v[172:173], v[172:173], v[174:175]
	s_waitcnt vmcnt(27) lgkmcnt(12)
	;; [unrolled: 4-line block ×10, first 2 shown]
	v_mul_f64 v[224:225], v[92:93], v[26:27]
	v_fmac_f64_e32 v[222:223], v[70:71], v[20:21]
	v_add_f64 v[172:173], v[172:173], v[220:221]
	ds_read_b128 v[212:215], v2 offset:1104
	s_waitcnt vmcnt(18) lgkmcnt(4)
	v_mul_f64 v[226:227], v[88:89], v[30:31]
	v_fmac_f64_e32 v[224:225], v[94:95], v[24:25]
	v_add_f64 v[172:173], v[172:173], v[222:223]
	ds_read_b128 v[216:219], v2 offset:1120
	ds_read_b128 v[220:223], v2 offset:1136
	s_waitcnt vmcnt(17) lgkmcnt(5)
	v_mul_f64 v[228:229], v[84:85], v[34:35]
	v_fmac_f64_e32 v[226:227], v[90:91], v[28:29]
	v_add_f64 v[172:173], v[172:173], v[224:225]
	s_waitcnt vmcnt(16) lgkmcnt(4)
	v_mul_f64 v[230:231], v[80:81], v[38:39]
	v_fmac_f64_e32 v[228:229], v[86:87], v[32:33]
	v_add_f64 v[172:173], v[172:173], v[226:227]
	v_add_f64 v[176:177], v[172:173], v[228:229]
	v_fmac_f64_e32 v[230:231], v[82:83], v[36:37]
	s_waitcnt vmcnt(15) lgkmcnt(3)
	v_mul_f64 v[178:179], v[168:169], v[42:43]
	v_add_f64 v[176:177], v[176:177], v[230:231]
	v_fmac_f64_e32 v[178:179], v[170:171], v[40:41]
	s_waitcnt vmcnt(14) lgkmcnt(2)
	v_mul_f64 v[182:183], v[212:213], v[46:47]
	;; [unrolled: 4-line block ×3, first 2 shown]
	v_add_f64 v[224:225], v[180:181], v[182:183]
	v_fmac_f64_e32 v[226:227], v[218:219], v[48:49]
	v_add_f64 v[228:229], v[224:225], v[226:227]
	ds_read_b128 v[224:227], v2 offset:1152
	s_waitcnt vmcnt(12) lgkmcnt(1)
	v_mul_f64 v[230:231], v[220:221], v[58:59]
	v_fmac_f64_e32 v[230:231], v[222:223], v[56:57]
	v_add_f64 v[232:233], v[228:229], v[230:231]
	ds_read_b128 v[228:231], v2 offset:1168
	s_waitcnt vmcnt(11) lgkmcnt(1)
	v_mul_f64 v[234:235], v[224:225], v[78:79]
	;; [unrolled: 5-line block ×4, first 2 shown]
	v_fmac_f64_e32 v[242:243], v[234:235], v[100:101]
	v_mul_f64 v[142:143], v[210:211], v[142:143]
	v_add_f64 v[240:241], v[240:241], v[242:243]
	v_fma_f64 v[242:243], v[208:209], v[140:141], -v[142:143]
	ds_read_b128 v[140:143], v2 offset:1216
	s_waitcnt vmcnt(8) lgkmcnt(1)
	v_mul_f64 v[208:209], v[236:237], v[106:107]
	v_fmac_f64_e32 v[208:209], v[238:239], v[104:105]
	v_mul_f64 v[146:147], v[202:203], v[146:147]
	v_add_f64 v[208:209], v[240:241], v[208:209]
	v_fma_f64 v[240:241], v[200:201], v[144:145], -v[146:147]
	ds_read_b128 v[144:147], v2 offset:1232
	s_waitcnt vmcnt(7) lgkmcnt(1)
	v_mul_f64 v[200:201], v[140:141], v[110:111]
	scratch_load_dwordx4 v[172:175], off, off offset:656
	scratch_load_dwordx4 v[176:179], off, off offset:672
	v_fmac_f64_e32 v[200:201], v[142:143], v[108:109]
	v_add_f64 v[208:209], v[208:209], v[200:201]
	ds_read_b128 v[200:203], v2 offset:1248
	v_mul_f64 v[150:151], v[190:191], v[150:151]
	v_fma_f64 v[244:245], v[188:189], v[148:149], -v[150:151]
	ds_read_b128 v[148:151], v2 offset:1264
	s_waitcnt vmcnt(8) lgkmcnt(2)
	v_mul_f64 v[210:211], v[144:145], v[114:115]
	v_fmac_f64_e32 v[210:211], v[146:147], v[112:113]
	s_waitcnt vmcnt(7) lgkmcnt(1)
	v_mul_f64 v[188:189], v[200:201], v[118:119]
	v_add_f64 v[208:209], v[208:209], v[210:211]
	v_fmac_f64_e32 v[188:189], v[202:203], v[116:117]
	v_mul_f64 v[154:155], v[206:207], v[154:155]
	s_waitcnt vmcnt(6) lgkmcnt(0)
	v_mul_f64 v[190:191], v[148:149], v[122:123]
	v_add_f64 v[188:189], v[208:209], v[188:189]
	v_fma_f64 v[248:249], v[204:205], v[152:153], -v[154:155]
	ds_read_b128 v[152:155], v2 offset:1280
	v_fmac_f64_e32 v[190:191], v[150:151], v[120:121]
	scratch_load_dwordx4 v[180:183], off, off offset:688
	v_add_f64 v[204:205], v[188:189], v[190:191]
	ds_read_b128 v[188:191], v2 offset:1296
	s_waitcnt vmcnt(6) lgkmcnt(1)
	v_mul_f64 v[206:207], v[152:153], v[126:127]
	v_mul_f64 v[158:159], v[194:195], v[158:159]
	v_fmac_f64_e32 v[206:207], v[154:155], v[124:125]
	v_fma_f64 v[250:251], v[192:193], v[156:157], -v[158:159]
	s_waitcnt vmcnt(5) lgkmcnt(0)
	v_mul_f64 v[192:193], v[188:189], v[130:131]
	v_add_f64 v[204:205], v[204:205], v[206:207]
	v_fmac_f64_e32 v[192:193], v[190:191], v[128:129]
	v_mul_f64 v[162:163], v[186:187], v[162:163]
	v_fma_f64 v[208:209], v[184:185], v[160:161], -v[162:163]
	v_add_f64 v[184:185], v[204:205], v[192:193]
	scratch_load_dwordx4 v[204:207], off, off offset:704
	ds_read_b128 v[156:159], v2 offset:1312
	ds_read_b128 v[160:163], v2 offset:1328
	v_mul_f64 v[166:167], v[198:199], v[166:167]
	v_fma_f64 v[210:211], v[196:197], v[164:165], -v[166:167]
	ds_read_b128 v[164:167], v2 offset:1360
	s_waitcnt vmcnt(5) lgkmcnt(2)
	v_mul_f64 v[186:187], v[156:157], v[138:139]
	v_fmac_f64_e32 v[186:187], v[158:159], v[136:137]
	v_add_f64 v[192:193], v[184:185], v[186:187]
	ds_read_b128 v[184:187], v2 offset:1344
	s_waitcnt vmcnt(4) lgkmcnt(2)
	v_mul_f64 v[194:195], v[160:161], v[134:135]
	v_fmac_f64_e32 v[194:195], v[162:163], v[132:133]
	v_add_f64 v[192:193], v[192:193], v[194:195]
	v_add_f64 v[242:243], v[242:243], 0
	;; [unrolled: 1-line block ×7, first 2 shown]
	v_mul_f64 v[6:7], v[66:67], v[6:7]
	v_add_f64 v[208:209], v[208:209], v[210:211]
	v_fma_f64 v[4:5], v[64:65], v[4:5], -v[6:7]
	v_mul_f64 v[6:7], v[62:63], v[10:11]
	v_add_f64 v[4:5], v[208:209], v[4:5]
	v_fma_f64 v[6:7], v[60:61], v[8:9], -v[6:7]
	v_add_f64 v[4:5], v[4:5], v[6:7]
	v_mul_f64 v[6:7], v[54:55], v[14:15]
	v_fma_f64 v[6:7], v[52:53], v[12:13], -v[6:7]
	v_add_f64 v[4:5], v[4:5], v[6:7]
	v_mul_f64 v[6:7], v[74:75], v[18:19]
	;; [unrolled: 3-line block ×8, first 2 shown]
	s_waitcnt vmcnt(3) lgkmcnt(0)
	v_mul_f64 v[194:195], v[184:185], v[174:175]
	v_fmac_f64_e32 v[194:195], v[186:187], v[172:173]
	v_add_f64 v[192:193], v[192:193], v[194:195]
	s_waitcnt vmcnt(2)
	v_mul_f64 v[194:195], v[164:165], v[178:179]
	v_fmac_f64_e32 v[194:195], v[166:167], v[176:177]
	v_add_f64 v[196:197], v[192:193], v[194:195]
	ds_read_b128 v[192:195], v2 offset:1376
	v_fma_f64 v[6:7], v[168:169], v[40:41], -v[6:7]
	v_add_f64 v[4:5], v[4:5], v[6:7]
	v_mul_f64 v[6:7], v[214:215], v[46:47]
	v_fma_f64 v[6:7], v[212:213], v[44:45], -v[6:7]
	v_add_f64 v[4:5], v[4:5], v[6:7]
	v_mul_f64 v[6:7], v[218:219], v[50:51]
	;; [unrolled: 3-line block ×4, first 2 shown]
	s_waitcnt vmcnt(1) lgkmcnt(0)
	v_mul_f64 v[198:199], v[192:193], v[182:183]
	v_fmac_f64_e32 v[198:199], v[194:195], v[180:181]
	v_add_f64 v[252:253], v[196:197], v[198:199]
	ds_read_b128 v[196:199], v2 offset:1392
	v_fma_f64 v[6:7], v[224:225], v[76:77], -v[6:7]
	v_add_f64 v[4:5], v[4:5], v[6:7]
	v_mul_f64 v[6:7], v[230:231], v[98:99]
	v_fma_f64 v[6:7], v[228:229], v[96:97], -v[6:7]
	v_add_f64 v[4:5], v[4:5], v[6:7]
	v_mul_f64 v[6:7], v[234:235], v[102:103]
	v_fma_f64 v[6:7], v[232:233], v[100:101], -v[6:7]
	v_add_f64 v[4:5], v[4:5], v[6:7]
	v_mul_f64 v[6:7], v[238:239], v[106:107]
	s_waitcnt vmcnt(0) lgkmcnt(0)
	v_mul_f64 v[2:3], v[196:197], v[206:207]
	v_fmac_f64_e32 v[2:3], v[198:199], v[204:205]
	v_add_f64 v[2:3], v[252:253], v[2:3]
	scratch_load_dwordx4 v[250:253], off, off offset:128
	v_fma_f64 v[6:7], v[236:237], v[104:105], -v[6:7]
	v_add_f64 v[4:5], v[4:5], v[6:7]
	v_mul_f64 v[6:7], v[142:143], v[110:111]
	v_fma_f64 v[6:7], v[140:141], v[108:109], -v[6:7]
	v_add_f64 v[4:5], v[4:5], v[6:7]
	v_mul_f64 v[6:7], v[146:147], v[114:115]
	;; [unrolled: 3-line block ×12, first 2 shown]
	v_fma_f64 v[6:7], v[196:197], v[204:205], -v[6:7]
	v_add_f64 v[4:5], v[4:5], v[6:7]
	s_waitcnt vmcnt(0)
	v_add_f64 v[4:5], v[250:251], -v[4:5]
	v_add_f64 v[6:7], v[252:253], -v[2:3]
	scratch_store_dwordx4 off, v[4:7], off offset:128
	s_and_saveexec_b64 s[0:1], vcc
	s_cbranch_execz .LBB43_265
; %bb.264:
	scratch_load_dwordx4 v[2:5], off, s26
	v_mov_b32_e32 v6, 0
	v_mov_b32_e32 v7, v6
	;; [unrolled: 1-line block ×4, first 2 shown]
	v_accvgpr_read_b32 v0, a89
	scratch_store_dwordx4 off, v[6:9], off offset:112
	s_waitcnt vmcnt(1)
	ds_write_b128 v0, v[2:5]
.LBB43_265:
	s_or_b64 exec, exec, s[0:1]
	s_waitcnt lgkmcnt(0)
	; wave barrier
	scratch_load_dwordx4 v[168:171], off, off offset:128
	scratch_load_dwordx4 v[172:175], off, off offset:144
	;; [unrolled: 1-line block ×32, first 2 shown]
	v_mov_b32_e32 v2, 0
	ds_read_b128 v[176:179], v2 offset:816
	ds_read_b128 v[188:191], v2 offset:832
	;; [unrolled: 1-line block ×17, first 2 shown]
	v_accvgpr_read_b32 v0, a88
	v_cmp_lt_u32_e32 vcc, 5, v0
	s_waitcnt vmcnt(31) lgkmcnt(14)
	v_mul_f64 v[104:105], v[176:177], v[170:171]
	s_waitcnt vmcnt(30)
	v_mul_f64 v[106:107], v[188:189], v[174:175]
	v_fmac_f64_e32 v[104:105], v[178:179], v[168:169]
	s_waitcnt vmcnt(29)
	v_mul_f64 v[108:109], v[200:201], v[182:183]
	v_fmac_f64_e32 v[106:107], v[190:191], v[172:173]
	v_add_f64 v[104:105], v[104:105], 0
	s_waitcnt vmcnt(28) lgkmcnt(13)
	v_mul_f64 v[110:111], v[212:213], v[186:187]
	v_fmac_f64_e32 v[108:109], v[202:203], v[180:181]
	v_add_f64 v[104:105], v[104:105], v[106:107]
	s_waitcnt vmcnt(27) lgkmcnt(12)
	;; [unrolled: 4-line block ×12, first 2 shown]
	v_mul_f64 v[156:157], v[112:113], v[26:27]
	v_fmac_f64_e32 v[154:155], v[118:119], v[20:21]
	v_add_f64 v[104:105], v[104:105], v[152:153]
	v_fmac_f64_e32 v[156:157], v[114:115], v[24:25]
	v_add_f64 v[104:105], v[104:105], v[154:155]
	s_waitcnt vmcnt(16) lgkmcnt(1)
	v_mul_f64 v[106:107], v[100:101], v[30:31]
	v_add_f64 v[104:105], v[104:105], v[156:157]
	v_fmac_f64_e32 v[106:107], v[102:103], v[28:29]
	v_add_f64 v[108:109], v[104:105], v[106:107]
	ds_read_b128 v[144:147], v2 offset:1088
	ds_read_b128 v[148:151], v2 offset:1104
	scratch_load_dwordx4 v[104:107], off, off offset:640
	s_waitcnt vmcnt(16) lgkmcnt(2)
	v_mul_f64 v[110:111], v[96:97], v[34:35]
	v_fmac_f64_e32 v[110:111], v[98:99], v[32:33]
	v_add_f64 v[120:121], v[108:109], v[110:111]
	scratch_load_dwordx4 v[108:111], off, off offset:656
	s_waitcnt vmcnt(16) lgkmcnt(1)
	v_mul_f64 v[122:123], v[144:145], v[38:39]
	v_fmac_f64_e32 v[122:123], v[146:147], v[36:37]
	v_add_f64 v[132:133], v[120:121], v[122:123]
	s_waitcnt vmcnt(15) lgkmcnt(0)
	v_mul_f64 v[134:135], v[148:149], v[42:43]
	scratch_load_dwordx4 v[120:123], off, off offset:672
	v_fmac_f64_e32 v[134:135], v[150:151], v[40:41]
	v_add_f64 v[160:161], v[132:133], v[134:135]
	scratch_load_dwordx4 v[132:135], off, off offset:688
	ds_read_b128 v[152:155], v2 offset:1120
	ds_read_b128 v[156:159], v2 offset:1136
	v_mul_f64 v[170:171], v[178:179], v[170:171]
	v_fma_f64 v[240:241], v[176:177], v[168:169], -v[170:171]
	ds_read_b128 v[168:171], v2 offset:1184
	s_waitcnt vmcnt(16) lgkmcnt(2)
	v_mul_f64 v[162:163], v[152:153], v[46:47]
	v_fmac_f64_e32 v[162:163], v[154:155], v[44:45]
	s_waitcnt vmcnt(15) lgkmcnt(1)
	v_mul_f64 v[166:167], v[156:157], v[50:51]
	v_add_f64 v[164:165], v[160:161], v[162:163]
	ds_read_b128 v[160:163], v2 offset:1152
	v_fmac_f64_e32 v[166:167], v[158:159], v[48:49]
	v_add_f64 v[232:233], v[164:165], v[166:167]
	ds_read_b128 v[164:167], v2 offset:1168
	v_mul_f64 v[174:175], v[190:191], v[174:175]
	s_waitcnt vmcnt(14) lgkmcnt(1)
	v_mul_f64 v[234:235], v[160:161], v[54:55]
	v_fmac_f64_e32 v[234:235], v[162:163], v[52:53]
	v_add_f64 v[232:233], v[232:233], v[234:235]
	s_waitcnt vmcnt(13) lgkmcnt(0)
	v_mul_f64 v[176:177], v[164:165], v[58:59]
	v_fmac_f64_e32 v[176:177], v[166:167], v[56:57]
	v_fma_f64 v[242:243], v[188:189], v[172:173], -v[174:175]
	ds_read_b128 v[172:175], v2 offset:1200
	s_waitcnt vmcnt(12)
	v_mul_f64 v[178:179], v[168:169], v[62:63]
	v_add_f64 v[176:177], v[232:233], v[176:177]
	v_fmac_f64_e32 v[178:179], v[170:171], v[60:61]
	v_add_f64 v[188:189], v[176:177], v[178:179]
	ds_read_b128 v[176:179], v2 offset:1216
	v_mul_f64 v[182:183], v[202:203], v[182:183]
	v_fma_f64 v[244:245], v[200:201], v[180:181], -v[182:183]
	ds_read_b128 v[180:183], v2 offset:1232
	s_waitcnt vmcnt(11) lgkmcnt(2)
	v_mul_f64 v[190:191], v[172:173], v[66:67]
	v_fmac_f64_e32 v[190:191], v[174:175], v[64:65]
	v_add_f64 v[188:189], v[188:189], v[190:191]
	s_waitcnt vmcnt(10) lgkmcnt(1)
	v_mul_f64 v[190:191], v[176:177], v[70:71]
	v_fmac_f64_e32 v[190:191], v[178:179], v[68:69]
	v_mul_f64 v[186:187], v[214:215], v[186:187]
	v_fma_f64 v[246:247], v[212:213], v[184:185], -v[186:187]
	ds_read_b128 v[184:187], v2 offset:1248
	v_add_f64 v[188:189], v[188:189], v[190:191]
	s_waitcnt vmcnt(9) lgkmcnt(1)
	v_mul_f64 v[190:191], v[180:181], v[74:75]
	v_fmac_f64_e32 v[190:191], v[182:183], v[72:73]
	v_add_f64 v[200:201], v[188:189], v[190:191]
	ds_read_b128 v[188:191], v2 offset:1264
	v_mul_f64 v[194:195], v[222:223], v[194:195]
	v_fma_f64 v[232:233], v[220:221], v[192:193], -v[194:195]
	ds_read_b128 v[192:195], v2 offset:1280
	s_waitcnt vmcnt(8) lgkmcnt(2)
	v_mul_f64 v[202:203], v[184:185], v[78:79]
	v_fmac_f64_e32 v[202:203], v[186:187], v[76:77]
	v_add_f64 v[200:201], v[200:201], v[202:203]
	s_waitcnt vmcnt(7) lgkmcnt(1)
	v_mul_f64 v[202:203], v[188:189], v[82:83]
	v_fmac_f64_e32 v[202:203], v[190:191], v[80:81]
	v_mul_f64 v[198:199], v[226:227], v[198:199]
	v_add_f64 v[200:201], v[200:201], v[202:203]
	v_fma_f64 v[234:235], v[224:225], v[196:197], -v[198:199]
	ds_read_b128 v[196:199], v2 offset:1296
	s_waitcnt vmcnt(6) lgkmcnt(1)
	v_mul_f64 v[202:203], v[192:193], v[86:87]
	v_fmac_f64_e32 v[202:203], v[194:195], v[84:85]
	v_add_f64 v[212:213], v[200:201], v[202:203]
	ds_read_b128 v[200:203], v2 offset:1312
	v_mul_f64 v[206:207], v[230:231], v[206:207]
	v_fma_f64 v[236:237], v[228:229], v[204:205], -v[206:207]
	ds_read_b128 v[204:207], v2 offset:1328
	s_waitcnt vmcnt(5) lgkmcnt(2)
	v_mul_f64 v[214:215], v[196:197], v[94:95]
	v_fmac_f64_e32 v[214:215], v[198:199], v[92:93]
	v_add_f64 v[212:213], v[212:213], v[214:215]
	s_waitcnt vmcnt(4) lgkmcnt(1)
	v_mul_f64 v[214:215], v[200:201], v[90:91]
	v_fmac_f64_e32 v[214:215], v[202:203], v[88:89]
	v_mul_f64 v[210:211], v[250:251], v[210:211]
	v_fma_f64 v[238:239], v[248:249], v[208:209], -v[210:211]
	ds_read_b128 v[208:211], v2 offset:1344
	v_add_f64 v[212:213], v[212:213], v[214:215]
	s_waitcnt vmcnt(3) lgkmcnt(1)
	v_mul_f64 v[214:215], v[204:205], v[106:107]
	v_fmac_f64_e32 v[214:215], v[206:207], v[104:105]
	v_add_f64 v[220:221], v[212:213], v[214:215]
	ds_read_b128 v[212:215], v2 offset:1360
	v_mul_f64 v[218:219], v[254:255], v[218:219]
	v_fma_f64 v[248:249], v[252:253], v[216:217], -v[218:219]
	ds_read_b128 v[216:219], v2 offset:1376
	ds_read_b128 v[224:227], v2 offset:1392
	s_waitcnt vmcnt(2) lgkmcnt(3)
	v_mul_f64 v[222:223], v[208:209], v[110:111]
	v_fmac_f64_e32 v[222:223], v[210:211], v[108:109]
	v_add_f64 v[220:221], v[220:221], v[222:223]
	s_waitcnt vmcnt(1) lgkmcnt(2)
	v_mul_f64 v[222:223], v[212:213], v[122:123]
	v_fmac_f64_e32 v[222:223], v[214:215], v[120:121]
	v_add_f64 v[220:221], v[220:221], v[222:223]
	;; [unrolled: 4-line block ×3, first 2 shown]
	scratch_load_dwordx4 v[220:223], off, off offset:704
	v_mul_f64 v[6:7], v[142:143], v[6:7]
	v_fma_f64 v[4:5], v[140:141], v[4:5], -v[6:7]
	v_mul_f64 v[6:7], v[138:139], v[10:11]
	v_fma_f64 v[6:7], v[136:137], v[8:9], -v[6:7]
	s_waitcnt vmcnt(0) lgkmcnt(0)
	v_mul_f64 v[230:231], v[224:225], v[222:223]
	v_fmac_f64_e32 v[230:231], v[226:227], v[220:221]
	v_add_f64 v[252:253], v[228:229], v[230:231]
	v_add_f64 v[228:229], v[240:241], 0
	;; [unrolled: 1-line block ×6, first 2 shown]
	scratch_load_dwordx4 v[228:231], off, off offset:112
	v_add_f64 v[232:233], v[250:251], v[234:235]
	v_add_f64 v[232:233], v[232:233], v[236:237]
	v_add_f64 v[232:233], v[232:233], v[238:239]
	v_add_f64 v[232:233], v[232:233], v[248:249]
	v_add_f64 v[4:5], v[232:233], v[4:5]
	v_add_f64 v[4:5], v[4:5], v[6:7]
	v_mul_f64 v[6:7], v[130:131], v[14:15]
	v_fma_f64 v[6:7], v[128:129], v[12:13], -v[6:7]
	v_add_f64 v[4:5], v[4:5], v[6:7]
	v_mul_f64 v[6:7], v[126:127], v[18:19]
	v_fma_f64 v[6:7], v[124:125], v[16:17], -v[6:7]
	v_add_f64 v[4:5], v[4:5], v[6:7]
	;; [unrolled: 3-line block ×26, first 2 shown]
	s_waitcnt vmcnt(0)
	v_add_f64 v[4:5], v[228:229], -v[4:5]
	v_add_f64 v[6:7], v[230:231], -v[252:253]
	scratch_store_dwordx4 off, v[4:7], off offset:112
	s_and_saveexec_b64 s[0:1], vcc
	s_cbranch_execz .LBB43_267
; %bb.266:
	scratch_load_dwordx4 v[6:9], off, s24
	v_mov_b32_e32 v3, v2
	v_mov_b32_e32 v4, v2
	;; [unrolled: 1-line block ×3, first 2 shown]
	v_accvgpr_read_b32 v0, a89
	scratch_store_dwordx4 off, v[2:5], off offset:96
	s_waitcnt vmcnt(1)
	ds_write_b128 v0, v[6:9]
.LBB43_267:
	s_or_b64 exec, exec, s[0:1]
	s_waitcnt lgkmcnt(0)
	; wave barrier
	scratch_load_dwordx4 v[168:171], off, off offset:112
	scratch_load_dwordx4 v[172:175], off, off offset:128
	;; [unrolled: 1-line block ×16, first 2 shown]
	ds_read_b128 v[232:235], v2 offset:800
	ds_read_b128 v[176:179], v2 offset:816
	scratch_load_dwordx4 v[32:35], off, off offset:368
	ds_read_b128 v[236:239], v2 offset:832
	ds_read_b128 v[188:191], v2 offset:848
	;; [unrolled: 1-line block ×5, first 2 shown]
	scratch_load_dwordx4 v[36:39], off, off offset:384
	ds_read_b128 v[224:227], v2 offset:912
	ds_read_b128 v[220:223], v2 offset:928
	;; [unrolled: 1-line block ×3, first 2 shown]
	scratch_load_dwordx4 v[40:43], off, off offset:400
	ds_read_b128 v[64:67], v2 offset:960
	ds_read_b128 v[60:63], v2 offset:976
	;; [unrolled: 1-line block ×4, first 2 shown]
	scratch_load_dwordx4 v[48:51], off, off offset:416
	ds_read_b128 v[80:83], v2 offset:1024
	ds_read_b128 v[72:75], v2 offset:1040
	;; [unrolled: 1-line block ×3, first 2 shown]
	scratch_load_dwordx4 v[76:79], off, off offset:432
	scratch_load_dwordx4 v[84:87], off, off offset:448
	;; [unrolled: 1-line block ×12, first 2 shown]
	v_accvgpr_read_b32 v0, a88
	v_cmp_lt_u32_e32 vcc, 4, v0
	s_waitcnt vmcnt(31) lgkmcnt(14)
	v_mul_f64 v[128:129], v[232:233], v[170:171]
	s_waitcnt vmcnt(30)
	v_mul_f64 v[130:131], v[176:177], v[174:175]
	v_fmac_f64_e32 v[128:129], v[234:235], v[168:169]
	s_waitcnt vmcnt(29)
	v_mul_f64 v[132:133], v[236:237], v[182:183]
	v_fmac_f64_e32 v[130:131], v[178:179], v[172:173]
	v_add_f64 v[128:129], v[128:129], 0
	s_waitcnt vmcnt(28) lgkmcnt(13)
	v_mul_f64 v[134:135], v[188:189], v[186:187]
	v_fmac_f64_e32 v[132:133], v[238:239], v[180:181]
	v_add_f64 v[128:129], v[128:129], v[130:131]
	s_waitcnt vmcnt(27) lgkmcnt(12)
	;; [unrolled: 4-line block ×13, first 2 shown]
	v_mul_f64 v[158:159], v[72:73], v[30:31]
	v_fmac_f64_e32 v[156:157], v[82:83], v[24:25]
	v_add_f64 v[128:129], v[128:129], v[154:155]
	v_add_f64 v[128:129], v[128:129], v[156:157]
	v_fmac_f64_e32 v[158:159], v[74:75], v[28:29]
	v_add_f64 v[132:133], v[128:129], v[158:159]
	ds_read_b128 v[144:147], v2 offset:1072
	ds_read_b128 v[148:151], v2 offset:1088
	scratch_load_dwordx4 v[128:131], off, off offset:624
	s_waitcnt vmcnt(16) lgkmcnt(2)
	v_mul_f64 v[134:135], v[68:69], v[34:35]
	v_fmac_f64_e32 v[134:135], v[70:71], v[32:33]
	s_waitcnt vmcnt(15) lgkmcnt(1)
	v_mul_f64 v[138:139], v[144:145], v[38:39]
	v_add_f64 v[136:137], v[132:133], v[134:135]
	scratch_load_dwordx4 v[132:135], off, off offset:640
	v_fmac_f64_e32 v[138:139], v[146:147], v[36:37]
	v_add_f64 v[140:141], v[136:137], v[138:139]
	s_waitcnt vmcnt(15) lgkmcnt(0)
	v_mul_f64 v[142:143], v[148:149], v[42:43]
	scratch_load_dwordx4 v[136:139], off, off offset:656
	v_fmac_f64_e32 v[142:143], v[150:151], v[40:41]
	v_add_f64 v[160:161], v[140:141], v[142:143]
	scratch_load_dwordx4 v[140:143], off, off offset:672
	ds_read_b128 v[152:155], v2 offset:1104
	ds_read_b128 v[156:159], v2 offset:1120
	v_mul_f64 v[170:171], v[234:235], v[170:171]
	v_mul_f64 v[174:175], v[178:179], v[174:175]
	;; [unrolled: 1-line block ×3, first 2 shown]
	s_waitcnt vmcnt(16) lgkmcnt(1)
	v_mul_f64 v[162:163], v[152:153], v[50:51]
	v_fmac_f64_e32 v[162:163], v[154:155], v[48:49]
	v_add_f64 v[164:165], v[160:161], v[162:163]
	ds_read_b128 v[160:163], v2 offset:1136
	s_waitcnt vmcnt(15) lgkmcnt(1)
	v_mul_f64 v[166:167], v[156:157], v[78:79]
	v_fmac_f64_e32 v[166:167], v[158:159], v[76:77]
	v_add_f64 v[240:241], v[164:165], v[166:167]
	ds_read_b128 v[164:167], v2 offset:1152
	s_waitcnt vmcnt(14) lgkmcnt(1)
	v_mul_f64 v[242:243], v[160:161], v[86:87]
	v_fmac_f64_e32 v[242:243], v[162:163], v[84:85]
	v_add_f64 v[240:241], v[240:241], v[242:243]
	v_fma_f64 v[242:243], v[232:233], v[168:169], -v[170:171]
	ds_read_b128 v[168:171], v2 offset:1168
	s_waitcnt vmcnt(13) lgkmcnt(1)
	v_mul_f64 v[232:233], v[164:165], v[90:91]
	v_fmac_f64_e32 v[232:233], v[166:167], v[88:89]
	v_add_f64 v[232:233], v[240:241], v[232:233]
	v_fma_f64 v[240:241], v[176:177], v[172:173], -v[174:175]
	ds_read_b128 v[172:175], v2 offset:1184
	s_waitcnt vmcnt(12) lgkmcnt(1)
	v_mul_f64 v[176:177], v[168:169], v[94:95]
	v_fmac_f64_e32 v[176:177], v[170:171], v[92:93]
	v_add_f64 v[232:233], v[232:233], v[176:177]
	ds_read_b128 v[176:179], v2 offset:1200
	v_fma_f64 v[236:237], v[236:237], v[180:181], -v[182:183]
	ds_read_b128 v[180:183], v2 offset:1216
	s_waitcnt vmcnt(11) lgkmcnt(2)
	v_mul_f64 v[234:235], v[172:173], v[98:99]
	v_fmac_f64_e32 v[234:235], v[174:175], v[96:97]
	v_add_f64 v[232:233], v[232:233], v[234:235]
	s_waitcnt vmcnt(10) lgkmcnt(1)
	v_mul_f64 v[234:235], v[176:177], v[102:103]
	v_fmac_f64_e32 v[234:235], v[178:179], v[100:101]
	v_mul_f64 v[186:187], v[190:191], v[186:187]
	s_waitcnt vmcnt(9) lgkmcnt(0)
	v_mul_f64 v[190:191], v[180:181], v[106:107]
	v_fma_f64 v[238:239], v[188:189], v[184:185], -v[186:187]
	ds_read_b128 v[184:187], v2 offset:1232
	v_add_f64 v[188:189], v[232:233], v[234:235]
	v_fmac_f64_e32 v[190:191], v[182:183], v[104:105]
	v_add_f64 v[232:233], v[188:189], v[190:191]
	ds_read_b128 v[188:191], v2 offset:1248
	v_mul_f64 v[194:195], v[230:231], v[194:195]
	v_fma_f64 v[244:245], v[228:229], v[192:193], -v[194:195]
	ds_read_b128 v[192:195], v2 offset:1264
	s_waitcnt vmcnt(8) lgkmcnt(2)
	v_mul_f64 v[234:235], v[184:185], v[110:111]
	v_fmac_f64_e32 v[234:235], v[186:187], v[108:109]
	s_waitcnt vmcnt(7) lgkmcnt(1)
	v_mul_f64 v[228:229], v[188:189], v[114:115]
	v_mul_f64 v[198:199], v[202:203], v[198:199]
	v_add_f64 v[232:233], v[232:233], v[234:235]
	v_fmac_f64_e32 v[228:229], v[190:191], v[112:113]
	v_fma_f64 v[246:247], v[200:201], v[196:197], -v[198:199]
	ds_read_b128 v[196:199], v2 offset:1280
	s_waitcnt vmcnt(6) lgkmcnt(1)
	v_mul_f64 v[200:201], v[192:193], v[118:119]
	v_add_f64 v[228:229], v[232:233], v[228:229]
	v_fmac_f64_e32 v[200:201], v[194:195], v[116:117]
	v_add_f64 v[228:229], v[228:229], v[200:201]
	ds_read_b128 v[200:203], v2 offset:1296
	v_mul_f64 v[206:207], v[214:215], v[206:207]
	v_add_f64 v[242:243], v[242:243], 0
	v_fma_f64 v[252:253], v[212:213], v[204:205], -v[206:207]
	ds_read_b128 v[204:207], v2 offset:1312
	v_add_f64 v[240:241], v[242:243], v[240:241]
	v_add_f64 v[236:237], v[240:241], v[236:237]
	;; [unrolled: 1-line block ×3, first 2 shown]
	s_waitcnt vmcnt(5) lgkmcnt(2)
	v_mul_f64 v[230:231], v[196:197], v[126:127]
	v_add_f64 v[236:237], v[236:237], v[244:245]
	v_fmac_f64_e32 v[230:231], v[198:199], v[124:125]
	s_waitcnt vmcnt(4) lgkmcnt(1)
	v_mul_f64 v[212:213], v[200:201], v[122:123]
	v_add_f64 v[236:237], v[236:237], v[246:247]
	v_add_f64 v[228:229], v[228:229], v[230:231]
	v_fmac_f64_e32 v[212:213], v[202:203], v[120:121]
	v_mul_f64 v[210:211], v[226:227], v[210:211]
	v_add_f64 v[252:253], v[236:237], v[252:253]
	scratch_load_dwordx4 v[236:239], off, off offset:96
	s_waitcnt vmcnt(4) lgkmcnt(0)
	v_mul_f64 v[214:215], v[204:205], v[130:131]
	v_fma_f64 v[248:249], v[224:225], v[208:209], -v[210:211]
	ds_read_b128 v[208:211], v2 offset:1328
	v_add_f64 v[212:213], v[228:229], v[212:213]
	v_fmac_f64_e32 v[214:215], v[206:207], v[128:129]
	v_add_f64 v[224:225], v[212:213], v[214:215]
	ds_read_b128 v[212:215], v2 offset:1344
	v_mul_f64 v[218:219], v[222:223], v[218:219]
	v_fma_f64 v[250:251], v[220:221], v[216:217], -v[218:219]
	ds_read_b128 v[216:219], v2 offset:1360
	s_waitcnt vmcnt(3) lgkmcnt(2)
	v_mul_f64 v[220:221], v[208:209], v[134:135]
	v_fmac_f64_e32 v[220:221], v[210:211], v[132:133]
	s_waitcnt vmcnt(2) lgkmcnt(1)
	v_mul_f64 v[222:223], v[212:213], v[138:139]
	v_add_f64 v[220:221], v[224:225], v[220:221]
	v_fmac_f64_e32 v[222:223], v[214:215], v[136:137]
	v_add_f64 v[220:221], v[220:221], v[222:223]
	ds_read_b128 v[224:227], v2 offset:1376
	scratch_load_dwordx4 v[232:235], off, off offset:704
	s_waitcnt vmcnt(2) lgkmcnt(1)
	v_mul_f64 v[222:223], v[216:217], v[142:143]
	v_fmac_f64_e32 v[222:223], v[218:219], v[140:141]
	v_add_f64 v[228:229], v[220:221], v[222:223]
	scratch_load_dwordx4 v[220:223], off, off offset:688
	v_add_f64 v[240:241], v[252:253], v[248:249]
	v_mul_f64 v[6:7], v[46:47], v[6:7]
	v_add_f64 v[240:241], v[240:241], v[250:251]
	v_fma_f64 v[4:5], v[44:45], v[4:5], -v[6:7]
	v_mul_f64 v[6:7], v[66:67], v[10:11]
	v_add_f64 v[4:5], v[240:241], v[4:5]
	v_fma_f64 v[6:7], v[64:65], v[8:9], -v[6:7]
	v_add_f64 v[4:5], v[4:5], v[6:7]
	v_mul_f64 v[6:7], v[62:63], v[14:15]
	v_fma_f64 v[6:7], v[60:61], v[12:13], -v[6:7]
	v_add_f64 v[4:5], v[4:5], v[6:7]
	v_mul_f64 v[6:7], v[58:59], v[18:19]
	;; [unrolled: 3-line block ×24, first 2 shown]
	v_fma_f64 v[6:7], v[212:213], v[136:137], -v[6:7]
	s_waitcnt vmcnt(0) lgkmcnt(0)
	v_mul_f64 v[230:231], v[224:225], v[222:223]
	v_fmac_f64_e32 v[230:231], v[226:227], v[220:221]
	v_add_f64 v[254:255], v[228:229], v[230:231]
	ds_read_b128 v[228:231], v2 offset:1392
	v_add_f64 v[4:5], v[4:5], v[6:7]
	v_mul_f64 v[6:7], v[218:219], v[142:143]
	v_fma_f64 v[6:7], v[216:217], v[140:141], -v[6:7]
	v_add_f64 v[4:5], v[4:5], v[6:7]
	v_mul_f64 v[6:7], v[226:227], v[222:223]
	v_fma_f64 v[6:7], v[224:225], v[220:221], -v[6:7]
	s_waitcnt lgkmcnt(0)
	v_mul_f64 v[2:3], v[228:229], v[234:235]
	v_add_f64 v[4:5], v[4:5], v[6:7]
	v_mul_f64 v[6:7], v[230:231], v[234:235]
	v_fmac_f64_e32 v[2:3], v[230:231], v[232:233]
	v_fma_f64 v[6:7], v[228:229], v[232:233], -v[6:7]
	v_add_f64 v[2:3], v[254:255], v[2:3]
	v_add_f64 v[4:5], v[4:5], v[6:7]
	v_add_f64 v[4:5], v[236:237], -v[4:5]
	v_add_f64 v[6:7], v[238:239], -v[2:3]
	scratch_store_dwordx4 off, v[4:7], off offset:96
	s_and_saveexec_b64 s[0:1], vcc
	s_cbranch_execz .LBB43_269
; %bb.268:
	scratch_load_dwordx4 v[2:5], off, s22
	v_mov_b32_e32 v6, 0
	v_mov_b32_e32 v7, v6
	;; [unrolled: 1-line block ×4, first 2 shown]
	v_accvgpr_read_b32 v0, a89
	scratch_store_dwordx4 off, v[6:9], off offset:80
	s_waitcnt vmcnt(1)
	ds_write_b128 v0, v[2:5]
.LBB43_269:
	s_or_b64 exec, exec, s[0:1]
	s_waitcnt lgkmcnt(0)
	; wave barrier
	scratch_load_dwordx4 v[80:83], off, off offset:96
	scratch_load_dwordx4 v[84:87], off, off offset:112
	;; [unrolled: 1-line block ×31, first 2 shown]
	v_mov_b32_e32 v2, 0
	ds_read_b128 v[196:199], v2 offset:784
	ds_read_b128 v[200:203], v2 offset:800
	;; [unrolled: 1-line block ×20, first 2 shown]
	s_waitcnt vmcnt(30) lgkmcnt(14)
	v_mul_f64 v[140:141], v[196:197], v[82:83]
	s_waitcnt vmcnt(29)
	v_mul_f64 v[142:143], v[200:201], v[86:87]
	v_fmac_f64_e32 v[140:141], v[198:199], v[80:81]
	s_waitcnt vmcnt(28)
	v_mul_f64 v[152:153], v[204:205], v[90:91]
	v_fmac_f64_e32 v[142:143], v[202:203], v[84:85]
	v_add_f64 v[140:141], v[140:141], 0
	s_waitcnt vmcnt(27)
	v_mul_f64 v[154:155], v[208:209], v[94:95]
	v_fmac_f64_e32 v[152:153], v[206:207], v[88:89]
	v_add_f64 v[140:141], v[140:141], v[142:143]
	;; [unrolled: 4-line block ×4, first 2 shown]
	s_waitcnt vmcnt(24) lgkmcnt(13)
	v_mul_f64 v[164:165], v[220:221], v[106:107]
	v_fmac_f64_e32 v[162:163], v[218:219], v[100:101]
	v_add_f64 v[140:141], v[140:141], v[160:161]
	s_waitcnt vmcnt(23) lgkmcnt(12)
	v_mul_f64 v[166:167], v[224:225], v[110:111]
	v_fmac_f64_e32 v[164:165], v[222:223], v[104:105]
	v_add_f64 v[140:141], v[140:141], v[162:163]
	;; [unrolled: 4-line block ×8, first 2 shown]
	v_fmac_f64_e32 v[178:179], v[146:147], v[12:13]
	v_add_f64 v[140:141], v[140:141], v[176:177]
	v_add_f64 v[140:141], v[140:141], v[178:179]
	ds_read_b128 v[176:179], v2 offset:1056
	s_waitcnt vmcnt(16) lgkmcnt(6)
	v_mul_f64 v[180:181], v[136:137], v[18:19]
	s_waitcnt vmcnt(15) lgkmcnt(5)
	v_mul_f64 v[182:183], v[132:133], v[22:23]
	v_fmac_f64_e32 v[180:181], v[138:139], v[16:17]
	v_add_f64 v[152:153], v[140:141], v[180:181]
	v_fmac_f64_e32 v[182:183], v[134:135], v[20:21]
	scratch_load_dwordx4 v[140:143], off, off offset:592
	s_waitcnt vmcnt(15) lgkmcnt(4)
	v_mul_f64 v[154:155], v[128:129], v[26:27]
	v_add_f64 v[152:153], v[152:153], v[182:183]
	v_fmac_f64_e32 v[154:155], v[130:131], v[24:25]
	v_add_f64 v[160:161], v[152:153], v[154:155]
	ds_read_b128 v[180:183], v2 offset:1072
	s_waitcnt vmcnt(14) lgkmcnt(1)
	v_mul_f64 v[162:163], v[176:177], v[30:31]
	scratch_load_dwordx4 v[152:155], off, off offset:608
	v_fmac_f64_e32 v[162:163], v[178:179], v[28:29]
	v_add_f64 v[164:165], v[160:161], v[162:163]
	scratch_load_dwordx4 v[160:163], off, off offset:624
	s_waitcnt vmcnt(15) lgkmcnt(0)
	v_mul_f64 v[166:167], v[180:181], v[34:35]
	v_fmac_f64_e32 v[166:167], v[182:183], v[32:33]
	v_add_f64 v[168:169], v[164:165], v[166:167]
	s_waitcnt vmcnt(14)
	v_mul_f64 v[170:171], v[184:185], v[38:39]
	scratch_load_dwordx4 v[164:167], off, off offset:640
	v_fmac_f64_e32 v[170:171], v[186:187], v[36:37]
	v_add_f64 v[168:169], v[168:169], v[170:171]
	s_waitcnt vmcnt(14)
	v_mul_f64 v[170:171], v[188:189], v[42:43]
	scratch_load_dwordx4 v[172:175], off, off offset:656
	v_fmac_f64_e32 v[170:171], v[190:191], v[40:41]
	v_add_f64 v[232:233], v[168:169], v[170:171]
	scratch_load_dwordx4 v[168:171], off, off offset:672
	v_mul_f64 v[82:83], v[198:199], v[82:83]
	v_fma_f64 v[240:241], v[196:197], v[80:81], -v[82:83]
	ds_read_b128 v[196:199], v2 offset:1136
	s_waitcnt vmcnt(15)
	v_mul_f64 v[80:81], v[192:193], v[46:47]
	v_fmac_f64_e32 v[80:81], v[194:195], v[44:45]
	v_add_f64 v[232:233], v[232:233], v[80:81]
	v_mul_f64 v[80:81], v[202:203], v[86:87]
	v_fma_f64 v[242:243], v[200:201], v[84:85], -v[80:81]
	scratch_load_dwordx4 v[80:83], off, off offset:688
	ds_read_b128 v[84:87], v2 offset:1152
	v_mul_f64 v[90:91], v[206:207], v[90:91]
	v_fma_f64 v[244:245], v[204:205], v[88:89], -v[90:91]
	ds_read_b128 v[88:91], v2 offset:1168
	s_waitcnt vmcnt(15) lgkmcnt(2)
	v_mul_f64 v[200:201], v[196:197], v[50:51]
	v_fmac_f64_e32 v[200:201], v[198:199], v[48:49]
	s_waitcnt vmcnt(14) lgkmcnt(1)
	v_mul_f64 v[202:203], v[84:85], v[54:55]
	v_add_f64 v[200:201], v[232:233], v[200:201]
	v_fmac_f64_e32 v[202:203], v[86:87], v[52:53]
	v_mul_f64 v[94:95], v[210:211], v[94:95]
	v_fma_f64 v[246:247], v[208:209], v[92:93], -v[94:95]
	ds_read_b128 v[92:95], v2 offset:1184
	v_add_f64 v[200:201], v[200:201], v[202:203]
	s_waitcnt vmcnt(13) lgkmcnt(1)
	v_mul_f64 v[202:203], v[88:89], v[58:59]
	v_fmac_f64_e32 v[202:203], v[90:91], v[56:57]
	v_add_f64 v[204:205], v[200:201], v[202:203]
	ds_read_b128 v[200:203], v2 offset:1200
	v_mul_f64 v[98:99], v[214:215], v[98:99]
	v_fma_f64 v[232:233], v[212:213], v[96:97], -v[98:99]
	ds_read_b128 v[96:99], v2 offset:1216
	s_waitcnt vmcnt(12) lgkmcnt(2)
	v_mul_f64 v[206:207], v[92:93], v[62:63]
	v_fmac_f64_e32 v[206:207], v[94:95], v[60:61]
	v_add_f64 v[204:205], v[204:205], v[206:207]
	s_waitcnt vmcnt(11) lgkmcnt(1)
	v_mul_f64 v[206:207], v[200:201], v[66:67]
	v_fmac_f64_e32 v[206:207], v[202:203], v[64:65]
	v_mul_f64 v[102:103], v[218:219], v[102:103]
	v_add_f64 v[204:205], v[204:205], v[206:207]
	v_fma_f64 v[4:5], v[216:217], v[100:101], -v[102:103]
	ds_read_b128 v[100:103], v2 offset:1232
	s_waitcnt vmcnt(10) lgkmcnt(1)
	v_mul_f64 v[206:207], v[96:97], v[70:71]
	v_fmac_f64_e32 v[206:207], v[98:99], v[68:69]
	v_add_f64 v[208:209], v[204:205], v[206:207]
	ds_read_b128 v[204:207], v2 offset:1248
	v_mul_f64 v[106:107], v[222:223], v[106:107]
	v_fma_f64 v[0:1], v[220:221], v[104:105], -v[106:107]
	ds_read_b128 v[104:107], v2 offset:1264
	s_waitcnt vmcnt(9) lgkmcnt(2)
	v_mul_f64 v[210:211], v[100:101], v[74:75]
	v_fmac_f64_e32 v[210:211], v[102:103], v[72:73]
	v_add_f64 v[208:209], v[208:209], v[210:211]
	s_waitcnt vmcnt(8) lgkmcnt(1)
	v_mul_f64 v[210:211], v[204:205], v[78:79]
	v_fmac_f64_e32 v[210:211], v[206:207], v[76:77]
	v_mul_f64 v[6:7], v[226:227], v[110:111]
	v_fma_f64 v[6:7], v[224:225], v[108:109], -v[6:7]
	ds_read_b128 v[108:111], v2 offset:1280
	v_add_f64 v[208:209], v[208:209], v[210:211]
	s_waitcnt vmcnt(7) lgkmcnt(1)
	v_mul_f64 v[210:211], v[104:105], v[126:127]
	v_fmac_f64_e32 v[210:211], v[106:107], v[124:125]
	v_mul_f64 v[114:115], v[230:231], v[114:115]
	v_add_f64 v[212:213], v[208:209], v[210:211]
	ds_read_b128 v[208:211], v2 offset:1296
	v_fma_f64 v[112:113], v[228:229], v[112:113], -v[114:115]
	v_accvgpr_write_b32 a90, v112
	v_accvgpr_write_b32 a91, v113
	ds_read_b128 v[112:115], v2 offset:1312
	s_waitcnt vmcnt(6) lgkmcnt(2)
	v_mul_f64 v[214:215], v[108:109], v[142:143]
	v_fmac_f64_e32 v[214:215], v[110:111], v[140:141]
	v_add_f64 v[212:213], v[212:213], v[214:215]
	s_waitcnt vmcnt(5) lgkmcnt(1)
	v_mul_f64 v[214:215], v[208:209], v[154:155]
	v_fmac_f64_e32 v[214:215], v[210:211], v[152:153]
	v_mul_f64 v[118:119], v[250:251], v[118:119]
	v_add_f64 v[212:213], v[212:213], v[214:215]
	v_fma_f64 v[238:239], v[248:249], v[116:117], -v[118:119]
	ds_read_b128 v[116:119], v2 offset:1328
	s_waitcnt vmcnt(4) lgkmcnt(1)
	v_mul_f64 v[214:215], v[112:113], v[162:163]
	v_fmac_f64_e32 v[214:215], v[114:115], v[160:161]
	v_add_f64 v[216:217], v[212:213], v[214:215]
	ds_read_b128 v[212:215], v2 offset:1344
	v_mul_f64 v[122:123], v[254:255], v[122:123]
	v_fma_f64 v[248:249], v[252:253], v[120:121], -v[122:123]
	ds_read_b128 v[120:123], v2 offset:1360
	s_waitcnt vmcnt(3) lgkmcnt(2)
	v_mul_f64 v[218:219], v[116:117], v[166:167]
	v_fmac_f64_e32 v[218:219], v[118:119], v[164:165]
	v_add_f64 v[216:217], v[216:217], v[218:219]
	s_waitcnt vmcnt(2) lgkmcnt(1)
	v_mul_f64 v[218:219], v[212:213], v[174:175]
	v_fmac_f64_e32 v[218:219], v[214:215], v[172:173]
	v_add_f64 v[216:217], v[216:217], v[218:219]
	;; [unrolled: 4-line block ×3, first 2 shown]
	ds_read_b128 v[216:219], v2 offset:1376
	ds_read_b128 v[224:227], v2 offset:1392
	s_waitcnt vmcnt(0) lgkmcnt(1)
	v_mul_f64 v[222:223], v[216:217], v[82:83]
	v_fmac_f64_e32 v[222:223], v[218:219], v[80:81]
	v_add_f64 v[228:229], v[220:221], v[222:223]
	scratch_load_dwordx4 v[220:223], off, off offset:704
	s_waitcnt vmcnt(0) lgkmcnt(0)
	v_mul_f64 v[230:231], v[224:225], v[222:223]
	v_fmac_f64_e32 v[230:231], v[226:227], v[220:221]
	v_add_f64 v[252:253], v[228:229], v[230:231]
	v_add_f64 v[228:229], v[240:241], 0
	;; [unrolled: 1-line block ×7, first 2 shown]
	scratch_load_dwordx4 v[228:231], off, off offset:80
	v_add_f64 v[250:251], v[4:5], v[0:1]
	v_accvgpr_read_b32 v4, a90
	v_add_f64 v[0:1], v[250:251], v[6:7]
	v_accvgpr_read_b32 v5, a91
	v_add_f64 v[0:1], v[0:1], v[4:5]
	v_add_f64 v[0:1], v[0:1], v[238:239]
	v_mul_f64 v[4:5], v[158:159], v[236:237]
	v_add_f64 v[0:1], v[0:1], v[248:249]
	v_fma_f64 v[4:5], v[156:157], v[234:235], -v[4:5]
	v_add_f64 v[0:1], v[0:1], v[4:5]
	v_mul_f64 v[4:5], v[150:151], v[10:11]
	v_fma_f64 v[4:5], v[148:149], v[8:9], -v[4:5]
	v_add_f64 v[0:1], v[0:1], v[4:5]
	v_mul_f64 v[4:5], v[146:147], v[14:15]
	;; [unrolled: 3-line block ×27, first 2 shown]
	v_fma_f64 v[4:5], v[224:225], v[220:221], -v[4:5]
	v_add_f64 v[0:1], v[0:1], v[4:5]
	s_waitcnt vmcnt(0)
	v_add_f64 v[4:5], v[228:229], -v[0:1]
	v_accvgpr_read_b32 v0, a88
	v_add_f64 v[6:7], v[230:231], -v[252:253]
	v_cmp_lt_u32_e32 vcc, 3, v0
	scratch_store_dwordx4 off, v[4:7], off offset:80
	s_and_saveexec_b64 s[0:1], vcc
	s_cbranch_execz .LBB43_271
; %bb.270:
	scratch_load_dwordx4 v[6:9], off, s20
	v_mov_b32_e32 v3, v2
	v_mov_b32_e32 v4, v2
	;; [unrolled: 1-line block ×3, first 2 shown]
	v_accvgpr_read_b32 v0, a89
	scratch_store_dwordx4 off, v[2:5], off offset:64
	s_waitcnt vmcnt(1)
	ds_write_b128 v0, v[6:9]
.LBB43_271:
	s_or_b64 exec, exec, s[0:1]
	s_waitcnt lgkmcnt(0)
	; wave barrier
	scratch_load_dwordx4 v[132:135], off, off offset:80
	scratch_load_dwordx4 v[160:163], off, off offset:96
	;; [unrolled: 1-line block ×16, first 2 shown]
	ds_read_b128 v[156:159], v2 offset:768
	ds_read_b128 v[172:175], v2 offset:784
	scratch_load_dwordx4 v[24:27], off, off offset:336
	ds_read_b128 v[232:235], v2 offset:800
	ds_read_b128 v[228:231], v2 offset:816
	scratch_load_dwordx4 v[28:31], off, off offset:352
	ds_read_b128 v[236:239], v2 offset:832
	ds_read_b128 v[184:187], v2 offset:848
	;; [unrolled: 1-line block ×5, first 2 shown]
	scratch_load_dwordx4 v[32:35], off, off offset:368
	ds_read_b128 v[220:223], v2 offset:912
	ds_read_b128 v[216:219], v2 offset:928
	;; [unrolled: 1-line block ×3, first 2 shown]
	scratch_load_dwordx4 v[36:39], off, off offset:384
	ds_read_b128 v[64:67], v2 offset:960
	ds_read_b128 v[60:63], v2 offset:976
	;; [unrolled: 1-line block ×5, first 2 shown]
	scratch_load_dwordx4 v[52:55], off, off offset:400
	scratch_load_dwordx4 v[68:71], off, off offset:416
	;; [unrolled: 1-line block ×11, first 2 shown]
	ds_read_b128 v[144:147], v2 offset:1072
	ds_read_b128 v[148:151], v2 offset:1088
	;; [unrolled: 1-line block ×3, first 2 shown]
	s_waitcnt vmcnt(30) lgkmcnt(14)
	v_mul_f64 v[0:1], v[156:157], v[134:135]
	s_waitcnt vmcnt(29)
	v_mul_f64 v[108:109], v[172:173], v[162:163]
	v_fmac_f64_e32 v[0:1], v[158:159], v[132:133]
	s_waitcnt vmcnt(28)
	v_mul_f64 v[110:111], v[232:233], v[166:167]
	v_fmac_f64_e32 v[108:109], v[174:175], v[160:161]
	v_add_f64 v[0:1], v[0:1], 0
	s_waitcnt vmcnt(27)
	v_mul_f64 v[112:113], v[228:229], v[170:171]
	v_fmac_f64_e32 v[110:111], v[234:235], v[164:165]
	v_add_f64 v[0:1], v[0:1], v[108:109]
	;; [unrolled: 4-line block ×4, first 2 shown]
	s_waitcnt vmcnt(24) lgkmcnt(13)
	v_mul_f64 v[118:119], v[224:225], v[190:191]
	v_fmac_f64_e32 v[116:117], v[186:187], v[180:181]
	v_add_f64 v[0:1], v[0:1], v[114:115]
	s_waitcnt vmcnt(23) lgkmcnt(12)
	v_mul_f64 v[120:121], v[196:197], v[194:195]
	v_fmac_f64_e32 v[118:119], v[226:227], v[188:189]
	v_add_f64 v[0:1], v[0:1], v[116:117]
	;; [unrolled: 4-line block ×9, first 2 shown]
	v_fmac_f64_e32 v[138:139], v[58:59], v[16:17]
	v_add_f64 v[0:1], v[0:1], v[136:137]
	v_add_f64 v[0:1], v[0:1], v[138:139]
	ds_read_b128 v[136:139], v2 offset:1040
	s_waitcnt vmcnt(15) lgkmcnt(5)
	v_mul_f64 v[140:141], v[48:49], v[22:23]
	v_fmac_f64_e32 v[140:141], v[50:51], v[20:21]
	s_waitcnt vmcnt(14) lgkmcnt(4)
	v_mul_f64 v[112:113], v[44:45], v[26:27]
	scratch_load_dwordx4 v[108:111], off, off offset:576
	v_add_f64 v[0:1], v[0:1], v[140:141]
	v_fmac_f64_e32 v[112:113], v[46:47], v[24:25]
	v_add_f64 v[0:1], v[0:1], v[112:113]
	scratch_load_dwordx4 v[112:115], off, off offset:592
	ds_read_b128 v[140:143], v2 offset:1056
	s_waitcnt vmcnt(15) lgkmcnt(1)
	v_mul_f64 v[116:117], v[136:137], v[30:31]
	v_fmac_f64_e32 v[116:117], v[138:139], v[28:29]
	v_add_f64 v[0:1], v[0:1], v[116:117]
	scratch_load_dwordx4 v[116:119], off, off offset:608
	s_waitcnt vmcnt(15) lgkmcnt(0)
	v_mul_f64 v[120:121], v[140:141], v[34:35]
	v_fmac_f64_e32 v[120:121], v[142:143], v[32:33]
	s_waitcnt vmcnt(14)
	v_mul_f64 v[124:125], v[144:145], v[38:39]
	v_add_f64 v[0:1], v[0:1], v[120:121]
	scratch_load_dwordx4 v[120:123], off, off offset:624
	v_fmac_f64_e32 v[124:125], v[146:147], v[36:37]
	v_add_f64 v[0:1], v[0:1], v[124:125]
	s_waitcnt vmcnt(14)
	v_mul_f64 v[124:125], v[148:149], v[54:55]
	scratch_load_dwordx4 v[128:131], off, off offset:640
	v_fmac_f64_e32 v[124:125], v[150:151], v[52:53]
	v_add_f64 v[0:1], v[0:1], v[124:125]
	scratch_load_dwordx4 v[124:127], off, off offset:656
	v_mul_f64 v[134:135], v[158:159], v[134:135]
	v_fma_f64 v[240:241], v[156:157], v[132:133], -v[134:135]
	ds_read_b128 v[156:159], v2 offset:1120
	s_waitcnt vmcnt(15)
	v_mul_f64 v[132:133], v[152:153], v[70:71]
	v_fmac_f64_e32 v[132:133], v[154:155], v[68:69]
	v_add_f64 v[0:1], v[0:1], v[132:133]
	v_mul_f64 v[132:133], v[174:175], v[162:163]
	v_fma_f64 v[242:243], v[172:173], v[160:161], -v[132:133]
	scratch_load_dwordx4 v[132:135], off, off offset:672
	ds_read_b128 v[160:163], v2 offset:1136
	v_mul_f64 v[166:167], v[234:235], v[166:167]
	v_fma_f64 v[244:245], v[232:233], v[164:165], -v[166:167]
	ds_read_b128 v[164:167], v2 offset:1152
	s_waitcnt vmcnt(15) lgkmcnt(2)
	v_mul_f64 v[172:173], v[156:157], v[74:75]
	v_fmac_f64_e32 v[172:173], v[158:159], v[72:73]
	v_add_f64 v[0:1], v[0:1], v[172:173]
	s_waitcnt vmcnt(14) lgkmcnt(1)
	v_mul_f64 v[172:173], v[160:161], v[78:79]
	v_fmac_f64_e32 v[172:173], v[162:163], v[76:77]
	v_mul_f64 v[170:171], v[230:231], v[170:171]
	v_fma_f64 v[246:247], v[228:229], v[168:169], -v[170:171]
	ds_read_b128 v[168:171], v2 offset:1168
	v_add_f64 v[0:1], v[0:1], v[172:173]
	s_waitcnt vmcnt(13) lgkmcnt(1)
	v_mul_f64 v[172:173], v[164:165], v[82:83]
	v_fmac_f64_e32 v[172:173], v[166:167], v[80:81]
	v_add_f64 v[0:1], v[0:1], v[172:173]
	ds_read_b128 v[172:175], v2 offset:1184
	v_mul_f64 v[178:179], v[238:239], v[178:179]
	v_fma_f64 v[236:237], v[236:237], v[176:177], -v[178:179]
	ds_read_b128 v[176:179], v2 offset:1200
	s_waitcnt vmcnt(12) lgkmcnt(2)
	v_mul_f64 v[228:229], v[168:169], v[86:87]
	v_fmac_f64_e32 v[228:229], v[170:171], v[84:85]
	v_add_f64 v[0:1], v[0:1], v[228:229]
	s_waitcnt vmcnt(11) lgkmcnt(1)
	v_mul_f64 v[228:229], v[172:173], v[90:91]
	v_mul_f64 v[182:183], v[186:187], v[182:183]
	v_fmac_f64_e32 v[228:229], v[174:175], v[88:89]
	v_fma_f64 v[238:239], v[184:185], v[180:181], -v[182:183]
	ds_read_b128 v[180:183], v2 offset:1216
	s_waitcnt vmcnt(10) lgkmcnt(1)
	v_mul_f64 v[184:185], v[176:177], v[94:95]
	v_add_f64 v[0:1], v[0:1], v[228:229]
	v_fmac_f64_e32 v[184:185], v[178:179], v[92:93]
	v_add_f64 v[0:1], v[0:1], v[184:185]
	ds_read_b128 v[184:187], v2 offset:1232
	v_mul_f64 v[190:191], v[226:227], v[190:191]
	v_fma_f64 v[252:253], v[224:225], v[188:189], -v[190:191]
	ds_read_b128 v[188:191], v2 offset:1248
	s_waitcnt vmcnt(9) lgkmcnt(2)
	v_mul_f64 v[228:229], v[180:181], v[98:99]
	v_fmac_f64_e32 v[228:229], v[182:183], v[96:97]
	s_waitcnt vmcnt(8) lgkmcnt(1)
	v_mul_f64 v[224:225], v[184:185], v[102:103]
	v_mul_f64 v[194:195], v[198:199], v[194:195]
	v_add_f64 v[0:1], v[0:1], v[228:229]
	v_fmac_f64_e32 v[224:225], v[186:187], v[100:101]
	v_fma_f64 v[254:255], v[196:197], v[192:193], -v[194:195]
	s_waitcnt vmcnt(7) lgkmcnt(0)
	v_mul_f64 v[196:197], v[188:189], v[106:107]
	ds_read_b128 v[192:195], v2 offset:1264
	v_add_f64 v[0:1], v[0:1], v[224:225]
	v_fmac_f64_e32 v[196:197], v[190:191], v[104:105]
	v_add_f64 v[0:1], v[0:1], v[196:197]
	ds_read_b128 v[196:199], v2 offset:1280
	v_mul_f64 v[202:203], v[210:211], v[202:203]
	v_fma_f64 v[248:249], v[208:209], v[200:201], -v[202:203]
	ds_read_b128 v[200:203], v2 offset:1296
	s_waitcnt vmcnt(6) lgkmcnt(2)
	v_mul_f64 v[224:225], v[192:193], v[110:111]
	v_fmac_f64_e32 v[224:225], v[194:195], v[108:109]
	s_waitcnt vmcnt(5) lgkmcnt(1)
	v_mul_f64 v[208:209], v[196:197], v[114:115]
	v_add_f64 v[0:1], v[0:1], v[224:225]
	v_fmac_f64_e32 v[208:209], v[198:199], v[112:113]
	v_add_f64 v[208:209], v[0:1], v[208:209]
	v_mul_f64 v[0:1], v[222:223], v[206:207]
	v_fma_f64 v[0:1], v[220:221], v[204:205], -v[0:1]
	ds_read_b128 v[204:207], v2 offset:1312
	s_waitcnt vmcnt(4) lgkmcnt(1)
	v_mul_f64 v[210:211], v[200:201], v[118:119]
	v_fmac_f64_e32 v[210:211], v[202:203], v[116:117]
	v_add_f64 v[220:221], v[208:209], v[210:211]
	ds_read_b128 v[208:211], v2 offset:1328
	v_mul_f64 v[214:215], v[218:219], v[214:215]
	v_fma_f64 v[250:251], v[216:217], v[212:213], -v[214:215]
	ds_read_b128 v[212:215], v2 offset:1344
	s_waitcnt vmcnt(3) lgkmcnt(2)
	v_mul_f64 v[216:217], v[204:205], v[122:123]
	v_fmac_f64_e32 v[216:217], v[206:207], v[120:121]
	s_waitcnt vmcnt(2) lgkmcnt(1)
	v_mul_f64 v[218:219], v[208:209], v[130:131]
	v_add_f64 v[216:217], v[220:221], v[216:217]
	v_fmac_f64_e32 v[218:219], v[210:211], v[128:129]
	v_add_f64 v[216:217], v[216:217], v[218:219]
	s_waitcnt vmcnt(1) lgkmcnt(0)
	v_mul_f64 v[218:219], v[212:213], v[126:127]
	v_fmac_f64_e32 v[218:219], v[214:215], v[124:125]
	v_add_f64 v[220:221], v[216:217], v[218:219]
	ds_read_b128 v[216:219], v2 offset:1360
	ds_read_b128 v[224:227], v2 offset:1376
	scratch_load_dwordx4 v[232:235], off, off offset:704
	v_accvgpr_write_b32 a91, v1
	v_accvgpr_write_b32 a90, v0
	s_waitcnt vmcnt(1) lgkmcnt(1)
	v_mul_f64 v[222:223], v[216:217], v[134:135]
	v_fmac_f64_e32 v[222:223], v[218:219], v[132:133]
	v_add_f64 v[228:229], v[220:221], v[222:223]
	scratch_load_dwordx4 v[220:223], off, off offset:688
	v_mul_f64 v[6:7], v[42:43], v[6:7]
	v_fma_f64 v[4:5], v[40:41], v[4:5], -v[6:7]
	s_waitcnt vmcnt(0) lgkmcnt(0)
	v_mul_f64 v[230:231], v[224:225], v[222:223]
	v_fmac_f64_e32 v[230:231], v[226:227], v[220:221]
	v_add_f64 v[0:1], v[228:229], v[230:231]
	ds_read_b128 v[228:231], v2 offset:1392
	s_waitcnt lgkmcnt(0)
	v_mul_f64 v[2:3], v[228:229], v[234:235]
	v_fmac_f64_e32 v[2:3], v[230:231], v[232:233]
	v_add_f64 v[2:3], v[0:1], v[2:3]
	v_add_f64 v[0:1], v[240:241], 0
	;; [unrolled: 1-line block ×7, first 2 shown]
	scratch_load_dwordx4 v[236:239], off, off offset:64
	v_add_f64 v[0:1], v[0:1], v[252:253]
	v_add_f64 v[0:1], v[0:1], v[254:255]
	;; [unrolled: 1-line block ×3, first 2 shown]
	v_accvgpr_read_b32 v0, a90
	v_accvgpr_read_b32 v1, a91
	v_add_f64 v[0:1], v[252:253], v[0:1]
	v_add_f64 v[0:1], v[0:1], v[250:251]
	;; [unrolled: 1-line block ×3, first 2 shown]
	v_mul_f64 v[4:5], v[66:67], v[10:11]
	v_fma_f64 v[4:5], v[64:65], v[8:9], -v[4:5]
	v_add_f64 v[0:1], v[0:1], v[4:5]
	v_mul_f64 v[4:5], v[62:63], v[14:15]
	v_fma_f64 v[4:5], v[60:61], v[12:13], -v[4:5]
	v_add_f64 v[0:1], v[0:1], v[4:5]
	;; [unrolled: 3-line block ×28, first 2 shown]
	s_waitcnt vmcnt(0)
	v_add_f64 v[4:5], v[236:237], -v[0:1]
	v_accvgpr_read_b32 v0, a88
	v_add_f64 v[6:7], v[238:239], -v[2:3]
	v_cmp_lt_u32_e32 vcc, 2, v0
	scratch_store_dwordx4 off, v[4:7], off offset:64
	s_and_saveexec_b64 s[0:1], vcc
	s_cbranch_execz .LBB43_273
; %bb.272:
	scratch_load_dwordx4 v[2:5], off, s12
	v_mov_b32_e32 v6, 0
	v_mov_b32_e32 v7, v6
	;; [unrolled: 1-line block ×4, first 2 shown]
	v_accvgpr_read_b32 v0, a89
	scratch_store_dwordx4 off, v[6:9], off offset:48
	s_waitcnt vmcnt(1)
	ds_write_b128 v0, v[2:5]
.LBB43_273:
	s_or_b64 exec, exec, s[0:1]
	s_waitcnt lgkmcnt(0)
	; wave barrier
	scratch_load_dwordx4 v[112:115], off, off offset:64
	scratch_load_dwordx4 v[116:119], off, off offset:80
	;; [unrolled: 1-line block ×30, first 2 shown]
	v_mov_b32_e32 v2, 0
	ds_read_b128 v[144:147], v2 offset:752
	ds_read_b128 v[156:159], v2 offset:768
	;; [unrolled: 1-line block ×20, first 2 shown]
	s_waitcnt vmcnt(29) lgkmcnt(14)
	v_mul_f64 v[0:1], v[144:145], v[114:115]
	s_waitcnt vmcnt(28)
	v_mul_f64 v[88:89], v[156:157], v[118:119]
	v_fmac_f64_e32 v[0:1], v[146:147], v[112:113]
	s_waitcnt vmcnt(27)
	v_mul_f64 v[90:91], v[168:169], v[122:123]
	v_fmac_f64_e32 v[88:89], v[158:159], v[116:117]
	v_add_f64 v[0:1], v[0:1], 0
	s_waitcnt vmcnt(26)
	v_mul_f64 v[92:93], v[180:181], v[154:155]
	v_fmac_f64_e32 v[90:91], v[170:171], v[120:121]
	v_add_f64 v[0:1], v[0:1], v[88:89]
	;; [unrolled: 4-line block ×4, first 2 shown]
	s_waitcnt vmcnt(23) lgkmcnt(13)
	v_mul_f64 v[98:99], v[212:213], v[174:175]
	v_fmac_f64_e32 v[96:97], v[206:207], v[164:165]
	v_add_f64 v[0:1], v[0:1], v[94:95]
	s_waitcnt vmcnt(22) lgkmcnt(12)
	v_mul_f64 v[100:101], v[216:217], v[178:179]
	v_fmac_f64_e32 v[98:99], v[214:215], v[172:173]
	v_add_f64 v[0:1], v[0:1], v[96:97]
	;; [unrolled: 4-line block ×9, first 2 shown]
	v_fmac_f64_e32 v[126:127], v[82:83], v[8:9]
	v_add_f64 v[0:1], v[0:1], v[124:125]
	scratch_load_dwordx4 v[88:91], off, off offset:544
	s_waitcnt vmcnt(15) lgkmcnt(4)
	v_mul_f64 v[128:129], v[76:77], v[236:237]
	v_add_f64 v[0:1], v[0:1], v[126:127]
	ds_read_b128 v[124:127], v2 offset:1024
	v_fmac_f64_e32 v[128:129], v[78:79], v[234:235]
	v_add_f64 v[0:1], v[0:1], v[128:129]
	ds_read_b128 v[128:131], v2 offset:1040
	s_waitcnt vmcnt(14) lgkmcnt(5)
	v_mul_f64 v[92:93], v[72:73], v[18:19]
	v_fmac_f64_e32 v[92:93], v[74:75], v[16:17]
	v_add_f64 v[0:1], v[0:1], v[92:93]
	s_waitcnt vmcnt(13) lgkmcnt(1)
	v_mul_f64 v[96:97], v[124:125], v[22:23]
	scratch_load_dwordx4 v[92:95], off, off offset:560
	v_fmac_f64_e32 v[96:97], v[126:127], v[20:21]
	v_add_f64 v[0:1], v[0:1], v[96:97]
	s_waitcnt vmcnt(13) lgkmcnt(0)
	v_mul_f64 v[100:101], v[128:129], v[26:27]
	scratch_load_dwordx4 v[96:99], off, off offset:576
	v_fmac_f64_e32 v[100:101], v[130:131], v[24:25]
	v_add_f64 v[0:1], v[0:1], v[100:101]
	scratch_load_dwordx4 v[100:103], off, off offset:592
	s_waitcnt vmcnt(14)
	v_mul_f64 v[104:105], v[132:133], v[30:31]
	v_fmac_f64_e32 v[104:105], v[134:135], v[28:29]
	v_add_f64 v[0:1], v[0:1], v[104:105]
	s_waitcnt vmcnt(13)
	v_mul_f64 v[104:105], v[136:137], v[34:35]
	v_fmac_f64_e32 v[104:105], v[138:139], v[32:33]
	v_add_f64 v[0:1], v[0:1], v[104:105]
	scratch_load_dwordx4 v[104:107], off, off offset:608
	s_waitcnt vmcnt(13)
	v_mul_f64 v[108:109], v[140:141], v[38:39]
	v_fmac_f64_e32 v[108:109], v[142:143], v[36:37]
	v_add_f64 v[0:1], v[0:1], v[108:109]
	scratch_load_dwordx4 v[108:111], off, off offset:624
	v_mul_f64 v[114:115], v[146:147], v[114:115]
	v_fma_f64 v[240:241], v[144:145], v[112:113], -v[114:115]
	v_mul_f64 v[112:113], v[158:159], v[118:119]
	ds_read_b128 v[148:151], v2 offset:1104
	ds_read_b128 v[144:147], v2 offset:1120
	v_fma_f64 v[242:243], v[156:157], v[116:117], -v[112:113]
	scratch_load_dwordx4 v[116:119], off, off offset:640
	scratch_load_dwordx4 v[112:115], off, off offset:656
	v_mul_f64 v[122:123], v[170:171], v[122:123]
	v_fma_f64 v[244:245], v[168:169], v[120:121], -v[122:123]
	scratch_load_dwordx4 v[120:123], off, off offset:672
	s_waitcnt vmcnt(16) lgkmcnt(1)
	v_mul_f64 v[156:157], v[148:149], v[42:43]
	v_fmac_f64_e32 v[156:157], v[150:151], v[40:41]
	v_mul_f64 v[154:155], v[182:183], v[154:155]
	v_add_f64 v[0:1], v[0:1], v[156:157]
	v_fma_f64 v[246:247], v[180:181], v[152:153], -v[154:155]
	ds_read_b128 v[152:155], v2 offset:1136
	s_waitcnt vmcnt(15) lgkmcnt(1)
	v_mul_f64 v[156:157], v[144:145], v[46:47]
	v_fmac_f64_e32 v[156:157], v[146:147], v[44:45]
	v_add_f64 v[0:1], v[0:1], v[156:157]
	ds_read_b128 v[156:159], v2 offset:1152
	v_mul_f64 v[162:163], v[194:195], v[162:163]
	v_fma_f64 v[232:233], v[192:193], v[160:161], -v[162:163]
	ds_read_b128 v[160:163], v2 offset:1168
	s_waitcnt vmcnt(14) lgkmcnt(2)
	v_mul_f64 v[168:169], v[152:153], v[50:51]
	v_fmac_f64_e32 v[168:169], v[154:155], v[48:49]
	v_mul_f64 v[166:167], v[206:207], v[166:167]
	v_add_f64 v[0:1], v[0:1], v[168:169]
	s_waitcnt vmcnt(13) lgkmcnt(1)
	v_mul_f64 v[168:169], v[156:157], v[54:55]
	v_fma_f64 v[12:13], v[204:205], v[164:165], -v[166:167]
	ds_read_b128 v[164:167], v2 offset:1184
	v_accvgpr_write_b32 a93, v7
	v_fmac_f64_e32 v[168:169], v[158:159], v[52:53]
	v_accvgpr_write_b32 a92, v6
	v_accvgpr_write_b32 a91, v5
	;; [unrolled: 1-line block ×3, first 2 shown]
	v_add_f64 v[0:1], v[0:1], v[168:169]
	s_waitcnt vmcnt(12) lgkmcnt(1)
	v_mul_f64 v[6:7], v[160:161], v[58:59]
	ds_read_b128 v[168:171], v2 offset:1200
	v_fmac_f64_e32 v[6:7], v[162:163], v[56:57]
	v_accvgpr_write_b32 a97, v11
	v_add_f64 v[0:1], v[0:1], v[6:7]
	v_mul_f64 v[6:7], v[214:215], v[174:175]
	v_accvgpr_write_b32 a96, v10
	v_accvgpr_write_b32 a95, v9
	;; [unrolled: 1-line block ×3, first 2 shown]
	v_fma_f64 v[8:9], v[212:213], v[172:173], -v[6:7]
	s_waitcnt vmcnt(11) lgkmcnt(1)
	v_mul_f64 v[6:7], v[164:165], v[62:63]
	v_fmac_f64_e32 v[6:7], v[166:167], v[60:61]
	ds_read_b128 v[172:175], v2 offset:1216
	v_add_f64 v[0:1], v[0:1], v[6:7]
	s_waitcnt vmcnt(10) lgkmcnt(1)
	v_mul_f64 v[6:7], v[168:169], v[66:67]
	v_fmac_f64_e32 v[6:7], v[170:171], v[64:65]
	v_add_f64 v[0:1], v[0:1], v[6:7]
	v_mul_f64 v[6:7], v[218:219], v[178:179]
	v_fma_f64 v[10:11], v[216:217], v[176:177], -v[6:7]
	ds_read_b128 v[176:179], v2 offset:1232
	ds_read_b128 v[180:183], v2 offset:1248
	s_waitcnt vmcnt(9) lgkmcnt(2)
	v_mul_f64 v[6:7], v[172:173], v[70:71]
	v_fmac_f64_e32 v[6:7], v[174:175], v[68:69]
	v_add_f64 v[0:1], v[0:1], v[6:7]
	s_waitcnt vmcnt(8) lgkmcnt(1)
	v_mul_f64 v[6:7], v[176:177], v[90:91]
	v_fmac_f64_e32 v[6:7], v[178:179], v[88:89]
	v_add_f64 v[0:1], v[0:1], v[6:7]
	v_mul_f64 v[6:7], v[222:223], v[186:187]
	v_fma_f64 v[4:5], v[220:221], v[184:185], -v[6:7]
	ds_read_b128 v[184:187], v2 offset:1264
	v_mul_f64 v[6:7], v[226:227], v[190:191]
	v_fma_f64 v[6:7], v[224:225], v[188:189], -v[6:7]
	ds_read_b128 v[188:191], v2 offset:1280
	s_waitcnt vmcnt(7) lgkmcnt(2)
	v_mul_f64 v[14:15], v[180:181], v[94:95]
	v_fmac_f64_e32 v[14:15], v[182:183], v[92:93]
	v_add_f64 v[0:1], v[0:1], v[14:15]
	s_waitcnt vmcnt(6) lgkmcnt(1)
	v_mul_f64 v[14:15], v[184:185], v[98:99]
	v_fmac_f64_e32 v[14:15], v[186:187], v[96:97]
	v_add_f64 v[0:1], v[0:1], v[14:15]
	s_waitcnt vmcnt(5) lgkmcnt(0)
	v_mul_f64 v[14:15], v[188:189], v[102:103]
	ds_read_b128 v[192:195], v2 offset:1296
	v_fmac_f64_e32 v[14:15], v[190:191], v[100:101]
	v_add_f64 v[14:15], v[0:1], v[14:15]
	v_mul_f64 v[0:1], v[230:231], v[198:199]
	v_fma_f64 v[0:1], v[228:229], v[196:197], -v[0:1]
	ds_read_b128 v[196:199], v2 offset:1312
	v_mul_f64 v[202:203], v[250:251], v[202:203]
	s_waitcnt vmcnt(4) lgkmcnt(1)
	v_mul_f64 v[204:205], v[192:193], v[106:107]
	v_fma_f64 v[238:239], v[248:249], v[200:201], -v[202:203]
	ds_read_b128 v[200:203], v2 offset:1328
	v_fmac_f64_e32 v[204:205], v[194:195], v[104:105]
	v_add_f64 v[14:15], v[14:15], v[204:205]
	ds_read_b128 v[204:207], v2 offset:1344
	s_waitcnt vmcnt(3) lgkmcnt(2)
	v_mul_f64 v[212:213], v[196:197], v[110:111]
	v_mul_f64 v[210:211], v[254:255], v[210:211]
	v_fmac_f64_e32 v[212:213], v[198:199], v[108:109]
	v_fma_f64 v[248:249], v[252:253], v[208:209], -v[210:211]
	ds_read_b128 v[208:211], v2 offset:1360
	ds_read_b128 v[216:219], v2 offset:1376
	v_add_f64 v[14:15], v[14:15], v[212:213]
	s_waitcnt vmcnt(2) lgkmcnt(3)
	v_mul_f64 v[212:213], v[200:201], v[118:119]
	v_fmac_f64_e32 v[212:213], v[202:203], v[116:117]
	v_add_f64 v[14:15], v[14:15], v[212:213]
	s_waitcnt vmcnt(1) lgkmcnt(2)
	v_mul_f64 v[212:213], v[204:205], v[114:115]
	v_fmac_f64_e32 v[212:213], v[206:207], v[112:113]
	;; [unrolled: 4-line block ×3, first 2 shown]
	v_add_f64 v[14:15], v[14:15], v[212:213]
	scratch_load_dwordx4 v[212:215], off, off offset:688
	ds_read_b128 v[224:227], v2 offset:1392
	s_waitcnt vmcnt(0) lgkmcnt(1)
	v_mul_f64 v[220:221], v[216:217], v[214:215]
	v_fmac_f64_e32 v[220:221], v[218:219], v[212:213]
	v_add_f64 v[14:15], v[14:15], v[220:221]
	scratch_load_dwordx4 v[220:223], off, off offset:704
	s_waitcnt vmcnt(0) lgkmcnt(0)
	v_mul_f64 v[228:229], v[224:225], v[222:223]
	v_fmac_f64_e32 v[228:229], v[226:227], v[220:221]
	v_add_f64 v[252:253], v[14:15], v[228:229]
	scratch_load_dwordx4 v[228:231], off, off offset:48
	v_add_f64 v[14:15], v[240:241], 0
	v_add_f64 v[14:15], v[14:15], v[242:243]
	;; [unrolled: 1-line block ×10, first 2 shown]
	v_accvgpr_read_b32 v6, a90
	v_accvgpr_read_b32 v8, a92
	;; [unrolled: 1-line block ×3, first 2 shown]
	v_add_f64 v[0:1], v[4:5], v[0:1]
	v_accvgpr_read_b32 v7, a91
	v_mul_f64 v[4:5], v[86:87], v[8:9]
	v_add_f64 v[0:1], v[0:1], v[238:239]
	v_fma_f64 v[4:5], v[84:85], v[6:7], -v[4:5]
	v_accvgpr_read_b32 v6, a94
	v_add_f64 v[0:1], v[0:1], v[248:249]
	v_accvgpr_read_b32 v8, a96
	v_accvgpr_read_b32 v9, a97
	v_add_f64 v[0:1], v[0:1], v[4:5]
	v_accvgpr_read_b32 v7, a95
	v_mul_f64 v[4:5], v[82:83], v[8:9]
	v_fma_f64 v[4:5], v[80:81], v[6:7], -v[4:5]
	v_add_f64 v[0:1], v[0:1], v[4:5]
	v_mul_f64 v[4:5], v[78:79], v[236:237]
	v_fma_f64 v[4:5], v[76:77], v[234:235], -v[4:5]
	v_add_f64 v[0:1], v[0:1], v[4:5]
	;; [unrolled: 3-line block ×27, first 2 shown]
	s_waitcnt vmcnt(0)
	v_add_f64 v[4:5], v[228:229], -v[0:1]
	v_accvgpr_read_b32 v0, a88
	v_add_f64 v[6:7], v[230:231], -v[252:253]
	v_cmp_lt_u32_e32 vcc, 1, v0
	scratch_store_dwordx4 off, v[4:7], off offset:48
	s_and_saveexec_b64 s[0:1], vcc
	s_cbranch_execz .LBB43_275
; %bb.274:
	scratch_load_dwordx4 v[6:9], off, s23
	v_mov_b32_e32 v3, v2
	v_mov_b32_e32 v4, v2
	;; [unrolled: 1-line block ×3, first 2 shown]
	v_accvgpr_read_b32 v0, a89
	scratch_store_dwordx4 off, v[2:5], off offset:32
	s_waitcnt vmcnt(1)
	ds_write_b128 v0, v[6:9]
.LBB43_275:
	s_or_b64 exec, exec, s[0:1]
	s_waitcnt lgkmcnt(0)
	; wave barrier
	scratch_load_dwordx4 v[88:91], off, off offset:48
	scratch_load_dwordx4 v[92:95], off, off offset:64
	;; [unrolled: 1-line block ×17, first 2 shown]
	ds_read_b128 v[212:215], v2 offset:736
	ds_read_b128 v[204:207], v2 offset:752
	;; [unrolled: 1-line block ×3, first 2 shown]
	scratch_load_dwordx4 v[20:23], off, off offset:320
	ds_read_b128 v[216:219], v2 offset:784
	ds_read_b128 v[208:211], v2 offset:800
	;; [unrolled: 1-line block ×5, first 2 shown]
	scratch_load_dwordx4 v[24:27], off, off offset:336
	ds_read_b128 v[180:183], v2 offset:864
	ds_read_b128 v[160:163], v2 offset:880
	;; [unrolled: 1-line block ×3, first 2 shown]
	scratch_load_dwordx4 v[28:31], off, off offset:352
	ds_read_b128 v[172:175], v2 offset:912
	ds_read_b128 v[148:151], v2 offset:928
	;; [unrolled: 1-line block ×5, first 2 shown]
	scratch_load_dwordx4 v[36:39], off, off offset:368
	ds_read_b128 v[48:51], v2 offset:992
	scratch_load_dwordx4 v[52:55], off, off offset:384
	scratch_load_dwordx4 v[56:59], off, off offset:400
	;; [unrolled: 1-line block ×9, first 2 shown]
	ds_read_b128 v[140:143], v2 offset:1008
	ds_read_b128 v[232:235], v2 offset:1072
	;; [unrolled: 1-line block ×3, first 2 shown]
	s_waitcnt vmcnt(29) lgkmcnt(14)
	v_mul_f64 v[0:1], v[212:213], v[90:91]
	s_waitcnt vmcnt(28)
	v_mul_f64 v[152:153], v[204:205], v[94:95]
	v_fmac_f64_e32 v[0:1], v[214:215], v[88:89]
	s_waitcnt vmcnt(27)
	v_mul_f64 v[154:155], v[196:197], v[98:99]
	v_fmac_f64_e32 v[152:153], v[206:207], v[92:93]
	v_add_f64 v[0:1], v[0:1], 0
	s_waitcnt vmcnt(26)
	v_mul_f64 v[164:165], v[216:217], v[102:103]
	v_fmac_f64_e32 v[154:155], v[198:199], v[96:97]
	v_add_f64 v[0:1], v[0:1], v[152:153]
	s_waitcnt vmcnt(25)
	v_mul_f64 v[166:167], v[208:209], v[106:107]
	v_fmac_f64_e32 v[164:165], v[218:219], v[100:101]
	v_add_f64 v[0:1], v[0:1], v[154:155]
	s_waitcnt vmcnt(24)
	v_mul_f64 v[168:169], v[200:201], v[110:111]
	v_fmac_f64_e32 v[166:167], v[210:211], v[104:105]
	v_add_f64 v[0:1], v[0:1], v[164:165]
	s_waitcnt vmcnt(23) lgkmcnt(13)
	v_mul_f64 v[170:171], v[184:185], v[114:115]
	v_fmac_f64_e32 v[168:169], v[202:203], v[108:109]
	v_add_f64 v[0:1], v[0:1], v[166:167]
	s_waitcnt vmcnt(22) lgkmcnt(12)
	v_mul_f64 v[176:177], v[156:157], v[118:119]
	v_fmac_f64_e32 v[170:171], v[186:187], v[112:113]
	v_add_f64 v[0:1], v[0:1], v[168:169]
	;; [unrolled: 4-line block ×10, first 2 shown]
	v_fmac_f64_e32 v[224:225], v[34:35], v[12:13]
	v_add_f64 v[0:1], v[0:1], v[222:223]
	ds_read_b128 v[220:223], v2 offset:1024
	v_add_f64 v[0:1], v[0:1], v[224:225]
	ds_read_b128 v[224:227], v2 offset:1040
	s_waitcnt vmcnt(13) lgkmcnt(5)
	v_mul_f64 v[164:165], v[48:49], v[18:19]
	scratch_load_dwordx4 v[152:155], off, off offset:528
	v_fmac_f64_e32 v[164:165], v[50:51], v[16:17]
	s_waitcnt vmcnt(13) lgkmcnt(4)
	v_mul_f64 v[168:169], v[140:141], v[22:23]
	v_add_f64 v[0:1], v[0:1], v[164:165]
	v_fmac_f64_e32 v[168:169], v[142:143], v[20:21]
	scratch_load_dwordx4 v[164:167], off, off offset:544
	v_add_f64 v[0:1], v[0:1], v[168:169]
	s_waitcnt vmcnt(13) lgkmcnt(1)
	v_mul_f64 v[176:177], v[220:221], v[26:27]
	scratch_load_dwordx4 v[168:171], off, off offset:560
	v_fmac_f64_e32 v[176:177], v[222:223], v[24:25]
	s_waitcnt vmcnt(13) lgkmcnt(0)
	v_mul_f64 v[188:189], v[224:225], v[30:31]
	v_add_f64 v[0:1], v[0:1], v[176:177]
	scratch_load_dwordx4 v[176:179], off, off offset:576
	v_fmac_f64_e32 v[188:189], v[226:227], v[28:29]
	v_add_f64 v[0:1], v[0:1], v[188:189]
	s_waitcnt vmcnt(13)
	v_mul_f64 v[188:189], v[228:229], v[38:39]
	v_fmac_f64_e32 v[188:189], v[230:231], v[36:37]
	v_add_f64 v[0:1], v[0:1], v[188:189]
	scratch_load_dwordx4 v[188:191], off, off offset:592
	s_waitcnt vmcnt(13)
	v_mul_f64 v[192:193], v[232:233], v[54:55]
	v_fmac_f64_e32 v[192:193], v[234:235], v[52:53]
	v_mul_f64 v[90:91], v[214:215], v[90:91]
	v_add_f64 v[0:1], v[0:1], v[192:193]
	scratch_load_dwordx4 v[192:195], off, off offset:608
	v_fma_f64 v[240:241], v[212:213], v[88:89], -v[90:91]
	v_mul_f64 v[88:89], v[206:207], v[94:95]
	ds_read_b128 v[236:239], v2 offset:1088
	ds_read_b128 v[212:215], v2 offset:1104
	v_fma_f64 v[242:243], v[204:205], v[92:93], -v[88:89]
	scratch_load_dwordx4 v[92:95], off, off offset:624
	scratch_load_dwordx4 v[88:91], off, off offset:640
	v_mul_f64 v[98:99], v[198:199], v[98:99]
	v_fma_f64 v[244:245], v[196:197], v[96:97], -v[98:99]
	scratch_load_dwordx4 v[96:99], off, off offset:656
	s_waitcnt vmcnt(16) lgkmcnt(1)
	v_mul_f64 v[204:205], v[236:237], v[58:59]
	v_mul_f64 v[102:103], v[218:219], v[102:103]
	v_fmac_f64_e32 v[204:205], v[238:239], v[56:57]
	v_fma_f64 v[216:217], v[216:217], v[100:101], -v[102:103]
	ds_read_b128 v[100:103], v2 offset:1120
	s_waitcnt vmcnt(15) lgkmcnt(1)
	v_mul_f64 v[196:197], v[212:213], v[62:63]
	v_add_f64 v[0:1], v[0:1], v[204:205]
	v_fmac_f64_e32 v[196:197], v[214:215], v[60:61]
	v_add_f64 v[0:1], v[0:1], v[196:197]
	ds_read_b128 v[196:199], v2 offset:1136
	v_mul_f64 v[106:107], v[210:211], v[106:107]
	v_fma_f64 v[218:219], v[208:209], v[104:105], -v[106:107]
	ds_read_b128 v[104:107], v2 offset:1152
	s_waitcnt vmcnt(14) lgkmcnt(2)
	v_mul_f64 v[204:205], v[100:101], v[66:67]
	v_fmac_f64_e32 v[204:205], v[102:103], v[64:65]
	v_add_f64 v[0:1], v[0:1], v[204:205]
	s_waitcnt vmcnt(13) lgkmcnt(1)
	v_mul_f64 v[204:205], v[196:197], v[70:71]
	v_mul_f64 v[110:111], v[202:203], v[110:111]
	v_fmac_f64_e32 v[204:205], v[198:199], v[68:69]
	v_fma_f64 v[246:247], v[200:201], v[108:109], -v[110:111]
	ds_read_b128 v[108:111], v2 offset:1168
	s_waitcnt vmcnt(12) lgkmcnt(1)
	v_mul_f64 v[200:201], v[104:105], v[74:75]
	v_add_f64 v[0:1], v[0:1], v[204:205]
	v_fmac_f64_e32 v[200:201], v[106:107], v[72:73]
	v_add_f64 v[0:1], v[0:1], v[200:201]
	ds_read_b128 v[200:203], v2 offset:1184
	v_mul_f64 v[114:115], v[186:187], v[114:115]
	v_fma_f64 v[252:253], v[184:185], v[112:113], -v[114:115]
	ds_read_b128 v[112:115], v2 offset:1200
	s_waitcnt vmcnt(11) lgkmcnt(2)
	v_mul_f64 v[184:185], v[108:109], v[78:79]
	v_fmac_f64_e32 v[184:185], v[110:111], v[76:77]
	v_add_f64 v[0:1], v[0:1], v[184:185]
	s_waitcnt vmcnt(10) lgkmcnt(1)
	v_mul_f64 v[184:185], v[200:201], v[82:83]
	v_mul_f64 v[118:119], v[158:159], v[118:119]
	v_fmac_f64_e32 v[184:185], v[202:203], v[80:81]
	v_fma_f64 v[254:255], v[156:157], v[116:117], -v[118:119]
	s_waitcnt vmcnt(9) lgkmcnt(0)
	v_mul_f64 v[156:157], v[112:113], v[86:87]
	v_add_f64 v[0:1], v[0:1], v[184:185]
	ds_read_b128 v[116:119], v2 offset:1216
	v_fmac_f64_e32 v[156:157], v[114:115], v[84:85]
	v_add_f64 v[0:1], v[0:1], v[156:157]
	ds_read_b128 v[156:159], v2 offset:1232
	v_mul_f64 v[122:123], v[182:183], v[122:123]
	v_fma_f64 v[248:249], v[180:181], v[120:121], -v[122:123]
	ds_read_b128 v[120:123], v2 offset:1248
	v_accvgpr_write_b32 a93, v7
	v_mul_f64 v[126:127], v[162:163], v[126:127]
	v_accvgpr_write_b32 a92, v6
	v_accvgpr_write_b32 a91, v5
	;; [unrolled: 1-line block ×3, first 2 shown]
	v_fma_f64 v[4:5], v[160:161], v[124:125], -v[126:127]
	ds_read_b128 v[124:127], v2 offset:1264
	s_waitcnt vmcnt(8) lgkmcnt(3)
	v_mul_f64 v[184:185], v[116:117], v[154:155]
	v_fmac_f64_e32 v[184:185], v[118:119], v[152:153]
	s_waitcnt vmcnt(7) lgkmcnt(2)
	v_mul_f64 v[180:181], v[156:157], v[166:167]
	v_add_f64 v[0:1], v[0:1], v[184:185]
	v_fmac_f64_e32 v[180:181], v[158:159], v[164:165]
	s_waitcnt vmcnt(6) lgkmcnt(1)
	v_mul_f64 v[6:7], v[120:121], v[170:171]
	ds_read_b128 v[160:163], v2 offset:1280
	v_add_f64 v[0:1], v[0:1], v[180:181]
	v_fmac_f64_e32 v[6:7], v[122:123], v[168:169]
	v_add_f64 v[0:1], v[0:1], v[6:7]
	s_waitcnt vmcnt(5) lgkmcnt(1)
	v_mul_f64 v[6:7], v[124:125], v[178:179]
	v_fmac_f64_e32 v[6:7], v[126:127], v[176:177]
	v_add_f64 v[0:1], v[0:1], v[6:7]
	v_mul_f64 v[6:7], v[146:147], v[130:131]
	v_fma_f64 v[6:7], v[144:145], v[128:129], -v[6:7]
	ds_read_b128 v[128:131], v2 offset:1296
	s_waitcnt vmcnt(4) lgkmcnt(1)
	v_mul_f64 v[144:145], v[160:161], v[190:191]
	v_fmac_f64_e32 v[144:145], v[162:163], v[188:189]
	v_add_f64 v[180:181], v[0:1], v[144:145]
	v_mul_f64 v[0:1], v[174:175], v[134:135]
	v_fma_f64 v[0:1], v[172:173], v[132:133], -v[0:1]
	ds_read_b128 v[132:135], v2 offset:1312
	ds_read_b128 v[144:147], v2 offset:1328
	v_mul_f64 v[138:139], v[150:151], v[138:139]
	v_fma_f64 v[250:251], v[148:149], v[136:137], -v[138:139]
	ds_read_b128 v[136:139], v2 offset:1344
	s_waitcnt vmcnt(3) lgkmcnt(3)
	v_mul_f64 v[172:173], v[128:129], v[194:195]
	v_fmac_f64_e32 v[172:173], v[130:131], v[192:193]
	s_waitcnt vmcnt(2) lgkmcnt(2)
	v_mul_f64 v[148:149], v[132:133], v[94:95]
	v_add_f64 v[172:173], v[180:181], v[172:173]
	v_fmac_f64_e32 v[148:149], v[134:135], v[92:93]
	s_waitcnt vmcnt(1) lgkmcnt(1)
	v_mul_f64 v[150:151], v[144:145], v[90:91]
	v_add_f64 v[148:149], v[172:173], v[148:149]
	v_fmac_f64_e32 v[150:151], v[146:147], v[88:89]
	v_add_f64 v[148:149], v[148:149], v[150:151]
	ds_read_b128 v[172:175], v2 offset:1360
	scratch_load_dwordx4 v[208:211], off, off offset:704
	s_waitcnt vmcnt(1) lgkmcnt(1)
	v_mul_f64 v[150:151], v[136:137], v[98:99]
	v_fmac_f64_e32 v[150:151], v[138:139], v[96:97]
	v_add_f64 v[180:181], v[148:149], v[150:151]
	scratch_load_dwordx4 v[148:151], off, off offset:672
	ds_read_b128 v[184:187], v2 offset:1376
	v_accvgpr_write_b32 a95, v1
	v_accvgpr_write_b32 a94, v0
	s_waitcnt vmcnt(0) lgkmcnt(1)
	v_mul_f64 v[182:183], v[172:173], v[150:151]
	v_fmac_f64_e32 v[182:183], v[174:175], v[148:149]
	v_add_f64 v[204:205], v[180:181], v[182:183]
	scratch_load_dwordx4 v[180:183], off, off offset:688
	s_waitcnt vmcnt(0) lgkmcnt(0)
	v_mul_f64 v[206:207], v[184:185], v[182:183]
	v_fmac_f64_e32 v[206:207], v[186:187], v[180:181]
	v_add_f64 v[0:1], v[204:205], v[206:207]
	ds_read_b128 v[204:207], v2 offset:1392
	s_waitcnt lgkmcnt(0)
	v_mul_f64 v[2:3], v[204:205], v[210:211]
	v_fmac_f64_e32 v[2:3], v[206:207], v[208:209]
	v_add_f64 v[2:3], v[0:1], v[2:3]
	v_add_f64 v[0:1], v[240:241], 0
	;; [unrolled: 1-line block ×6, first 2 shown]
	scratch_load_dwordx4 v[216:219], off, off offset:32
	v_add_f64 v[0:1], v[0:1], v[246:247]
	v_add_f64 v[0:1], v[0:1], v[252:253]
	;; [unrolled: 1-line block ×6, first 2 shown]
	v_accvgpr_read_b32 v0, a94
	v_accvgpr_read_b32 v243, a93
	;; [unrolled: 1-line block ×4, first 2 shown]
	v_add_f64 v[0:1], v[252:253], v[0:1]
	v_accvgpr_read_b32 v241, a91
	v_accvgpr_read_b32 v240, a90
	v_mul_f64 v[4:5], v[46:47], v[242:243]
	v_add_f64 v[0:1], v[0:1], v[250:251]
	v_fma_f64 v[4:5], v[44:45], v[240:241], -v[4:5]
	v_add_f64 v[0:1], v[0:1], v[4:5]
	v_mul_f64 v[4:5], v[42:43], v[10:11]
	v_fma_f64 v[4:5], v[40:41], v[8:9], -v[4:5]
	v_add_f64 v[0:1], v[0:1], v[4:5]
	v_mul_f64 v[4:5], v[34:35], v[14:15]
	;; [unrolled: 3-line block ×28, first 2 shown]
	v_fma_f64 v[4:5], v[204:205], v[208:209], -v[4:5]
	v_add_f64 v[0:1], v[0:1], v[4:5]
	s_waitcnt vmcnt(0)
	v_add_f64 v[4:5], v[216:217], -v[0:1]
	v_accvgpr_read_b32 v0, a88
	v_add_f64 v[6:7], v[218:219], -v[2:3]
	v_cmp_ne_u32_e32 vcc, 0, v0
	scratch_store_dwordx4 off, v[4:7], off offset:32
	s_and_saveexec_b64 s[0:1], vcc
	s_cbranch_execz .LBB43_277
; %bb.276:
	scratch_load_dwordx4 v[2:5], off, off offset:16
	v_mov_b32_e32 v6, 0
	v_mov_b32_e32 v7, v6
	;; [unrolled: 1-line block ×4, first 2 shown]
	v_accvgpr_read_b32 v0, a89
	scratch_store_dwordx4 off, v[6:9], off offset:16
	s_waitcnt vmcnt(1)
	ds_write_b128 v0, v[2:5]
.LBB43_277:
	s_or_b64 exec, exec, s[0:1]
	s_waitcnt lgkmcnt(0)
	; wave barrier
	scratch_load_dwordx4 v[100:103], off, off offset:32
	scratch_load_dwordx4 v[104:107], off, off offset:48
	scratch_load_dwordx4 v[108:111], off, off offset:64
	scratch_load_dwordx4 v[112:115], off, off offset:80
	scratch_load_dwordx4 v[116:119], off, off offset:96
	scratch_load_dwordx4 v[160:163], off, off offset:112
	scratch_load_dwordx4 v[164:167], off, off offset:128
	scratch_load_dwordx4 v[168:171], off, off offset:144
	scratch_load_dwordx4 v[176:179], off, off offset:160
	scratch_load_dwordx4 v[180:183], off, off offset:176
	scratch_load_dwordx4 v[188:191], off, off offset:192
	scratch_load_dwordx4 v[192:195], off, off offset:208
	scratch_load_dwordx4 v[200:203], off, off offset:224
	scratch_load_dwordx4 v[204:207], off, off offset:240
	scratch_load_dwordx4 v[0:3], off, off offset:256
	scratch_load_dwordx4 v[4:7], off, off offset:272
	scratch_load_dwordx4 v[128:131], off, off offset:288
	scratch_load_dwordx4 v[12:15], off, off offset:304
	scratch_load_dwordx4 v[16:19], off, off offset:320
	scratch_load_dwordx4 v[20:23], off, off offset:336
	scratch_load_dwordx4 v[24:27], off, off offset:352
	scratch_load_dwordx4 v[28:31], off, off offset:368
	scratch_load_dwordx4 v[32:35], off, off offset:384
	scratch_load_dwordx4 v[36:39], off, off offset:400
	scratch_load_dwordx4 v[40:43], off, off offset:416
	scratch_load_dwordx4 v[44:47], off, off offset:432
	scratch_load_dwordx4 v[48:51], off, off offset:448
	scratch_load_dwordx4 v[52:55], off, off offset:464
	scratch_load_dwordx4 v[60:63], off, off offset:480
	scratch_load_dwordx4 v[56:59], off, off offset:496
	v_mov_b32_e32 v8, 0
	ds_read_b128 v[144:147], v8 offset:720
	ds_read_b128 v[148:151], v8 offset:736
	;; [unrolled: 1-line block ×19, first 2 shown]
	s_and_b64 vcc, exec, s[18:19]
	ds_read_b128 v[132:135], v8 offset:1040
	s_waitcnt vmcnt(29) lgkmcnt(14)
	v_mul_f64 v[76:77], v[144:145], v[102:103]
	s_waitcnt vmcnt(28)
	v_mul_f64 v[78:79], v[148:149], v[106:107]
	v_fmac_f64_e32 v[76:77], v[146:147], v[100:101]
	s_waitcnt vmcnt(27)
	v_mul_f64 v[80:81], v[152:153], v[110:111]
	v_fmac_f64_e32 v[78:79], v[150:151], v[104:105]
	v_add_f64 v[76:77], v[76:77], 0
	s_waitcnt vmcnt(26)
	v_mul_f64 v[82:83], v[156:157], v[114:115]
	v_fmac_f64_e32 v[80:81], v[154:155], v[108:109]
	v_add_f64 v[76:77], v[76:77], v[78:79]
	;; [unrolled: 4-line block ×4, first 2 shown]
	s_waitcnt vmcnt(23) lgkmcnt(13)
	v_mul_f64 v[88:89], v[196:197], v[166:167]
	v_fmac_f64_e32 v[86:87], v[186:187], v[160:161]
	v_add_f64 v[76:77], v[76:77], v[84:85]
	s_waitcnt vmcnt(22) lgkmcnt(12)
	v_mul_f64 v[90:91], v[208:209], v[170:171]
	v_fmac_f64_e32 v[88:89], v[198:199], v[164:165]
	v_add_f64 v[76:77], v[76:77], v[86:87]
	;; [unrolled: 4-line block ×8, first 2 shown]
	v_fmac_f64_e32 v[122:123], v[234:235], v[204:205]
	v_add_f64 v[76:77], v[76:77], v[120:121]
	s_waitcnt vmcnt(15) lgkmcnt(5)
	v_mul_f64 v[124:125], v[72:73], v[2:3]
	v_accvgpr_write_b32 a91, v3
	v_add_f64 v[76:77], v[76:77], v[122:123]
	ds_read_b128 v[120:123], v8 offset:992
	v_fmac_f64_e32 v[124:125], v[74:75], v[0:1]
	v_accvgpr_write_b32 a90, v2
	v_accvgpr_write_b32 a89, v1
	;; [unrolled: 1-line block ×3, first 2 shown]
	s_waitcnt vmcnt(13)
	v_mov_b64_e32 v[0:1], v[128:129]
	s_waitcnt lgkmcnt(5)
	v_mul_f64 v[126:127], v[68:69], v[6:7]
	v_mov_b64_e32 v[2:3], v[130:131]
	v_fmac_f64_e32 v[126:127], v[70:71], v[4:5]
	v_add_f64 v[76:77], v[76:77], v[124:125]
	s_waitcnt lgkmcnt(4)
	v_mul_f64 v[82:83], v[64:65], v[2:3]
	v_add_f64 v[80:81], v[76:77], v[126:127]
	scratch_load_dwordx4 v[76:79], off, off offset:512
	v_fmac_f64_e32 v[82:83], v[66:67], v[0:1]
	v_add_f64 v[84:85], v[80:81], v[82:83]
	scratch_load_dwordx4 v[80:83], off, off offset:528
	ds_read_b128 v[124:127], v8 offset:1008
	s_waitcnt vmcnt(14) lgkmcnt(1)
	v_mul_f64 v[86:87], v[120:121], v[14:15]
	v_fmac_f64_e32 v[86:87], v[122:123], v[12:13]
	v_accvgpr_write_b32 a96, v128
	v_add_f64 v[88:89], v[84:85], v[86:87]
	scratch_load_dwordx4 v[84:87], off, off offset:544
	v_accvgpr_write_b32 a97, v129
	v_accvgpr_write_b32 a98, v130
	;; [unrolled: 1-line block ×3, first 2 shown]
	ds_read_b128 v[128:131], v8 offset:1024
	s_waitcnt vmcnt(14) lgkmcnt(1)
	v_mul_f64 v[90:91], v[124:125], v[18:19]
	v_fmac_f64_e32 v[90:91], v[126:127], v[16:17]
	v_add_f64 v[92:93], v[88:89], v[90:91]
	scratch_load_dwordx4 v[88:91], off, off offset:560
	s_waitcnt vmcnt(14) lgkmcnt(0)
	v_mul_f64 v[94:95], v[128:129], v[22:23]
	v_fmac_f64_e32 v[94:95], v[130:131], v[20:21]
	v_add_f64 v[96:97], v[92:93], v[94:95]
	s_waitcnt vmcnt(13)
	v_mul_f64 v[98:99], v[132:133], v[26:27]
	scratch_load_dwordx4 v[92:95], off, off offset:576
	v_fmac_f64_e32 v[98:99], v[134:135], v[24:25]
	v_add_f64 v[236:237], v[96:97], v[98:99]
	scratch_load_dwordx4 v[96:99], off, off offset:592
	v_mul_f64 v[102:103], v[146:147], v[102:103]
	v_fma_f64 v[240:241], v[144:145], v[100:101], -v[102:103]
	scratch_load_dwordx4 v[100:103], off, off offset:608
	v_mul_f64 v[106:107], v[150:151], v[106:107]
	v_fma_f64 v[242:243], v[148:149], v[104:105], -v[106:107]
	;; [unrolled: 3-line block ×5, first 2 shown]
	v_mul_f64 v[116:117], v[186:187], v[162:163]
	v_fma_f64 v[254:255], v[184:185], v[160:161], -v[116:117]
	scratch_load_dwordx4 v[116:119], off, off offset:672
	ds_read_b128 v[144:147], v8 offset:1088
	ds_read_b128 v[148:151], v8 offset:1104
	s_waitcnt vmcnt(19)
	v_mul_f64 v[238:239], v[136:137], v[30:31]
	v_fmac_f64_e32 v[238:239], v[138:139], v[28:29]
	v_add_f64 v[236:237], v[236:237], v[238:239]
	s_waitcnt vmcnt(18)
	v_mul_f64 v[238:239], v[140:141], v[34:35]
	v_fmac_f64_e32 v[238:239], v[142:143], v[32:33]
	v_add_f64 v[236:237], v[236:237], v[238:239]
	s_waitcnt vmcnt(17) lgkmcnt(1)
	v_mul_f64 v[238:239], v[144:145], v[38:39]
	v_fmac_f64_e32 v[238:239], v[146:147], v[36:37]
	s_waitcnt vmcnt(16) lgkmcnt(0)
	v_mul_f64 v[156:157], v[148:149], v[42:43]
	v_add_f64 v[236:237], v[236:237], v[238:239]
	ds_read_b128 v[152:155], v8 offset:1120
	v_fmac_f64_e32 v[156:157], v[150:151], v[40:41]
	v_add_f64 v[236:237], v[236:237], v[156:157]
	ds_read_b128 v[156:159], v8 offset:1136
	ds_read_b128 v[160:163], v8 offset:1152
	v_mul_f64 v[166:167], v[198:199], v[166:167]
	v_fma_f64 v[0:1], v[196:197], v[164:165], -v[166:167]
	ds_read_b128 v[164:167], v8 offset:1168
	s_waitcnt vmcnt(15) lgkmcnt(3)
	v_mul_f64 v[172:173], v[152:153], v[46:47]
	v_fmac_f64_e32 v[172:173], v[154:155], v[44:45]
	s_waitcnt vmcnt(14) lgkmcnt(2)
	v_mul_f64 v[174:175], v[156:157], v[50:51]
	v_add_f64 v[172:173], v[236:237], v[172:173]
	v_fmac_f64_e32 v[174:175], v[158:159], v[48:49]
	s_waitcnt vmcnt(13) lgkmcnt(1)
	v_mul_f64 v[2:3], v[160:161], v[54:55]
	v_add_f64 v[172:173], v[172:173], v[174:175]
	v_fmac_f64_e32 v[2:3], v[162:163], v[52:53]
	v_mul_f64 v[170:171], v[210:211], v[170:171]
	v_add_f64 v[2:3], v[172:173], v[2:3]
	v_fma_f64 v[236:237], v[208:209], v[168:169], -v[170:171]
	ds_read_b128 v[168:171], v8 offset:1184
	s_waitcnt vmcnt(12) lgkmcnt(1)
	v_mul_f64 v[172:173], v[164:165], v[62:63]
	v_fmac_f64_e32 v[172:173], v[166:167], v[60:61]
	v_add_f64 v[2:3], v[2:3], v[172:173]
	ds_read_b128 v[172:175], v8 offset:1200
	v_mul_f64 v[178:179], v[214:215], v[178:179]
	v_fma_f64 v[252:253], v[212:213], v[176:177], -v[178:179]
	ds_read_b128 v[176:179], v8 offset:1216
	v_mul_f64 v[182:183], v[218:219], v[182:183]
	s_waitcnt vmcnt(11) lgkmcnt(2)
	v_mul_f64 v[184:185], v[168:169], v[58:59]
	v_fma_f64 v[248:249], v[216:217], v[180:181], -v[182:183]
	ds_read_b128 v[180:183], v8 offset:1232
	v_fmac_f64_e32 v[184:185], v[170:171], v[56:57]
	v_accvgpr_write_b32 a95, v7
	v_add_f64 v[2:3], v[2:3], v[184:185]
	s_waitcnt vmcnt(10) lgkmcnt(2)
	v_mul_f64 v[184:185], v[172:173], v[78:79]
	v_accvgpr_write_b32 a94, v6
	v_accvgpr_write_b32 a93, v5
	;; [unrolled: 1-line block ×3, first 2 shown]
	v_fmac_f64_e32 v[184:185], v[174:175], v[76:77]
	s_waitcnt vmcnt(9) lgkmcnt(1)
	v_mul_f64 v[6:7], v[176:177], v[82:83]
	v_add_f64 v[2:3], v[2:3], v[184:185]
	v_fmac_f64_e32 v[6:7], v[178:179], v[80:81]
	v_add_f64 v[2:3], v[2:3], v[6:7]
	s_waitcnt vmcnt(8) lgkmcnt(0)
	v_mul_f64 v[6:7], v[180:181], v[86:87]
	ds_read_b128 v[184:187], v8 offset:1248
	v_fmac_f64_e32 v[6:7], v[182:183], v[84:85]
	v_add_f64 v[2:3], v[2:3], v[6:7]
	v_mul_f64 v[6:7], v[222:223], v[190:191]
	v_fma_f64 v[6:7], v[220:221], v[188:189], -v[6:7]
	ds_read_b128 v[188:191], v8 offset:1264
	v_mul_f64 v[194:195], v[226:227], v[194:195]
	v_fma_f64 v[4:5], v[224:225], v[192:193], -v[194:195]
	ds_read_b128 v[192:195], v8 offset:1280
	s_waitcnt vmcnt(7) lgkmcnt(2)
	v_mul_f64 v[196:197], v[184:185], v[90:91]
	v_fmac_f64_e32 v[196:197], v[186:187], v[88:89]
	v_add_f64 v[2:3], v[2:3], v[196:197]
	s_waitcnt vmcnt(6) lgkmcnt(1)
	v_mul_f64 v[10:11], v[188:189], v[94:95]
	ds_read_b128 v[196:199], v8 offset:1296
	v_fmac_f64_e32 v[10:11], v[190:191], v[92:93]
	v_add_f64 v[2:3], v[2:3], v[10:11]
	s_waitcnt vmcnt(5) lgkmcnt(1)
	v_mul_f64 v[10:11], v[192:193], v[98:99]
	v_fmac_f64_e32 v[10:11], v[194:195], v[96:97]
	v_add_f64 v[2:3], v[2:3], v[10:11]
	v_mul_f64 v[10:11], v[230:231], v[202:203]
	v_fma_f64 v[238:239], v[228:229], v[200:201], -v[10:11]
	s_waitcnt vmcnt(4) lgkmcnt(0)
	v_mul_f64 v[10:11], v[196:197], v[102:103]
	ds_read_b128 v[200:203], v8 offset:1312
	v_fmac_f64_e32 v[10:11], v[198:199], v[100:101]
	v_add_f64 v[10:11], v[2:3], v[10:11]
	v_mul_f64 v[2:3], v[234:235], v[206:207]
	v_fma_f64 v[2:3], v[232:233], v[204:205], -v[2:3]
	ds_read_b128 v[204:207], v8 offset:1328
	ds_read_b128 v[208:211], v8 offset:1344
	;; [unrolled: 1-line block ×3, first 2 shown]
	s_waitcnt vmcnt(3) lgkmcnt(3)
	v_mul_f64 v[212:213], v[200:201], v[106:107]
	v_fmac_f64_e32 v[212:213], v[202:203], v[104:105]
	v_add_f64 v[10:11], v[10:11], v[212:213]
	s_waitcnt vmcnt(2) lgkmcnt(2)
	v_mul_f64 v[212:213], v[204:205], v[110:111]
	v_fmac_f64_e32 v[212:213], v[206:207], v[108:109]
	v_add_f64 v[10:11], v[10:11], v[212:213]
	;; [unrolled: 4-line block ×3, first 2 shown]
	ds_read_b128 v[212:215], v8 offset:1360
	ds_read_b128 v[228:231], v8 offset:1392
	s_waitcnt vmcnt(0) lgkmcnt(1)
	v_mul_f64 v[216:217], v[212:213], v[118:119]
	v_fmac_f64_e32 v[216:217], v[214:215], v[116:117]
	v_add_f64 v[10:11], v[10:11], v[216:217]
	scratch_load_dwordx4 v[216:219], off, off offset:688
	s_waitcnt vmcnt(0)
	v_mul_f64 v[224:225], v[220:221], v[218:219]
	v_fmac_f64_e32 v[224:225], v[222:223], v[216:217]
	v_add_f64 v[10:11], v[10:11], v[224:225]
	scratch_load_dwordx4 v[224:227], off, off offset:704
	s_waitcnt vmcnt(0) lgkmcnt(0)
	v_mul_f64 v[232:233], v[228:229], v[226:227]
	v_fmac_f64_e32 v[232:233], v[230:231], v[224:225]
	v_add_f64 v[10:11], v[10:11], v[232:233]
	scratch_load_dwordx4 v[232:235], off, off offset:16
	v_accvgpr_write_b32 a101, v11
	v_accvgpr_write_b32 a100, v10
	v_add_f64 v[10:11], v[240:241], 0
	v_add_f64 v[10:11], v[10:11], v[242:243]
	;; [unrolled: 1-line block ×12, first 2 shown]
	v_accvgpr_read_b32 v4, a88
	v_add_f64 v[0:1], v[250:251], v[238:239]
	v_accvgpr_read_b32 v6, a90
	v_accvgpr_read_b32 v7, a91
	v_add_f64 v[0:1], v[0:1], v[2:3]
	v_accvgpr_read_b32 v5, a89
	v_mul_f64 v[2:3], v[74:75], v[6:7]
	v_fma_f64 v[2:3], v[72:73], v[4:5], -v[2:3]
	v_accvgpr_read_b32 v4, a92
	v_accvgpr_read_b32 v6, a94
	;; [unrolled: 1-line block ×3, first 2 shown]
	v_add_f64 v[0:1], v[0:1], v[2:3]
	v_accvgpr_read_b32 v5, a93
	v_mul_f64 v[2:3], v[70:71], v[6:7]
	v_fma_f64 v[2:3], v[68:69], v[4:5], -v[2:3]
	v_accvgpr_read_b32 v4, a96
	v_accvgpr_read_b32 v6, a98
	;; [unrolled: 1-line block ×3, first 2 shown]
	v_add_f64 v[0:1], v[0:1], v[2:3]
	v_accvgpr_read_b32 v5, a97
	v_mul_f64 v[2:3], v[66:67], v[6:7]
	v_fma_f64 v[2:3], v[64:65], v[4:5], -v[2:3]
	v_add_f64 v[0:1], v[0:1], v[2:3]
	v_mul_f64 v[2:3], v[122:123], v[14:15]
	v_fma_f64 v[2:3], v[120:121], v[12:13], -v[2:3]
	v_add_f64 v[0:1], v[0:1], v[2:3]
	;; [unrolled: 3-line block ×27, first 2 shown]
	v_accvgpr_read_b32 v2, a100
	v_accvgpr_read_b32 v3, a101
	s_waitcnt vmcnt(0)
	v_add_f64 v[0:1], v[232:233], -v[0:1]
	v_add_f64 v[2:3], v[234:235], -v[2:3]
	scratch_store_dwordx4 off, v[0:3], off offset:16
	s_cbranch_vccz .LBB43_364
; %bb.278:
	global_load_dword v0, v8, s[16:17] offset:168
	s_waitcnt vmcnt(0)
	v_readfirstlane_b32 s0, v0
	s_add_i32 s0, s0, -1
	s_cmp_lg_u32 s0, 42
	s_cbranch_scc0 .LBB43_280
; %bb.279:
	s_lshl_b32 s0, s0, 4
	s_add_i32 s0, s0, 16
	scratch_load_dwordx4 v[0:3], off, s0
	scratch_load_dwordx4 v[4:7], off, s21
	s_waitcnt vmcnt(1)
	scratch_store_dwordx4 off, v[0:3], s21
	s_waitcnt vmcnt(1)
	scratch_store_dwordx4 off, v[4:7], s0
.LBB43_280:
	v_mov_b32_e32 v0, 0
	global_load_dword v1, v0, s[16:17] offset:164
	s_waitcnt vmcnt(0)
	v_readfirstlane_b32 s0, v1
	s_add_i32 s0, s0, -1
	s_cmp_eq_u32 s0, 41
	s_cbranch_scc1 .LBB43_282
; %bb.281:
	s_lshl_b32 s0, s0, 4
	s_add_i32 s0, s0, 16
	scratch_load_dwordx4 v[2:5], off, s0
	scratch_load_dwordx4 v[6:9], off, s15
	s_waitcnt vmcnt(1)
	scratch_store_dwordx4 off, v[2:5], s15
	s_waitcnt vmcnt(1)
	scratch_store_dwordx4 off, v[6:9], s0
.LBB43_282:
	global_load_dword v0, v0, s[16:17] offset:160
	s_waitcnt vmcnt(0)
	v_readfirstlane_b32 s0, v0
	s_add_i32 s0, s0, -1
	s_cmp_eq_u32 s0, 40
	s_cbranch_scc1 .LBB43_284
; %bb.283:
	s_lshl_b32 s0, s0, 4
	s_add_i32 s0, s0, 16
	scratch_load_dwordx4 v[0:3], off, s0
	scratch_load_dwordx4 v[4:7], off, s14
	s_waitcnt vmcnt(1)
	scratch_store_dwordx4 off, v[0:3], s14
	s_waitcnt vmcnt(1)
	scratch_store_dwordx4 off, v[4:7], s0
.LBB43_284:
	v_mov_b32_e32 v0, 0
	global_load_dword v1, v0, s[16:17] offset:156
	s_waitcnt vmcnt(0)
	v_readfirstlane_b32 s0, v1
	s_add_i32 s0, s0, -1
	s_cmp_eq_u32 s0, 39
	s_cbranch_scc1 .LBB43_286
; %bb.285:
	s_lshl_b32 s0, s0, 4
	s_add_i32 s0, s0, 16
	scratch_load_dwordx4 v[2:5], off, s0
	scratch_load_dwordx4 v[6:9], off, s13
	s_waitcnt vmcnt(1)
	scratch_store_dwordx4 off, v[2:5], s13
	s_waitcnt vmcnt(1)
	scratch_store_dwordx4 off, v[6:9], s0
.LBB43_286:
	global_load_dword v0, v0, s[16:17] offset:152
	s_waitcnt vmcnt(0)
	v_readfirstlane_b32 s0, v0
	s_add_i32 s0, s0, -1
	s_cmp_eq_u32 s0, 38
	s_cbranch_scc1 .LBB43_288
; %bb.287:
	s_lshl_b32 s0, s0, 4
	s_add_i32 s0, s0, 16
	scratch_load_dwordx4 v[0:3], off, s0
	scratch_load_dwordx4 v[4:7], off, s56
	s_waitcnt vmcnt(1)
	scratch_store_dwordx4 off, v[0:3], s56
	s_waitcnt vmcnt(1)
	scratch_store_dwordx4 off, v[4:7], s0
.LBB43_288:
	;; [unrolled: 33-line block ×20, first 2 shown]
	v_mov_b32_e32 v0, 0
	global_load_dword v1, v0, s[16:17] offset:4
	s_waitcnt vmcnt(0)
	v_readfirstlane_b32 s0, v1
	s_add_i32 s0, s0, -1
	s_cmp_eq_u32 s0, 1
	s_cbranch_scc1 .LBB43_362
; %bb.361:
	s_lshl_b32 s0, s0, 4
	s_add_i32 s0, s0, 16
	scratch_load_dwordx4 v[2:5], off, s0
	scratch_load_dwordx4 v[6:9], off, s23
	s_waitcnt vmcnt(1)
	scratch_store_dwordx4 off, v[2:5], s23
	s_waitcnt vmcnt(1)
	scratch_store_dwordx4 off, v[6:9], s0
.LBB43_362:
	global_load_dword v0, v0, s[16:17]
	s_waitcnt vmcnt(0)
	v_readfirstlane_b32 s0, v0
	s_add_i32 s0, s0, -1
	s_cmp_eq_u32 s0, 0
	s_cbranch_scc1 .LBB43_364
; %bb.363:
	s_lshl_b32 s0, s0, 4
	s_add_i32 s0, s0, 16
	scratch_load_dwordx4 v[0:3], off, s0
	scratch_load_dwordx4 v[4:7], off, off offset:16
	s_waitcnt vmcnt(1)
	scratch_store_dwordx4 off, v[0:3], off offset:16
	s_waitcnt vmcnt(1)
	scratch_store_dwordx4 off, v[4:7], s0
.LBB43_364:
	scratch_load_dwordx4 v[0:3], off, off offset:16
	s_nop 0
	scratch_load_dwordx4 v[4:7], off, s23
	scratch_load_dwordx4 v[8:11], off, s12
	;; [unrolled: 1-line block ×9, first 2 shown]
                                        ; kill: killed $sgpr23
                                        ; kill: killed $sgpr59
                                        ; kill: killed $sgpr26
                                        ; kill: killed $sgpr24
                                        ; kill: killed $sgpr22
                                        ; kill: killed $sgpr20
                                        ; kill: killed $sgpr58
                                        ; kill: killed $sgpr12
                                        ; kill: killed $sgpr25
	scratch_load_dwordx4 v[40:43], off, s27
	scratch_load_dwordx4 v[44:47], off, s28
	;; [unrolled: 1-line block ×30, first 2 shown]
	v_accvgpr_read_b32 v161, a1
	v_accvgpr_read_b32 v160, a0
	;; [unrolled: 1-line block ×6, first 2 shown]
	s_waitcnt vmcnt(39)
	global_store_dwordx4 v[160:161], v[0:3], off
	scratch_load_dwordx4 v[0:3], off, s13
	s_nop 0
	scratch_load_dwordx4 v[160:163], off, s14
	s_waitcnt vmcnt(41)
	global_store_dwordx4 v[164:165], v[4:7], off
	scratch_load_dwordx4 v[4:7], off, s15
	s_nop 0
	scratch_load_dwordx4 v[164:167], off, s21
	s_waitcnt vmcnt(43)
	global_store_dwordx4 v[168:169], v[8:11], off
	s_nop 1
	v_accvgpr_read_b32 v9, a7
	v_accvgpr_read_b32 v8, a6
	s_waitcnt vmcnt(43)
	global_store_dwordx4 v[8:9], v[12:15], off
	v_accvgpr_read_b32 v8, a8
	v_accvgpr_read_b32 v9, a9
	s_waitcnt vmcnt(43)
	global_store_dwordx4 v[8:9], v[16:19], off
	;; [unrolled: 4-line block ×37, first 2 shown]
	s_nop 1
	v_accvgpr_read_b32 v0, a80
	v_accvgpr_read_b32 v1, a81
	s_waitcnt vmcnt(41)
	global_store_dwordx4 v[0:1], v[160:163], off
	v_accvgpr_read_b32 v0, a82
	v_accvgpr_read_b32 v1, a83
	s_waitcnt vmcnt(40)
	global_store_dwordx4 v[0:1], v[4:7], off
	;; [unrolled: 4-line block ×3, first 2 shown]
	v_accvgpr_read_b32 v0, a86
	v_accvgpr_read_b32 v1, a87
	global_store_dwordx4 v[0:1], v[156:159], off
	s_endpgm
	.section	.rodata,"a",@progbits
	.p2align	6, 0x0
	.amdhsa_kernel _ZN9rocsolver6v33100L18getri_kernel_smallILi44E19rocblas_complex_numIdEPS3_EEvT1_iilPiilS6_bb
		.amdhsa_group_segment_fixed_size 1416
		.amdhsa_private_segment_fixed_size 736
		.amdhsa_kernarg_size 60
		.amdhsa_user_sgpr_count 2
		.amdhsa_user_sgpr_dispatch_ptr 0
		.amdhsa_user_sgpr_queue_ptr 0
		.amdhsa_user_sgpr_kernarg_segment_ptr 1
		.amdhsa_user_sgpr_dispatch_id 0
		.amdhsa_user_sgpr_kernarg_preload_length 0
		.amdhsa_user_sgpr_kernarg_preload_offset 0
		.amdhsa_user_sgpr_private_segment_size 0
		.amdhsa_uses_dynamic_stack 0
		.amdhsa_enable_private_segment 1
		.amdhsa_system_sgpr_workgroup_id_x 1
		.amdhsa_system_sgpr_workgroup_id_y 0
		.amdhsa_system_sgpr_workgroup_id_z 0
		.amdhsa_system_sgpr_workgroup_info 0
		.amdhsa_system_vgpr_workitem_id 0
		.amdhsa_next_free_vgpr 358
		.amdhsa_next_free_sgpr 60
		.amdhsa_accum_offset 256
		.amdhsa_reserve_vcc 1
		.amdhsa_float_round_mode_32 0
		.amdhsa_float_round_mode_16_64 0
		.amdhsa_float_denorm_mode_32 3
		.amdhsa_float_denorm_mode_16_64 3
		.amdhsa_dx10_clamp 1
		.amdhsa_ieee_mode 1
		.amdhsa_fp16_overflow 0
		.amdhsa_tg_split 0
		.amdhsa_exception_fp_ieee_invalid_op 0
		.amdhsa_exception_fp_denorm_src 0
		.amdhsa_exception_fp_ieee_div_zero 0
		.amdhsa_exception_fp_ieee_overflow 0
		.amdhsa_exception_fp_ieee_underflow 0
		.amdhsa_exception_fp_ieee_inexact 0
		.amdhsa_exception_int_div_zero 0
	.end_amdhsa_kernel
	.section	.text._ZN9rocsolver6v33100L18getri_kernel_smallILi44E19rocblas_complex_numIdEPS3_EEvT1_iilPiilS6_bb,"axG",@progbits,_ZN9rocsolver6v33100L18getri_kernel_smallILi44E19rocblas_complex_numIdEPS3_EEvT1_iilPiilS6_bb,comdat
.Lfunc_end43:
	.size	_ZN9rocsolver6v33100L18getri_kernel_smallILi44E19rocblas_complex_numIdEPS3_EEvT1_iilPiilS6_bb, .Lfunc_end43-_ZN9rocsolver6v33100L18getri_kernel_smallILi44E19rocblas_complex_numIdEPS3_EEvT1_iilPiilS6_bb
                                        ; -- End function
	.set _ZN9rocsolver6v33100L18getri_kernel_smallILi44E19rocblas_complex_numIdEPS3_EEvT1_iilPiilS6_bb.num_vgpr, 256
	.set _ZN9rocsolver6v33100L18getri_kernel_smallILi44E19rocblas_complex_numIdEPS3_EEvT1_iilPiilS6_bb.num_agpr, 102
	.set _ZN9rocsolver6v33100L18getri_kernel_smallILi44E19rocblas_complex_numIdEPS3_EEvT1_iilPiilS6_bb.numbered_sgpr, 60
	.set _ZN9rocsolver6v33100L18getri_kernel_smallILi44E19rocblas_complex_numIdEPS3_EEvT1_iilPiilS6_bb.num_named_barrier, 0
	.set _ZN9rocsolver6v33100L18getri_kernel_smallILi44E19rocblas_complex_numIdEPS3_EEvT1_iilPiilS6_bb.private_seg_size, 736
	.set _ZN9rocsolver6v33100L18getri_kernel_smallILi44E19rocblas_complex_numIdEPS3_EEvT1_iilPiilS6_bb.uses_vcc, 1
	.set _ZN9rocsolver6v33100L18getri_kernel_smallILi44E19rocblas_complex_numIdEPS3_EEvT1_iilPiilS6_bb.uses_flat_scratch, 0
	.set _ZN9rocsolver6v33100L18getri_kernel_smallILi44E19rocblas_complex_numIdEPS3_EEvT1_iilPiilS6_bb.has_dyn_sized_stack, 0
	.set _ZN9rocsolver6v33100L18getri_kernel_smallILi44E19rocblas_complex_numIdEPS3_EEvT1_iilPiilS6_bb.has_recursion, 0
	.set _ZN9rocsolver6v33100L18getri_kernel_smallILi44E19rocblas_complex_numIdEPS3_EEvT1_iilPiilS6_bb.has_indirect_call, 0
	.section	.AMDGPU.csdata,"",@progbits
; Kernel info:
; codeLenInByte = 83496
; TotalNumSgprs: 66
; NumVgprs: 256
; NumAgprs: 102
; TotalNumVgprs: 358
; ScratchSize: 736
; MemoryBound: 0
; FloatMode: 240
; IeeeMode: 1
; LDSByteSize: 1416 bytes/workgroup (compile time only)
; SGPRBlocks: 8
; VGPRBlocks: 44
; NumSGPRsForWavesPerEU: 66
; NumVGPRsForWavesPerEU: 358
; AccumOffset: 256
; Occupancy: 1
; WaveLimiterHint : 1
; COMPUTE_PGM_RSRC2:SCRATCH_EN: 1
; COMPUTE_PGM_RSRC2:USER_SGPR: 2
; COMPUTE_PGM_RSRC2:TRAP_HANDLER: 0
; COMPUTE_PGM_RSRC2:TGID_X_EN: 1
; COMPUTE_PGM_RSRC2:TGID_Y_EN: 0
; COMPUTE_PGM_RSRC2:TGID_Z_EN: 0
; COMPUTE_PGM_RSRC2:TIDIG_COMP_CNT: 0
; COMPUTE_PGM_RSRC3_GFX90A:ACCUM_OFFSET: 63
; COMPUTE_PGM_RSRC3_GFX90A:TG_SPLIT: 0
	.section	.text._ZN9rocsolver6v33100L18getri_kernel_smallILi45E19rocblas_complex_numIdEPS3_EEvT1_iilPiilS6_bb,"axG",@progbits,_ZN9rocsolver6v33100L18getri_kernel_smallILi45E19rocblas_complex_numIdEPS3_EEvT1_iilPiilS6_bb,comdat
	.globl	_ZN9rocsolver6v33100L18getri_kernel_smallILi45E19rocblas_complex_numIdEPS3_EEvT1_iilPiilS6_bb ; -- Begin function _ZN9rocsolver6v33100L18getri_kernel_smallILi45E19rocblas_complex_numIdEPS3_EEvT1_iilPiilS6_bb
	.p2align	8
	.type	_ZN9rocsolver6v33100L18getri_kernel_smallILi45E19rocblas_complex_numIdEPS3_EEvT1_iilPiilS6_bb,@function
_ZN9rocsolver6v33100L18getri_kernel_smallILi45E19rocblas_complex_numIdEPS3_EEvT1_iilPiilS6_bb: ; @_ZN9rocsolver6v33100L18getri_kernel_smallILi45E19rocblas_complex_numIdEPS3_EEvT1_iilPiilS6_bb
; %bb.0:
	v_mov_b32_e32 v246, v0
	v_cmp_gt_u32_e32 vcc, 45, v246
	s_and_saveexec_b64 s[4:5], vcc
	s_cbranch_execz .LBB44_194
; %bb.1:
	s_load_dword s8, s[0:1], 0x38
	s_load_dwordx4 s[12:15], s[0:1], 0x10
	s_load_dwordx4 s[4:7], s[0:1], 0x28
                                        ; implicit-def: $sgpr16_sgpr17
	s_waitcnt lgkmcnt(0)
	s_bitcmp1_b32 s8, 8
	s_cselect_b64 s[18:19], -1, 0
	s_ashr_i32 s3, s2, 31
	s_bfe_u32 s8, s8, 0x10008
	s_cmp_eq_u32 s8, 0
	s_cbranch_scc1 .LBB44_3
; %bb.2:
	s_load_dword s8, s[0:1], 0x20
	s_mul_i32 s9, s4, s3
	s_mul_hi_u32 s10, s4, s2
	s_mul_i32 s5, s5, s2
	s_add_i32 s10, s10, s9
	s_add_i32 s5, s10, s5
	s_mul_i32 s4, s4, s2
	s_waitcnt lgkmcnt(0)
	s_ashr_i32 s9, s8, 31
	s_lshl_b64 s[4:5], s[4:5], 2
	s_add_u32 s10, s14, s4
	s_addc_u32 s11, s15, s5
	s_lshl_b64 s[4:5], s[8:9], 2
	s_add_u32 s16, s10, s4
	s_addc_u32 s17, s11, s5
.LBB44_3:
	s_load_dwordx4 s[8:11], s[0:1], 0x0
	s_load_dword s4, s[0:1], 0x38
	s_mul_i32 s5, s12, s3
	s_mul_hi_u32 s14, s12, s2
	s_add_i32 s5, s14, s5
	s_waitcnt lgkmcnt(0)
	s_ashr_i32 s1, s10, 31
	s_mov_b32 s0, s10
	s_mul_i32 s10, s13, s2
	s_add_i32 s13, s5, s10
	s_mul_i32 s12, s12, s2
	s_lshl_b64 s[12:13], s[12:13], 4
	s_add_u32 s5, s8, s12
	s_addc_u32 s8, s9, s13
	s_lshl_b64 s[0:1], s[0:1], 4
	s_add_u32 s0, s5, s0
	s_addc_u32 s1, s8, s1
	v_lshlrev_b32_e32 v62, 4, v246
	v_mov_b32_e32 v63, 0
	s_add_i32 s5, s11, s11
	v_lshl_add_u64 v[0:1], s[0:1], 0, v[62:63]
	v_add_u32_e32 v2, s5, v246
	s_ashr_i32 s9, s11, 31
	s_mov_b32 s8, s11
	v_accvgpr_write_b32 a0, v0
	v_ashrrev_i32_e32 v3, 31, v2
	v_accvgpr_write_b32 a1, v1
	v_lshl_add_u64 v[0:1], s[8:9], 4, v[0:1]
	v_lshl_add_u64 v[4:5], v[2:3], 4, s[0:1]
	v_add_u32_e32 v2, s11, v2
	v_accvgpr_write_b32 a3, v1
	v_ashrrev_i32_e32 v3, 31, v2
	global_load_dwordx4 v[46:49], v62, s[0:1]
	global_load_dwordx4 v[50:53], v[0:1], off
	v_accvgpr_write_b32 a2, v0
	v_lshl_add_u64 v[0:1], v[2:3], 4, s[0:1]
	v_add_u32_e32 v2, s11, v2
	v_accvgpr_write_b32 a4, v4
	v_ashrrev_i32_e32 v3, 31, v2
	v_accvgpr_write_b32 a5, v5
	global_load_dwordx4 v[54:57], v[4:5], off
	global_load_dwordx4 v[58:61], v[0:1], off
	v_lshl_add_u64 v[4:5], v[2:3], 4, s[0:1]
	v_add_u32_e32 v2, s11, v2
	v_accvgpr_write_b32 a7, v1
	v_ashrrev_i32_e32 v3, 31, v2
	v_accvgpr_write_b32 a6, v0
	global_load_dwordx4 v[64:67], v[4:5], off
	v_lshl_add_u64 v[0:1], v[2:3], 4, s[0:1]
	global_load_dwordx4 v[68:71], v[0:1], off
	v_add_u32_e32 v2, s11, v2
	v_add_u32_e32 v6, s11, v2
	;; [unrolled: 1-line block ×3, first 2 shown]
	v_accvgpr_write_b32 a11, v1
	v_ashrrev_i32_e32 v3, 31, v2
	v_ashrrev_i32_e32 v9, 31, v8
	v_add_u32_e32 v14, s11, v8
	v_accvgpr_write_b32 a10, v0
	v_lshl_add_u64 v[0:1], v[2:3], 4, s[0:1]
	v_lshl_add_u64 v[10:11], v[8:9], 4, s[0:1]
	v_add_u32_e32 v16, s11, v14
	v_accvgpr_write_b32 a9, v5
	v_ashrrev_i32_e32 v7, 31, v6
	v_accvgpr_write_b32 a13, v1
	v_accvgpr_write_b32 a17, v11
	v_ashrrev_i32_e32 v17, 31, v16
	v_add_u32_e32 v22, s11, v16
	v_accvgpr_write_b32 a8, v4
	v_accvgpr_write_b32 a12, v0
	global_load_dwordx4 v[2:5], v[0:1], off
	v_accvgpr_write_b32 a16, v10
	global_load_dwordx4 v[10:13], v[10:11], off
	v_lshl_add_u64 v[0:1], v[6:7], 4, s[0:1]
	v_lshl_add_u64 v[18:19], v[16:17], 4, s[0:1]
	v_add_u32_e32 v24, s11, v22
	v_ashrrev_i32_e32 v15, 31, v14
	v_accvgpr_write_b32 a15, v1
	v_accvgpr_write_b32 a21, v19
	v_ashrrev_i32_e32 v25, 31, v24
	v_add_u32_e32 v30, s11, v24
	v_accvgpr_write_b32 a14, v0
	global_load_dwordx4 v[6:9], v[0:1], off
	v_accvgpr_write_b32 a20, v18
	global_load_dwordx4 v[18:21], v[18:19], off
	v_lshl_add_u64 v[0:1], v[14:15], 4, s[0:1]
	v_lshl_add_u64 v[26:27], v[24:25], 4, s[0:1]
	v_add_u32_e32 v32, s11, v30
	v_ashrrev_i32_e32 v23, 31, v22
	v_accvgpr_write_b32 a19, v1
	v_accvgpr_write_b32 a24, v26
	v_ashrrev_i32_e32 v33, 31, v32
	v_add_u32_e32 v38, s11, v32
	v_accvgpr_write_b32 a18, v0
	global_load_dwordx4 v[14:17], v[0:1], off
	v_accvgpr_write_b32 a25, v27
	global_load_dwordx4 v[26:29], v[26:27], off
	v_lshl_add_u64 v[0:1], v[22:23], 4, s[0:1]
	v_lshl_add_u64 v[34:35], v[32:33], 4, s[0:1]
	v_add_u32_e32 v40, s11, v38
	v_ashrrev_i32_e32 v31, 31, v30
	v_accvgpr_write_b32 a23, v1
	v_accvgpr_write_b32 a28, v34
	v_ashrrev_i32_e32 v41, 31, v40
	v_accvgpr_write_b32 a22, v0
	global_load_dwordx4 v[22:25], v[0:1], off
	v_accvgpr_write_b32 a29, v35
	global_load_dwordx4 v[34:37], v[34:35], off
	v_lshl_add_u64 v[0:1], v[30:31], 4, s[0:1]
	v_lshl_add_u64 v[42:43], v[40:41], 4, s[0:1]
	v_ashrrev_i32_e32 v39, 31, v38
	v_accvgpr_write_b32 a27, v1
	v_add_u32_e32 v72, s11, v40
	v_accvgpr_write_b32 a32, v42
	v_accvgpr_write_b32 a26, v0
	global_load_dwordx4 v[30:33], v[0:1], off
	v_add_u32_e32 v74, s11, v72
	v_accvgpr_write_b32 a33, v43
	global_load_dwordx4 v[42:45], v[42:43], off
	v_lshl_add_u64 v[0:1], v[38:39], 4, s[0:1]
	global_load_dwordx4 v[38:41], v[0:1], off
	s_waitcnt vmcnt(16)
	scratch_store_dwordx4 off, v[46:49], off offset:16
	s_waitcnt vmcnt(16)
	scratch_store_dwordx4 off, v[50:53], off offset:32
	;; [unrolled: 2-line block ×6, first 2 shown]
	v_add_u32_e32 v54, s11, v74
	v_ashrrev_i32_e32 v73, 31, v72
	v_accvgpr_write_b32 a31, v1
	v_ashrrev_i32_e32 v75, 31, v74
	v_add_u32_e32 v64, s11, v54
	v_accvgpr_write_b32 a30, v0
	v_lshl_add_u64 v[0:1], v[72:73], 4, s[0:1]
	v_lshl_add_u64 v[72:73], v[74:75], 4, s[0:1]
	v_ashrrev_i32_e32 v65, 31, v64
	v_accvgpr_write_b32 a36, v72
	v_lshl_add_u64 v[58:59], v[64:65], 4, s[0:1]
	v_add_u32_e32 v64, s11, v64
	v_accvgpr_write_b32 a37, v73
	global_load_dwordx4 v[50:53], v[72:73], off
	v_add_u32_e32 v72, s11, v64
	v_ashrrev_i32_e32 v73, 31, v72
	v_lshl_add_u64 v[68:69], v[72:73], 4, s[0:1]
	v_add_u32_e32 v72, s11, v72
	v_add_u32_e32 v80, s11, v72
	v_ashrrev_i32_e32 v81, 31, v80
	v_lshl_add_u64 v[76:77], v[80:81], 4, s[0:1]
	v_add_u32_e32 v80, s11, v80
	v_add_u32_e32 v88, s11, v80
	v_ashrrev_i32_e32 v89, 31, v88
	v_lshl_add_u64 v[84:85], v[88:89], 4, s[0:1]
	v_add_u32_e32 v88, s11, v88
	v_add_u32_e32 v96, s11, v88
	v_ashrrev_i32_e32 v97, 31, v96
	v_accvgpr_write_b32 a35, v1
	v_ashrrev_i32_e32 v55, 31, v54
	v_accvgpr_write_b32 a40, v58
	v_lshl_add_u64 v[92:93], v[96:97], 4, s[0:1]
	v_add_u32_e32 v96, s11, v96
	v_accvgpr_write_b32 a34, v0
	global_load_dwordx4 v[46:49], v[0:1], off
	v_accvgpr_write_b32 a41, v59
	global_load_dwordx4 v[58:61], v[58:59], off
	v_lshl_add_u64 v[0:1], v[54:55], 4, s[0:1]
	v_add_u32_e32 v104, s11, v96
	v_accvgpr_write_b32 a39, v1
	v_ashrrev_i32_e32 v65, 31, v64
	v_accvgpr_write_b32 a44, v68
	v_ashrrev_i32_e32 v105, 31, v104
	v_accvgpr_write_b32 a38, v0
	global_load_dwordx4 v[54:57], v[0:1], off
	v_accvgpr_write_b32 a45, v69
	global_load_dwordx4 v[68:71], v[68:69], off
	v_lshl_add_u64 v[0:1], v[64:65], 4, s[0:1]
	v_lshl_add_u64 v[100:101], v[104:105], 4, s[0:1]
	v_add_u32_e32 v104, s11, v104
	v_accvgpr_write_b32 a43, v1
	v_ashrrev_i32_e32 v73, 31, v72
	v_accvgpr_write_b32 a48, v76
	v_add_u32_e32 v112, s11, v104
	v_accvgpr_write_b32 a42, v0
	global_load_dwordx4 v[64:67], v[0:1], off
	v_accvgpr_write_b32 a49, v77
	global_load_dwordx4 v[76:79], v[76:77], off
	v_lshl_add_u64 v[0:1], v[72:73], 4, s[0:1]
	v_ashrrev_i32_e32 v113, 31, v112
	v_accvgpr_write_b32 a47, v1
	v_ashrrev_i32_e32 v81, 31, v80
	v_accvgpr_write_b32 a52, v84
	v_lshl_add_u64 v[108:109], v[112:113], 4, s[0:1]
	v_add_u32_e32 v112, s11, v112
	v_accvgpr_write_b32 a46, v0
	global_load_dwordx4 v[72:75], v[0:1], off
	v_accvgpr_write_b32 a53, v85
	global_load_dwordx4 v[84:87], v[84:85], off
	v_lshl_add_u64 v[0:1], v[80:81], 4, s[0:1]
	v_add_u32_e32 v120, s11, v112
	v_accvgpr_write_b32 a51, v1
	v_ashrrev_i32_e32 v89, 31, v88
	v_accvgpr_write_b32 a56, v92
	v_ashrrev_i32_e32 v121, 31, v120
	v_accvgpr_write_b32 a50, v0
	global_load_dwordx4 v[80:83], v[0:1], off
	v_accvgpr_write_b32 a57, v93
	global_load_dwordx4 v[92:95], v[92:93], off
	v_lshl_add_u64 v[0:1], v[88:89], 4, s[0:1]
	v_lshl_add_u64 v[116:117], v[120:121], 4, s[0:1]
	v_add_u32_e32 v120, s11, v120
	v_accvgpr_write_b32 a55, v1
	v_ashrrev_i32_e32 v97, 31, v96
	v_accvgpr_write_b32 a60, v100
	v_add_u32_e32 v128, s11, v120
	v_accvgpr_write_b32 a54, v0
	global_load_dwordx4 v[88:91], v[0:1], off
	v_accvgpr_write_b32 a61, v101
	global_load_dwordx4 v[100:103], v[100:101], off
	v_lshl_add_u64 v[0:1], v[96:97], 4, s[0:1]
	;; [unrolled: 32-line block ×3, first 2 shown]
	v_ashrrev_i32_e32 v145, 31, v144
	v_accvgpr_write_b32 a71, v1
	v_ashrrev_i32_e32 v129, 31, v128
	v_accvgpr_write_b32 a76, v132
	v_lshl_add_u64 v[140:141], v[144:145], 4, s[0:1]
	v_add_u32_e32 v144, s11, v144
	v_accvgpr_write_b32 a70, v0
	global_load_dwordx4 v[120:123], v[0:1], off
	v_accvgpr_write_b32 a77, v133
	global_load_dwordx4 v[132:135], v[132:133], off
	v_lshl_add_u64 v[0:1], v[128:129], 4, s[0:1]
	v_add_u32_e32 v152, s11, v144
	v_accvgpr_write_b32 a75, v1
	v_ashrrev_i32_e32 v137, 31, v136
	v_accvgpr_write_b32 a80, v140
	v_ashrrev_i32_e32 v153, 31, v152
	v_accvgpr_write_b32 a74, v0
	global_load_dwordx4 v[128:131], v[0:1], off
	v_accvgpr_write_b32 a81, v141
	global_load_dwordx4 v[140:143], v[140:141], off
	v_lshl_add_u64 v[0:1], v[136:137], 4, s[0:1]
	v_lshl_add_u64 v[148:149], v[152:153], 4, s[0:1]
	v_accvgpr_write_b32 a79, v1
	v_ashrrev_i32_e32 v145, 31, v144
	v_accvgpr_write_b32 a84, v148
	v_accvgpr_write_b32 a78, v0
	global_load_dwordx4 v[136:139], v[0:1], off
	v_accvgpr_write_b32 a85, v149
	global_load_dwordx4 v[148:151], v[148:149], off
	v_lshl_add_u64 v[0:1], v[144:145], 4, s[0:1]
	v_add_u32_e32 v152, s11, v152
	v_accvgpr_write_b32 a83, v1
	v_ashrrev_i32_e32 v153, 31, v152
	v_accvgpr_write_b32 a82, v0
	global_load_dwordx4 v[144:147], v[0:1], off
	v_lshl_add_u64 v[0:1], v[152:153], 4, s[0:1]
	v_add_u32_e32 v152, s11, v152
	v_ashrrev_i32_e32 v153, 31, v152
	v_lshl_add_u64 v[156:157], v[152:153], 4, s[0:1]
	global_load_dwordx4 v[152:155], v[0:1], off
	v_accvgpr_write_b32 a88, v156
	v_accvgpr_write_b32 a89, v157
	global_load_dwordx4 v[156:159], v[156:157], off
	s_movk_i32 s0, 0x50
	s_add_i32 s22, s0, 16
	s_movk_i32 s0, 0x60
	s_add_i32 s59, s0, 16
	;; [unrolled: 2-line block ×39, first 2 shown]
	s_movk_i32 s0, 0x2c0
	v_accvgpr_write_b32 a87, v1
	s_add_i32 s21, s0, 16
	v_accvgpr_write_b32 a86, v0
	s_mov_b32 s15, 32
	s_mov_b32 s12, 48
	;; [unrolled: 1-line block ×3, first 2 shown]
	s_movk_i32 s14, 0x50
	s_bitcmp0_b32 s4, 0
	s_mov_b64 s[4:5], -1
	s_waitcnt vmcnt(44)
	scratch_store_dwordx4 off, v[2:5], off offset:112
	s_waitcnt vmcnt(43)
	scratch_store_dwordx4 off, v[6:9], off offset:128
	scratch_store_dwordx4 off, v[10:13], off offset:144
	s_waitcnt vmcnt(43)
	scratch_store_dwordx4 off, v[14:17], off offset:160
	;; [unrolled: 3-line block ×19, first 2 shown]
	s_waitcnt vmcnt(38)
	scratch_store_dwordx4 off, v[156:159], off offset:720
	s_cbranch_scc1 .LBB44_192
; %bb.4:
	v_cmp_eq_u32_e64 s[0:1], 0, v246
	s_and_saveexec_b64 s[4:5], s[0:1]
; %bb.5:
	v_mov_b32_e32 v0, 0
	ds_write_b32 v0, v0 offset:1440
; %bb.6:
	s_or_b64 exec, exec, s[4:5]
	s_waitcnt lgkmcnt(0)
	; wave barrier
	scratch_load_dwordx4 v[2:5], v62, off offset:16
	s_waitcnt vmcnt(0)
	v_cmp_eq_f64_e32 vcc, 0, v[2:3]
	v_cmp_eq_f64_e64 s[4:5], 0, v[4:5]
	s_and_b64 s[4:5], vcc, s[4:5]
	s_and_saveexec_b64 s[8:9], s[4:5]
	s_cbranch_execz .LBB44_10
; %bb.7:
	v_mov_b32_e32 v1, 0
	ds_read_b32 v0, v1 offset:1440
	v_add_u32_e32 v2, 1, v246
	s_waitcnt lgkmcnt(0)
	v_readfirstlane_b32 s4, v0
	s_cmp_eq_u32 s4, 0
	s_cselect_b64 s[10:11], -1, 0
	v_cmp_gt_i32_e32 vcc, s4, v2
	s_or_b64 s[10:11], s[10:11], vcc
	s_and_b64 exec, exec, s[10:11]
	s_cbranch_execz .LBB44_10
; %bb.8:
	s_mov_b64 s[10:11], 0
	v_mov_b32_e32 v3, s4
.LBB44_9:                               ; =>This Inner Loop Header: Depth=1
	ds_cmpst_rtn_b32 v3, v1, v3, v2 offset:1440
	s_waitcnt lgkmcnt(0)
	v_cmp_ne_u32_e32 vcc, 0, v3
	v_cmp_le_i32_e64 s[4:5], v3, v2
	s_and_b64 s[4:5], vcc, s[4:5]
	s_and_b64 s[4:5], exec, s[4:5]
	s_or_b64 s[10:11], s[4:5], s[10:11]
	s_andn2_b64 exec, exec, s[10:11]
	s_cbranch_execnz .LBB44_9
.LBB44_10:
	s_or_b64 exec, exec, s[8:9]
	v_mov_b32_e32 v2, 0
	; wave barrier
	ds_read_b32 v1, v2 offset:1440
	s_and_saveexec_b64 s[4:5], s[0:1]
	s_cbranch_execz .LBB44_12
; %bb.11:
	s_lshl_b64 s[8:9], s[2:3], 2
	s_add_u32 s8, s6, s8
	s_addc_u32 s9, s7, s9
	s_waitcnt lgkmcnt(0)
	global_store_dword v2, v1, s[8:9]
.LBB44_12:
	s_or_b64 exec, exec, s[4:5]
	s_waitcnt lgkmcnt(0)
	v_cmp_ne_u32_e32 vcc, 0, v1
	s_mov_b64 s[4:5], 0
	s_cbranch_vccnz .LBB44_192
; %bb.13:
	v_add_u32_e32 v14, 16, v62
	scratch_load_dwordx4 v[2:5], v14, off
                                        ; implicit-def: $vgpr6_vgpr7
                                        ; implicit-def: $vgpr10_vgpr11
	s_waitcnt vmcnt(0)
	v_cmp_ngt_f64_e64 s[4:5], |v[2:3]|, |v[4:5]|
	s_and_saveexec_b64 s[8:9], s[4:5]
	s_xor_b64 s[4:5], exec, s[8:9]
	s_cbranch_execz .LBB44_15
; %bb.14:
	v_div_scale_f64 v[6:7], s[8:9], v[4:5], v[4:5], v[2:3]
	v_rcp_f64_e32 v[8:9], v[6:7]
	v_div_scale_f64 v[10:11], vcc, v[2:3], v[4:5], v[2:3]
	v_fma_f64 v[12:13], -v[6:7], v[8:9], 1.0
	v_fmac_f64_e32 v[8:9], v[8:9], v[12:13]
	v_fma_f64 v[12:13], -v[6:7], v[8:9], 1.0
	v_fmac_f64_e32 v[8:9], v[8:9], v[12:13]
	v_mul_f64 v[12:13], v[10:11], v[8:9]
	v_fma_f64 v[6:7], -v[6:7], v[12:13], v[10:11]
	v_div_fmas_f64 v[6:7], v[6:7], v[8:9], v[12:13]
	v_div_fixup_f64 v[6:7], v[6:7], v[4:5], v[2:3]
	v_fmac_f64_e32 v[4:5], v[2:3], v[6:7]
	v_div_scale_f64 v[2:3], s[8:9], v[4:5], v[4:5], 1.0
	v_rcp_f64_e32 v[8:9], v[2:3]
	s_nop 0
	v_fma_f64 v[10:11], -v[2:3], v[8:9], 1.0
	v_fmac_f64_e32 v[8:9], v[8:9], v[10:11]
	v_fma_f64 v[10:11], -v[2:3], v[8:9], 1.0
	v_fmac_f64_e32 v[8:9], v[8:9], v[10:11]
	v_div_scale_f64 v[10:11], vcc, 1.0, v[4:5], 1.0
	v_mul_f64 v[12:13], v[10:11], v[8:9]
	v_fma_f64 v[2:3], -v[2:3], v[12:13], v[10:11]
	s_nop 1
	v_div_fmas_f64 v[2:3], v[2:3], v[8:9], v[12:13]
	v_div_fixup_f64 v[8:9], v[2:3], v[4:5], 1.0
	v_mul_f64 v[6:7], v[6:7], v[8:9]
	v_xor_b32_e32 v9, 0x80000000, v9
	v_xor_b32_e32 v11, 0x80000000, v7
	v_mov_b32_e32 v10, v6
                                        ; implicit-def: $vgpr2_vgpr3
.LBB44_15:
	s_andn2_saveexec_b64 s[4:5], s[4:5]
	s_cbranch_execz .LBB44_17
; %bb.16:
	v_div_scale_f64 v[6:7], s[8:9], v[2:3], v[2:3], v[4:5]
	v_rcp_f64_e32 v[8:9], v[6:7]
	v_div_scale_f64 v[10:11], vcc, v[4:5], v[2:3], v[4:5]
	v_fma_f64 v[12:13], -v[6:7], v[8:9], 1.0
	v_fmac_f64_e32 v[8:9], v[8:9], v[12:13]
	v_fma_f64 v[12:13], -v[6:7], v[8:9], 1.0
	v_fmac_f64_e32 v[8:9], v[8:9], v[12:13]
	v_mul_f64 v[12:13], v[10:11], v[8:9]
	v_fma_f64 v[6:7], -v[6:7], v[12:13], v[10:11]
	v_div_fmas_f64 v[6:7], v[6:7], v[8:9], v[12:13]
	v_div_fixup_f64 v[8:9], v[6:7], v[2:3], v[4:5]
	v_fmac_f64_e32 v[2:3], v[4:5], v[8:9]
	v_div_scale_f64 v[4:5], s[8:9], v[2:3], v[2:3], 1.0
	v_rcp_f64_e32 v[6:7], v[4:5]
	s_nop 0
	v_fma_f64 v[10:11], -v[4:5], v[6:7], 1.0
	v_fmac_f64_e32 v[6:7], v[6:7], v[10:11]
	v_fma_f64 v[10:11], -v[4:5], v[6:7], 1.0
	v_fmac_f64_e32 v[6:7], v[6:7], v[10:11]
	v_div_scale_f64 v[10:11], vcc, 1.0, v[2:3], 1.0
	v_mul_f64 v[12:13], v[10:11], v[6:7]
	v_fma_f64 v[4:5], -v[4:5], v[12:13], v[10:11]
	s_nop 1
	v_div_fmas_f64 v[4:5], v[4:5], v[6:7], v[12:13]
	v_div_fixup_f64 v[6:7], v[4:5], v[2:3], 1.0
	v_xor_b32_e32 v11, 0x80000000, v7
	v_mov_b32_e32 v10, v6
	v_mul_f64 v[8:9], v[8:9], -v[6:7]
.LBB44_17:
	s_or_b64 exec, exec, s[4:5]
	scratch_store_dwordx4 v14, v[6:9], off
	scratch_load_dwordx4 v[2:5], off, s15
	v_xor_b32_e32 v13, 0x80000000, v9
	v_mov_b32_e32 v12, v8
	v_add_u32_e32 v1, 0x2d0, v62
	ds_write_b128 v62, v[10:13]
	s_waitcnt vmcnt(0)
	ds_write_b128 v62, v[2:5] offset:720
	s_waitcnt lgkmcnt(0)
	; wave barrier
	s_and_saveexec_b64 s[4:5], s[0:1]
	s_cbranch_execz .LBB44_19
; %bb.18:
	scratch_load_dwordx4 v[2:5], v14, off
	ds_read_b128 v[6:9], v1
	v_mov_b32_e32 v0, 0
	ds_read_b128 v[10:13], v0 offset:16
	s_waitcnt vmcnt(0) lgkmcnt(1)
	v_mul_f64 v[16:17], v[8:9], v[4:5]
	v_mul_f64 v[4:5], v[6:7], v[4:5]
	v_fma_f64 v[6:7], v[6:7], v[2:3], -v[16:17]
	v_fmac_f64_e32 v[4:5], v[8:9], v[2:3]
	v_add_f64 v[2:3], v[6:7], 0
	v_add_f64 v[6:7], v[4:5], 0
	s_waitcnt lgkmcnt(0)
	v_mul_f64 v[8:9], v[6:7], v[12:13]
	v_mul_f64 v[4:5], v[2:3], v[12:13]
	v_fma_f64 v[2:3], v[2:3], v[10:11], -v[8:9]
	v_fmac_f64_e32 v[4:5], v[6:7], v[10:11]
	scratch_store_dwordx4 off, v[2:5], off offset:32
.LBB44_19:
	s_or_b64 exec, exec, s[4:5]
	; wave barrier
	scratch_load_dwordx4 v[2:5], off, s12
	v_cmp_gt_u32_e32 vcc, 2, v246
	s_waitcnt vmcnt(0)
	ds_write_b128 v1, v[2:5]
	s_waitcnt lgkmcnt(0)
	; wave barrier
	s_and_saveexec_b64 s[4:5], vcc
	s_cbranch_execz .LBB44_23
; %bb.20:
	scratch_load_dwordx4 v[2:5], v14, off
	ds_read_b128 v[6:9], v1
	s_waitcnt vmcnt(0) lgkmcnt(0)
	v_mul_f64 v[10:11], v[8:9], v[4:5]
	v_mul_f64 v[12:13], v[6:7], v[4:5]
	v_fma_f64 v[4:5], v[6:7], v[2:3], -v[10:11]
	v_fmac_f64_e32 v[12:13], v[8:9], v[2:3]
	v_add_f64 v[4:5], v[4:5], 0
	v_add_f64 v[2:3], v[12:13], 0
	s_and_saveexec_b64 s[8:9], s[0:1]
	s_cbranch_execz .LBB44_22
; %bb.21:
	scratch_load_dwordx4 v[6:9], off, off offset:32
	v_mov_b32_e32 v0, 0
	ds_read_b128 v[10:13], v0 offset:736
	s_waitcnt vmcnt(0) lgkmcnt(0)
	v_mul_f64 v[14:15], v[10:11], v[8:9]
	v_mul_f64 v[8:9], v[12:13], v[8:9]
	v_fmac_f64_e32 v[14:15], v[12:13], v[6:7]
	v_fma_f64 v[6:7], v[10:11], v[6:7], -v[8:9]
	v_add_f64 v[2:3], v[2:3], v[14:15]
	v_add_f64 v[4:5], v[4:5], v[6:7]
.LBB44_22:
	s_or_b64 exec, exec, s[8:9]
	v_mov_b32_e32 v0, 0
	ds_read_b128 v[6:9], v0 offset:32
	s_waitcnt lgkmcnt(0)
	v_mul_f64 v[12:13], v[2:3], v[8:9]
	v_mul_f64 v[10:11], v[4:5], v[8:9]
	v_fma_f64 v[8:9], v[4:5], v[6:7], -v[12:13]
	v_fmac_f64_e32 v[10:11], v[2:3], v[6:7]
	scratch_store_dwordx4 off, v[8:11], off offset:48
.LBB44_23:
	s_or_b64 exec, exec, s[4:5]
	; wave barrier
	scratch_load_dwordx4 v[2:5], off, s13
	v_cmp_gt_u32_e32 vcc, 3, v246
	v_add_u32_e32 v6, -1, v246
	s_waitcnt vmcnt(0)
	ds_write_b128 v1, v[2:5]
	s_waitcnt lgkmcnt(0)
	; wave barrier
	s_and_saveexec_b64 s[0:1], vcc
	s_cbranch_execz .LBB44_27
; %bb.24:
	v_add_u32_e32 v7, -1, v246
	v_add_u32_e32 v8, 0x2d0, v62
	v_add_u32_e32 v9, 16, v62
	v_mov_b64_e32 v[2:3], 0
	s_mov_b64 s[4:5], 0
	v_mov_b64_e32 v[4:5], 0
.LBB44_25:                              ; =>This Inner Loop Header: Depth=1
	scratch_load_dwordx4 v[10:13], v9, off
	ds_read_b128 v[14:17], v8
	v_add_u32_e32 v7, 1, v7
	v_cmp_lt_u32_e32 vcc, 1, v7
	v_add_u32_e32 v8, 16, v8
	v_add_u32_e32 v9, 16, v9
	s_or_b64 s[4:5], vcc, s[4:5]
	s_waitcnt vmcnt(0) lgkmcnt(0)
	v_mul_f64 v[18:19], v[16:17], v[12:13]
	v_mul_f64 v[12:13], v[14:15], v[12:13]
	v_fma_f64 v[14:15], v[14:15], v[10:11], -v[18:19]
	v_fmac_f64_e32 v[12:13], v[16:17], v[10:11]
	v_add_f64 v[4:5], v[4:5], v[14:15]
	v_add_f64 v[2:3], v[2:3], v[12:13]
	s_andn2_b64 exec, exec, s[4:5]
	s_cbranch_execnz .LBB44_25
; %bb.26:
	s_or_b64 exec, exec, s[4:5]
	v_mov_b32_e32 v0, 0
	ds_read_b128 v[8:11], v0 offset:48
	s_waitcnt lgkmcnt(0)
	v_mul_f64 v[14:15], v[2:3], v[10:11]
	v_mul_f64 v[12:13], v[4:5], v[10:11]
	v_fma_f64 v[10:11], v[4:5], v[8:9], -v[14:15]
	v_fmac_f64_e32 v[12:13], v[2:3], v[8:9]
	scratch_store_dwordx4 off, v[10:13], off offset:64
.LBB44_27:
	s_or_b64 exec, exec, s[0:1]
	; wave barrier
	scratch_load_dwordx4 v[2:5], off, s14
	v_cmp_gt_u32_e32 vcc, 4, v246
	s_waitcnt vmcnt(0)
	ds_write_b128 v1, v[2:5]
	s_waitcnt lgkmcnt(0)
	; wave barrier
	s_and_saveexec_b64 s[0:1], vcc
	s_cbranch_execz .LBB44_31
; %bb.28:
	v_add_u32_e32 v7, -1, v246
	v_add_u32_e32 v8, 0x2d0, v62
	v_add_u32_e32 v9, 16, v62
	v_mov_b64_e32 v[2:3], 0
	s_mov_b64 s[4:5], 0
	v_mov_b64_e32 v[4:5], 0
.LBB44_29:                              ; =>This Inner Loop Header: Depth=1
	scratch_load_dwordx4 v[10:13], v9, off
	ds_read_b128 v[14:17], v8
	v_add_u32_e32 v7, 1, v7
	v_cmp_lt_u32_e32 vcc, 2, v7
	v_add_u32_e32 v8, 16, v8
	v_add_u32_e32 v9, 16, v9
	s_or_b64 s[4:5], vcc, s[4:5]
	s_waitcnt vmcnt(0) lgkmcnt(0)
	v_mul_f64 v[18:19], v[16:17], v[12:13]
	v_mul_f64 v[12:13], v[14:15], v[12:13]
	v_fma_f64 v[14:15], v[14:15], v[10:11], -v[18:19]
	v_fmac_f64_e32 v[12:13], v[16:17], v[10:11]
	v_add_f64 v[4:5], v[4:5], v[14:15]
	v_add_f64 v[2:3], v[2:3], v[12:13]
	s_andn2_b64 exec, exec, s[4:5]
	s_cbranch_execnz .LBB44_29
; %bb.30:
	s_or_b64 exec, exec, s[4:5]
	v_mov_b32_e32 v0, 0
	ds_read_b128 v[8:11], v0 offset:64
	s_waitcnt lgkmcnt(0)
	v_mul_f64 v[14:15], v[2:3], v[10:11]
	v_mul_f64 v[12:13], v[4:5], v[10:11]
	v_fma_f64 v[10:11], v[4:5], v[8:9], -v[14:15]
	v_fmac_f64_e32 v[12:13], v[2:3], v[8:9]
	scratch_store_dwordx4 off, v[10:13], off offset:80
.LBB44_31:
	s_or_b64 exec, exec, s[0:1]
	; wave barrier
	scratch_load_dwordx4 v[2:5], off, s22
	v_cmp_gt_u32_e32 vcc, 5, v246
	;; [unrolled: 45-line block ×19, first 2 shown]
	s_waitcnt vmcnt(0)
	ds_write_b128 v1, v[2:5]
	s_waitcnt lgkmcnt(0)
	; wave barrier
	s_and_saveexec_b64 s[0:1], vcc
	s_cbranch_execz .LBB44_103
; %bb.100:
	v_add_u32_e32 v7, -1, v246
	v_add_u32_e32 v8, 0x2d0, v62
	v_add_u32_e32 v9, 16, v62
	v_mov_b64_e32 v[2:3], 0
	s_mov_b64 s[4:5], 0
	v_mov_b64_e32 v[4:5], 0
.LBB44_101:                             ; =>This Inner Loop Header: Depth=1
	scratch_load_dwordx4 v[10:13], v9, off
	ds_read_b128 v[14:17], v8
	v_add_u32_e32 v7, 1, v7
	v_cmp_lt_u32_e32 vcc, 20, v7
	v_add_u32_e32 v8, 16, v8
	v_add_u32_e32 v9, 16, v9
	s_or_b64 s[4:5], vcc, s[4:5]
	s_waitcnt vmcnt(0) lgkmcnt(0)
	v_mul_f64 v[18:19], v[16:17], v[12:13]
	v_mul_f64 v[12:13], v[14:15], v[12:13]
	v_fma_f64 v[14:15], v[14:15], v[10:11], -v[18:19]
	v_fmac_f64_e32 v[12:13], v[16:17], v[10:11]
	v_add_f64 v[4:5], v[4:5], v[14:15]
	v_add_f64 v[2:3], v[2:3], v[12:13]
	s_andn2_b64 exec, exec, s[4:5]
	s_cbranch_execnz .LBB44_101
; %bb.102:
	s_or_b64 exec, exec, s[4:5]
	v_mov_b32_e32 v0, 0
	ds_read_b128 v[8:11], v0 offset:352
	s_waitcnt lgkmcnt(0)
	v_mul_f64 v[14:15], v[2:3], v[10:11]
	v_mul_f64 v[12:13], v[4:5], v[10:11]
	v_fma_f64 v[10:11], v[4:5], v[8:9], -v[14:15]
	v_fmac_f64_e32 v[12:13], v[2:3], v[8:9]
	scratch_store_dwordx4 off, v[10:13], off offset:368
.LBB44_103:
	s_or_b64 exec, exec, s[0:1]
	; wave barrier
	scratch_load_dwordx4 v[2:5], off, s43
	v_cmp_gt_u32_e32 vcc, 23, v246
	s_waitcnt vmcnt(0)
	ds_write_b128 v1, v[2:5]
	s_waitcnt lgkmcnt(0)
	; wave barrier
	s_and_saveexec_b64 s[0:1], vcc
	s_cbranch_execz .LBB44_107
; %bb.104:
	v_add_u32_e32 v7, -1, v246
	v_add_u32_e32 v8, 0x2d0, v62
	v_add_u32_e32 v9, 16, v62
	v_mov_b64_e32 v[2:3], 0
	s_mov_b64 s[4:5], 0
	v_mov_b64_e32 v[4:5], 0
.LBB44_105:                             ; =>This Inner Loop Header: Depth=1
	scratch_load_dwordx4 v[10:13], v9, off
	ds_read_b128 v[14:17], v8
	v_add_u32_e32 v7, 1, v7
	v_cmp_lt_u32_e32 vcc, 21, v7
	v_add_u32_e32 v8, 16, v8
	v_add_u32_e32 v9, 16, v9
	s_or_b64 s[4:5], vcc, s[4:5]
	s_waitcnt vmcnt(0) lgkmcnt(0)
	v_mul_f64 v[18:19], v[16:17], v[12:13]
	v_mul_f64 v[12:13], v[14:15], v[12:13]
	v_fma_f64 v[14:15], v[14:15], v[10:11], -v[18:19]
	v_fmac_f64_e32 v[12:13], v[16:17], v[10:11]
	v_add_f64 v[4:5], v[4:5], v[14:15]
	v_add_f64 v[2:3], v[2:3], v[12:13]
	s_andn2_b64 exec, exec, s[4:5]
	s_cbranch_execnz .LBB44_105
; %bb.106:
	s_or_b64 exec, exec, s[4:5]
	v_mov_b32_e32 v0, 0
	ds_read_b128 v[8:11], v0 offset:368
	s_waitcnt lgkmcnt(0)
	v_mul_f64 v[14:15], v[2:3], v[10:11]
	v_mul_f64 v[12:13], v[4:5], v[10:11]
	v_fma_f64 v[10:11], v[4:5], v[8:9], -v[14:15]
	v_fmac_f64_e32 v[12:13], v[2:3], v[8:9]
	scratch_store_dwordx4 off, v[10:13], off offset:384
.LBB44_107:
	s_or_b64 exec, exec, s[0:1]
	; wave barrier
	scratch_load_dwordx4 v[2:5], off, s44
	v_cmp_gt_u32_e32 vcc, 24, v246
	;; [unrolled: 45-line block ×21, first 2 shown]
	s_waitcnt vmcnt(0)
	ds_write_b128 v1, v[2:5]
	s_waitcnt lgkmcnt(0)
	; wave barrier
	s_and_saveexec_b64 s[0:1], vcc
	s_cbranch_execz .LBB44_187
; %bb.184:
	v_add_u32_e32 v7, -1, v246
	v_add_u32_e32 v8, 0x2d0, v62
	v_add_u32_e32 v9, 16, v62
	v_mov_b64_e32 v[2:3], 0
	s_mov_b64 s[4:5], 0
	v_mov_b64_e32 v[4:5], 0
.LBB44_185:                             ; =>This Inner Loop Header: Depth=1
	scratch_load_dwordx4 v[10:13], v9, off
	ds_read_b128 v[14:17], v8
	v_add_u32_e32 v7, 1, v7
	v_cmp_lt_u32_e32 vcc, 41, v7
	v_add_u32_e32 v8, 16, v8
	v_add_u32_e32 v9, 16, v9
	s_or_b64 s[4:5], vcc, s[4:5]
	s_waitcnt vmcnt(0) lgkmcnt(0)
	v_mul_f64 v[18:19], v[16:17], v[12:13]
	v_mul_f64 v[12:13], v[14:15], v[12:13]
	v_fma_f64 v[14:15], v[14:15], v[10:11], -v[18:19]
	v_fmac_f64_e32 v[12:13], v[16:17], v[10:11]
	v_add_f64 v[4:5], v[4:5], v[14:15]
	v_add_f64 v[2:3], v[2:3], v[12:13]
	s_andn2_b64 exec, exec, s[4:5]
	s_cbranch_execnz .LBB44_185
; %bb.186:
	s_or_b64 exec, exec, s[4:5]
	v_mov_b32_e32 v0, 0
	ds_read_b128 v[8:11], v0 offset:688
	s_waitcnt lgkmcnt(0)
	v_mul_f64 v[14:15], v[2:3], v[10:11]
	v_mul_f64 v[12:13], v[4:5], v[10:11]
	v_fma_f64 v[10:11], v[4:5], v[8:9], -v[14:15]
	v_fmac_f64_e32 v[12:13], v[2:3], v[8:9]
	scratch_store_dwordx4 off, v[10:13], off offset:704
.LBB44_187:
	s_or_b64 exec, exec, s[0:1]
	; wave barrier
	scratch_load_dwordx4 v[2:5], off, s21
	v_cmp_ne_u32_e32 vcc, 44, v246
	s_waitcnt vmcnt(0)
	ds_write_b128 v1, v[2:5]
	s_waitcnt lgkmcnt(0)
	; wave barrier
	s_and_saveexec_b64 s[0:1], vcc
	s_cbranch_execz .LBB44_191
; %bb.188:
	v_add_u32_e32 v1, 0x2d0, v62
	v_add_u32_e32 v7, 16, v62
	v_mov_b64_e32 v[2:3], 0
	s_mov_b64 s[4:5], 0
	v_mov_b64_e32 v[4:5], 0
.LBB44_189:                             ; =>This Inner Loop Header: Depth=1
	scratch_load_dwordx4 v[8:11], v7, off
	ds_read_b128 v[12:15], v1
	v_add_u32_e32 v6, 1, v6
	v_cmp_lt_u32_e32 vcc, 42, v6
	v_add_u32_e32 v1, 16, v1
	v_add_u32_e32 v7, 16, v7
	s_or_b64 s[4:5], vcc, s[4:5]
	s_waitcnt vmcnt(0) lgkmcnt(0)
	v_mul_f64 v[16:17], v[14:15], v[10:11]
	v_mul_f64 v[10:11], v[12:13], v[10:11]
	v_fma_f64 v[12:13], v[12:13], v[8:9], -v[16:17]
	v_fmac_f64_e32 v[10:11], v[14:15], v[8:9]
	v_add_f64 v[4:5], v[4:5], v[12:13]
	v_add_f64 v[2:3], v[2:3], v[10:11]
	s_andn2_b64 exec, exec, s[4:5]
	s_cbranch_execnz .LBB44_189
; %bb.190:
	s_or_b64 exec, exec, s[4:5]
	v_mov_b32_e32 v0, 0
	ds_read_b128 v[6:9], v0 offset:704
	s_waitcnt lgkmcnt(0)
	v_mul_f64 v[12:13], v[2:3], v[8:9]
	v_mul_f64 v[10:11], v[4:5], v[8:9]
	v_fma_f64 v[8:9], v[4:5], v[6:7], -v[12:13]
	v_fmac_f64_e32 v[10:11], v[2:3], v[6:7]
	scratch_store_dwordx4 off, v[8:11], off offset:720
.LBB44_191:
	s_or_b64 exec, exec, s[0:1]
	s_mov_b64 s[4:5], -1
	; wave barrier
.LBB44_192:
	s_and_b64 vcc, exec, s[4:5]
	s_cbranch_vccz .LBB44_194
; %bb.193:
	s_lshl_b64 s[0:1], s[2:3], 2
	s_add_u32 s0, s6, s0
	s_addc_u32 s1, s7, s1
	v_mov_b32_e32 v0, 0
	global_load_dword v0, v0, s[0:1]
	s_waitcnt vmcnt(0)
	v_cmp_ne_u32_e32 vcc, 0, v0
	s_cbranch_vccz .LBB44_195
.LBB44_194:
	s_endpgm
.LBB44_195:
	v_mov_b32_e32 v0, 0x2d0
	v_lshl_add_u32 v0, v246, 4, v0
	v_accvgpr_write_b32 a91, v0
	v_cmp_eq_u32_e32 vcc, 44, v246
	s_and_saveexec_b64 s[0:1], vcc
	s_cbranch_execz .LBB44_197
; %bb.196:
	scratch_load_dwordx4 v[2:5], off, s20
	v_mov_b32_e32 v6, 0
	v_mov_b32_e32 v7, v6
	;; [unrolled: 1-line block ×4, first 2 shown]
	v_accvgpr_read_b32 v0, a91
	scratch_store_dwordx4 off, v[6:9], off offset:704
	s_waitcnt vmcnt(1)
	ds_write_b128 v0, v[2:5]
.LBB44_197:
	s_or_b64 exec, exec, s[0:1]
	s_waitcnt lgkmcnt(0)
	; wave barrier
	scratch_load_dwordx4 v[4:7], off, off offset:720
	scratch_load_dwordx4 v[8:11], off, off offset:704
	v_mov_b32_e32 v2, 0
	ds_read_b128 v[12:15], v2 offset:1424
	v_cmp_lt_u32_e32 vcc, 42, v246
	s_waitcnt vmcnt(1) lgkmcnt(0)
	v_mul_f64 v[16:17], v[12:13], v[6:7]
	v_mul_f64 v[6:7], v[14:15], v[6:7]
	v_fmac_f64_e32 v[16:17], v[14:15], v[4:5]
	v_fma_f64 v[4:5], v[12:13], v[4:5], -v[6:7]
	v_add_f64 v[6:7], v[16:17], 0
	v_add_f64 v[4:5], v[4:5], 0
	s_waitcnt vmcnt(0)
	v_add_f64 v[4:5], v[8:9], -v[4:5]
	v_add_f64 v[6:7], v[10:11], -v[6:7]
	scratch_store_dwordx4 off, v[4:7], off offset:704
	s_and_saveexec_b64 s[0:1], vcc
	s_cbranch_execz .LBB44_199
; %bb.198:
	scratch_load_dwordx4 v[6:9], off, s24
	v_mov_b32_e32 v3, v2
	v_mov_b32_e32 v4, v2
	v_mov_b32_e32 v5, v2
	v_accvgpr_read_b32 v0, a91
	scratch_store_dwordx4 off, v[2:5], off offset:688
	s_waitcnt vmcnt(1)
	ds_write_b128 v0, v[6:9]
.LBB44_199:
	s_or_b64 exec, exec, s[0:1]
	s_waitcnt lgkmcnt(0)
	; wave barrier
	scratch_load_dwordx4 v[4:7], off, off offset:704
	scratch_load_dwordx4 v[8:11], off, off offset:720
	scratch_load_dwordx4 v[12:15], off, off offset:688
	ds_read_b128 v[16:19], v2 offset:1408
	ds_read_b128 v[20:23], v2 offset:1424
	v_cmp_lt_u32_e32 vcc, 41, v246
	s_waitcnt vmcnt(2) lgkmcnt(1)
	v_mul_f64 v[2:3], v[16:17], v[6:7]
	v_mul_f64 v[6:7], v[18:19], v[6:7]
	s_waitcnt vmcnt(1) lgkmcnt(0)
	v_mul_f64 v[24:25], v[20:21], v[10:11]
	v_mul_f64 v[10:11], v[22:23], v[10:11]
	v_fmac_f64_e32 v[2:3], v[18:19], v[4:5]
	v_fma_f64 v[4:5], v[16:17], v[4:5], -v[6:7]
	v_fmac_f64_e32 v[24:25], v[22:23], v[8:9]
	v_fma_f64 v[6:7], v[20:21], v[8:9], -v[10:11]
	v_add_f64 v[2:3], v[2:3], 0
	v_add_f64 v[4:5], v[4:5], 0
	v_add_f64 v[8:9], v[2:3], v[24:25]
	v_add_f64 v[2:3], v[4:5], v[6:7]
	s_waitcnt vmcnt(0)
	v_add_f64 v[2:3], v[12:13], -v[2:3]
	v_add_f64 v[4:5], v[14:15], -v[8:9]
	scratch_store_dwordx4 off, v[2:5], off offset:688
	s_and_saveexec_b64 s[0:1], vcc
	s_cbranch_execz .LBB44_201
; %bb.200:
	scratch_load_dwordx4 v[2:5], off, s23
	v_mov_b32_e32 v6, 0
	v_mov_b32_e32 v7, v6
	;; [unrolled: 1-line block ×4, first 2 shown]
	v_accvgpr_read_b32 v0, a91
	scratch_store_dwordx4 off, v[6:9], off offset:672
	s_waitcnt vmcnt(1)
	ds_write_b128 v0, v[2:5]
.LBB44_201:
	s_or_b64 exec, exec, s[0:1]
	v_mov_b32_e32 v2, 0
	s_waitcnt lgkmcnt(0)
	; wave barrier
	ds_read_b128 v[4:7], v2 offset:1392
	ds_read_b128 v[8:11], v2 offset:1408
	;; [unrolled: 1-line block ×3, first 2 shown]
	scratch_load_dwordx4 v[16:19], off, off offset:688
	v_cmp_lt_u32_e32 vcc, 40, v246
	s_waitcnt vmcnt(0) lgkmcnt(2)
	v_mul_f64 v[20:21], v[4:5], v[18:19]
	v_fmac_f64_e32 v[20:21], v[6:7], v[16:17]
	v_add_f64 v[24:25], v[20:21], 0
	scratch_load_dwordx4 v[20:23], off, off offset:704
	v_mul_f64 v[6:7], v[6:7], v[18:19]
	v_fma_f64 v[4:5], v[4:5], v[16:17], -v[6:7]
	v_add_f64 v[4:5], v[4:5], 0
	s_waitcnt vmcnt(0) lgkmcnt(1)
	v_mul_f64 v[26:27], v[8:9], v[22:23]
	v_fmac_f64_e32 v[26:27], v[10:11], v[20:21]
	v_add_f64 v[28:29], v[24:25], v[26:27]
	scratch_load_dwordx4 v[24:27], off, off offset:720
	v_mul_f64 v[6:7], v[10:11], v[22:23]
	v_fma_f64 v[6:7], v[8:9], v[20:21], -v[6:7]
	v_add_f64 v[4:5], v[4:5], v[6:7]
	s_waitcnt vmcnt(0) lgkmcnt(0)
	v_mul_f64 v[6:7], v[14:15], v[26:27]
	v_fma_f64 v[6:7], v[12:13], v[24:25], -v[6:7]
	v_add_f64 v[8:9], v[4:5], v[6:7]
	scratch_load_dwordx4 v[4:7], off, off offset:672
	v_mul_f64 v[30:31], v[12:13], v[26:27]
	v_fmac_f64_e32 v[30:31], v[14:15], v[24:25]
	v_add_f64 v[28:29], v[28:29], v[30:31]
	s_waitcnt vmcnt(0)
	v_add_f64 v[4:5], v[4:5], -v[8:9]
	v_add_f64 v[6:7], v[6:7], -v[28:29]
	scratch_store_dwordx4 off, v[4:7], off offset:672
	s_and_saveexec_b64 s[0:1], vcc
	s_cbranch_execz .LBB44_203
; %bb.202:
	scratch_load_dwordx4 v[6:9], off, s26
	v_mov_b32_e32 v3, v2
	v_mov_b32_e32 v4, v2
	;; [unrolled: 1-line block ×3, first 2 shown]
	v_accvgpr_read_b32 v0, a91
	scratch_store_dwordx4 off, v[2:5], off offset:656
	s_waitcnt vmcnt(1)
	ds_write_b128 v0, v[6:9]
.LBB44_203:
	s_or_b64 exec, exec, s[0:1]
	s_waitcnt lgkmcnt(0)
	; wave barrier
	scratch_load_dwordx4 v[4:7], off, off offset:672
	scratch_load_dwordx4 v[8:11], off, off offset:688
	;; [unrolled: 1-line block ×5, first 2 shown]
	ds_read_b128 v[24:27], v2 offset:1376
	ds_read_b128 v[28:31], v2 offset:1392
	;; [unrolled: 1-line block ×4, first 2 shown]
	v_cmp_lt_u32_e32 vcc, 39, v246
	s_waitcnt vmcnt(4) lgkmcnt(3)
	v_mul_f64 v[2:3], v[24:25], v[6:7]
	v_mul_f64 v[6:7], v[26:27], v[6:7]
	s_waitcnt vmcnt(3) lgkmcnt(2)
	v_mul_f64 v[40:41], v[28:29], v[10:11]
	v_mul_f64 v[10:11], v[30:31], v[10:11]
	v_fmac_f64_e32 v[2:3], v[26:27], v[4:5]
	v_fma_f64 v[4:5], v[24:25], v[4:5], -v[6:7]
	s_waitcnt vmcnt(2) lgkmcnt(1)
	v_mul_f64 v[42:43], v[32:33], v[14:15]
	v_mul_f64 v[14:15], v[34:35], v[14:15]
	v_fmac_f64_e32 v[40:41], v[30:31], v[8:9]
	v_fma_f64 v[6:7], v[28:29], v[8:9], -v[10:11]
	v_add_f64 v[2:3], v[2:3], 0
	v_add_f64 v[4:5], v[4:5], 0
	s_waitcnt vmcnt(1) lgkmcnt(0)
	v_mul_f64 v[44:45], v[36:37], v[18:19]
	v_mul_f64 v[18:19], v[38:39], v[18:19]
	v_fmac_f64_e32 v[42:43], v[34:35], v[12:13]
	v_fma_f64 v[8:9], v[32:33], v[12:13], -v[14:15]
	v_add_f64 v[2:3], v[2:3], v[40:41]
	v_add_f64 v[4:5], v[4:5], v[6:7]
	v_fmac_f64_e32 v[44:45], v[38:39], v[16:17]
	v_fma_f64 v[10:11], v[36:37], v[16:17], -v[18:19]
	v_add_f64 v[2:3], v[2:3], v[42:43]
	v_add_f64 v[4:5], v[4:5], v[8:9]
	;; [unrolled: 1-line block ×4, first 2 shown]
	s_waitcnt vmcnt(0)
	v_add_f64 v[2:3], v[20:21], -v[2:3]
	v_add_f64 v[4:5], v[22:23], -v[6:7]
	scratch_store_dwordx4 off, v[2:5], off offset:656
	s_and_saveexec_b64 s[0:1], vcc
	s_cbranch_execz .LBB44_205
; %bb.204:
	scratch_load_dwordx4 v[2:5], off, s25
	v_mov_b32_e32 v6, 0
	v_mov_b32_e32 v7, v6
	;; [unrolled: 1-line block ×4, first 2 shown]
	v_accvgpr_read_b32 v0, a91
	scratch_store_dwordx4 off, v[6:9], off offset:640
	s_waitcnt vmcnt(1)
	ds_write_b128 v0, v[2:5]
.LBB44_205:
	s_or_b64 exec, exec, s[0:1]
	s_waitcnt lgkmcnt(0)
	; wave barrier
	scratch_load_dwordx4 v[4:7], off, off offset:656
	scratch_load_dwordx4 v[8:11], off, off offset:672
	scratch_load_dwordx4 v[12:15], off, off offset:688
	scratch_load_dwordx4 v[16:19], off, off offset:704
	scratch_load_dwordx4 v[20:23], off, off offset:720
	scratch_load_dwordx4 v[24:27], off, off offset:640
	v_mov_b32_e32 v2, 0
	ds_read_b128 v[28:31], v2 offset:1360
	ds_read_b128 v[32:35], v2 offset:1376
	;; [unrolled: 1-line block ×5, first 2 shown]
	v_cmp_lt_u32_e32 vcc, 38, v246
	s_waitcnt vmcnt(5) lgkmcnt(4)
	v_mul_f64 v[48:49], v[28:29], v[6:7]
	v_mul_f64 v[6:7], v[30:31], v[6:7]
	s_waitcnt vmcnt(4) lgkmcnt(3)
	v_mul_f64 v[50:51], v[32:33], v[10:11]
	s_waitcnt vmcnt(3) lgkmcnt(2)
	v_mul_f64 v[52:53], v[36:37], v[14:15]
	v_mul_f64 v[10:11], v[34:35], v[10:11]
	;; [unrolled: 1-line block ×3, first 2 shown]
	v_fmac_f64_e32 v[48:49], v[30:31], v[4:5]
	v_fma_f64 v[4:5], v[28:29], v[4:5], -v[6:7]
	v_fmac_f64_e32 v[50:51], v[34:35], v[8:9]
	v_fma_f64 v[6:7], v[32:33], v[8:9], -v[10:11]
	v_fma_f64 v[8:9], v[36:37], v[12:13], -v[14:15]
	v_add_f64 v[14:15], v[48:49], 0
	v_add_f64 v[4:5], v[4:5], 0
	s_waitcnt vmcnt(2) lgkmcnt(1)
	v_mul_f64 v[54:55], v[40:41], v[18:19]
	v_mul_f64 v[18:19], v[42:43], v[18:19]
	v_fmac_f64_e32 v[52:53], v[38:39], v[12:13]
	v_add_f64 v[14:15], v[14:15], v[50:51]
	v_add_f64 v[4:5], v[4:5], v[6:7]
	s_waitcnt vmcnt(1) lgkmcnt(0)
	v_mul_f64 v[56:57], v[44:45], v[22:23]
	v_mul_f64 v[22:23], v[46:47], v[22:23]
	v_fmac_f64_e32 v[54:55], v[42:43], v[16:17]
	v_fma_f64 v[10:11], v[40:41], v[16:17], -v[18:19]
	v_add_f64 v[6:7], v[14:15], v[52:53]
	v_add_f64 v[4:5], v[4:5], v[8:9]
	v_fmac_f64_e32 v[56:57], v[46:47], v[20:21]
	v_fma_f64 v[12:13], v[44:45], v[20:21], -v[22:23]
	v_add_f64 v[6:7], v[6:7], v[54:55]
	v_add_f64 v[4:5], v[4:5], v[10:11]
	;; [unrolled: 1-line block ×4, first 2 shown]
	s_waitcnt vmcnt(0)
	v_add_f64 v[4:5], v[24:25], -v[4:5]
	v_add_f64 v[6:7], v[26:27], -v[6:7]
	scratch_store_dwordx4 off, v[4:7], off offset:640
	s_and_saveexec_b64 s[0:1], vcc
	s_cbranch_execz .LBB44_207
; %bb.206:
	scratch_load_dwordx4 v[6:9], off, s58
	v_mov_b32_e32 v3, v2
	v_mov_b32_e32 v4, v2
	;; [unrolled: 1-line block ×3, first 2 shown]
	v_accvgpr_read_b32 v0, a91
	scratch_store_dwordx4 off, v[2:5], off offset:624
	s_waitcnt vmcnt(1)
	ds_write_b128 v0, v[6:9]
.LBB44_207:
	s_or_b64 exec, exec, s[0:1]
	s_waitcnt lgkmcnt(0)
	; wave barrier
	scratch_load_dwordx4 v[4:7], off, off offset:640
	scratch_load_dwordx4 v[8:11], off, off offset:656
	;; [unrolled: 1-line block ×7, first 2 shown]
	ds_read_b128 v[32:35], v2 offset:1344
	ds_read_b128 v[36:39], v2 offset:1360
	;; [unrolled: 1-line block ×6, first 2 shown]
	v_cmp_lt_u32_e32 vcc, 37, v246
	s_waitcnt vmcnt(6) lgkmcnt(5)
	v_mul_f64 v[2:3], v[32:33], v[6:7]
	v_mul_f64 v[6:7], v[34:35], v[6:7]
	s_waitcnt vmcnt(5) lgkmcnt(4)
	v_mul_f64 v[56:57], v[36:37], v[10:11]
	v_mul_f64 v[10:11], v[38:39], v[10:11]
	v_fmac_f64_e32 v[2:3], v[34:35], v[4:5]
	v_fma_f64 v[4:5], v[32:33], v[4:5], -v[6:7]
	s_waitcnt vmcnt(4) lgkmcnt(3)
	v_mul_f64 v[58:59], v[40:41], v[14:15]
	v_mul_f64 v[14:15], v[42:43], v[14:15]
	v_fmac_f64_e32 v[56:57], v[38:39], v[8:9]
	v_fma_f64 v[6:7], v[36:37], v[8:9], -v[10:11]
	v_add_f64 v[2:3], v[2:3], 0
	v_add_f64 v[4:5], v[4:5], 0
	s_waitcnt vmcnt(3) lgkmcnt(2)
	v_mul_f64 v[60:61], v[44:45], v[18:19]
	v_mul_f64 v[18:19], v[46:47], v[18:19]
	v_fmac_f64_e32 v[58:59], v[42:43], v[12:13]
	v_fma_f64 v[8:9], v[40:41], v[12:13], -v[14:15]
	v_add_f64 v[2:3], v[2:3], v[56:57]
	v_add_f64 v[4:5], v[4:5], v[6:7]
	;; [unrolled: 7-line block ×4, first 2 shown]
	v_fmac_f64_e32 v[64:65], v[54:55], v[24:25]
	v_fma_f64 v[14:15], v[52:53], v[24:25], -v[26:27]
	v_add_f64 v[2:3], v[2:3], v[62:63]
	v_add_f64 v[4:5], v[4:5], v[12:13]
	;; [unrolled: 1-line block ×4, first 2 shown]
	s_waitcnt vmcnt(0)
	v_add_f64 v[2:3], v[28:29], -v[2:3]
	v_add_f64 v[4:5], v[30:31], -v[6:7]
	scratch_store_dwordx4 off, v[2:5], off offset:624
	s_and_saveexec_b64 s[0:1], vcc
	s_cbranch_execz .LBB44_209
; %bb.208:
	scratch_load_dwordx4 v[2:5], off, s57
	v_mov_b32_e32 v6, 0
	v_mov_b32_e32 v7, v6
	;; [unrolled: 1-line block ×4, first 2 shown]
	v_accvgpr_read_b32 v0, a91
	scratch_store_dwordx4 off, v[6:9], off offset:608
	s_waitcnt vmcnt(1)
	ds_write_b128 v0, v[2:5]
.LBB44_209:
	s_or_b64 exec, exec, s[0:1]
	v_mov_b32_e32 v2, 0
	s_waitcnt lgkmcnt(0)
	; wave barrier
	ds_read_b128 v[4:7], v2 offset:1328
	ds_read_b128 v[8:11], v2 offset:1344
	ds_read_b128 v[12:15], v2 offset:1360
	ds_read_b128 v[16:19], v2 offset:1376
	scratch_load_dwordx4 v[20:23], off, off offset:624
	scratch_load_dwordx4 v[40:43], off, off offset:688
	v_cmp_lt_u32_e32 vcc, 36, v246
	scratch_load_dwordx4 v[48:51], off, off offset:704
	scratch_load_dwordx4 v[56:59], off, off offset:720
	s_waitcnt vmcnt(3) lgkmcnt(3)
	v_mul_f64 v[24:25], v[4:5], v[22:23]
	v_fmac_f64_e32 v[24:25], v[6:7], v[20:21]
	v_add_f64 v[28:29], v[24:25], 0
	scratch_load_dwordx4 v[24:27], off, off offset:640
	v_mul_f64 v[6:7], v[6:7], v[22:23]
	v_fma_f64 v[4:5], v[4:5], v[20:21], -v[6:7]
	v_add_f64 v[4:5], v[4:5], 0
	s_waitcnt vmcnt(0) lgkmcnt(2)
	v_mul_f64 v[30:31], v[8:9], v[26:27]
	v_fmac_f64_e32 v[30:31], v[10:11], v[24:25]
	v_add_f64 v[32:33], v[28:29], v[30:31]
	scratch_load_dwordx4 v[28:31], off, off offset:656
	v_mul_f64 v[6:7], v[10:11], v[26:27]
	v_fma_f64 v[6:7], v[8:9], v[24:25], -v[6:7]
	v_add_f64 v[4:5], v[4:5], v[6:7]
	;; [unrolled: 8-line block ×3, first 2 shown]
	s_waitcnt vmcnt(0) lgkmcnt(0)
	v_mul_f64 v[38:39], v[16:17], v[34:35]
	v_fmac_f64_e32 v[38:39], v[18:19], v[32:33]
	v_add_f64 v[44:45], v[36:37], v[38:39]
	ds_read_b128 v[36:39], v2 offset:1392
	v_mul_f64 v[6:7], v[18:19], v[34:35]
	v_fma_f64 v[6:7], v[16:17], v[32:33], -v[6:7]
	v_add_f64 v[4:5], v[4:5], v[6:7]
	s_waitcnt lgkmcnt(0)
	v_mul_f64 v[46:47], v[36:37], v[42:43]
	v_fmac_f64_e32 v[46:47], v[38:39], v[40:41]
	v_add_f64 v[52:53], v[44:45], v[46:47]
	ds_read_b128 v[44:47], v2 offset:1408
	v_mul_f64 v[6:7], v[38:39], v[42:43]
	v_fma_f64 v[6:7], v[36:37], v[40:41], -v[6:7]
	v_add_f64 v[4:5], v[4:5], v[6:7]
	s_waitcnt lgkmcnt(0)
	;; [unrolled: 8-line block ×3, first 2 shown]
	v_mul_f64 v[6:7], v[54:55], v[58:59]
	v_fma_f64 v[6:7], v[52:53], v[56:57], -v[6:7]
	v_add_f64 v[8:9], v[4:5], v[6:7]
	scratch_load_dwordx4 v[4:7], off, off offset:608
	v_mul_f64 v[62:63], v[52:53], v[58:59]
	v_fmac_f64_e32 v[62:63], v[54:55], v[56:57]
	v_add_f64 v[60:61], v[60:61], v[62:63]
	s_waitcnt vmcnt(0)
	v_add_f64 v[4:5], v[4:5], -v[8:9]
	v_add_f64 v[6:7], v[6:7], -v[60:61]
	scratch_store_dwordx4 off, v[4:7], off offset:608
	s_and_saveexec_b64 s[0:1], vcc
	s_cbranch_execz .LBB44_211
; %bb.210:
	scratch_load_dwordx4 v[6:9], off, s56
	v_mov_b32_e32 v3, v2
	v_mov_b32_e32 v4, v2
	;; [unrolled: 1-line block ×3, first 2 shown]
	v_accvgpr_read_b32 v0, a91
	scratch_store_dwordx4 off, v[2:5], off offset:592
	s_waitcnt vmcnt(1)
	ds_write_b128 v0, v[6:9]
.LBB44_211:
	s_or_b64 exec, exec, s[0:1]
	s_waitcnt lgkmcnt(0)
	; wave barrier
	ds_read_b128 v[4:7], v2 offset:1312
	ds_read_b128 v[8:11], v2 offset:1328
	;; [unrolled: 1-line block ×4, first 2 shown]
	scratch_load_dwordx4 v[20:23], off, off offset:608
	scratch_load_dwordx4 v[40:43], off, off offset:672
	v_cmp_lt_u32_e32 vcc, 35, v246
	scratch_load_dwordx4 v[48:51], off, off offset:688
	scratch_load_dwordx4 v[56:59], off, off offset:704
	;; [unrolled: 1-line block ×3, first 2 shown]
	s_waitcnt vmcnt(4) lgkmcnt(3)
	v_mul_f64 v[24:25], v[4:5], v[22:23]
	v_fmac_f64_e32 v[24:25], v[6:7], v[20:21]
	v_add_f64 v[28:29], v[24:25], 0
	scratch_load_dwordx4 v[24:27], off, off offset:624
	s_waitcnt vmcnt(0) lgkmcnt(2)
	v_mul_f64 v[30:31], v[8:9], v[26:27]
	v_fmac_f64_e32 v[30:31], v[10:11], v[24:25]
	v_add_f64 v[32:33], v[28:29], v[30:31]
	scratch_load_dwordx4 v[28:31], off, off offset:640
	;; [unrolled: 5-line block ×3, first 2 shown]
	s_waitcnt vmcnt(0) lgkmcnt(0)
	v_mul_f64 v[38:39], v[16:17], v[34:35]
	v_fmac_f64_e32 v[38:39], v[18:19], v[32:33]
	v_add_f64 v[44:45], v[36:37], v[38:39]
	ds_read_b128 v[36:39], v2 offset:1376
	s_waitcnt lgkmcnt(0)
	v_mul_f64 v[46:47], v[36:37], v[42:43]
	v_fmac_f64_e32 v[46:47], v[38:39], v[40:41]
	v_add_f64 v[52:53], v[44:45], v[46:47]
	ds_read_b128 v[44:47], v2 offset:1392
	s_waitcnt lgkmcnt(0)
	;; [unrolled: 5-line block ×4, first 2 shown]
	v_mul_f64 v[2:3], v[60:61], v[66:67]
	v_fmac_f64_e32 v[2:3], v[62:63], v[64:65]
	v_add_f64 v[68:69], v[68:69], v[2:3]
	v_mul_f64 v[2:3], v[6:7], v[22:23]
	v_fma_f64 v[2:3], v[4:5], v[20:21], -v[2:3]
	v_mul_f64 v[4:5], v[10:11], v[26:27]
	v_add_f64 v[2:3], v[2:3], 0
	v_fma_f64 v[4:5], v[8:9], v[24:25], -v[4:5]
	v_add_f64 v[2:3], v[2:3], v[4:5]
	v_mul_f64 v[4:5], v[14:15], v[30:31]
	v_fma_f64 v[4:5], v[12:13], v[28:29], -v[4:5]
	v_add_f64 v[2:3], v[2:3], v[4:5]
	v_mul_f64 v[4:5], v[18:19], v[34:35]
	;; [unrolled: 3-line block ×6, first 2 shown]
	v_fma_f64 v[4:5], v[60:61], v[64:65], -v[4:5]
	v_add_f64 v[6:7], v[2:3], v[4:5]
	scratch_load_dwordx4 v[2:5], off, off offset:592
	s_waitcnt vmcnt(0)
	v_add_f64 v[2:3], v[2:3], -v[6:7]
	v_add_f64 v[4:5], v[4:5], -v[68:69]
	scratch_store_dwordx4 off, v[2:5], off offset:592
	s_and_saveexec_b64 s[0:1], vcc
	s_cbranch_execz .LBB44_213
; %bb.212:
	scratch_load_dwordx4 v[2:5], off, s55
	v_mov_b32_e32 v6, 0
	v_mov_b32_e32 v7, v6
	;; [unrolled: 1-line block ×4, first 2 shown]
	v_accvgpr_read_b32 v0, a91
	scratch_store_dwordx4 off, v[6:9], off offset:576
	s_waitcnt vmcnt(1)
	ds_write_b128 v0, v[2:5]
.LBB44_213:
	s_or_b64 exec, exec, s[0:1]
	s_waitcnt lgkmcnt(0)
	; wave barrier
	scratch_load_dwordx4 v[4:7], off, off offset:592
	scratch_load_dwordx4 v[8:11], off, off offset:608
	;; [unrolled: 1-line block ×10, first 2 shown]
	v_mov_b32_e32 v2, 0
	ds_read_b128 v[44:47], v2 offset:1296
	ds_read_b128 v[48:51], v2 offset:1312
	;; [unrolled: 1-line block ×9, first 2 shown]
	v_cmp_lt_u32_e32 vcc, 34, v246
	s_waitcnt vmcnt(9) lgkmcnt(8)
	v_mul_f64 v[80:81], v[44:45], v[6:7]
	v_mul_f64 v[6:7], v[46:47], v[6:7]
	s_waitcnt vmcnt(8) lgkmcnt(7)
	v_mul_f64 v[82:83], v[48:49], v[10:11]
	s_waitcnt vmcnt(7) lgkmcnt(6)
	;; [unrolled: 2-line block ×3, first 2 shown]
	v_mul_f64 v[88:89], v[60:61], v[22:23]
	v_mul_f64 v[10:11], v[50:51], v[10:11]
	;; [unrolled: 1-line block ×4, first 2 shown]
	v_fmac_f64_e32 v[80:81], v[46:47], v[4:5]
	v_fma_f64 v[4:5], v[44:45], v[4:5], -v[6:7]
	v_fmac_f64_e32 v[82:83], v[50:51], v[8:9]
	v_fmac_f64_e32 v[84:85], v[54:55], v[12:13]
	v_fma_f64 v[6:7], v[48:49], v[8:9], -v[10:11]
	v_fma_f64 v[8:9], v[52:53], v[12:13], -v[14:15]
	;; [unrolled: 1-line block ×3, first 2 shown]
	v_add_f64 v[22:23], v[80:81], 0
	v_add_f64 v[4:5], v[4:5], 0
	v_mul_f64 v[86:87], v[56:57], v[18:19]
	v_mul_f64 v[18:19], v[58:59], v[18:19]
	v_add_f64 v[22:23], v[22:23], v[82:83]
	v_add_f64 v[4:5], v[4:5], v[6:7]
	v_fmac_f64_e32 v[86:87], v[58:59], v[16:17]
	v_fma_f64 v[10:11], v[56:57], v[16:17], -v[18:19]
	v_add_f64 v[6:7], v[22:23], v[84:85]
	v_add_f64 v[4:5], v[4:5], v[8:9]
	s_waitcnt vmcnt(4) lgkmcnt(3)
	v_mul_f64 v[90:91], v[64:65], v[26:27]
	v_mul_f64 v[26:27], v[66:67], v[26:27]
	v_fmac_f64_e32 v[88:89], v[62:63], v[20:21]
	v_add_f64 v[6:7], v[6:7], v[86:87]
	v_add_f64 v[4:5], v[4:5], v[10:11]
	s_waitcnt vmcnt(3) lgkmcnt(2)
	v_mul_f64 v[92:93], v[68:69], v[30:31]
	v_mul_f64 v[30:31], v[70:71], v[30:31]
	v_fmac_f64_e32 v[90:91], v[66:67], v[24:25]
	v_fma_f64 v[14:15], v[64:65], v[24:25], -v[26:27]
	v_add_f64 v[6:7], v[6:7], v[88:89]
	v_add_f64 v[4:5], v[4:5], v[12:13]
	s_waitcnt vmcnt(2) lgkmcnt(1)
	v_mul_f64 v[94:95], v[72:73], v[34:35]
	v_mul_f64 v[34:35], v[74:75], v[34:35]
	v_fmac_f64_e32 v[92:93], v[70:71], v[28:29]
	v_fma_f64 v[16:17], v[68:69], v[28:29], -v[30:31]
	;; [unrolled: 7-line block ×3, first 2 shown]
	v_add_f64 v[6:7], v[6:7], v[92:93]
	v_add_f64 v[4:5], v[4:5], v[16:17]
	v_fmac_f64_e32 v[96:97], v[78:79], v[36:37]
	v_fma_f64 v[20:21], v[76:77], v[36:37], -v[38:39]
	v_add_f64 v[6:7], v[6:7], v[94:95]
	v_add_f64 v[4:5], v[4:5], v[18:19]
	v_add_f64 v[6:7], v[6:7], v[96:97]
	v_add_f64 v[4:5], v[4:5], v[20:21]
	s_waitcnt vmcnt(0)
	v_add_f64 v[4:5], v[40:41], -v[4:5]
	v_add_f64 v[6:7], v[42:43], -v[6:7]
	scratch_store_dwordx4 off, v[4:7], off offset:576
	s_and_saveexec_b64 s[0:1], vcc
	s_cbranch_execz .LBB44_215
; %bb.214:
	scratch_load_dwordx4 v[6:9], off, s54
	v_mov_b32_e32 v3, v2
	v_mov_b32_e32 v4, v2
	;; [unrolled: 1-line block ×3, first 2 shown]
	v_accvgpr_read_b32 v0, a91
	scratch_store_dwordx4 off, v[2:5], off offset:560
	s_waitcnt vmcnt(1)
	ds_write_b128 v0, v[6:9]
.LBB44_215:
	s_or_b64 exec, exec, s[0:1]
	s_waitcnt lgkmcnt(0)
	; wave barrier
	scratch_load_dwordx4 v[4:7], off, off offset:576
	scratch_load_dwordx4 v[8:11], off, off offset:592
	;; [unrolled: 1-line block ×11, first 2 shown]
	ds_read_b128 v[48:51], v2 offset:1280
	ds_read_b128 v[52:55], v2 offset:1296
	;; [unrolled: 1-line block ×10, first 2 shown]
	v_cmp_lt_u32_e32 vcc, 33, v246
	s_waitcnt vmcnt(10) lgkmcnt(9)
	v_mul_f64 v[2:3], v[48:49], v[6:7]
	v_mul_f64 v[6:7], v[50:51], v[6:7]
	s_waitcnt vmcnt(9) lgkmcnt(8)
	v_mul_f64 v[88:89], v[52:53], v[10:11]
	v_mul_f64 v[10:11], v[54:55], v[10:11]
	v_fmac_f64_e32 v[2:3], v[50:51], v[4:5]
	v_fma_f64 v[4:5], v[48:49], v[4:5], -v[6:7]
	s_waitcnt vmcnt(8) lgkmcnt(7)
	v_mul_f64 v[90:91], v[56:57], v[14:15]
	v_mul_f64 v[14:15], v[58:59], v[14:15]
	v_fmac_f64_e32 v[88:89], v[54:55], v[8:9]
	v_fma_f64 v[6:7], v[52:53], v[8:9], -v[10:11]
	v_add_f64 v[2:3], v[2:3], 0
	v_add_f64 v[4:5], v[4:5], 0
	s_waitcnt vmcnt(7) lgkmcnt(6)
	v_mul_f64 v[92:93], v[60:61], v[18:19]
	v_mul_f64 v[18:19], v[62:63], v[18:19]
	v_fmac_f64_e32 v[90:91], v[58:59], v[12:13]
	v_fma_f64 v[8:9], v[56:57], v[12:13], -v[14:15]
	v_add_f64 v[2:3], v[2:3], v[88:89]
	v_add_f64 v[4:5], v[4:5], v[6:7]
	;; [unrolled: 7-line block ×8, first 2 shown]
	v_fmac_f64_e32 v[104:105], v[86:87], v[40:41]
	v_fma_f64 v[22:23], v[84:85], v[40:41], -v[42:43]
	v_add_f64 v[2:3], v[2:3], v[102:103]
	v_add_f64 v[4:5], v[4:5], v[20:21]
	;; [unrolled: 1-line block ×4, first 2 shown]
	s_waitcnt vmcnt(0)
	v_add_f64 v[2:3], v[44:45], -v[2:3]
	v_add_f64 v[4:5], v[46:47], -v[6:7]
	scratch_store_dwordx4 off, v[2:5], off offset:560
	s_and_saveexec_b64 s[0:1], vcc
	s_cbranch_execz .LBB44_217
; %bb.216:
	scratch_load_dwordx4 v[2:5], off, s53
	v_mov_b32_e32 v6, 0
	v_mov_b32_e32 v7, v6
	;; [unrolled: 1-line block ×4, first 2 shown]
	v_accvgpr_read_b32 v0, a91
	scratch_store_dwordx4 off, v[6:9], off offset:544
	s_waitcnt vmcnt(1)
	ds_write_b128 v0, v[2:5]
.LBB44_217:
	s_or_b64 exec, exec, s[0:1]
	s_waitcnt lgkmcnt(0)
	; wave barrier
	scratch_load_dwordx4 v[4:7], off, off offset:560
	scratch_load_dwordx4 v[8:11], off, off offset:576
	;; [unrolled: 1-line block ×12, first 2 shown]
	v_mov_b32_e32 v2, 0
	ds_read_b128 v[52:55], v2 offset:1264
	ds_read_b128 v[56:59], v2 offset:1280
	;; [unrolled: 1-line block ×11, first 2 shown]
	v_cmp_lt_u32_e32 vcc, 32, v246
	s_waitcnt vmcnt(11) lgkmcnt(10)
	v_mul_f64 v[96:97], v[52:53], v[6:7]
	v_mul_f64 v[6:7], v[54:55], v[6:7]
	s_waitcnt vmcnt(10) lgkmcnt(9)
	v_mul_f64 v[98:99], v[56:57], v[10:11]
	s_waitcnt vmcnt(9) lgkmcnt(8)
	v_mul_f64 v[100:101], v[60:61], v[14:15]
	v_mul_f64 v[10:11], v[58:59], v[10:11]
	s_waitcnt vmcnt(6) lgkmcnt(5)
	v_mul_f64 v[106:107], v[72:73], v[26:27]
	v_mul_f64 v[14:15], v[62:63], v[14:15]
	;; [unrolled: 1-line block ×3, first 2 shown]
	v_fmac_f64_e32 v[96:97], v[54:55], v[4:5]
	v_fma_f64 v[4:5], v[52:53], v[4:5], -v[6:7]
	v_fmac_f64_e32 v[98:99], v[58:59], v[8:9]
	v_fma_f64 v[6:7], v[56:57], v[8:9], -v[10:11]
	v_fma_f64 v[8:9], v[60:61], v[12:13], -v[14:15]
	;; [unrolled: 1-line block ×3, first 2 shown]
	v_add_f64 v[26:27], v[96:97], 0
	v_add_f64 v[4:5], v[4:5], 0
	v_mul_f64 v[102:103], v[64:65], v[18:19]
	v_mul_f64 v[18:19], v[66:67], v[18:19]
	v_fmac_f64_e32 v[100:101], v[62:63], v[12:13]
	v_add_f64 v[26:27], v[26:27], v[98:99]
	v_add_f64 v[4:5], v[4:5], v[6:7]
	v_mul_f64 v[104:105], v[68:69], v[22:23]
	v_mul_f64 v[22:23], v[70:71], v[22:23]
	v_fmac_f64_e32 v[102:103], v[66:67], v[16:17]
	v_fma_f64 v[10:11], v[64:65], v[16:17], -v[18:19]
	v_add_f64 v[6:7], v[26:27], v[100:101]
	v_add_f64 v[4:5], v[4:5], v[8:9]
	v_fmac_f64_e32 v[104:105], v[70:71], v[20:21]
	v_fma_f64 v[12:13], v[68:69], v[20:21], -v[22:23]
	v_add_f64 v[6:7], v[6:7], v[102:103]
	v_add_f64 v[4:5], v[4:5], v[10:11]
	s_waitcnt vmcnt(5) lgkmcnt(4)
	v_mul_f64 v[108:109], v[76:77], v[30:31]
	v_mul_f64 v[30:31], v[78:79], v[30:31]
	v_fmac_f64_e32 v[106:107], v[74:75], v[24:25]
	v_add_f64 v[6:7], v[6:7], v[104:105]
	v_add_f64 v[4:5], v[4:5], v[12:13]
	s_waitcnt vmcnt(4) lgkmcnt(3)
	v_mul_f64 v[110:111], v[80:81], v[34:35]
	v_mul_f64 v[34:35], v[82:83], v[34:35]
	v_fmac_f64_e32 v[108:109], v[78:79], v[28:29]
	v_fma_f64 v[16:17], v[76:77], v[28:29], -v[30:31]
	v_add_f64 v[6:7], v[6:7], v[106:107]
	v_add_f64 v[4:5], v[4:5], v[14:15]
	s_waitcnt vmcnt(3) lgkmcnt(2)
	v_mul_f64 v[112:113], v[84:85], v[38:39]
	v_mul_f64 v[38:39], v[86:87], v[38:39]
	v_fmac_f64_e32 v[110:111], v[82:83], v[32:33]
	v_fma_f64 v[18:19], v[80:81], v[32:33], -v[34:35]
	;; [unrolled: 7-line block ×4, first 2 shown]
	v_add_f64 v[6:7], v[6:7], v[112:113]
	v_add_f64 v[4:5], v[4:5], v[20:21]
	v_fmac_f64_e32 v[116:117], v[94:95], v[44:45]
	v_fma_f64 v[24:25], v[92:93], v[44:45], -v[46:47]
	v_add_f64 v[6:7], v[6:7], v[114:115]
	v_add_f64 v[4:5], v[4:5], v[22:23]
	;; [unrolled: 1-line block ×4, first 2 shown]
	s_waitcnt vmcnt(0)
	v_add_f64 v[4:5], v[48:49], -v[4:5]
	v_add_f64 v[6:7], v[50:51], -v[6:7]
	scratch_store_dwordx4 off, v[4:7], off offset:544
	s_and_saveexec_b64 s[0:1], vcc
	s_cbranch_execz .LBB44_219
; %bb.218:
	scratch_load_dwordx4 v[6:9], off, s52
	v_mov_b32_e32 v3, v2
	v_mov_b32_e32 v4, v2
	;; [unrolled: 1-line block ×3, first 2 shown]
	v_accvgpr_read_b32 v0, a91
	scratch_store_dwordx4 off, v[2:5], off offset:528
	s_waitcnt vmcnt(1)
	ds_write_b128 v0, v[6:9]
.LBB44_219:
	s_or_b64 exec, exec, s[0:1]
	s_waitcnt lgkmcnt(0)
	; wave barrier
	scratch_load_dwordx4 v[4:7], off, off offset:544
	scratch_load_dwordx4 v[8:11], off, off offset:560
	;; [unrolled: 1-line block ×12, first 2 shown]
	ds_read_b128 v[52:55], v2 offset:1248
	ds_read_b128 v[56:59], v2 offset:1264
	;; [unrolled: 1-line block ×4, first 2 shown]
	scratch_load_dwordx4 v[68:71], off, off offset:528
	ds_read_b128 v[72:75], v2 offset:1312
	ds_read_b128 v[76:79], v2 offset:1328
	ds_read_b128 v[80:83], v2 offset:1344
	ds_read_b128 v[84:87], v2 offset:1360
	ds_read_b128 v[88:91], v2 offset:1376
	ds_read_b128 v[92:95], v2 offset:1392
	ds_read_b128 v[96:99], v2 offset:1408
	ds_read_b128 v[100:103], v2 offset:1424
	v_cmp_lt_u32_e32 vcc, 31, v246
	s_waitcnt vmcnt(12) lgkmcnt(11)
	v_mul_f64 v[2:3], v[52:53], v[6:7]
	s_waitcnt vmcnt(11) lgkmcnt(10)
	v_mul_f64 v[104:105], v[56:57], v[10:11]
	v_fmac_f64_e32 v[2:3], v[54:55], v[4:5]
	s_waitcnt vmcnt(10) lgkmcnt(9)
	v_mul_f64 v[106:107], v[60:61], v[14:15]
	v_mul_f64 v[6:7], v[54:55], v[6:7]
	v_fmac_f64_e32 v[104:105], v[58:59], v[8:9]
	v_add_f64 v[2:3], v[2:3], 0
	s_waitcnt vmcnt(9) lgkmcnt(8)
	v_mul_f64 v[108:109], v[64:65], v[18:19]
	v_mul_f64 v[10:11], v[58:59], v[10:11]
	v_fmac_f64_e32 v[106:107], v[62:63], v[12:13]
	v_fma_f64 v[4:5], v[52:53], v[4:5], -v[6:7]
	v_add_f64 v[2:3], v[2:3], v[104:105]
	s_waitcnt vmcnt(8) lgkmcnt(7)
	v_mul_f64 v[110:111], v[72:73], v[22:23]
	v_mul_f64 v[14:15], v[62:63], v[14:15]
	v_fmac_f64_e32 v[108:109], v[66:67], v[16:17]
	v_fma_f64 v[6:7], v[56:57], v[8:9], -v[10:11]
	v_add_f64 v[4:5], v[4:5], 0
	v_add_f64 v[2:3], v[2:3], v[106:107]
	s_waitcnt vmcnt(7) lgkmcnt(6)
	v_mul_f64 v[112:113], v[76:77], v[26:27]
	v_mul_f64 v[18:19], v[66:67], v[18:19]
	v_fmac_f64_e32 v[110:111], v[74:75], v[20:21]
	v_fma_f64 v[8:9], v[60:61], v[12:13], -v[14:15]
	v_add_f64 v[4:5], v[4:5], v[6:7]
	;; [unrolled: 7-line block ×8, first 2 shown]
	v_add_f64 v[2:3], v[2:3], v[120:121]
	v_mul_f64 v[46:47], v[98:99], v[46:47]
	v_fmac_f64_e32 v[124:125], v[102:103], v[48:49]
	v_fma_f64 v[22:23], v[92:93], v[40:41], -v[42:43]
	v_add_f64 v[4:5], v[4:5], v[20:21]
	v_add_f64 v[2:3], v[2:3], v[122:123]
	;; [unrolled: 1-line block ×4, first 2 shown]
	v_fma_f64 v[2:3], v[96:97], v[44:45], -v[46:47]
	v_add_f64 v[2:3], v[4:5], v[2:3]
	v_mul_f64 v[4:5], v[102:103], v[50:51]
	v_fma_f64 v[4:5], v[100:101], v[48:49], -v[4:5]
	v_add_f64 v[2:3], v[2:3], v[4:5]
	s_waitcnt vmcnt(0)
	v_add_f64 v[2:3], v[68:69], -v[2:3]
	v_add_f64 v[4:5], v[70:71], -v[6:7]
	scratch_store_dwordx4 off, v[2:5], off offset:528
	s_and_saveexec_b64 s[0:1], vcc
	s_cbranch_execz .LBB44_221
; %bb.220:
	scratch_load_dwordx4 v[2:5], off, s51
	v_mov_b32_e32 v6, 0
	v_mov_b32_e32 v7, v6
	;; [unrolled: 1-line block ×4, first 2 shown]
	v_accvgpr_read_b32 v0, a91
	scratch_store_dwordx4 off, v[6:9], off offset:512
	s_waitcnt vmcnt(1)
	ds_write_b128 v0, v[2:5]
.LBB44_221:
	s_or_b64 exec, exec, s[0:1]
	s_waitcnt lgkmcnt(0)
	; wave barrier
	scratch_load_dwordx4 v[4:7], off, off offset:528
	scratch_load_dwordx4 v[8:11], off, off offset:544
	;; [unrolled: 1-line block ×14, first 2 shown]
	v_mov_b32_e32 v2, 0
	ds_read_b128 v[60:63], v2 offset:1232
	ds_read_b128 v[64:67], v2 offset:1248
	;; [unrolled: 1-line block ×13, first 2 shown]
	v_cmp_lt_u32_e32 vcc, 30, v246
	s_waitcnt vmcnt(13) lgkmcnt(12)
	v_mul_f64 v[112:113], v[60:61], v[6:7]
	v_mul_f64 v[6:7], v[62:63], v[6:7]
	s_waitcnt vmcnt(12) lgkmcnt(11)
	v_mul_f64 v[114:115], v[64:65], v[10:11]
	v_mul_f64 v[10:11], v[66:67], v[10:11]
	v_fmac_f64_e32 v[112:113], v[62:63], v[4:5]
	v_fma_f64 v[4:5], v[60:61], v[4:5], -v[6:7]
	s_waitcnt vmcnt(11) lgkmcnt(10)
	v_mul_f64 v[116:117], v[68:69], v[14:15]
	v_mul_f64 v[14:15], v[70:71], v[14:15]
	v_fma_f64 v[6:7], v[64:65], v[8:9], -v[10:11]
	v_add_f64 v[4:5], v[4:5], 0
	s_waitcnt vmcnt(10) lgkmcnt(9)
	v_mul_f64 v[118:119], v[72:73], v[18:19]
	v_mul_f64 v[18:19], v[74:75], v[18:19]
	v_fmac_f64_e32 v[114:115], v[66:67], v[8:9]
	v_fma_f64 v[8:9], v[68:69], v[12:13], -v[14:15]
	v_add_f64 v[4:5], v[4:5], v[6:7]
	s_waitcnt vmcnt(9) lgkmcnt(8)
	v_mul_f64 v[120:121], v[76:77], v[22:23]
	v_mul_f64 v[22:23], v[78:79], v[22:23]
	v_fma_f64 v[10:11], v[72:73], v[16:17], -v[18:19]
	v_add_f64 v[4:5], v[4:5], v[8:9]
	s_waitcnt vmcnt(8) lgkmcnt(7)
	v_mul_f64 v[122:123], v[80:81], v[26:27]
	v_mul_f64 v[26:27], v[82:83], v[26:27]
	v_fmac_f64_e32 v[116:117], v[70:71], v[12:13]
	v_fma_f64 v[12:13], v[76:77], v[20:21], -v[22:23]
	v_add_f64 v[22:23], v[112:113], 0
	v_add_f64 v[4:5], v[4:5], v[10:11]
	s_waitcnt vmcnt(7) lgkmcnt(6)
	v_mul_f64 v[124:125], v[84:85], v[30:31]
	v_mul_f64 v[30:31], v[86:87], v[30:31]
	v_fma_f64 v[14:15], v[80:81], v[24:25], -v[26:27]
	v_add_f64 v[22:23], v[22:23], v[114:115]
	v_add_f64 v[4:5], v[4:5], v[12:13]
	s_waitcnt vmcnt(6) lgkmcnt(5)
	v_mul_f64 v[126:127], v[88:89], v[34:35]
	v_mul_f64 v[34:35], v[90:91], v[34:35]
	v_fmac_f64_e32 v[118:119], v[74:75], v[16:17]
	v_fma_f64 v[16:17], v[84:85], v[28:29], -v[30:31]
	v_add_f64 v[6:7], v[22:23], v[116:117]
	v_add_f64 v[4:5], v[4:5], v[14:15]
	s_waitcnt vmcnt(5) lgkmcnt(4)
	v_mul_f64 v[128:129], v[92:93], v[38:39]
	v_mul_f64 v[38:39], v[94:95], v[38:39]
	v_fmac_f64_e32 v[120:121], v[78:79], v[20:21]
	v_fma_f64 v[18:19], v[88:89], v[32:33], -v[34:35]
	v_add_f64 v[6:7], v[6:7], v[118:119]
	v_add_f64 v[4:5], v[4:5], v[16:17]
	v_fmac_f64_e32 v[122:123], v[82:83], v[24:25]
	v_fma_f64 v[20:21], v[92:93], v[36:37], -v[38:39]
	v_add_f64 v[6:7], v[6:7], v[120:121]
	v_add_f64 v[4:5], v[4:5], v[18:19]
	s_waitcnt vmcnt(4) lgkmcnt(3)
	v_mul_f64 v[8:9], v[98:99], v[42:43]
	v_fmac_f64_e32 v[124:125], v[86:87], v[28:29]
	v_add_f64 v[6:7], v[6:7], v[122:123]
	v_add_f64 v[4:5], v[4:5], v[20:21]
	v_fma_f64 v[8:9], v[96:97], v[40:41], -v[8:9]
	v_fmac_f64_e32 v[126:127], v[90:91], v[32:33]
	v_add_f64 v[6:7], v[6:7], v[124:125]
	v_add_f64 v[4:5], v[4:5], v[8:9]
	s_waitcnt vmcnt(3) lgkmcnt(2)
	v_mul_f64 v[8:9], v[102:103], v[46:47]
	v_mul_f64 v[130:131], v[96:97], v[42:43]
	v_fmac_f64_e32 v[128:129], v[94:95], v[36:37]
	v_add_f64 v[6:7], v[6:7], v[126:127]
	v_fma_f64 v[8:9], v[100:101], v[44:45], -v[8:9]
	v_mul_f64 v[132:133], v[100:101], v[46:47]
	v_fmac_f64_e32 v[130:131], v[98:99], v[40:41]
	v_add_f64 v[6:7], v[6:7], v[128:129]
	v_add_f64 v[4:5], v[4:5], v[8:9]
	s_waitcnt vmcnt(2) lgkmcnt(1)
	v_mul_f64 v[8:9], v[106:107], v[50:51]
	v_mul_f64 v[134:135], v[104:105], v[50:51]
	v_fmac_f64_e32 v[132:133], v[102:103], v[44:45]
	v_add_f64 v[6:7], v[6:7], v[130:131]
	v_fma_f64 v[8:9], v[104:105], v[48:49], -v[8:9]
	s_waitcnt vmcnt(1) lgkmcnt(0)
	v_mul_f64 v[136:137], v[108:109], v[54:55]
	v_fmac_f64_e32 v[134:135], v[106:107], v[48:49]
	v_add_f64 v[6:7], v[6:7], v[132:133]
	v_add_f64 v[4:5], v[4:5], v[8:9]
	v_mul_f64 v[8:9], v[110:111], v[54:55]
	v_fmac_f64_e32 v[136:137], v[110:111], v[52:53]
	v_add_f64 v[6:7], v[6:7], v[134:135]
	v_fma_f64 v[8:9], v[108:109], v[52:53], -v[8:9]
	v_add_f64 v[6:7], v[6:7], v[136:137]
	v_add_f64 v[4:5], v[4:5], v[8:9]
	s_waitcnt vmcnt(0)
	v_add_f64 v[4:5], v[56:57], -v[4:5]
	v_add_f64 v[6:7], v[58:59], -v[6:7]
	scratch_store_dwordx4 off, v[4:7], off offset:512
	s_and_saveexec_b64 s[0:1], vcc
	s_cbranch_execz .LBB44_223
; %bb.222:
	scratch_load_dwordx4 v[6:9], off, s50
	v_mov_b32_e32 v3, v2
	v_mov_b32_e32 v4, v2
	;; [unrolled: 1-line block ×3, first 2 shown]
	v_accvgpr_read_b32 v0, a91
	scratch_store_dwordx4 off, v[2:5], off offset:496
	s_waitcnt vmcnt(1)
	ds_write_b128 v0, v[6:9]
.LBB44_223:
	s_or_b64 exec, exec, s[0:1]
	s_waitcnt lgkmcnt(0)
	; wave barrier
	scratch_load_dwordx4 v[4:7], off, off offset:512
	scratch_load_dwordx4 v[8:11], off, off offset:528
	;; [unrolled: 1-line block ×14, first 2 shown]
	ds_read_b128 v[60:63], v2 offset:1216
	ds_read_b128 v[64:67], v2 offset:1232
	;; [unrolled: 1-line block ×14, first 2 shown]
	scratch_load_dwordx4 v[116:119], off, off offset:496
	v_cmp_lt_u32_e32 vcc, 29, v246
	s_waitcnt vmcnt(14) lgkmcnt(13)
	v_mul_f64 v[2:3], v[60:61], v[6:7]
	s_waitcnt vmcnt(13) lgkmcnt(12)
	v_mul_f64 v[120:121], v[64:65], v[10:11]
	v_fmac_f64_e32 v[2:3], v[62:63], v[4:5]
	s_waitcnt vmcnt(12) lgkmcnt(11)
	v_mul_f64 v[122:123], v[68:69], v[14:15]
	v_fmac_f64_e32 v[120:121], v[66:67], v[8:9]
	v_add_f64 v[2:3], v[2:3], 0
	s_waitcnt vmcnt(11) lgkmcnt(10)
	v_mul_f64 v[124:125], v[72:73], v[18:19]
	v_fmac_f64_e32 v[122:123], v[70:71], v[12:13]
	v_add_f64 v[2:3], v[2:3], v[120:121]
	;; [unrolled: 4-line block ×4, first 2 shown]
	s_waitcnt vmcnt(8) lgkmcnt(7)
	v_mul_f64 v[130:131], v[84:85], v[30:31]
	v_mul_f64 v[6:7], v[62:63], v[6:7]
	v_fmac_f64_e32 v[128:129], v[82:83], v[24:25]
	v_add_f64 v[2:3], v[2:3], v[126:127]
	s_waitcnt vmcnt(7) lgkmcnt(6)
	v_mul_f64 v[132:133], v[88:89], v[34:35]
	v_mul_f64 v[10:11], v[66:67], v[10:11]
	v_fmac_f64_e32 v[130:131], v[86:87], v[28:29]
	v_fma_f64 v[4:5], v[60:61], v[4:5], -v[6:7]
	v_add_f64 v[2:3], v[2:3], v[128:129]
	s_waitcnt vmcnt(6) lgkmcnt(5)
	v_mul_f64 v[134:135], v[92:93], v[38:39]
	v_mul_f64 v[14:15], v[70:71], v[14:15]
	v_fmac_f64_e32 v[132:133], v[90:91], v[32:33]
	v_fma_f64 v[6:7], v[64:65], v[8:9], -v[10:11]
	v_add_f64 v[4:5], v[4:5], 0
	v_add_f64 v[2:3], v[2:3], v[130:131]
	s_waitcnt vmcnt(5) lgkmcnt(4)
	v_mul_f64 v[136:137], v[96:97], v[42:43]
	v_mul_f64 v[18:19], v[74:75], v[18:19]
	v_fmac_f64_e32 v[134:135], v[94:95], v[36:37]
	v_fma_f64 v[8:9], v[68:69], v[12:13], -v[14:15]
	v_add_f64 v[4:5], v[4:5], v[6:7]
	;; [unrolled: 7-line block ×6, first 2 shown]
	v_add_f64 v[2:3], v[2:3], v[140:141]
	v_fmac_f64_e32 v[144:145], v[114:115], v[56:57]
	v_fma_f64 v[18:19], v[88:89], v[32:33], -v[34:35]
	v_add_f64 v[4:5], v[4:5], v[16:17]
	v_add_f64 v[2:3], v[2:3], v[142:143]
	;; [unrolled: 1-line block ×4, first 2 shown]
	v_mul_f64 v[4:5], v[94:95], v[38:39]
	v_fma_f64 v[4:5], v[92:93], v[36:37], -v[4:5]
	v_add_f64 v[2:3], v[2:3], v[4:5]
	v_mul_f64 v[4:5], v[98:99], v[42:43]
	v_fma_f64 v[4:5], v[96:97], v[40:41], -v[4:5]
	v_add_f64 v[2:3], v[2:3], v[4:5]
	;; [unrolled: 3-line block ×6, first 2 shown]
	s_waitcnt vmcnt(0)
	v_add_f64 v[2:3], v[116:117], -v[2:3]
	v_add_f64 v[4:5], v[118:119], -v[6:7]
	scratch_store_dwordx4 off, v[2:5], off offset:496
	s_and_saveexec_b64 s[0:1], vcc
	s_cbranch_execz .LBB44_225
; %bb.224:
	scratch_load_dwordx4 v[2:5], off, s49
	v_mov_b32_e32 v6, 0
	v_mov_b32_e32 v7, v6
	;; [unrolled: 1-line block ×4, first 2 shown]
	v_accvgpr_read_b32 v0, a91
	scratch_store_dwordx4 off, v[6:9], off offset:480
	s_waitcnt vmcnt(1)
	ds_write_b128 v0, v[2:5]
.LBB44_225:
	s_or_b64 exec, exec, s[0:1]
	s_waitcnt lgkmcnt(0)
	; wave barrier
	scratch_load_dwordx4 v[4:7], off, off offset:496
	scratch_load_dwordx4 v[8:11], off, off offset:512
	;; [unrolled: 1-line block ×16, first 2 shown]
	v_mov_b32_e32 v2, 0
	ds_read_b128 v[68:71], v2 offset:1200
	ds_read_b128 v[72:75], v2 offset:1216
	;; [unrolled: 1-line block ×15, first 2 shown]
	v_cmp_lt_u32_e32 vcc, 28, v246
	s_waitcnt vmcnt(15) lgkmcnt(14)
	v_mul_f64 v[128:129], v[68:69], v[6:7]
	v_mul_f64 v[6:7], v[70:71], v[6:7]
	s_waitcnt vmcnt(14) lgkmcnt(13)
	v_mul_f64 v[130:131], v[72:73], v[10:11]
	v_mul_f64 v[10:11], v[74:75], v[10:11]
	v_fmac_f64_e32 v[128:129], v[70:71], v[4:5]
	v_fma_f64 v[4:5], v[68:69], v[4:5], -v[6:7]
	s_waitcnt vmcnt(13) lgkmcnt(12)
	v_mul_f64 v[132:133], v[76:77], v[14:15]
	v_mul_f64 v[14:15], v[78:79], v[14:15]
	v_fma_f64 v[6:7], v[72:73], v[8:9], -v[10:11]
	v_add_f64 v[4:5], v[4:5], 0
	s_waitcnt vmcnt(12) lgkmcnt(11)
	v_mul_f64 v[134:135], v[80:81], v[18:19]
	v_mul_f64 v[18:19], v[82:83], v[18:19]
	v_fmac_f64_e32 v[130:131], v[74:75], v[8:9]
	v_fma_f64 v[8:9], v[76:77], v[12:13], -v[14:15]
	v_add_f64 v[4:5], v[4:5], v[6:7]
	s_waitcnt vmcnt(11) lgkmcnt(10)
	v_mul_f64 v[136:137], v[84:85], v[22:23]
	v_mul_f64 v[22:23], v[86:87], v[22:23]
	v_fma_f64 v[10:11], v[80:81], v[16:17], -v[18:19]
	v_add_f64 v[4:5], v[4:5], v[8:9]
	s_waitcnt vmcnt(10) lgkmcnt(9)
	v_mul_f64 v[138:139], v[88:89], v[26:27]
	v_mul_f64 v[26:27], v[90:91], v[26:27]
	v_fmac_f64_e32 v[132:133], v[78:79], v[12:13]
	v_fma_f64 v[12:13], v[84:85], v[20:21], -v[22:23]
	v_add_f64 v[4:5], v[4:5], v[10:11]
	v_fma_f64 v[14:15], v[88:89], v[24:25], -v[26:27]
	v_add_f64 v[4:5], v[4:5], v[12:13]
	s_waitcnt vmcnt(9) lgkmcnt(8)
	v_mul_f64 v[8:9], v[94:95], v[30:31]
	v_add_f64 v[4:5], v[4:5], v[14:15]
	v_fma_f64 v[8:9], v[92:93], v[28:29], -v[8:9]
	v_add_f64 v[4:5], v[4:5], v[8:9]
	s_waitcnt vmcnt(8) lgkmcnt(7)
	v_mul_f64 v[8:9], v[98:99], v[34:35]
	v_fma_f64 v[8:9], v[96:97], v[32:33], -v[8:9]
	v_fmac_f64_e32 v[134:135], v[82:83], v[16:17]
	v_add_f64 v[16:17], v[128:129], 0
	v_add_f64 v[4:5], v[4:5], v[8:9]
	s_waitcnt vmcnt(7) lgkmcnt(6)
	v_mul_f64 v[8:9], v[102:103], v[38:39]
	v_add_f64 v[16:17], v[16:17], v[130:131]
	v_fma_f64 v[8:9], v[100:101], v[36:37], -v[8:9]
	v_add_f64 v[6:7], v[16:17], v[132:133]
	v_add_f64 v[4:5], v[4:5], v[8:9]
	s_waitcnt vmcnt(6) lgkmcnt(5)
	v_mul_f64 v[8:9], v[106:107], v[42:43]
	v_fmac_f64_e32 v[136:137], v[86:87], v[20:21]
	v_add_f64 v[6:7], v[6:7], v[134:135]
	v_fma_f64 v[8:9], v[104:105], v[40:41], -v[8:9]
	v_mul_f64 v[140:141], v[92:93], v[30:31]
	v_fmac_f64_e32 v[138:139], v[90:91], v[24:25]
	v_add_f64 v[6:7], v[6:7], v[136:137]
	v_add_f64 v[4:5], v[4:5], v[8:9]
	s_waitcnt vmcnt(5) lgkmcnt(4)
	v_mul_f64 v[8:9], v[110:111], v[46:47]
	v_mul_f64 v[142:143], v[96:97], v[34:35]
	v_fmac_f64_e32 v[140:141], v[94:95], v[28:29]
	v_add_f64 v[6:7], v[6:7], v[138:139]
	v_fma_f64 v[8:9], v[108:109], v[44:45], -v[8:9]
	v_mul_f64 v[144:145], v[100:101], v[38:39]
	v_fmac_f64_e32 v[142:143], v[98:99], v[32:33]
	v_add_f64 v[6:7], v[6:7], v[140:141]
	v_add_f64 v[4:5], v[4:5], v[8:9]
	s_waitcnt vmcnt(4) lgkmcnt(3)
	v_mul_f64 v[8:9], v[114:115], v[50:51]
	;; [unrolled: 10-line block ×4, first 2 shown]
	v_mul_f64 v[154:155], v[120:121], v[58:59]
	v_fmac_f64_e32 v[152:153], v[118:119], v[52:53]
	v_add_f64 v[6:7], v[6:7], v[150:151]
	v_fma_f64 v[8:9], v[120:121], v[56:57], -v[8:9]
	s_waitcnt vmcnt(1) lgkmcnt(0)
	v_mul_f64 v[156:157], v[124:125], v[62:63]
	v_fmac_f64_e32 v[154:155], v[122:123], v[56:57]
	v_add_f64 v[6:7], v[6:7], v[152:153]
	v_add_f64 v[4:5], v[4:5], v[8:9]
	v_mul_f64 v[8:9], v[126:127], v[62:63]
	v_fmac_f64_e32 v[156:157], v[126:127], v[60:61]
	v_add_f64 v[6:7], v[6:7], v[154:155]
	v_fma_f64 v[8:9], v[124:125], v[60:61], -v[8:9]
	v_add_f64 v[6:7], v[6:7], v[156:157]
	v_add_f64 v[4:5], v[4:5], v[8:9]
	s_waitcnt vmcnt(0)
	v_add_f64 v[4:5], v[64:65], -v[4:5]
	v_add_f64 v[6:7], v[66:67], -v[6:7]
	scratch_store_dwordx4 off, v[4:7], off offset:480
	s_and_saveexec_b64 s[0:1], vcc
	s_cbranch_execz .LBB44_227
; %bb.226:
	scratch_load_dwordx4 v[6:9], off, s48
	v_mov_b32_e32 v3, v2
	v_mov_b32_e32 v4, v2
	;; [unrolled: 1-line block ×3, first 2 shown]
	v_accvgpr_read_b32 v0, a91
	scratch_store_dwordx4 off, v[2:5], off offset:464
	s_waitcnt vmcnt(1)
	ds_write_b128 v0, v[6:9]
.LBB44_227:
	s_or_b64 exec, exec, s[0:1]
	s_waitcnt lgkmcnt(0)
	; wave barrier
	ds_read_b128 v[16:19], v2 offset:1184
	ds_read_b128 v[12:15], v2 offset:1200
	;; [unrolled: 1-line block ×4, first 2 shown]
	scratch_load_dwordx4 v[20:23], off, off offset:480
	scratch_load_dwordx4 v[40:43], off, off offset:544
	;; [unrolled: 1-line block ×10, first 2 shown]
	v_cmp_lt_u32_e32 vcc, 27, v246
	scratch_load_dwordx4 v[48:51], off, off offset:560
	scratch_load_dwordx4 v[56:59], off, off offset:576
	scratch_load_dwordx4 v[66:69], off, off offset:592
	s_waitcnt vmcnt(12) lgkmcnt(3)
	v_mul_f64 v[24:25], v[16:17], v[22:23]
	v_fmac_f64_e32 v[24:25], v[18:19], v[20:21]
	v_add_f64 v[28:29], v[24:25], 0
	scratch_load_dwordx4 v[24:27], off, off offset:496
	s_waitcnt vmcnt(0) lgkmcnt(2)
	v_mul_f64 v[30:31], v[12:13], v[26:27]
	v_fmac_f64_e32 v[30:31], v[14:15], v[24:25]
	v_add_f64 v[32:33], v[28:29], v[30:31]
	scratch_load_dwordx4 v[28:31], off, off offset:512
	v_mul_f64 v[14:15], v[14:15], v[26:27]
	v_fma_f64 v[12:13], v[12:13], v[24:25], -v[14:15]
	s_waitcnt vmcnt(0) lgkmcnt(1)
	v_mul_f64 v[34:35], v[8:9], v[30:31]
	v_fmac_f64_e32 v[34:35], v[10:11], v[28:29]
	v_add_f64 v[36:37], v[32:33], v[34:35]
	scratch_load_dwordx4 v[32:35], off, off offset:528
	v_mul_f64 v[10:11], v[10:11], v[30:31]
	v_fma_f64 v[8:9], v[8:9], v[28:29], -v[10:11]
	s_waitcnt vmcnt(0) lgkmcnt(0)
	v_mul_f64 v[38:39], v[4:5], v[34:35]
	v_fmac_f64_e32 v[38:39], v[6:7], v[32:33]
	v_add_f64 v[44:45], v[36:37], v[38:39]
	ds_read_b128 v[36:39], v2 offset:1248
	v_mul_f64 v[6:7], v[6:7], v[34:35]
	v_fma_f64 v[4:5], v[4:5], v[32:33], -v[6:7]
	s_waitcnt lgkmcnt(0)
	v_mul_f64 v[46:47], v[36:37], v[42:43]
	v_fmac_f64_e32 v[46:47], v[38:39], v[40:41]
	v_add_f64 v[52:53], v[44:45], v[46:47]
	ds_read_b128 v[44:47], v2 offset:1264
	s_waitcnt lgkmcnt(0)
	v_mul_f64 v[54:55], v[44:45], v[50:51]
	v_fmac_f64_e32 v[54:55], v[46:47], v[48:49]
	v_add_f64 v[60:61], v[52:53], v[54:55]
	ds_read_b128 v[52:55], v2 offset:1280
	s_waitcnt lgkmcnt(0)
	v_mul_f64 v[62:63], v[52:53], v[58:59]
	v_fmac_f64_e32 v[62:63], v[54:55], v[56:57]
	v_add_f64 v[64:65], v[60:61], v[62:63]
	ds_read_b128 v[60:63], v2 offset:1296
	s_waitcnt lgkmcnt(0)
	v_mul_f64 v[70:71], v[60:61], v[68:69]
	v_fmac_f64_e32 v[70:71], v[62:63], v[66:67]
	v_add_f64 v[64:65], v[64:65], v[70:71]
	ds_read_b128 v[70:73], v2 offset:1312
	s_waitcnt lgkmcnt(0)
	v_mul_f64 v[78:79], v[70:71], v[76:77]
	v_fmac_f64_e32 v[78:79], v[72:73], v[74:75]
	v_add_f64 v[64:65], v[64:65], v[78:79]
	ds_read_b128 v[78:81], v2 offset:1328
	s_waitcnt lgkmcnt(0)
	v_mul_f64 v[86:87], v[78:79], v[84:85]
	v_fmac_f64_e32 v[86:87], v[80:81], v[82:83]
	v_add_f64 v[64:65], v[64:65], v[86:87]
	ds_read_b128 v[86:89], v2 offset:1344
	s_waitcnt lgkmcnt(0)
	v_mul_f64 v[94:95], v[86:87], v[92:93]
	v_fmac_f64_e32 v[94:95], v[88:89], v[90:91]
	v_add_f64 v[64:65], v[64:65], v[94:95]
	ds_read_b128 v[94:97], v2 offset:1360
	s_waitcnt lgkmcnt(0)
	v_mul_f64 v[102:103], v[94:95], v[100:101]
	v_fmac_f64_e32 v[102:103], v[96:97], v[98:99]
	v_add_f64 v[64:65], v[64:65], v[102:103]
	ds_read_b128 v[102:105], v2 offset:1376
	s_waitcnt lgkmcnt(0)
	v_mul_f64 v[110:111], v[102:103], v[108:109]
	v_fmac_f64_e32 v[110:111], v[104:105], v[106:107]
	v_add_f64 v[64:65], v[64:65], v[110:111]
	ds_read_b128 v[110:113], v2 offset:1392
	s_waitcnt lgkmcnt(0)
	v_mul_f64 v[118:119], v[110:111], v[116:117]
	v_fmac_f64_e32 v[118:119], v[112:113], v[114:115]
	v_add_f64 v[64:65], v[64:65], v[118:119]
	ds_read_b128 v[118:121], v2 offset:1408
	s_waitcnt lgkmcnt(0)
	v_mul_f64 v[126:127], v[118:119], v[124:125]
	v_fmac_f64_e32 v[126:127], v[120:121], v[122:123]
	v_add_f64 v[64:65], v[64:65], v[126:127]
	ds_read_b128 v[126:129], v2 offset:1424
	s_waitcnt lgkmcnt(0)
	v_mul_f64 v[2:3], v[126:127], v[132:133]
	v_fmac_f64_e32 v[2:3], v[128:129], v[130:131]
	v_add_f64 v[64:65], v[64:65], v[2:3]
	v_mul_f64 v[2:3], v[18:19], v[22:23]
	v_fma_f64 v[2:3], v[16:17], v[20:21], -v[2:3]
	v_add_f64 v[2:3], v[2:3], 0
	v_add_f64 v[2:3], v[2:3], v[12:13]
	;; [unrolled: 1-line block ×4, first 2 shown]
	v_mul_f64 v[4:5], v[38:39], v[42:43]
	v_fma_f64 v[4:5], v[36:37], v[40:41], -v[4:5]
	v_add_f64 v[2:3], v[2:3], v[4:5]
	v_mul_f64 v[4:5], v[46:47], v[50:51]
	v_fma_f64 v[4:5], v[44:45], v[48:49], -v[4:5]
	v_add_f64 v[2:3], v[2:3], v[4:5]
	;; [unrolled: 3-line block ×12, first 2 shown]
	scratch_load_dwordx4 v[2:5], off, off offset:464
	s_waitcnt vmcnt(0)
	v_add_f64 v[2:3], v[2:3], -v[6:7]
	v_add_f64 v[4:5], v[4:5], -v[64:65]
	scratch_store_dwordx4 off, v[2:5], off offset:464
	s_and_saveexec_b64 s[0:1], vcc
	s_cbranch_execz .LBB44_229
; %bb.228:
	scratch_load_dwordx4 v[2:5], off, s47
	v_mov_b32_e32 v6, 0
	v_mov_b32_e32 v7, v6
	;; [unrolled: 1-line block ×4, first 2 shown]
	v_accvgpr_read_b32 v0, a91
	scratch_store_dwordx4 off, v[6:9], off offset:448
	s_waitcnt vmcnt(1)
	ds_write_b128 v0, v[2:5]
.LBB44_229:
	s_or_b64 exec, exec, s[0:1]
	v_mov_b32_e32 v2, 0
	s_waitcnt lgkmcnt(0)
	; wave barrier
	ds_read_b128 v[16:19], v2 offset:1168
	ds_read_b128 v[12:15], v2 offset:1184
	ds_read_b128 v[8:11], v2 offset:1200
	ds_read_b128 v[4:7], v2 offset:1216
	scratch_load_dwordx4 v[20:23], off, off offset:464
	scratch_load_dwordx4 v[40:43], off, off offset:528
	;; [unrolled: 1-line block ×11, first 2 shown]
	v_cmp_lt_u32_e32 vcc, 26, v246
	scratch_load_dwordx4 v[48:51], off, off offset:544
	scratch_load_dwordx4 v[56:59], off, off offset:560
	;; [unrolled: 1-line block ×3, first 2 shown]
	s_waitcnt vmcnt(13) lgkmcnt(3)
	v_mul_f64 v[24:25], v[16:17], v[22:23]
	v_fmac_f64_e32 v[24:25], v[18:19], v[20:21]
	v_add_f64 v[28:29], v[24:25], 0
	scratch_load_dwordx4 v[24:27], off, off offset:480
	v_mul_f64 v[18:19], v[18:19], v[22:23]
	v_fma_f64 v[16:17], v[16:17], v[20:21], -v[18:19]
	v_add_f64 v[16:17], v[16:17], 0
	s_waitcnt vmcnt(0) lgkmcnt(2)
	v_mul_f64 v[30:31], v[12:13], v[26:27]
	v_fmac_f64_e32 v[30:31], v[14:15], v[24:25]
	v_add_f64 v[32:33], v[28:29], v[30:31]
	scratch_load_dwordx4 v[28:31], off, off offset:496
	v_mul_f64 v[14:15], v[14:15], v[26:27]
	v_fma_f64 v[12:13], v[12:13], v[24:25], -v[14:15]
	v_add_f64 v[12:13], v[16:17], v[12:13]
	;; [unrolled: 8-line block ×3, first 2 shown]
	s_waitcnt vmcnt(0) lgkmcnt(0)
	v_mul_f64 v[38:39], v[4:5], v[34:35]
	v_fmac_f64_e32 v[38:39], v[6:7], v[32:33]
	v_add_f64 v[44:45], v[36:37], v[38:39]
	ds_read_b128 v[36:39], v2 offset:1232
	v_mul_f64 v[6:7], v[6:7], v[34:35]
	v_fma_f64 v[4:5], v[4:5], v[32:33], -v[6:7]
	v_add_f64 v[4:5], v[8:9], v[4:5]
	s_waitcnt lgkmcnt(0)
	v_mul_f64 v[46:47], v[36:37], v[42:43]
	v_fmac_f64_e32 v[46:47], v[38:39], v[40:41]
	v_add_f64 v[52:53], v[44:45], v[46:47]
	ds_read_b128 v[44:47], v2 offset:1248
	v_mul_f64 v[6:7], v[38:39], v[42:43]
	v_fma_f64 v[6:7], v[36:37], v[40:41], -v[6:7]
	v_add_f64 v[4:5], v[4:5], v[6:7]
	s_waitcnt lgkmcnt(0)
	;; [unrolled: 8-line block ×13, first 2 shown]
	v_mul_f64 v[6:7], v[136:137], v[140:141]
	v_fma_f64 v[6:7], v[134:135], v[138:139], -v[6:7]
	v_add_f64 v[8:9], v[4:5], v[6:7]
	scratch_load_dwordx4 v[4:7], off, off offset:448
	v_mul_f64 v[142:143], v[134:135], v[140:141]
	v_fmac_f64_e32 v[142:143], v[136:137], v[138:139]
	v_add_f64 v[72:73], v[72:73], v[142:143]
	s_waitcnt vmcnt(0)
	v_add_f64 v[4:5], v[4:5], -v[8:9]
	v_add_f64 v[6:7], v[6:7], -v[72:73]
	scratch_store_dwordx4 off, v[4:7], off offset:448
	s_and_saveexec_b64 s[0:1], vcc
	s_cbranch_execz .LBB44_231
; %bb.230:
	scratch_load_dwordx4 v[6:9], off, s46
	v_mov_b32_e32 v3, v2
	v_mov_b32_e32 v4, v2
	;; [unrolled: 1-line block ×3, first 2 shown]
	v_accvgpr_read_b32 v0, a91
	scratch_store_dwordx4 off, v[2:5], off offset:432
	s_waitcnt vmcnt(1)
	ds_write_b128 v0, v[6:9]
.LBB44_231:
	s_or_b64 exec, exec, s[0:1]
	s_waitcnt lgkmcnt(0)
	; wave barrier
	ds_read_b128 v[16:19], v2 offset:1152
	ds_read_b128 v[12:15], v2 offset:1168
	;; [unrolled: 1-line block ×4, first 2 shown]
	scratch_load_dwordx4 v[20:23], off, off offset:448
	scratch_load_dwordx4 v[40:43], off, off offset:512
	;; [unrolled: 1-line block ×12, first 2 shown]
	v_cmp_lt_u32_e32 vcc, 25, v246
	scratch_load_dwordx4 v[48:51], off, off offset:528
	scratch_load_dwordx4 v[56:59], off, off offset:544
	;; [unrolled: 1-line block ×3, first 2 shown]
	s_waitcnt vmcnt(14) lgkmcnt(3)
	v_mul_f64 v[24:25], v[16:17], v[22:23]
	v_fmac_f64_e32 v[24:25], v[18:19], v[20:21]
	v_add_f64 v[28:29], v[24:25], 0
	scratch_load_dwordx4 v[24:27], off, off offset:464
	s_waitcnt vmcnt(0) lgkmcnt(2)
	v_mul_f64 v[30:31], v[12:13], v[26:27]
	v_fmac_f64_e32 v[30:31], v[14:15], v[24:25]
	v_add_f64 v[32:33], v[28:29], v[30:31]
	scratch_load_dwordx4 v[28:31], off, off offset:480
	v_mul_f64 v[14:15], v[14:15], v[26:27]
	v_fma_f64 v[12:13], v[12:13], v[24:25], -v[14:15]
	s_waitcnt vmcnt(0) lgkmcnt(1)
	v_mul_f64 v[34:35], v[8:9], v[30:31]
	v_fmac_f64_e32 v[34:35], v[10:11], v[28:29]
	v_add_f64 v[36:37], v[32:33], v[34:35]
	scratch_load_dwordx4 v[32:35], off, off offset:496
	v_mul_f64 v[10:11], v[10:11], v[30:31]
	v_fma_f64 v[8:9], v[8:9], v[28:29], -v[10:11]
	s_waitcnt vmcnt(0) lgkmcnt(0)
	v_mul_f64 v[38:39], v[4:5], v[34:35]
	v_fmac_f64_e32 v[38:39], v[6:7], v[32:33]
	v_add_f64 v[44:45], v[36:37], v[38:39]
	ds_read_b128 v[36:39], v2 offset:1216
	v_mul_f64 v[6:7], v[6:7], v[34:35]
	v_fma_f64 v[4:5], v[4:5], v[32:33], -v[6:7]
	s_waitcnt lgkmcnt(0)
	v_mul_f64 v[46:47], v[36:37], v[42:43]
	v_fmac_f64_e32 v[46:47], v[38:39], v[40:41]
	v_add_f64 v[52:53], v[44:45], v[46:47]
	ds_read_b128 v[44:47], v2 offset:1232
	s_waitcnt lgkmcnt(0)
	v_mul_f64 v[54:55], v[44:45], v[50:51]
	v_fmac_f64_e32 v[54:55], v[46:47], v[48:49]
	v_add_f64 v[60:61], v[52:53], v[54:55]
	ds_read_b128 v[52:55], v2 offset:1248
	;; [unrolled: 5-line block ×13, first 2 shown]
	s_waitcnt lgkmcnt(0)
	v_mul_f64 v[2:3], v[142:143], v[148:149]
	v_fmac_f64_e32 v[2:3], v[144:145], v[146:147]
	v_add_f64 v[80:81], v[80:81], v[2:3]
	v_mul_f64 v[2:3], v[18:19], v[22:23]
	v_fma_f64 v[2:3], v[16:17], v[20:21], -v[2:3]
	v_add_f64 v[2:3], v[2:3], 0
	v_add_f64 v[2:3], v[2:3], v[12:13]
	;; [unrolled: 1-line block ×4, first 2 shown]
	v_mul_f64 v[4:5], v[38:39], v[42:43]
	v_fma_f64 v[4:5], v[36:37], v[40:41], -v[4:5]
	v_add_f64 v[2:3], v[2:3], v[4:5]
	v_mul_f64 v[4:5], v[46:47], v[50:51]
	v_fma_f64 v[4:5], v[44:45], v[48:49], -v[4:5]
	v_add_f64 v[2:3], v[2:3], v[4:5]
	;; [unrolled: 3-line block ×14, first 2 shown]
	scratch_load_dwordx4 v[2:5], off, off offset:432
	s_waitcnt vmcnt(0)
	v_add_f64 v[2:3], v[2:3], -v[6:7]
	v_add_f64 v[4:5], v[4:5], -v[80:81]
	scratch_store_dwordx4 off, v[2:5], off offset:432
	s_and_saveexec_b64 s[0:1], vcc
	s_cbranch_execz .LBB44_233
; %bb.232:
	scratch_load_dwordx4 v[2:5], off, s45
	v_mov_b32_e32 v6, 0
	v_mov_b32_e32 v7, v6
	;; [unrolled: 1-line block ×4, first 2 shown]
	v_accvgpr_read_b32 v0, a91
	scratch_store_dwordx4 off, v[6:9], off offset:416
	s_waitcnt vmcnt(1)
	ds_write_b128 v0, v[2:5]
.LBB44_233:
	s_or_b64 exec, exec, s[0:1]
	v_mov_b32_e32 v2, 0
	s_waitcnt lgkmcnt(0)
	; wave barrier
	ds_read_b128 v[16:19], v2 offset:1136
	ds_read_b128 v[12:15], v2 offset:1152
	;; [unrolled: 1-line block ×4, first 2 shown]
	scratch_load_dwordx4 v[20:23], off, off offset:432
	scratch_load_dwordx4 v[40:43], off, off offset:496
	;; [unrolled: 1-line block ×13, first 2 shown]
	v_cmp_lt_u32_e32 vcc, 24, v246
	scratch_load_dwordx4 v[48:51], off, off offset:512
	scratch_load_dwordx4 v[56:59], off, off offset:528
	;; [unrolled: 1-line block ×3, first 2 shown]
	s_waitcnt vmcnt(15) lgkmcnt(3)
	v_mul_f64 v[24:25], v[16:17], v[22:23]
	v_fmac_f64_e32 v[24:25], v[18:19], v[20:21]
	v_add_f64 v[28:29], v[24:25], 0
	scratch_load_dwordx4 v[24:27], off, off offset:448
	v_mul_f64 v[18:19], v[18:19], v[22:23]
	v_fma_f64 v[16:17], v[16:17], v[20:21], -v[18:19]
	v_add_f64 v[16:17], v[16:17], 0
	s_waitcnt vmcnt(0) lgkmcnt(2)
	v_mul_f64 v[30:31], v[12:13], v[26:27]
	v_fmac_f64_e32 v[30:31], v[14:15], v[24:25]
	v_add_f64 v[32:33], v[28:29], v[30:31]
	scratch_load_dwordx4 v[28:31], off, off offset:464
	v_mul_f64 v[14:15], v[14:15], v[26:27]
	v_fma_f64 v[12:13], v[12:13], v[24:25], -v[14:15]
	v_add_f64 v[12:13], v[16:17], v[12:13]
	;; [unrolled: 8-line block ×3, first 2 shown]
	s_waitcnt vmcnt(0) lgkmcnt(0)
	v_mul_f64 v[38:39], v[4:5], v[34:35]
	v_fmac_f64_e32 v[38:39], v[6:7], v[32:33]
	v_add_f64 v[44:45], v[36:37], v[38:39]
	ds_read_b128 v[36:39], v2 offset:1200
	v_mul_f64 v[6:7], v[6:7], v[34:35]
	v_fma_f64 v[4:5], v[4:5], v[32:33], -v[6:7]
	v_add_f64 v[4:5], v[8:9], v[4:5]
	s_waitcnt lgkmcnt(0)
	v_mul_f64 v[46:47], v[36:37], v[42:43]
	v_fmac_f64_e32 v[46:47], v[38:39], v[40:41]
	v_add_f64 v[52:53], v[44:45], v[46:47]
	ds_read_b128 v[44:47], v2 offset:1216
	v_mul_f64 v[6:7], v[38:39], v[42:43]
	v_fma_f64 v[6:7], v[36:37], v[40:41], -v[6:7]
	v_add_f64 v[4:5], v[4:5], v[6:7]
	s_waitcnt lgkmcnt(0)
	v_mul_f64 v[54:55], v[44:45], v[50:51]
	v_fmac_f64_e32 v[54:55], v[46:47], v[48:49]
	v_add_f64 v[60:61], v[52:53], v[54:55]
	ds_read_b128 v[52:55], v2 offset:1232
	v_mul_f64 v[6:7], v[46:47], v[50:51]
	v_fma_f64 v[6:7], v[44:45], v[48:49], -v[6:7]
	v_add_f64 v[4:5], v[4:5], v[6:7]
	s_waitcnt lgkmcnt(0)
	v_mul_f64 v[62:63], v[52:53], v[58:59]
	v_fmac_f64_e32 v[62:63], v[54:55], v[56:57]
	v_add_f64 v[68:69], v[60:61], v[62:63]
	ds_read_b128 v[60:63], v2 offset:1248
	v_mul_f64 v[6:7], v[54:55], v[58:59]
	v_fma_f64 v[6:7], v[52:53], v[56:57], -v[6:7]
	v_add_f64 v[4:5], v[4:5], v[6:7]
	s_waitcnt lgkmcnt(0)
	v_mul_f64 v[70:71], v[60:61], v[66:67]
	v_fmac_f64_e32 v[70:71], v[62:63], v[64:65]
	v_add_f64 v[76:77], v[68:69], v[70:71]
	ds_read_b128 v[68:71], v2 offset:1264
	v_mul_f64 v[6:7], v[62:63], v[66:67]
	v_fma_f64 v[6:7], v[60:61], v[64:65], -v[6:7]
	v_add_f64 v[4:5], v[4:5], v[6:7]
	s_waitcnt lgkmcnt(0)
	v_mul_f64 v[78:79], v[68:69], v[74:75]
	v_fmac_f64_e32 v[78:79], v[70:71], v[72:73]
	v_add_f64 v[84:85], v[76:77], v[78:79]
	ds_read_b128 v[76:79], v2 offset:1280
	v_mul_f64 v[6:7], v[70:71], v[74:75]
	v_fma_f64 v[6:7], v[68:69], v[72:73], -v[6:7]
	v_add_f64 v[4:5], v[4:5], v[6:7]
	s_waitcnt lgkmcnt(0)
	v_mul_f64 v[86:87], v[76:77], v[82:83]
	v_fmac_f64_e32 v[86:87], v[78:79], v[80:81]
	v_add_f64 v[88:89], v[84:85], v[86:87]
	ds_read_b128 v[84:87], v2 offset:1296
	v_mul_f64 v[6:7], v[78:79], v[82:83]
	v_fma_f64 v[6:7], v[76:77], v[80:81], -v[6:7]
	v_add_f64 v[4:5], v[4:5], v[6:7]
	s_waitcnt lgkmcnt(0)
	v_mul_f64 v[94:95], v[84:85], v[92:93]
	v_fmac_f64_e32 v[94:95], v[86:87], v[90:91]
	v_add_f64 v[88:89], v[88:89], v[94:95]
	ds_read_b128 v[94:97], v2 offset:1312
	v_mul_f64 v[6:7], v[86:87], v[92:93]
	v_fma_f64 v[6:7], v[84:85], v[90:91], -v[6:7]
	v_add_f64 v[4:5], v[4:5], v[6:7]
	s_waitcnt lgkmcnt(0)
	v_mul_f64 v[102:103], v[94:95], v[100:101]
	v_fmac_f64_e32 v[102:103], v[96:97], v[98:99]
	v_add_f64 v[88:89], v[88:89], v[102:103]
	ds_read_b128 v[102:105], v2 offset:1328
	v_mul_f64 v[6:7], v[96:97], v[100:101]
	v_fma_f64 v[6:7], v[94:95], v[98:99], -v[6:7]
	v_add_f64 v[4:5], v[4:5], v[6:7]
	s_waitcnt lgkmcnt(0)
	v_mul_f64 v[110:111], v[102:103], v[108:109]
	v_fmac_f64_e32 v[110:111], v[104:105], v[106:107]
	v_add_f64 v[88:89], v[88:89], v[110:111]
	ds_read_b128 v[110:113], v2 offset:1344
	v_mul_f64 v[6:7], v[104:105], v[108:109]
	v_fma_f64 v[6:7], v[102:103], v[106:107], -v[6:7]
	v_add_f64 v[4:5], v[4:5], v[6:7]
	s_waitcnt lgkmcnt(0)
	v_mul_f64 v[118:119], v[110:111], v[116:117]
	v_fmac_f64_e32 v[118:119], v[112:113], v[114:115]
	v_add_f64 v[88:89], v[88:89], v[118:119]
	ds_read_b128 v[118:121], v2 offset:1360
	v_mul_f64 v[6:7], v[112:113], v[116:117]
	v_fma_f64 v[6:7], v[110:111], v[114:115], -v[6:7]
	v_add_f64 v[4:5], v[4:5], v[6:7]
	s_waitcnt lgkmcnt(0)
	v_mul_f64 v[126:127], v[118:119], v[124:125]
	v_fmac_f64_e32 v[126:127], v[120:121], v[122:123]
	v_add_f64 v[88:89], v[88:89], v[126:127]
	ds_read_b128 v[126:129], v2 offset:1376
	v_mul_f64 v[6:7], v[120:121], v[124:125]
	v_fma_f64 v[6:7], v[118:119], v[122:123], -v[6:7]
	v_add_f64 v[4:5], v[4:5], v[6:7]
	s_waitcnt lgkmcnt(0)
	v_mul_f64 v[134:135], v[126:127], v[132:133]
	v_fmac_f64_e32 v[134:135], v[128:129], v[130:131]
	v_add_f64 v[88:89], v[88:89], v[134:135]
	ds_read_b128 v[134:137], v2 offset:1392
	v_mul_f64 v[6:7], v[128:129], v[132:133]
	v_fma_f64 v[6:7], v[126:127], v[130:131], -v[6:7]
	v_add_f64 v[4:5], v[4:5], v[6:7]
	s_waitcnt lgkmcnt(0)
	v_mul_f64 v[142:143], v[134:135], v[140:141]
	v_fmac_f64_e32 v[142:143], v[136:137], v[138:139]
	v_add_f64 v[88:89], v[88:89], v[142:143]
	ds_read_b128 v[142:145], v2 offset:1408
	v_mul_f64 v[6:7], v[136:137], v[140:141]
	v_fma_f64 v[6:7], v[134:135], v[138:139], -v[6:7]
	v_add_f64 v[4:5], v[4:5], v[6:7]
	s_waitcnt lgkmcnt(0)
	v_mul_f64 v[150:151], v[142:143], v[148:149]
	v_fmac_f64_e32 v[150:151], v[144:145], v[146:147]
	v_add_f64 v[88:89], v[88:89], v[150:151]
	ds_read_b128 v[150:153], v2 offset:1424
	v_mul_f64 v[6:7], v[144:145], v[148:149]
	v_fma_f64 v[6:7], v[142:143], v[146:147], -v[6:7]
	v_add_f64 v[4:5], v[4:5], v[6:7]
	s_waitcnt lgkmcnt(0)
	v_mul_f64 v[6:7], v[152:153], v[156:157]
	v_fma_f64 v[6:7], v[150:151], v[154:155], -v[6:7]
	v_add_f64 v[8:9], v[4:5], v[6:7]
	scratch_load_dwordx4 v[4:7], off, off offset:416
	v_mul_f64 v[158:159], v[150:151], v[156:157]
	v_fmac_f64_e32 v[158:159], v[152:153], v[154:155]
	v_add_f64 v[88:89], v[88:89], v[158:159]
	s_waitcnt vmcnt(0)
	v_add_f64 v[4:5], v[4:5], -v[8:9]
	v_add_f64 v[6:7], v[6:7], -v[88:89]
	scratch_store_dwordx4 off, v[4:7], off offset:416
	s_and_saveexec_b64 s[0:1], vcc
	s_cbranch_execz .LBB44_235
; %bb.234:
	scratch_load_dwordx4 v[6:9], off, s44
	v_mov_b32_e32 v3, v2
	v_mov_b32_e32 v4, v2
	;; [unrolled: 1-line block ×3, first 2 shown]
	v_accvgpr_read_b32 v0, a91
	scratch_store_dwordx4 off, v[2:5], off offset:400
	s_waitcnt vmcnt(1)
	ds_write_b128 v0, v[6:9]
.LBB44_235:
	s_or_b64 exec, exec, s[0:1]
	s_waitcnt lgkmcnt(0)
	; wave barrier
	ds_read_b128 v[16:19], v2 offset:1120
	ds_read_b128 v[12:15], v2 offset:1136
	;; [unrolled: 1-line block ×4, first 2 shown]
	scratch_load_dwordx4 v[20:23], off, off offset:416
	scratch_load_dwordx4 v[40:43], off, off offset:480
	;; [unrolled: 1-line block ×14, first 2 shown]
	v_cmp_lt_u32_e32 vcc, 23, v246
	scratch_load_dwordx4 v[48:51], off, off offset:496
	scratch_load_dwordx4 v[56:59], off, off offset:512
	;; [unrolled: 1-line block ×3, first 2 shown]
	s_waitcnt vmcnt(16) lgkmcnt(3)
	v_mul_f64 v[24:25], v[16:17], v[22:23]
	v_fmac_f64_e32 v[24:25], v[18:19], v[20:21]
	v_add_f64 v[28:29], v[24:25], 0
	scratch_load_dwordx4 v[24:27], off, off offset:432
	s_waitcnt vmcnt(0) lgkmcnt(2)
	v_mul_f64 v[30:31], v[12:13], v[26:27]
	v_fmac_f64_e32 v[30:31], v[14:15], v[24:25]
	v_add_f64 v[32:33], v[28:29], v[30:31]
	scratch_load_dwordx4 v[28:31], off, off offset:448
	v_mul_f64 v[14:15], v[14:15], v[26:27]
	v_fma_f64 v[12:13], v[12:13], v[24:25], -v[14:15]
	s_waitcnt vmcnt(0) lgkmcnt(1)
	v_mul_f64 v[34:35], v[8:9], v[30:31]
	v_fmac_f64_e32 v[34:35], v[10:11], v[28:29]
	v_add_f64 v[36:37], v[32:33], v[34:35]
	scratch_load_dwordx4 v[32:35], off, off offset:464
	v_mul_f64 v[10:11], v[10:11], v[30:31]
	v_fma_f64 v[8:9], v[8:9], v[28:29], -v[10:11]
	s_waitcnt vmcnt(0) lgkmcnt(0)
	v_mul_f64 v[38:39], v[4:5], v[34:35]
	v_fmac_f64_e32 v[38:39], v[6:7], v[32:33]
	v_add_f64 v[44:45], v[36:37], v[38:39]
	ds_read_b128 v[36:39], v2 offset:1184
	v_mul_f64 v[6:7], v[6:7], v[34:35]
	v_fma_f64 v[4:5], v[4:5], v[32:33], -v[6:7]
	s_waitcnt lgkmcnt(0)
	v_mul_f64 v[46:47], v[36:37], v[42:43]
	v_fmac_f64_e32 v[46:47], v[38:39], v[40:41]
	v_add_f64 v[52:53], v[44:45], v[46:47]
	ds_read_b128 v[44:47], v2 offset:1200
	s_waitcnt lgkmcnt(0)
	v_mul_f64 v[54:55], v[44:45], v[50:51]
	v_fmac_f64_e32 v[54:55], v[46:47], v[48:49]
	v_add_f64 v[60:61], v[52:53], v[54:55]
	ds_read_b128 v[52:55], v2 offset:1216
	;; [unrolled: 5-line block ×15, first 2 shown]
	s_waitcnt lgkmcnt(0)
	v_mul_f64 v[2:3], v[158:159], v[164:165]
	v_fmac_f64_e32 v[2:3], v[160:161], v[162:163]
	v_add_f64 v[96:97], v[96:97], v[2:3]
	v_mul_f64 v[2:3], v[18:19], v[22:23]
	v_fma_f64 v[2:3], v[16:17], v[20:21], -v[2:3]
	v_add_f64 v[2:3], v[2:3], 0
	v_add_f64 v[2:3], v[2:3], v[12:13]
	;; [unrolled: 1-line block ×4, first 2 shown]
	v_mul_f64 v[4:5], v[38:39], v[42:43]
	v_fma_f64 v[4:5], v[36:37], v[40:41], -v[4:5]
	v_add_f64 v[2:3], v[2:3], v[4:5]
	v_mul_f64 v[4:5], v[46:47], v[50:51]
	v_fma_f64 v[4:5], v[44:45], v[48:49], -v[4:5]
	v_add_f64 v[2:3], v[2:3], v[4:5]
	;; [unrolled: 3-line block ×16, first 2 shown]
	scratch_load_dwordx4 v[2:5], off, off offset:400
	s_waitcnt vmcnt(0)
	v_add_f64 v[2:3], v[2:3], -v[6:7]
	v_add_f64 v[4:5], v[4:5], -v[96:97]
	scratch_store_dwordx4 off, v[2:5], off offset:400
	s_and_saveexec_b64 s[0:1], vcc
	s_cbranch_execz .LBB44_237
; %bb.236:
	scratch_load_dwordx4 v[2:5], off, s43
	v_mov_b32_e32 v6, 0
	v_mov_b32_e32 v7, v6
	v_mov_b32_e32 v8, v6
	v_mov_b32_e32 v9, v6
	v_accvgpr_read_b32 v0, a91
	scratch_store_dwordx4 off, v[6:9], off offset:384
	s_waitcnt vmcnt(1)
	ds_write_b128 v0, v[2:5]
.LBB44_237:
	s_or_b64 exec, exec, s[0:1]
	v_mov_b32_e32 v2, 0
	s_waitcnt lgkmcnt(0)
	; wave barrier
	ds_read_b128 v[16:19], v2 offset:1104
	ds_read_b128 v[12:15], v2 offset:1120
	;; [unrolled: 1-line block ×4, first 2 shown]
	scratch_load_dwordx4 v[20:23], off, off offset:400
	scratch_load_dwordx4 v[40:43], off, off offset:464
	;; [unrolled: 1-line block ×15, first 2 shown]
	v_cmp_lt_u32_e32 vcc, 22, v246
	scratch_load_dwordx4 v[48:51], off, off offset:480
	scratch_load_dwordx4 v[56:59], off, off offset:496
	;; [unrolled: 1-line block ×3, first 2 shown]
	s_waitcnt vmcnt(17) lgkmcnt(3)
	v_mul_f64 v[24:25], v[16:17], v[22:23]
	v_fmac_f64_e32 v[24:25], v[18:19], v[20:21]
	v_add_f64 v[28:29], v[24:25], 0
	scratch_load_dwordx4 v[24:27], off, off offset:416
	v_mul_f64 v[18:19], v[18:19], v[22:23]
	v_fma_f64 v[16:17], v[16:17], v[20:21], -v[18:19]
	v_add_f64 v[16:17], v[16:17], 0
	s_waitcnt vmcnt(0) lgkmcnt(2)
	v_mul_f64 v[30:31], v[12:13], v[26:27]
	v_fmac_f64_e32 v[30:31], v[14:15], v[24:25]
	v_add_f64 v[32:33], v[28:29], v[30:31]
	scratch_load_dwordx4 v[28:31], off, off offset:432
	v_mul_f64 v[14:15], v[14:15], v[26:27]
	v_fma_f64 v[12:13], v[12:13], v[24:25], -v[14:15]
	v_add_f64 v[12:13], v[16:17], v[12:13]
	;; [unrolled: 8-line block ×3, first 2 shown]
	s_waitcnt vmcnt(0) lgkmcnt(0)
	v_mul_f64 v[38:39], v[4:5], v[34:35]
	v_fmac_f64_e32 v[38:39], v[6:7], v[32:33]
	v_add_f64 v[44:45], v[36:37], v[38:39]
	ds_read_b128 v[36:39], v2 offset:1168
	v_mul_f64 v[6:7], v[6:7], v[34:35]
	v_fma_f64 v[4:5], v[4:5], v[32:33], -v[6:7]
	v_add_f64 v[4:5], v[8:9], v[4:5]
	s_waitcnt lgkmcnt(0)
	v_mul_f64 v[46:47], v[36:37], v[42:43]
	v_fmac_f64_e32 v[46:47], v[38:39], v[40:41]
	v_add_f64 v[52:53], v[44:45], v[46:47]
	ds_read_b128 v[44:47], v2 offset:1184
	v_mul_f64 v[6:7], v[38:39], v[42:43]
	v_fma_f64 v[6:7], v[36:37], v[40:41], -v[6:7]
	v_add_f64 v[4:5], v[4:5], v[6:7]
	s_waitcnt lgkmcnt(0)
	;; [unrolled: 8-line block ×17, first 2 shown]
	v_mul_f64 v[6:7], v[168:169], v[172:173]
	v_fma_f64 v[6:7], v[166:167], v[170:171], -v[6:7]
	v_add_f64 v[8:9], v[4:5], v[6:7]
	scratch_load_dwordx4 v[4:7], off, off offset:384
	v_mul_f64 v[174:175], v[166:167], v[172:173]
	v_fmac_f64_e32 v[174:175], v[168:169], v[170:171]
	v_add_f64 v[104:105], v[104:105], v[174:175]
	s_waitcnt vmcnt(0)
	v_add_f64 v[4:5], v[4:5], -v[8:9]
	v_add_f64 v[6:7], v[6:7], -v[104:105]
	scratch_store_dwordx4 off, v[4:7], off offset:384
	s_and_saveexec_b64 s[0:1], vcc
	s_cbranch_execz .LBB44_239
; %bb.238:
	scratch_load_dwordx4 v[6:9], off, s42
	v_mov_b32_e32 v3, v2
	v_mov_b32_e32 v4, v2
	v_mov_b32_e32 v5, v2
	v_accvgpr_read_b32 v0, a91
	scratch_store_dwordx4 off, v[2:5], off offset:368
	s_waitcnt vmcnt(1)
	ds_write_b128 v0, v[6:9]
.LBB44_239:
	s_or_b64 exec, exec, s[0:1]
	s_waitcnt lgkmcnt(0)
	; wave barrier
	ds_read_b128 v[16:19], v2 offset:1088
	ds_read_b128 v[12:15], v2 offset:1104
	;; [unrolled: 1-line block ×4, first 2 shown]
	scratch_load_dwordx4 v[20:23], off, off offset:384
	scratch_load_dwordx4 v[40:43], off, off offset:448
	;; [unrolled: 1-line block ×16, first 2 shown]
	v_cmp_lt_u32_e32 vcc, 21, v246
	scratch_load_dwordx4 v[48:51], off, off offset:464
	scratch_load_dwordx4 v[56:59], off, off offset:480
	;; [unrolled: 1-line block ×3, first 2 shown]
	s_waitcnt vmcnt(18) lgkmcnt(3)
	v_mul_f64 v[24:25], v[16:17], v[22:23]
	v_fmac_f64_e32 v[24:25], v[18:19], v[20:21]
	v_add_f64 v[28:29], v[24:25], 0
	scratch_load_dwordx4 v[24:27], off, off offset:400
	s_waitcnt vmcnt(0) lgkmcnt(2)
	v_mul_f64 v[30:31], v[12:13], v[26:27]
	v_fmac_f64_e32 v[30:31], v[14:15], v[24:25]
	v_add_f64 v[32:33], v[28:29], v[30:31]
	scratch_load_dwordx4 v[28:31], off, off offset:416
	v_mul_f64 v[14:15], v[14:15], v[26:27]
	v_fma_f64 v[12:13], v[12:13], v[24:25], -v[14:15]
	s_waitcnt vmcnt(0) lgkmcnt(1)
	v_mul_f64 v[34:35], v[8:9], v[30:31]
	v_fmac_f64_e32 v[34:35], v[10:11], v[28:29]
	v_add_f64 v[36:37], v[32:33], v[34:35]
	scratch_load_dwordx4 v[32:35], off, off offset:432
	v_mul_f64 v[10:11], v[10:11], v[30:31]
	v_fma_f64 v[8:9], v[8:9], v[28:29], -v[10:11]
	s_waitcnt vmcnt(0) lgkmcnt(0)
	v_mul_f64 v[38:39], v[4:5], v[34:35]
	v_fmac_f64_e32 v[38:39], v[6:7], v[32:33]
	v_add_f64 v[44:45], v[36:37], v[38:39]
	ds_read_b128 v[36:39], v2 offset:1152
	v_mul_f64 v[6:7], v[6:7], v[34:35]
	v_fma_f64 v[4:5], v[4:5], v[32:33], -v[6:7]
	s_waitcnt lgkmcnt(0)
	v_mul_f64 v[46:47], v[36:37], v[42:43]
	v_fmac_f64_e32 v[46:47], v[38:39], v[40:41]
	v_add_f64 v[52:53], v[44:45], v[46:47]
	ds_read_b128 v[44:47], v2 offset:1168
	s_waitcnt lgkmcnt(0)
	v_mul_f64 v[54:55], v[44:45], v[50:51]
	v_fmac_f64_e32 v[54:55], v[46:47], v[48:49]
	v_add_f64 v[60:61], v[52:53], v[54:55]
	ds_read_b128 v[52:55], v2 offset:1184
	;; [unrolled: 5-line block ×17, first 2 shown]
	s_waitcnt lgkmcnt(0)
	v_mul_f64 v[2:3], v[174:175], v[180:181]
	v_fmac_f64_e32 v[2:3], v[176:177], v[178:179]
	v_add_f64 v[120:121], v[120:121], v[2:3]
	v_mul_f64 v[2:3], v[18:19], v[22:23]
	v_fma_f64 v[2:3], v[16:17], v[20:21], -v[2:3]
	v_add_f64 v[2:3], v[2:3], 0
	v_add_f64 v[2:3], v[2:3], v[12:13]
	;; [unrolled: 1-line block ×4, first 2 shown]
	v_mul_f64 v[4:5], v[38:39], v[42:43]
	v_fma_f64 v[4:5], v[36:37], v[40:41], -v[4:5]
	v_add_f64 v[2:3], v[2:3], v[4:5]
	v_mul_f64 v[4:5], v[46:47], v[50:51]
	v_fma_f64 v[4:5], v[44:45], v[48:49], -v[4:5]
	v_add_f64 v[2:3], v[2:3], v[4:5]
	;; [unrolled: 3-line block ×18, first 2 shown]
	scratch_load_dwordx4 v[2:5], off, off offset:368
	s_waitcnt vmcnt(0)
	v_add_f64 v[2:3], v[2:3], -v[6:7]
	v_add_f64 v[4:5], v[4:5], -v[120:121]
	scratch_store_dwordx4 off, v[2:5], off offset:368
	s_and_saveexec_b64 s[0:1], vcc
	s_cbranch_execz .LBB44_241
; %bb.240:
	scratch_load_dwordx4 v[2:5], off, s41
	v_mov_b32_e32 v6, 0
	v_mov_b32_e32 v7, v6
	;; [unrolled: 1-line block ×4, first 2 shown]
	v_accvgpr_read_b32 v0, a91
	scratch_store_dwordx4 off, v[6:9], off offset:352
	s_waitcnt vmcnt(1)
	ds_write_b128 v0, v[2:5]
.LBB44_241:
	s_or_b64 exec, exec, s[0:1]
	v_mov_b32_e32 v2, 0
	s_waitcnt lgkmcnt(0)
	; wave barrier
	ds_read_b128 v[16:19], v2 offset:1072
	ds_read_b128 v[12:15], v2 offset:1088
	;; [unrolled: 1-line block ×4, first 2 shown]
	scratch_load_dwordx4 v[20:23], off, off offset:368
	scratch_load_dwordx4 v[40:43], off, off offset:432
	;; [unrolled: 1-line block ×17, first 2 shown]
	v_cmp_lt_u32_e32 vcc, 20, v246
	scratch_load_dwordx4 v[48:51], off, off offset:448
	scratch_load_dwordx4 v[56:59], off, off offset:464
	;; [unrolled: 1-line block ×3, first 2 shown]
	s_waitcnt vmcnt(19) lgkmcnt(3)
	v_mul_f64 v[24:25], v[16:17], v[22:23]
	v_fmac_f64_e32 v[24:25], v[18:19], v[20:21]
	v_add_f64 v[28:29], v[24:25], 0
	scratch_load_dwordx4 v[24:27], off, off offset:384
	v_mul_f64 v[18:19], v[18:19], v[22:23]
	v_fma_f64 v[16:17], v[16:17], v[20:21], -v[18:19]
	v_add_f64 v[16:17], v[16:17], 0
	s_waitcnt vmcnt(0) lgkmcnt(2)
	v_mul_f64 v[30:31], v[12:13], v[26:27]
	v_fmac_f64_e32 v[30:31], v[14:15], v[24:25]
	v_add_f64 v[32:33], v[28:29], v[30:31]
	scratch_load_dwordx4 v[28:31], off, off offset:400
	v_mul_f64 v[14:15], v[14:15], v[26:27]
	v_fma_f64 v[12:13], v[12:13], v[24:25], -v[14:15]
	v_add_f64 v[12:13], v[16:17], v[12:13]
	;; [unrolled: 8-line block ×3, first 2 shown]
	s_waitcnt vmcnt(0) lgkmcnt(0)
	v_mul_f64 v[38:39], v[4:5], v[34:35]
	v_fmac_f64_e32 v[38:39], v[6:7], v[32:33]
	v_add_f64 v[44:45], v[36:37], v[38:39]
	ds_read_b128 v[36:39], v2 offset:1136
	v_mul_f64 v[6:7], v[6:7], v[34:35]
	v_fma_f64 v[4:5], v[4:5], v[32:33], -v[6:7]
	v_add_f64 v[4:5], v[8:9], v[4:5]
	s_waitcnt lgkmcnt(0)
	v_mul_f64 v[46:47], v[36:37], v[42:43]
	v_fmac_f64_e32 v[46:47], v[38:39], v[40:41]
	v_add_f64 v[52:53], v[44:45], v[46:47]
	ds_read_b128 v[44:47], v2 offset:1152
	v_mul_f64 v[6:7], v[38:39], v[42:43]
	v_fma_f64 v[6:7], v[36:37], v[40:41], -v[6:7]
	v_add_f64 v[4:5], v[4:5], v[6:7]
	s_waitcnt lgkmcnt(0)
	;; [unrolled: 8-line block ×19, first 2 shown]
	v_mul_f64 v[6:7], v[184:185], v[188:189]
	v_fma_f64 v[6:7], v[182:183], v[186:187], -v[6:7]
	v_add_f64 v[8:9], v[4:5], v[6:7]
	scratch_load_dwordx4 v[4:7], off, off offset:352
	v_mul_f64 v[190:191], v[182:183], v[188:189]
	v_fmac_f64_e32 v[190:191], v[184:185], v[186:187]
	v_add_f64 v[128:129], v[128:129], v[190:191]
	s_waitcnt vmcnt(0)
	v_add_f64 v[4:5], v[4:5], -v[8:9]
	v_add_f64 v[6:7], v[6:7], -v[128:129]
	scratch_store_dwordx4 off, v[4:7], off offset:352
	s_and_saveexec_b64 s[0:1], vcc
	s_cbranch_execz .LBB44_243
; %bb.242:
	scratch_load_dwordx4 v[6:9], off, s40
	v_mov_b32_e32 v3, v2
	v_mov_b32_e32 v4, v2
	;; [unrolled: 1-line block ×3, first 2 shown]
	v_accvgpr_read_b32 v0, a91
	scratch_store_dwordx4 off, v[2:5], off offset:336
	s_waitcnt vmcnt(1)
	ds_write_b128 v0, v[6:9]
.LBB44_243:
	s_or_b64 exec, exec, s[0:1]
	s_waitcnt lgkmcnt(0)
	; wave barrier
	ds_read_b128 v[16:19], v2 offset:1056
	ds_read_b128 v[12:15], v2 offset:1072
	;; [unrolled: 1-line block ×4, first 2 shown]
	scratch_load_dwordx4 v[20:23], off, off offset:352
	scratch_load_dwordx4 v[40:43], off, off offset:416
	;; [unrolled: 1-line block ×18, first 2 shown]
	v_cmp_lt_u32_e32 vcc, 19, v246
	scratch_load_dwordx4 v[48:51], off, off offset:432
	scratch_load_dwordx4 v[56:59], off, off offset:448
	;; [unrolled: 1-line block ×3, first 2 shown]
	s_waitcnt vmcnt(20) lgkmcnt(3)
	v_mul_f64 v[24:25], v[16:17], v[22:23]
	v_fmac_f64_e32 v[24:25], v[18:19], v[20:21]
	v_add_f64 v[28:29], v[24:25], 0
	scratch_load_dwordx4 v[24:27], off, off offset:368
	s_waitcnt vmcnt(0) lgkmcnt(2)
	v_mul_f64 v[30:31], v[12:13], v[26:27]
	v_fmac_f64_e32 v[30:31], v[14:15], v[24:25]
	v_add_f64 v[32:33], v[28:29], v[30:31]
	scratch_load_dwordx4 v[28:31], off, off offset:384
	v_mul_f64 v[14:15], v[14:15], v[26:27]
	v_fma_f64 v[12:13], v[12:13], v[24:25], -v[14:15]
	s_waitcnt vmcnt(0) lgkmcnt(1)
	v_mul_f64 v[34:35], v[8:9], v[30:31]
	v_fmac_f64_e32 v[34:35], v[10:11], v[28:29]
	v_add_f64 v[36:37], v[32:33], v[34:35]
	scratch_load_dwordx4 v[32:35], off, off offset:400
	v_mul_f64 v[10:11], v[10:11], v[30:31]
	v_fma_f64 v[8:9], v[8:9], v[28:29], -v[10:11]
	s_waitcnt vmcnt(0) lgkmcnt(0)
	v_mul_f64 v[38:39], v[4:5], v[34:35]
	v_fmac_f64_e32 v[38:39], v[6:7], v[32:33]
	v_add_f64 v[44:45], v[36:37], v[38:39]
	ds_read_b128 v[36:39], v2 offset:1120
	v_mul_f64 v[6:7], v[6:7], v[34:35]
	v_fma_f64 v[4:5], v[4:5], v[32:33], -v[6:7]
	s_waitcnt lgkmcnt(0)
	v_mul_f64 v[46:47], v[36:37], v[42:43]
	v_fmac_f64_e32 v[46:47], v[38:39], v[40:41]
	v_add_f64 v[52:53], v[44:45], v[46:47]
	ds_read_b128 v[44:47], v2 offset:1136
	s_waitcnt lgkmcnt(0)
	v_mul_f64 v[54:55], v[44:45], v[50:51]
	v_fmac_f64_e32 v[54:55], v[46:47], v[48:49]
	v_add_f64 v[60:61], v[52:53], v[54:55]
	ds_read_b128 v[52:55], v2 offset:1152
	;; [unrolled: 5-line block ×19, first 2 shown]
	s_waitcnt lgkmcnt(0)
	v_mul_f64 v[2:3], v[190:191], v[196:197]
	v_fmac_f64_e32 v[2:3], v[192:193], v[194:195]
	v_add_f64 v[148:149], v[148:149], v[2:3]
	v_mul_f64 v[2:3], v[18:19], v[22:23]
	v_fma_f64 v[2:3], v[16:17], v[20:21], -v[2:3]
	v_add_f64 v[2:3], v[2:3], 0
	v_add_f64 v[2:3], v[2:3], v[12:13]
	;; [unrolled: 1-line block ×4, first 2 shown]
	v_mul_f64 v[4:5], v[38:39], v[42:43]
	v_fma_f64 v[4:5], v[36:37], v[40:41], -v[4:5]
	v_add_f64 v[2:3], v[2:3], v[4:5]
	v_mul_f64 v[4:5], v[46:47], v[50:51]
	v_fma_f64 v[4:5], v[44:45], v[48:49], -v[4:5]
	v_add_f64 v[2:3], v[2:3], v[4:5]
	;; [unrolled: 3-line block ×20, first 2 shown]
	scratch_load_dwordx4 v[2:5], off, off offset:336
	s_waitcnt vmcnt(0)
	v_add_f64 v[2:3], v[2:3], -v[6:7]
	v_add_f64 v[4:5], v[4:5], -v[148:149]
	scratch_store_dwordx4 off, v[2:5], off offset:336
	s_and_saveexec_b64 s[0:1], vcc
	s_cbranch_execz .LBB44_245
; %bb.244:
	scratch_load_dwordx4 v[2:5], off, s39
	v_mov_b32_e32 v6, 0
	v_mov_b32_e32 v7, v6
	;; [unrolled: 1-line block ×4, first 2 shown]
	v_accvgpr_read_b32 v0, a91
	scratch_store_dwordx4 off, v[6:9], off offset:320
	s_waitcnt vmcnt(1)
	ds_write_b128 v0, v[2:5]
.LBB44_245:
	s_or_b64 exec, exec, s[0:1]
	v_mov_b32_e32 v2, 0
	s_waitcnt lgkmcnt(0)
	; wave barrier
	ds_read_b128 v[16:19], v2 offset:1040
	ds_read_b128 v[12:15], v2 offset:1056
	;; [unrolled: 1-line block ×4, first 2 shown]
	scratch_load_dwordx4 v[20:23], off, off offset:336
	scratch_load_dwordx4 v[40:43], off, off offset:400
	;; [unrolled: 1-line block ×19, first 2 shown]
	v_cmp_lt_u32_e32 vcc, 18, v246
	scratch_load_dwordx4 v[48:51], off, off offset:416
	scratch_load_dwordx4 v[56:59], off, off offset:432
	;; [unrolled: 1-line block ×3, first 2 shown]
	s_waitcnt vmcnt(21) lgkmcnt(3)
	v_mul_f64 v[24:25], v[16:17], v[22:23]
	v_fmac_f64_e32 v[24:25], v[18:19], v[20:21]
	v_add_f64 v[28:29], v[24:25], 0
	scratch_load_dwordx4 v[24:27], off, off offset:352
	v_mul_f64 v[18:19], v[18:19], v[22:23]
	v_fma_f64 v[16:17], v[16:17], v[20:21], -v[18:19]
	v_add_f64 v[16:17], v[16:17], 0
	s_waitcnt vmcnt(0) lgkmcnt(2)
	v_mul_f64 v[30:31], v[12:13], v[26:27]
	v_fmac_f64_e32 v[30:31], v[14:15], v[24:25]
	v_add_f64 v[32:33], v[28:29], v[30:31]
	scratch_load_dwordx4 v[28:31], off, off offset:368
	v_mul_f64 v[14:15], v[14:15], v[26:27]
	v_fma_f64 v[12:13], v[12:13], v[24:25], -v[14:15]
	v_add_f64 v[12:13], v[16:17], v[12:13]
	;; [unrolled: 8-line block ×3, first 2 shown]
	s_waitcnt vmcnt(0) lgkmcnt(0)
	v_mul_f64 v[38:39], v[4:5], v[34:35]
	v_fmac_f64_e32 v[38:39], v[6:7], v[32:33]
	v_add_f64 v[44:45], v[36:37], v[38:39]
	ds_read_b128 v[36:39], v2 offset:1104
	v_mul_f64 v[6:7], v[6:7], v[34:35]
	v_fma_f64 v[4:5], v[4:5], v[32:33], -v[6:7]
	v_add_f64 v[4:5], v[8:9], v[4:5]
	s_waitcnt lgkmcnt(0)
	v_mul_f64 v[46:47], v[36:37], v[42:43]
	v_fmac_f64_e32 v[46:47], v[38:39], v[40:41]
	v_add_f64 v[52:53], v[44:45], v[46:47]
	ds_read_b128 v[44:47], v2 offset:1120
	v_mul_f64 v[6:7], v[38:39], v[42:43]
	v_fma_f64 v[6:7], v[36:37], v[40:41], -v[6:7]
	v_add_f64 v[4:5], v[4:5], v[6:7]
	s_waitcnt lgkmcnt(0)
	;; [unrolled: 8-line block ×21, first 2 shown]
	v_mul_f64 v[6:7], v[200:201], v[204:205]
	v_fma_f64 v[6:7], v[198:199], v[202:203], -v[6:7]
	v_add_f64 v[8:9], v[4:5], v[6:7]
	scratch_load_dwordx4 v[4:7], off, off offset:320
	v_mul_f64 v[206:207], v[198:199], v[204:205]
	v_fmac_f64_e32 v[206:207], v[200:201], v[202:203]
	v_add_f64 v[144:145], v[144:145], v[206:207]
	s_waitcnt vmcnt(0)
	v_add_f64 v[4:5], v[4:5], -v[8:9]
	v_add_f64 v[6:7], v[6:7], -v[144:145]
	scratch_store_dwordx4 off, v[4:7], off offset:320
	s_and_saveexec_b64 s[0:1], vcc
	s_cbranch_execz .LBB44_247
; %bb.246:
	scratch_load_dwordx4 v[6:9], off, s38
	v_mov_b32_e32 v3, v2
	v_mov_b32_e32 v4, v2
	;; [unrolled: 1-line block ×3, first 2 shown]
	v_accvgpr_read_b32 v0, a91
	scratch_store_dwordx4 off, v[2:5], off offset:304
	s_waitcnt vmcnt(1)
	ds_write_b128 v0, v[6:9]
.LBB44_247:
	s_or_b64 exec, exec, s[0:1]
	s_waitcnt lgkmcnt(0)
	; wave barrier
	ds_read_b128 v[16:19], v2 offset:1024
	ds_read_b128 v[12:15], v2 offset:1040
	;; [unrolled: 1-line block ×4, first 2 shown]
	scratch_load_dwordx4 v[20:23], off, off offset:320
	scratch_load_dwordx4 v[40:43], off, off offset:384
	;; [unrolled: 1-line block ×20, first 2 shown]
	v_cmp_lt_u32_e32 vcc, 17, v246
	scratch_load_dwordx4 v[48:51], off, off offset:400
	scratch_load_dwordx4 v[56:59], off, off offset:416
	;; [unrolled: 1-line block ×3, first 2 shown]
	s_waitcnt vmcnt(22) lgkmcnt(3)
	v_mul_f64 v[24:25], v[16:17], v[22:23]
	v_fmac_f64_e32 v[24:25], v[18:19], v[20:21]
	v_add_f64 v[28:29], v[24:25], 0
	scratch_load_dwordx4 v[24:27], off, off offset:336
	s_waitcnt vmcnt(0) lgkmcnt(2)
	v_mul_f64 v[30:31], v[12:13], v[26:27]
	v_fmac_f64_e32 v[30:31], v[14:15], v[24:25]
	v_add_f64 v[32:33], v[28:29], v[30:31]
	scratch_load_dwordx4 v[28:31], off, off offset:352
	v_mul_f64 v[14:15], v[14:15], v[26:27]
	v_fma_f64 v[12:13], v[12:13], v[24:25], -v[14:15]
	s_waitcnt vmcnt(0) lgkmcnt(1)
	v_mul_f64 v[34:35], v[8:9], v[30:31]
	v_fmac_f64_e32 v[34:35], v[10:11], v[28:29]
	v_add_f64 v[36:37], v[32:33], v[34:35]
	scratch_load_dwordx4 v[32:35], off, off offset:368
	v_mul_f64 v[10:11], v[10:11], v[30:31]
	v_fma_f64 v[8:9], v[8:9], v[28:29], -v[10:11]
	s_waitcnt vmcnt(0) lgkmcnt(0)
	v_mul_f64 v[38:39], v[4:5], v[34:35]
	v_fmac_f64_e32 v[38:39], v[6:7], v[32:33]
	v_add_f64 v[44:45], v[36:37], v[38:39]
	ds_read_b128 v[36:39], v2 offset:1088
	v_mul_f64 v[6:7], v[6:7], v[34:35]
	v_fma_f64 v[4:5], v[4:5], v[32:33], -v[6:7]
	s_waitcnt lgkmcnt(0)
	v_mul_f64 v[46:47], v[36:37], v[42:43]
	v_fmac_f64_e32 v[46:47], v[38:39], v[40:41]
	v_add_f64 v[52:53], v[44:45], v[46:47]
	ds_read_b128 v[44:47], v2 offset:1104
	s_waitcnt lgkmcnt(0)
	v_mul_f64 v[54:55], v[44:45], v[50:51]
	v_fmac_f64_e32 v[54:55], v[46:47], v[48:49]
	v_add_f64 v[60:61], v[52:53], v[54:55]
	ds_read_b128 v[52:55], v2 offset:1120
	;; [unrolled: 5-line block ×21, first 2 shown]
	s_waitcnt lgkmcnt(0)
	v_mul_f64 v[2:3], v[206:207], v[212:213]
	v_fmac_f64_e32 v[2:3], v[208:209], v[210:211]
	v_add_f64 v[168:169], v[168:169], v[2:3]
	v_mul_f64 v[2:3], v[18:19], v[22:23]
	v_fma_f64 v[2:3], v[16:17], v[20:21], -v[2:3]
	v_add_f64 v[2:3], v[2:3], 0
	v_add_f64 v[2:3], v[2:3], v[12:13]
	;; [unrolled: 1-line block ×4, first 2 shown]
	v_mul_f64 v[4:5], v[38:39], v[42:43]
	v_fma_f64 v[4:5], v[36:37], v[40:41], -v[4:5]
	v_add_f64 v[2:3], v[2:3], v[4:5]
	v_mul_f64 v[4:5], v[46:47], v[50:51]
	v_fma_f64 v[4:5], v[44:45], v[48:49], -v[4:5]
	v_add_f64 v[2:3], v[2:3], v[4:5]
	;; [unrolled: 3-line block ×22, first 2 shown]
	scratch_load_dwordx4 v[2:5], off, off offset:304
	s_waitcnt vmcnt(0)
	v_add_f64 v[2:3], v[2:3], -v[6:7]
	v_add_f64 v[4:5], v[4:5], -v[168:169]
	scratch_store_dwordx4 off, v[2:5], off offset:304
	s_and_saveexec_b64 s[0:1], vcc
	s_cbranch_execz .LBB44_249
; %bb.248:
	scratch_load_dwordx4 v[2:5], off, s37
	v_mov_b32_e32 v6, 0
	v_mov_b32_e32 v7, v6
	;; [unrolled: 1-line block ×4, first 2 shown]
	v_accvgpr_read_b32 v0, a91
	scratch_store_dwordx4 off, v[6:9], off offset:288
	s_waitcnt vmcnt(1)
	ds_write_b128 v0, v[2:5]
.LBB44_249:
	s_or_b64 exec, exec, s[0:1]
	v_mov_b32_e32 v2, 0
	s_waitcnt lgkmcnt(0)
	; wave barrier
	ds_read_b128 v[16:19], v2 offset:1008
	ds_read_b128 v[12:15], v2 offset:1024
	;; [unrolled: 1-line block ×4, first 2 shown]
	scratch_load_dwordx4 v[20:23], off, off offset:304
	scratch_load_dwordx4 v[40:43], off, off offset:368
	;; [unrolled: 1-line block ×21, first 2 shown]
	v_cmp_lt_u32_e32 vcc, 16, v246
	scratch_load_dwordx4 v[48:51], off, off offset:384
	scratch_load_dwordx4 v[56:59], off, off offset:400
	;; [unrolled: 1-line block ×3, first 2 shown]
	s_waitcnt vmcnt(23) lgkmcnt(3)
	v_mul_f64 v[24:25], v[16:17], v[22:23]
	v_fmac_f64_e32 v[24:25], v[18:19], v[20:21]
	v_add_f64 v[28:29], v[24:25], 0
	scratch_load_dwordx4 v[24:27], off, off offset:320
	v_mul_f64 v[18:19], v[18:19], v[22:23]
	v_fma_f64 v[16:17], v[16:17], v[20:21], -v[18:19]
	v_add_f64 v[16:17], v[16:17], 0
	s_waitcnt vmcnt(0) lgkmcnt(2)
	v_mul_f64 v[30:31], v[12:13], v[26:27]
	v_fmac_f64_e32 v[30:31], v[14:15], v[24:25]
	v_add_f64 v[32:33], v[28:29], v[30:31]
	scratch_load_dwordx4 v[28:31], off, off offset:336
	v_mul_f64 v[14:15], v[14:15], v[26:27]
	v_fma_f64 v[12:13], v[12:13], v[24:25], -v[14:15]
	v_add_f64 v[12:13], v[16:17], v[12:13]
	;; [unrolled: 8-line block ×3, first 2 shown]
	s_waitcnt vmcnt(0) lgkmcnt(0)
	v_mul_f64 v[38:39], v[4:5], v[34:35]
	v_fmac_f64_e32 v[38:39], v[6:7], v[32:33]
	v_add_f64 v[44:45], v[36:37], v[38:39]
	ds_read_b128 v[36:39], v2 offset:1072
	v_mul_f64 v[6:7], v[6:7], v[34:35]
	v_fma_f64 v[4:5], v[4:5], v[32:33], -v[6:7]
	v_add_f64 v[4:5], v[8:9], v[4:5]
	s_waitcnt lgkmcnt(0)
	v_mul_f64 v[46:47], v[36:37], v[42:43]
	v_fmac_f64_e32 v[46:47], v[38:39], v[40:41]
	v_add_f64 v[52:53], v[44:45], v[46:47]
	ds_read_b128 v[44:47], v2 offset:1088
	v_mul_f64 v[6:7], v[38:39], v[42:43]
	v_fma_f64 v[6:7], v[36:37], v[40:41], -v[6:7]
	v_add_f64 v[4:5], v[4:5], v[6:7]
	s_waitcnt lgkmcnt(0)
	;; [unrolled: 8-line block ×23, first 2 shown]
	v_mul_f64 v[6:7], v[216:217], v[220:221]
	v_fma_f64 v[6:7], v[214:215], v[218:219], -v[6:7]
	v_add_f64 v[8:9], v[4:5], v[6:7]
	scratch_load_dwordx4 v[4:7], off, off offset:288
	v_mul_f64 v[222:223], v[214:215], v[220:221]
	v_fmac_f64_e32 v[222:223], v[216:217], v[218:219]
	v_add_f64 v[160:161], v[160:161], v[222:223]
	s_waitcnt vmcnt(0)
	v_add_f64 v[4:5], v[4:5], -v[8:9]
	v_add_f64 v[6:7], v[6:7], -v[160:161]
	scratch_store_dwordx4 off, v[4:7], off offset:288
	s_and_saveexec_b64 s[0:1], vcc
	s_cbranch_execz .LBB44_251
; %bb.250:
	scratch_load_dwordx4 v[6:9], off, s36
	v_mov_b32_e32 v3, v2
	v_mov_b32_e32 v4, v2
	;; [unrolled: 1-line block ×3, first 2 shown]
	v_accvgpr_read_b32 v0, a91
	scratch_store_dwordx4 off, v[2:5], off offset:272
	s_waitcnt vmcnt(1)
	ds_write_b128 v0, v[6:9]
.LBB44_251:
	s_or_b64 exec, exec, s[0:1]
	s_waitcnt lgkmcnt(0)
	; wave barrier
	ds_read_b128 v[16:19], v2 offset:992
	ds_read_b128 v[12:15], v2 offset:1008
	;; [unrolled: 1-line block ×4, first 2 shown]
	scratch_load_dwordx4 v[20:23], off, off offset:288
	scratch_load_dwordx4 v[40:43], off, off offset:352
	;; [unrolled: 1-line block ×22, first 2 shown]
	v_cmp_lt_u32_e32 vcc, 15, v246
	scratch_load_dwordx4 v[48:51], off, off offset:368
	scratch_load_dwordx4 v[56:59], off, off offset:384
	;; [unrolled: 1-line block ×3, first 2 shown]
	s_waitcnt vmcnt(24) lgkmcnt(3)
	v_mul_f64 v[24:25], v[16:17], v[22:23]
	v_fmac_f64_e32 v[24:25], v[18:19], v[20:21]
	v_add_f64 v[28:29], v[24:25], 0
	scratch_load_dwordx4 v[24:27], off, off offset:304
	s_waitcnt vmcnt(0) lgkmcnt(2)
	v_mul_f64 v[30:31], v[12:13], v[26:27]
	v_fmac_f64_e32 v[30:31], v[14:15], v[24:25]
	v_add_f64 v[32:33], v[28:29], v[30:31]
	scratch_load_dwordx4 v[28:31], off, off offset:320
	v_mul_f64 v[14:15], v[14:15], v[26:27]
	v_fma_f64 v[12:13], v[12:13], v[24:25], -v[14:15]
	s_waitcnt vmcnt(0) lgkmcnt(1)
	v_mul_f64 v[34:35], v[8:9], v[30:31]
	v_fmac_f64_e32 v[34:35], v[10:11], v[28:29]
	v_add_f64 v[36:37], v[32:33], v[34:35]
	scratch_load_dwordx4 v[32:35], off, off offset:336
	v_mul_f64 v[10:11], v[10:11], v[30:31]
	v_fma_f64 v[8:9], v[8:9], v[28:29], -v[10:11]
	s_waitcnt vmcnt(0) lgkmcnt(0)
	v_mul_f64 v[38:39], v[4:5], v[34:35]
	v_fmac_f64_e32 v[38:39], v[6:7], v[32:33]
	v_add_f64 v[44:45], v[36:37], v[38:39]
	ds_read_b128 v[36:39], v2 offset:1056
	v_mul_f64 v[6:7], v[6:7], v[34:35]
	v_fma_f64 v[4:5], v[4:5], v[32:33], -v[6:7]
	s_waitcnt lgkmcnt(0)
	v_mul_f64 v[46:47], v[36:37], v[42:43]
	v_fmac_f64_e32 v[46:47], v[38:39], v[40:41]
	v_add_f64 v[52:53], v[44:45], v[46:47]
	ds_read_b128 v[44:47], v2 offset:1072
	s_waitcnt lgkmcnt(0)
	v_mul_f64 v[54:55], v[44:45], v[50:51]
	v_fmac_f64_e32 v[54:55], v[46:47], v[48:49]
	v_add_f64 v[60:61], v[52:53], v[54:55]
	ds_read_b128 v[52:55], v2 offset:1088
	s_waitcnt lgkmcnt(0)
	v_mul_f64 v[62:63], v[52:53], v[58:59]
	v_fmac_f64_e32 v[62:63], v[54:55], v[56:57]
	v_add_f64 v[68:69], v[60:61], v[62:63]
	ds_read_b128 v[60:63], v2 offset:1104
	s_waitcnt lgkmcnt(0)
	v_mul_f64 v[70:71], v[60:61], v[66:67]
	v_fmac_f64_e32 v[70:71], v[62:63], v[64:65]
	v_add_f64 v[76:77], v[68:69], v[70:71]
	ds_read_b128 v[68:71], v2 offset:1120
	s_waitcnt lgkmcnt(0)
	v_mul_f64 v[78:79], v[68:69], v[74:75]
	v_fmac_f64_e32 v[78:79], v[70:71], v[72:73]
	v_add_f64 v[84:85], v[76:77], v[78:79]
	ds_read_b128 v[76:79], v2 offset:1136
	s_waitcnt lgkmcnt(0)
	v_mul_f64 v[86:87], v[76:77], v[82:83]
	v_fmac_f64_e32 v[86:87], v[78:79], v[80:81]
	v_add_f64 v[92:93], v[84:85], v[86:87]
	ds_read_b128 v[84:87], v2 offset:1152
	s_waitcnt lgkmcnt(0)
	v_mul_f64 v[94:95], v[84:85], v[90:91]
	v_fmac_f64_e32 v[94:95], v[86:87], v[88:89]
	v_add_f64 v[100:101], v[92:93], v[94:95]
	ds_read_b128 v[92:95], v2 offset:1168
	s_waitcnt lgkmcnt(0)
	v_mul_f64 v[102:103], v[92:93], v[98:99]
	v_fmac_f64_e32 v[102:103], v[94:95], v[96:97]
	v_add_f64 v[108:109], v[100:101], v[102:103]
	ds_read_b128 v[100:103], v2 offset:1184
	s_waitcnt lgkmcnt(0)
	v_mul_f64 v[110:111], v[100:101], v[106:107]
	v_fmac_f64_e32 v[110:111], v[102:103], v[104:105]
	v_add_f64 v[116:117], v[108:109], v[110:111]
	ds_read_b128 v[108:111], v2 offset:1200
	s_waitcnt lgkmcnt(0)
	v_mul_f64 v[118:119], v[108:109], v[114:115]
	v_fmac_f64_e32 v[118:119], v[110:111], v[112:113]
	v_add_f64 v[124:125], v[116:117], v[118:119]
	ds_read_b128 v[116:119], v2 offset:1216
	s_waitcnt lgkmcnt(0)
	v_mul_f64 v[126:127], v[116:117], v[122:123]
	v_fmac_f64_e32 v[126:127], v[118:119], v[120:121]
	v_add_f64 v[132:133], v[124:125], v[126:127]
	ds_read_b128 v[124:127], v2 offset:1232
	s_waitcnt lgkmcnt(0)
	v_mul_f64 v[134:135], v[124:125], v[130:131]
	v_fmac_f64_e32 v[134:135], v[126:127], v[128:129]
	v_add_f64 v[140:141], v[132:133], v[134:135]
	ds_read_b128 v[132:135], v2 offset:1248
	s_waitcnt lgkmcnt(0)
	v_mul_f64 v[142:143], v[132:133], v[138:139]
	v_fmac_f64_e32 v[142:143], v[134:135], v[136:137]
	v_add_f64 v[148:149], v[140:141], v[142:143]
	ds_read_b128 v[140:143], v2 offset:1264
	s_waitcnt lgkmcnt(0)
	v_mul_f64 v[150:151], v[140:141], v[146:147]
	v_fmac_f64_e32 v[150:151], v[142:143], v[144:145]
	v_add_f64 v[156:157], v[148:149], v[150:151]
	ds_read_b128 v[148:151], v2 offset:1280
	s_waitcnt lgkmcnt(0)
	v_mul_f64 v[158:159], v[148:149], v[154:155]
	v_fmac_f64_e32 v[158:159], v[150:151], v[152:153]
	v_add_f64 v[164:165], v[156:157], v[158:159]
	ds_read_b128 v[156:159], v2 offset:1296
	s_waitcnt lgkmcnt(0)
	v_mul_f64 v[166:167], v[156:157], v[162:163]
	v_fmac_f64_e32 v[166:167], v[158:159], v[160:161]
	v_add_f64 v[172:173], v[164:165], v[166:167]
	ds_read_b128 v[164:167], v2 offset:1312
	s_waitcnt lgkmcnt(0)
	v_mul_f64 v[174:175], v[164:165], v[170:171]
	v_fmac_f64_e32 v[174:175], v[166:167], v[168:169]
	v_add_f64 v[176:177], v[172:173], v[174:175]
	ds_read_b128 v[172:175], v2 offset:1328
	s_waitcnt lgkmcnt(0)
	v_mul_f64 v[182:183], v[172:173], v[180:181]
	v_fmac_f64_e32 v[182:183], v[174:175], v[178:179]
	v_add_f64 v[176:177], v[176:177], v[182:183]
	ds_read_b128 v[182:185], v2 offset:1344
	s_waitcnt lgkmcnt(0)
	v_mul_f64 v[190:191], v[182:183], v[188:189]
	v_fmac_f64_e32 v[190:191], v[184:185], v[186:187]
	v_add_f64 v[176:177], v[176:177], v[190:191]
	ds_read_b128 v[190:193], v2 offset:1360
	s_waitcnt lgkmcnt(0)
	v_mul_f64 v[198:199], v[190:191], v[196:197]
	v_fmac_f64_e32 v[198:199], v[192:193], v[194:195]
	v_add_f64 v[176:177], v[176:177], v[198:199]
	ds_read_b128 v[198:201], v2 offset:1376
	s_waitcnt lgkmcnt(0)
	v_mul_f64 v[206:207], v[198:199], v[204:205]
	v_fmac_f64_e32 v[206:207], v[200:201], v[202:203]
	v_add_f64 v[176:177], v[176:177], v[206:207]
	ds_read_b128 v[206:209], v2 offset:1392
	s_waitcnt lgkmcnt(0)
	v_mul_f64 v[214:215], v[206:207], v[212:213]
	v_fmac_f64_e32 v[214:215], v[208:209], v[210:211]
	v_add_f64 v[176:177], v[176:177], v[214:215]
	ds_read_b128 v[214:217], v2 offset:1408
	s_waitcnt lgkmcnt(0)
	v_mul_f64 v[222:223], v[214:215], v[220:221]
	v_fmac_f64_e32 v[222:223], v[216:217], v[218:219]
	v_add_f64 v[176:177], v[176:177], v[222:223]
	ds_read_b128 v[222:225], v2 offset:1424
	s_waitcnt lgkmcnt(0)
	v_mul_f64 v[2:3], v[222:223], v[228:229]
	v_fmac_f64_e32 v[2:3], v[224:225], v[226:227]
	v_add_f64 v[176:177], v[176:177], v[2:3]
	v_mul_f64 v[2:3], v[18:19], v[22:23]
	v_fma_f64 v[2:3], v[16:17], v[20:21], -v[2:3]
	v_add_f64 v[2:3], v[2:3], 0
	v_add_f64 v[2:3], v[2:3], v[12:13]
	v_add_f64 v[2:3], v[2:3], v[8:9]
	v_add_f64 v[2:3], v[2:3], v[4:5]
	v_mul_f64 v[4:5], v[38:39], v[42:43]
	v_fma_f64 v[4:5], v[36:37], v[40:41], -v[4:5]
	v_add_f64 v[2:3], v[2:3], v[4:5]
	v_mul_f64 v[4:5], v[46:47], v[50:51]
	v_fma_f64 v[4:5], v[44:45], v[48:49], -v[4:5]
	v_add_f64 v[2:3], v[2:3], v[4:5]
	;; [unrolled: 3-line block ×24, first 2 shown]
	scratch_load_dwordx4 v[2:5], off, off offset:272
	s_waitcnt vmcnt(0)
	v_add_f64 v[2:3], v[2:3], -v[6:7]
	v_add_f64 v[4:5], v[4:5], -v[176:177]
	scratch_store_dwordx4 off, v[2:5], off offset:272
	s_and_saveexec_b64 s[0:1], vcc
	s_cbranch_execz .LBB44_253
; %bb.252:
	scratch_load_dwordx4 v[2:5], off, s35
	v_mov_b32_e32 v6, 0
	v_mov_b32_e32 v7, v6
	v_mov_b32_e32 v8, v6
	v_mov_b32_e32 v9, v6
	v_accvgpr_read_b32 v0, a91
	scratch_store_dwordx4 off, v[6:9], off offset:256
	s_waitcnt vmcnt(1)
	ds_write_b128 v0, v[2:5]
.LBB44_253:
	s_or_b64 exec, exec, s[0:1]
	v_mov_b32_e32 v2, 0
	s_waitcnt lgkmcnt(0)
	; wave barrier
	ds_read_b128 v[16:19], v2 offset:976
	ds_read_b128 v[12:15], v2 offset:992
	;; [unrolled: 1-line block ×4, first 2 shown]
	scratch_load_dwordx4 v[20:23], off, off offset:272
	scratch_load_dwordx4 v[40:43], off, off offset:336
	;; [unrolled: 1-line block ×23, first 2 shown]
	v_cmp_lt_u32_e32 vcc, 14, v246
	scratch_load_dwordx4 v[48:51], off, off offset:352
	scratch_load_dwordx4 v[56:59], off, off offset:368
	;; [unrolled: 1-line block ×3, first 2 shown]
	s_waitcnt vmcnt(25) lgkmcnt(3)
	v_mul_f64 v[24:25], v[16:17], v[22:23]
	v_fmac_f64_e32 v[24:25], v[18:19], v[20:21]
	v_add_f64 v[28:29], v[24:25], 0
	scratch_load_dwordx4 v[24:27], off, off offset:288
	v_mul_f64 v[18:19], v[18:19], v[22:23]
	v_fma_f64 v[16:17], v[16:17], v[20:21], -v[18:19]
	v_add_f64 v[16:17], v[16:17], 0
	s_waitcnt vmcnt(0) lgkmcnt(2)
	v_mul_f64 v[30:31], v[12:13], v[26:27]
	v_fmac_f64_e32 v[30:31], v[14:15], v[24:25]
	v_add_f64 v[32:33], v[28:29], v[30:31]
	scratch_load_dwordx4 v[28:31], off, off offset:304
	v_mul_f64 v[14:15], v[14:15], v[26:27]
	v_fma_f64 v[12:13], v[12:13], v[24:25], -v[14:15]
	v_add_f64 v[12:13], v[16:17], v[12:13]
	;; [unrolled: 8-line block ×3, first 2 shown]
	s_waitcnt vmcnt(0) lgkmcnt(0)
	v_mul_f64 v[38:39], v[4:5], v[34:35]
	v_fmac_f64_e32 v[38:39], v[6:7], v[32:33]
	v_add_f64 v[44:45], v[36:37], v[38:39]
	ds_read_b128 v[36:39], v2 offset:1040
	v_mul_f64 v[6:7], v[6:7], v[34:35]
	v_fma_f64 v[4:5], v[4:5], v[32:33], -v[6:7]
	v_add_f64 v[4:5], v[8:9], v[4:5]
	s_waitcnt lgkmcnt(0)
	v_mul_f64 v[46:47], v[36:37], v[42:43]
	v_fmac_f64_e32 v[46:47], v[38:39], v[40:41]
	v_add_f64 v[52:53], v[44:45], v[46:47]
	ds_read_b128 v[44:47], v2 offset:1056
	v_mul_f64 v[6:7], v[38:39], v[42:43]
	v_fma_f64 v[6:7], v[36:37], v[40:41], -v[6:7]
	v_add_f64 v[4:5], v[4:5], v[6:7]
	s_waitcnt lgkmcnt(0)
	;; [unrolled: 8-line block ×25, first 2 shown]
	v_mul_f64 v[6:7], v[232:233], v[236:237]
	v_fma_f64 v[6:7], v[230:231], v[234:235], -v[6:7]
	v_add_f64 v[8:9], v[4:5], v[6:7]
	scratch_load_dwordx4 v[4:7], off, off offset:256
	v_mul_f64 v[238:239], v[230:231], v[236:237]
	v_fmac_f64_e32 v[238:239], v[232:233], v[234:235]
	v_add_f64 v[176:177], v[176:177], v[238:239]
	s_waitcnt vmcnt(0)
	v_add_f64 v[4:5], v[4:5], -v[8:9]
	v_add_f64 v[6:7], v[6:7], -v[176:177]
	scratch_store_dwordx4 off, v[4:7], off offset:256
	s_and_saveexec_b64 s[0:1], vcc
	s_cbranch_execz .LBB44_255
; %bb.254:
	scratch_load_dwordx4 v[6:9], off, s34
	v_mov_b32_e32 v3, v2
	v_mov_b32_e32 v4, v2
	;; [unrolled: 1-line block ×3, first 2 shown]
	v_accvgpr_read_b32 v0, a91
	scratch_store_dwordx4 off, v[2:5], off offset:240
	s_waitcnt vmcnt(1)
	ds_write_b128 v0, v[6:9]
.LBB44_255:
	s_or_b64 exec, exec, s[0:1]
	s_waitcnt lgkmcnt(0)
	; wave barrier
	ds_read_b128 v[16:19], v2 offset:960
	ds_read_b128 v[12:15], v2 offset:976
	;; [unrolled: 1-line block ×4, first 2 shown]
	scratch_load_dwordx4 v[20:23], off, off offset:256
	scratch_load_dwordx4 v[40:43], off, off offset:320
	;; [unrolled: 1-line block ×23, first 2 shown]
	v_cmp_lt_u32_e32 vcc, 13, v246
	scratch_load_dwordx4 v[48:51], off, off offset:336
	scratch_load_dwordx4 v[56:59], off, off offset:352
	;; [unrolled: 1-line block ×3, first 2 shown]
	ds_read_b128 v[250:253], v2 offset:1424
	s_waitcnt vmcnt(25) lgkmcnt(4)
	v_mul_f64 v[24:25], v[16:17], v[22:23]
	v_fmac_f64_e32 v[24:25], v[18:19], v[20:21]
	v_add_f64 v[28:29], v[24:25], 0
	scratch_load_dwordx4 v[24:27], off, off offset:272
	s_waitcnt vmcnt(0) lgkmcnt(3)
	v_mul_f64 v[30:31], v[12:13], v[26:27]
	v_fmac_f64_e32 v[30:31], v[14:15], v[24:25]
	v_add_f64 v[32:33], v[28:29], v[30:31]
	scratch_load_dwordx4 v[28:31], off, off offset:288
	v_mul_f64 v[14:15], v[14:15], v[26:27]
	v_fma_f64 v[12:13], v[12:13], v[24:25], -v[14:15]
	s_waitcnt vmcnt(0) lgkmcnt(2)
	v_mul_f64 v[34:35], v[8:9], v[30:31]
	v_fmac_f64_e32 v[34:35], v[10:11], v[28:29]
	v_add_f64 v[36:37], v[32:33], v[34:35]
	scratch_load_dwordx4 v[32:35], off, off offset:304
	v_mul_f64 v[10:11], v[10:11], v[30:31]
	v_fma_f64 v[8:9], v[8:9], v[28:29], -v[10:11]
	s_waitcnt vmcnt(0) lgkmcnt(1)
	v_mul_f64 v[38:39], v[4:5], v[34:35]
	v_fmac_f64_e32 v[38:39], v[6:7], v[32:33]
	v_add_f64 v[44:45], v[36:37], v[38:39]
	ds_read_b128 v[36:39], v2 offset:1024
	v_mul_f64 v[6:7], v[6:7], v[34:35]
	v_fma_f64 v[4:5], v[4:5], v[32:33], -v[6:7]
	s_waitcnt lgkmcnt(0)
	v_mul_f64 v[46:47], v[36:37], v[42:43]
	v_fmac_f64_e32 v[46:47], v[38:39], v[40:41]
	v_add_f64 v[52:53], v[44:45], v[46:47]
	ds_read_b128 v[44:47], v2 offset:1040
	s_waitcnt lgkmcnt(0)
	v_mul_f64 v[54:55], v[44:45], v[50:51]
	v_fmac_f64_e32 v[54:55], v[46:47], v[48:49]
	v_add_f64 v[60:61], v[52:53], v[54:55]
	ds_read_b128 v[52:55], v2 offset:1056
	;; [unrolled: 5-line block ×24, first 2 shown]
	s_waitcnt lgkmcnt(0)
	v_mul_f64 v[238:239], v[230:231], v[236:237]
	v_fmac_f64_e32 v[238:239], v[232:233], v[234:235]
	v_add_f64 v[184:185], v[184:185], v[238:239]
	scratch_load_dwordx4 v[238:241], off, off offset:720
	s_waitcnt vmcnt(0)
	v_mul_f64 v[2:3], v[250:251], v[240:241]
	v_fmac_f64_e32 v[2:3], v[252:253], v[238:239]
	v_add_f64 v[184:185], v[184:185], v[2:3]
	v_mul_f64 v[2:3], v[18:19], v[22:23]
	v_fma_f64 v[2:3], v[16:17], v[20:21], -v[2:3]
	v_add_f64 v[2:3], v[2:3], 0
	v_add_f64 v[2:3], v[2:3], v[12:13]
	;; [unrolled: 1-line block ×4, first 2 shown]
	v_mul_f64 v[4:5], v[38:39], v[42:43]
	v_fma_f64 v[4:5], v[36:37], v[40:41], -v[4:5]
	v_add_f64 v[2:3], v[2:3], v[4:5]
	v_mul_f64 v[4:5], v[46:47], v[50:51]
	v_fma_f64 v[4:5], v[44:45], v[48:49], -v[4:5]
	v_add_f64 v[2:3], v[2:3], v[4:5]
	;; [unrolled: 3-line block ×26, first 2 shown]
	scratch_load_dwordx4 v[2:5], off, off offset:240
	s_waitcnt vmcnt(0)
	v_add_f64 v[2:3], v[2:3], -v[6:7]
	v_add_f64 v[4:5], v[4:5], -v[184:185]
	scratch_store_dwordx4 off, v[2:5], off offset:240
	s_and_saveexec_b64 s[0:1], vcc
	s_cbranch_execz .LBB44_257
; %bb.256:
	scratch_load_dwordx4 v[2:5], off, s33
	v_mov_b32_e32 v6, 0
	v_mov_b32_e32 v7, v6
	;; [unrolled: 1-line block ×4, first 2 shown]
	v_accvgpr_read_b32 v0, a91
	scratch_store_dwordx4 off, v[6:9], off offset:224
	s_waitcnt vmcnt(1)
	ds_write_b128 v0, v[2:5]
.LBB44_257:
	s_or_b64 exec, exec, s[0:1]
	s_waitcnt lgkmcnt(0)
	; wave barrier
	scratch_load_dwordx4 v[16:19], off, off offset:240
	scratch_load_dwordx4 v[12:15], off, off offset:256
	;; [unrolled: 1-line block ×32, first 2 shown]
	v_mov_b32_e32 v2, 0
	ds_read_b128 v[132:135], v2 offset:944
	ds_read_b128 v[136:139], v2 offset:960
	;; [unrolled: 1-line block ×17, first 2 shown]
	v_cmp_lt_u32_e32 vcc, 12, v246
	s_waitcnt vmcnt(31) lgkmcnt(14)
	v_mul_f64 v[200:201], v[132:133], v[18:19]
	s_waitcnt vmcnt(30)
	v_mul_f64 v[202:203], v[136:137], v[14:15]
	v_fmac_f64_e32 v[200:201], v[134:135], v[16:17]
	s_waitcnt vmcnt(29)
	v_mul_f64 v[204:205], v[140:141], v[10:11]
	v_fmac_f64_e32 v[202:203], v[138:139], v[12:13]
	v_add_f64 v[200:201], v[200:201], 0
	s_waitcnt vmcnt(28) lgkmcnt(13)
	v_mul_f64 v[206:207], v[144:145], v[6:7]
	v_fmac_f64_e32 v[204:205], v[142:143], v[8:9]
	v_add_f64 v[200:201], v[200:201], v[202:203]
	s_waitcnt vmcnt(27) lgkmcnt(12)
	;; [unrolled: 4-line block ×12, first 2 shown]
	v_mul_f64 v[228:229], v[188:189], v[62:63]
	v_fmac_f64_e32 v[226:227], v[186:187], v[56:57]
	v_add_f64 v[200:201], v[200:201], v[224:225]
	v_fmac_f64_e32 v[228:229], v[190:191], v[60:61]
	v_add_f64 v[200:201], v[200:201], v[226:227]
	s_waitcnt vmcnt(16) lgkmcnt(1)
	v_mul_f64 v[202:203], v[192:193], v[66:67]
	v_add_f64 v[200:201], v[200:201], v[228:229]
	v_fmac_f64_e32 v[202:203], v[194:195], v[64:65]
	s_waitcnt vmcnt(15) lgkmcnt(0)
	v_mul_f64 v[206:207], v[196:197], v[70:71]
	v_add_f64 v[204:205], v[200:201], v[202:203]
	ds_read_b128 v[200:203], v2 offset:1216
	v_fmac_f64_e32 v[206:207], v[198:199], v[68:69]
	v_add_f64 v[208:209], v[204:205], v[206:207]
	ds_read_b128 v[204:207], v2 offset:1232
	v_mul_f64 v[18:19], v[134:135], v[18:19]
	s_waitcnt vmcnt(14) lgkmcnt(1)
	v_mul_f64 v[210:211], v[200:201], v[74:75]
	v_fmac_f64_e32 v[210:211], v[202:203], v[72:73]
	v_add_f64 v[212:213], v[208:209], v[210:211]
	s_waitcnt vmcnt(13) lgkmcnt(0)
	v_mul_f64 v[214:215], v[204:205], v[78:79]
	ds_read_b128 v[208:211], v2 offset:1248
	v_fmac_f64_e32 v[214:215], v[206:207], v[76:77]
	v_add_f64 v[216:217], v[212:213], v[214:215]
	ds_read_b128 v[212:215], v2 offset:1264
	v_fma_f64 v[250:251], v[132:133], v[16:17], -v[18:19]
	s_waitcnt vmcnt(12) lgkmcnt(1)
	v_mul_f64 v[218:219], v[208:209], v[82:83]
	v_fmac_f64_e32 v[218:219], v[210:211], v[80:81]
	v_add_f64 v[220:221], v[216:217], v[218:219]
	s_waitcnt vmcnt(11) lgkmcnt(0)
	v_mul_f64 v[222:223], v[212:213], v[86:87]
	ds_read_b128 v[216:219], v2 offset:1280
	v_fmac_f64_e32 v[222:223], v[214:215], v[84:85]
	v_add_f64 v[224:225], v[220:221], v[222:223]
	ds_read_b128 v[220:223], v2 offset:1296
	ds_read_b128 v[16:19], v2 offset:1376
	s_waitcnt vmcnt(10) lgkmcnt(2)
	v_mul_f64 v[226:227], v[216:217], v[90:91]
	v_fmac_f64_e32 v[226:227], v[218:219], v[88:89]
	v_add_f64 v[228:229], v[224:225], v[226:227]
	s_waitcnt vmcnt(9) lgkmcnt(1)
	v_mul_f64 v[230:231], v[220:221], v[94:95]
	ds_read_b128 v[224:227], v2 offset:1312
	v_fmac_f64_e32 v[230:231], v[222:223], v[92:93]
	v_add_f64 v[232:233], v[228:229], v[230:231]
	ds_read_b128 v[228:231], v2 offset:1328
	v_mul_f64 v[14:15], v[138:139], v[14:15]
	s_waitcnt vmcnt(8) lgkmcnt(1)
	v_mul_f64 v[234:235], v[224:225], v[98:99]
	v_fmac_f64_e32 v[234:235], v[226:227], v[96:97]
	v_add_f64 v[236:237], v[232:233], v[234:235]
	s_waitcnt vmcnt(7) lgkmcnt(0)
	v_mul_f64 v[238:239], v[228:229], v[102:103]
	ds_read_b128 v[232:235], v2 offset:1344
	v_fmac_f64_e32 v[238:239], v[230:231], v[100:101]
	v_add_f64 v[240:241], v[236:237], v[238:239]
	ds_read_b128 v[236:239], v2 offset:1360
	v_fma_f64 v[136:137], v[136:137], v[12:13], -v[14:15]
	s_waitcnt vmcnt(6) lgkmcnt(1)
	v_mul_f64 v[132:133], v[232:233], v[106:107]
	v_fmac_f64_e32 v[132:133], v[234:235], v[104:105]
	v_add_f64 v[132:133], v[240:241], v[132:133]
	s_waitcnt vmcnt(5) lgkmcnt(0)
	v_mul_f64 v[134:135], v[236:237], v[110:111]
	v_fmac_f64_e32 v[134:135], v[238:239], v[108:109]
	v_add_f64 v[132:133], v[132:133], v[134:135]
	ds_read_b128 v[12:15], v2 offset:1392
	s_waitcnt vmcnt(4)
	v_mul_f64 v[134:135], v[16:17], v[114:115]
	v_fmac_f64_e32 v[134:135], v[18:19], v[112:113]
	v_add_f64 v[138:139], v[132:133], v[134:135]
	ds_read_b128 v[132:135], v2 offset:1408
	v_mul_f64 v[10:11], v[142:143], v[10:11]
	v_fma_f64 v[140:141], v[140:141], v[8:9], -v[10:11]
	ds_read_b128 v[8:11], v2 offset:1424
	s_waitcnt vmcnt(3) lgkmcnt(2)
	v_mul_f64 v[142:143], v[12:13], v[118:119]
	v_fmac_f64_e32 v[142:143], v[14:15], v[116:117]
	v_add_f64 v[138:139], v[138:139], v[142:143]
	s_waitcnt vmcnt(2) lgkmcnt(1)
	v_mul_f64 v[142:143], v[132:133], v[122:123]
	v_fmac_f64_e32 v[142:143], v[134:135], v[120:121]
	v_add_f64 v[138:139], v[138:139], v[142:143]
	;; [unrolled: 4-line block ×3, first 2 shown]
	v_add_f64 v[142:143], v[250:251], 0
	v_add_f64 v[136:137], v[142:143], v[136:137]
	v_mul_f64 v[6:7], v[146:147], v[6:7]
	v_add_f64 v[136:137], v[136:137], v[140:141]
	v_fma_f64 v[4:5], v[144:145], v[4:5], -v[6:7]
	v_mul_f64 v[6:7], v[150:151], v[22:23]
	v_add_f64 v[4:5], v[136:137], v[4:5]
	v_fma_f64 v[6:7], v[148:149], v[20:21], -v[6:7]
	v_add_f64 v[4:5], v[4:5], v[6:7]
	v_mul_f64 v[6:7], v[154:155], v[26:27]
	v_fma_f64 v[6:7], v[152:153], v[24:25], -v[6:7]
	v_add_f64 v[4:5], v[4:5], v[6:7]
	v_mul_f64 v[6:7], v[158:159], v[30:31]
	v_fma_f64 v[6:7], v[156:157], v[28:29], -v[6:7]
	v_add_f64 v[4:5], v[4:5], v[6:7]
	v_mul_f64 v[6:7], v[162:163], v[34:35]
	v_fma_f64 v[6:7], v[160:161], v[32:33], -v[6:7]
	v_add_f64 v[4:5], v[4:5], v[6:7]
	v_mul_f64 v[6:7], v[166:167], v[38:39]
	v_fma_f64 v[6:7], v[164:165], v[36:37], -v[6:7]
	v_add_f64 v[4:5], v[4:5], v[6:7]
	v_mul_f64 v[6:7], v[170:171], v[42:43]
	v_fma_f64 v[6:7], v[168:169], v[40:41], -v[6:7]
	v_add_f64 v[4:5], v[4:5], v[6:7]
	v_mul_f64 v[6:7], v[174:175], v[46:47]
	v_fma_f64 v[6:7], v[172:173], v[44:45], -v[6:7]
	v_add_f64 v[4:5], v[4:5], v[6:7]
	v_mul_f64 v[6:7], v[178:179], v[50:51]
	v_fma_f64 v[6:7], v[176:177], v[48:49], -v[6:7]
	v_add_f64 v[4:5], v[4:5], v[6:7]
	v_mul_f64 v[6:7], v[182:183], v[54:55]
	v_fma_f64 v[6:7], v[180:181], v[52:53], -v[6:7]
	v_add_f64 v[4:5], v[4:5], v[6:7]
	v_mul_f64 v[6:7], v[186:187], v[58:59]
	v_fma_f64 v[6:7], v[184:185], v[56:57], -v[6:7]
	v_add_f64 v[4:5], v[4:5], v[6:7]
	v_mul_f64 v[6:7], v[190:191], v[62:63]
	v_fma_f64 v[6:7], v[188:189], v[60:61], -v[6:7]
	v_add_f64 v[4:5], v[4:5], v[6:7]
	v_mul_f64 v[6:7], v[194:195], v[66:67]
	v_fma_f64 v[6:7], v[192:193], v[64:65], -v[6:7]
	v_add_f64 v[4:5], v[4:5], v[6:7]
	v_mul_f64 v[6:7], v[198:199], v[70:71]
	v_fma_f64 v[6:7], v[196:197], v[68:69], -v[6:7]
	v_add_f64 v[4:5], v[4:5], v[6:7]
	v_mul_f64 v[6:7], v[202:203], v[74:75]
	v_fma_f64 v[6:7], v[200:201], v[72:73], -v[6:7]
	v_add_f64 v[4:5], v[4:5], v[6:7]
	v_mul_f64 v[6:7], v[206:207], v[78:79]
	v_fma_f64 v[6:7], v[204:205], v[76:77], -v[6:7]
	v_add_f64 v[4:5], v[4:5], v[6:7]
	v_mul_f64 v[6:7], v[210:211], v[82:83]
	v_fma_f64 v[6:7], v[208:209], v[80:81], -v[6:7]
	v_add_f64 v[4:5], v[4:5], v[6:7]
	v_mul_f64 v[6:7], v[214:215], v[86:87]
	v_fma_f64 v[6:7], v[212:213], v[84:85], -v[6:7]
	v_add_f64 v[4:5], v[4:5], v[6:7]
	v_mul_f64 v[6:7], v[218:219], v[90:91]
	v_fma_f64 v[6:7], v[216:217], v[88:89], -v[6:7]
	v_add_f64 v[4:5], v[4:5], v[6:7]
	v_mul_f64 v[6:7], v[222:223], v[94:95]
	v_fma_f64 v[6:7], v[220:221], v[92:93], -v[6:7]
	v_add_f64 v[4:5], v[4:5], v[6:7]
	v_mul_f64 v[6:7], v[226:227], v[98:99]
	v_fma_f64 v[6:7], v[224:225], v[96:97], -v[6:7]
	v_add_f64 v[4:5], v[4:5], v[6:7]
	v_mul_f64 v[6:7], v[230:231], v[102:103]
	v_fma_f64 v[6:7], v[228:229], v[100:101], -v[6:7]
	v_add_f64 v[4:5], v[4:5], v[6:7]
	v_mul_f64 v[6:7], v[234:235], v[106:107]
	v_fma_f64 v[6:7], v[232:233], v[104:105], -v[6:7]
	v_add_f64 v[4:5], v[4:5], v[6:7]
	v_mul_f64 v[6:7], v[238:239], v[110:111]
	v_fma_f64 v[6:7], v[236:237], v[108:109], -v[6:7]
	v_add_f64 v[4:5], v[4:5], v[6:7]
	v_mul_f64 v[6:7], v[18:19], v[114:115]
	v_fma_f64 v[6:7], v[16:17], v[112:113], -v[6:7]
	v_add_f64 v[4:5], v[4:5], v[6:7]
	v_mul_f64 v[6:7], v[14:15], v[118:119]
	v_fma_f64 v[6:7], v[12:13], v[116:117], -v[6:7]
	v_add_f64 v[4:5], v[4:5], v[6:7]
	v_mul_f64 v[6:7], v[134:135], v[122:123]
	v_fma_f64 v[6:7], v[132:133], v[120:121], -v[6:7]
	v_add_f64 v[4:5], v[4:5], v[6:7]
	v_mul_f64 v[6:7], v[10:11], v[126:127]
	v_fma_f64 v[6:7], v[8:9], v[124:125], -v[6:7]
	v_add_f64 v[4:5], v[4:5], v[6:7]
	s_waitcnt vmcnt(0)
	v_add_f64 v[4:5], v[128:129], -v[4:5]
	v_add_f64 v[6:7], v[130:131], -v[138:139]
	scratch_store_dwordx4 off, v[4:7], off offset:224
	s_and_saveexec_b64 s[0:1], vcc
	s_cbranch_execz .LBB44_259
; %bb.258:
	scratch_load_dwordx4 v[6:9], off, s31
	v_mov_b32_e32 v3, v2
	v_mov_b32_e32 v4, v2
	;; [unrolled: 1-line block ×3, first 2 shown]
	v_accvgpr_read_b32 v0, a91
	scratch_store_dwordx4 off, v[2:5], off offset:208
	s_waitcnt vmcnt(1)
	ds_write_b128 v0, v[6:9]
.LBB44_259:
	s_or_b64 exec, exec, s[0:1]
	s_waitcnt lgkmcnt(0)
	; wave barrier
	scratch_load_dwordx4 v[140:143], off, off offset:224
	scratch_load_dwordx4 v[148:151], off, off offset:240
	;; [unrolled: 1-line block ×16, first 2 shown]
	ds_read_b128 v[188:191], v2 offset:928
	ds_read_b128 v[184:187], v2 offset:944
	scratch_load_dwordx4 v[56:59], off, off offset:480
	ds_read_b128 v[192:195], v2 offset:960
	ds_read_b128 v[68:71], v2 offset:976
	scratch_load_dwordx4 v[60:63], off, off offset:496
	ds_read_b128 v[88:91], v2 offset:992
	ds_read_b128 v[84:87], v2 offset:1008
	ds_read_b128 v[80:83], v2 offset:1024
	ds_read_b128 v[76:79], v2 offset:1040
	scratch_load_dwordx4 v[64:67], off, off offset:512
	ds_read_b128 v[100:103], v2 offset:1056
	ds_read_b128 v[96:99], v2 offset:1072
	scratch_load_dwordx4 v[72:75], off, off offset:528
	ds_read_b128 v[116:119], v2 offset:1088
	ds_read_b128 v[112:115], v2 offset:1104
	;; [unrolled: 1-line block ×4, first 2 shown]
	scratch_load_dwordx4 v[92:95], off, off offset:544
	ds_read_b128 v[132:135], v2 offset:1152
	ds_read_b128 v[128:131], v2 offset:1168
	;; [unrolled: 1-line block ×3, first 2 shown]
	scratch_load_dwordx4 v[120:123], off, off offset:560
	scratch_load_dwordx4 v[136:139], off, off offset:576
	;; [unrolled: 1-line block ×11, first 2 shown]
	v_cmp_lt_u32_e32 vcc, 11, v246
	s_waitcnt vmcnt(31) lgkmcnt(14)
	v_mul_f64 v[200:201], v[188:189], v[142:143]
	s_waitcnt vmcnt(30)
	v_mul_f64 v[202:203], v[184:185], v[150:151]
	v_fmac_f64_e32 v[200:201], v[190:191], v[140:141]
	s_waitcnt vmcnt(29)
	v_mul_f64 v[204:205], v[192:193], v[154:155]
	v_fmac_f64_e32 v[202:203], v[186:187], v[148:149]
	v_add_f64 v[200:201], v[200:201], 0
	s_waitcnt vmcnt(28) lgkmcnt(13)
	v_mul_f64 v[206:207], v[68:69], v[6:7]
	v_fmac_f64_e32 v[204:205], v[194:195], v[152:153]
	v_add_f64 v[200:201], v[200:201], v[202:203]
	s_waitcnt vmcnt(27) lgkmcnt(12)
	;; [unrolled: 4-line block ×13, first 2 shown]
	v_mul_f64 v[230:231], v[128:129], v[54:55]
	v_fmac_f64_e32 v[228:229], v[134:135], v[48:49]
	v_add_f64 v[200:201], v[200:201], v[226:227]
	v_add_f64 v[200:201], v[200:201], v[228:229]
	v_fmac_f64_e32 v[230:231], v[130:131], v[52:53]
	v_add_f64 v[204:205], v[200:201], v[230:231]
	ds_read_b128 v[200:203], v2 offset:1200
	s_waitcnt vmcnt(15) lgkmcnt(1)
	v_mul_f64 v[206:207], v[124:125], v[58:59]
	v_fmac_f64_e32 v[206:207], v[126:127], v[56:57]
	v_add_f64 v[208:209], v[204:205], v[206:207]
	ds_read_b128 v[204:207], v2 offset:1216
	s_waitcnt vmcnt(14) lgkmcnt(1)
	v_mul_f64 v[210:211], v[200:201], v[62:63]
	;; [unrolled: 5-line block ×10, first 2 shown]
	v_fmac_f64_e32 v[250:251], v[234:235], v[160:161]
	v_mul_f64 v[142:143], v[190:191], v[142:143]
	v_add_f64 v[240:241], v[240:241], v[250:251]
	v_fma_f64 v[250:251], v[188:189], v[140:141], -v[142:143]
	ds_read_b128 v[140:143], v2 offset:1360
	v_mul_f64 v[150:151], v[186:187], v[150:151]
	s_waitcnt vmcnt(5) lgkmcnt(1)
	v_mul_f64 v[188:189], v[236:237], v[166:167]
	v_fma_f64 v[252:253], v[184:185], v[148:149], -v[150:151]
	ds_read_b128 v[148:151], v2 offset:1376
	v_fmac_f64_e32 v[188:189], v[238:239], v[164:165]
	s_waitcnt vmcnt(4) lgkmcnt(1)
	v_mul_f64 v[184:185], v[140:141], v[170:171]
	v_add_f64 v[188:189], v[240:241], v[188:189]
	v_fmac_f64_e32 v[184:185], v[142:143], v[168:169]
	v_add_f64 v[188:189], v[188:189], v[184:185]
	ds_read_b128 v[184:187], v2 offset:1392
	v_mul_f64 v[154:155], v[194:195], v[154:155]
	s_waitcnt vmcnt(3) lgkmcnt(1)
	v_mul_f64 v[190:191], v[148:149], v[174:175]
	v_fma_f64 v[254:255], v[192:193], v[152:153], -v[154:155]
	ds_read_b128 v[152:155], v2 offset:1408
	v_fmac_f64_e32 v[190:191], v[150:151], v[172:173]
	v_add_f64 v[240:241], v[188:189], v[190:191]
	ds_read_b128 v[188:191], v2 offset:1424
	s_waitcnt vmcnt(2) lgkmcnt(2)
	v_mul_f64 v[192:193], v[184:185], v[178:179]
	v_fmac_f64_e32 v[192:193], v[186:187], v[176:177]
	v_add_f64 v[2:3], v[240:241], v[192:193]
	s_waitcnt vmcnt(1) lgkmcnt(1)
	v_mul_f64 v[192:193], v[152:153], v[182:183]
	v_fmac_f64_e32 v[192:193], v[154:155], v[180:181]
	v_add_f64 v[2:3], v[2:3], v[192:193]
	;; [unrolled: 4-line block ×3, first 2 shown]
	scratch_load_dwordx4 v[192:195], off, off offset:208
	v_add_f64 v[240:241], v[250:251], 0
	v_add_f64 v[240:241], v[240:241], v[252:253]
	v_mul_f64 v[6:7], v[70:71], v[6:7]
	v_add_f64 v[240:241], v[240:241], v[254:255]
	v_fma_f64 v[4:5], v[68:69], v[4:5], -v[6:7]
	v_mul_f64 v[6:7], v[90:91], v[10:11]
	v_add_f64 v[4:5], v[240:241], v[4:5]
	v_fma_f64 v[6:7], v[88:89], v[8:9], -v[6:7]
	v_add_f64 v[4:5], v[4:5], v[6:7]
	v_mul_f64 v[6:7], v[86:87], v[14:15]
	v_fma_f64 v[6:7], v[84:85], v[12:13], -v[6:7]
	v_add_f64 v[4:5], v[4:5], v[6:7]
	v_mul_f64 v[6:7], v[82:83], v[18:19]
	;; [unrolled: 3-line block ×27, first 2 shown]
	v_fma_f64 v[6:7], v[188:189], v[196:197], -v[6:7]
	v_add_f64 v[4:5], v[4:5], v[6:7]
	s_waitcnt vmcnt(0)
	v_add_f64 v[4:5], v[192:193], -v[4:5]
	v_add_f64 v[6:7], v[194:195], -v[2:3]
	scratch_store_dwordx4 off, v[4:7], off offset:208
	s_and_saveexec_b64 s[0:1], vcc
	s_cbranch_execz .LBB44_261
; %bb.260:
	scratch_load_dwordx4 v[2:5], off, s30
	v_mov_b32_e32 v6, 0
	v_mov_b32_e32 v7, v6
	;; [unrolled: 1-line block ×4, first 2 shown]
	v_accvgpr_read_b32 v0, a91
	scratch_store_dwordx4 off, v[6:9], off offset:192
	s_waitcnt vmcnt(1)
	ds_write_b128 v0, v[2:5]
.LBB44_261:
	s_or_b64 exec, exec, s[0:1]
	s_waitcnt lgkmcnt(0)
	; wave barrier
	scratch_load_dwordx4 v[108:111], off, off offset:208
	scratch_load_dwordx4 v[116:119], off, off offset:224
	;; [unrolled: 1-line block ×33, first 2 shown]
	v_mov_b32_e32 v2, 0
	ds_read_b128 v[220:223], v2 offset:912
	ds_read_b128 v[224:227], v2 offset:928
	ds_read_b128 v[234:237], v2 offset:944
	ds_read_b128 v[238:241], v2 offset:960
	ds_read_b128 v[250:253], v2 offset:976
	ds_read_b128 v[176:179], v2 offset:992
	ds_read_b128 v[172:175], v2 offset:1008
	ds_read_b128 v[168:171], v2 offset:1024
	ds_read_b128 v[164:167], v2 offset:1040
	ds_read_b128 v[160:163], v2 offset:1056
	ds_read_b128 v[156:159], v2 offset:1072
	ds_read_b128 v[152:155], v2 offset:1088
	ds_read_b128 v[148:151], v2 offset:1104
	ds_read_b128 v[144:147], v2 offset:1120
	ds_read_b128 v[140:143], v2 offset:1136
	ds_read_b128 v[136:139], v2 offset:1152
	v_cmp_lt_u32_e32 vcc, 10, v246
	s_waitcnt vmcnt(32) lgkmcnt(14)
	v_mul_f64 v[180:181], v[220:221], v[110:111]
	s_waitcnt vmcnt(31)
	v_mul_f64 v[182:183], v[224:225], v[118:119]
	v_fmac_f64_e32 v[180:181], v[222:223], v[108:109]
	s_waitcnt vmcnt(30) lgkmcnt(13)
	v_mul_f64 v[184:185], v[234:235], v[122:123]
	v_fmac_f64_e32 v[182:183], v[226:227], v[116:117]
	v_add_f64 v[180:181], v[180:181], 0
	s_waitcnt vmcnt(29) lgkmcnt(12)
	v_mul_f64 v[186:187], v[238:239], v[126:127]
	v_fmac_f64_e32 v[184:185], v[236:237], v[120:121]
	v_add_f64 v[180:181], v[180:181], v[182:183]
	;; [unrolled: 4-line block ×13, first 2 shown]
	v_fmac_f64_e32 v[208:209], v[142:143], v[40:41]
	v_add_f64 v[180:181], v[180:181], v[206:207]
	v_add_f64 v[184:185], v[180:181], v[208:209]
	ds_read_b128 v[180:183], v2 offset:1168
	s_waitcnt vmcnt(17) lgkmcnt(1)
	v_mul_f64 v[186:187], v[136:137], v[46:47]
	v_fmac_f64_e32 v[186:187], v[138:139], v[44:45]
	v_add_f64 v[188:189], v[184:185], v[186:187]
	ds_read_b128 v[184:187], v2 offset:1184
	s_waitcnt vmcnt(16) lgkmcnt(1)
	v_mul_f64 v[190:191], v[180:181], v[50:51]
	v_fmac_f64_e32 v[190:191], v[182:183], v[48:49]
	;; [unrolled: 5-line block ×10, first 2 shown]
	v_mul_f64 v[110:111], v[222:223], v[110:111]
	v_add_f64 v[228:229], v[228:229], v[230:231]
	v_fma_f64 v[230:231], v[220:221], v[108:109], -v[110:111]
	ds_read_b128 v[108:111], v2 offset:1328
	s_waitcnt vmcnt(7) lgkmcnt(1)
	v_mul_f64 v[220:221], v[216:217], v[86:87]
	v_mul_f64 v[118:119], v[226:227], v[118:119]
	v_fmac_f64_e32 v[220:221], v[218:219], v[84:85]
	v_fma_f64 v[232:233], v[224:225], v[116:117], -v[118:119]
	ds_read_b128 v[116:119], v2 offset:1344
	s_waitcnt vmcnt(6) lgkmcnt(1)
	v_mul_f64 v[222:223], v[108:109], v[90:91]
	v_add_f64 v[220:221], v[228:229], v[220:221]
	v_fmac_f64_e32 v[222:223], v[110:111], v[88:89]
	v_add_f64 v[224:225], v[220:221], v[222:223]
	ds_read_b128 v[220:223], v2 offset:1360
	v_mul_f64 v[122:123], v[236:237], v[122:123]
	v_fma_f64 v[234:235], v[234:235], v[120:121], -v[122:123]
	ds_read_b128 v[120:123], v2 offset:1376
	s_waitcnt vmcnt(5) lgkmcnt(2)
	v_mul_f64 v[226:227], v[116:117], v[94:95]
	v_fmac_f64_e32 v[226:227], v[118:119], v[92:93]
	v_add_f64 v[224:225], v[224:225], v[226:227]
	s_waitcnt vmcnt(4) lgkmcnt(1)
	v_mul_f64 v[226:227], v[220:221], v[98:99]
	v_mul_f64 v[126:127], v[240:241], v[126:127]
	v_fmac_f64_e32 v[226:227], v[222:223], v[96:97]
	v_fma_f64 v[236:237], v[238:239], v[124:125], -v[126:127]
	s_waitcnt vmcnt(3) lgkmcnt(0)
	v_mul_f64 v[238:239], v[120:121], v[102:103]
	v_add_f64 v[228:229], v[224:225], v[226:227]
	v_fmac_f64_e32 v[238:239], v[122:123], v[100:101]
	v_mul_f64 v[130:131], v[252:253], v[130:131]
	v_add_f64 v[228:229], v[228:229], v[238:239]
	v_fma_f64 v[238:239], v[250:251], v[128:129], -v[130:131]
	scratch_load_dwordx4 v[250:253], off, off offset:192
	v_add_f64 v[230:231], v[230:231], 0
	v_add_f64 v[230:231], v[230:231], v[232:233]
	;; [unrolled: 1-line block ×4, first 2 shown]
	v_mul_f64 v[6:7], v[178:179], v[6:7]
	v_add_f64 v[230:231], v[230:231], v[238:239]
	v_fma_f64 v[4:5], v[176:177], v[4:5], -v[6:7]
	v_mul_f64 v[6:7], v[174:175], v[10:11]
	v_add_f64 v[4:5], v[230:231], v[4:5]
	v_fma_f64 v[6:7], v[172:173], v[8:9], -v[6:7]
	v_add_f64 v[4:5], v[4:5], v[6:7]
	v_mul_f64 v[6:7], v[170:171], v[14:15]
	v_fma_f64 v[6:7], v[168:169], v[12:13], -v[6:7]
	v_add_f64 v[4:5], v[4:5], v[6:7]
	v_mul_f64 v[6:7], v[166:167], v[18:19]
	;; [unrolled: 3-line block ×21, first 2 shown]
	ds_read_b128 v[124:127], v2 offset:1392
	ds_read_b128 v[224:227], v2 offset:1408
	v_fma_f64 v[6:7], v[116:117], v[92:93], -v[6:7]
	v_add_f64 v[4:5], v[4:5], v[6:7]
	v_mul_f64 v[6:7], v[222:223], v[98:99]
	v_fma_f64 v[6:7], v[220:221], v[96:97], -v[6:7]
	v_add_f64 v[4:5], v[4:5], v[6:7]
	v_mul_f64 v[6:7], v[122:123], v[102:103]
	ds_read_b128 v[128:131], v2 offset:1424
	v_fma_f64 v[6:7], v[120:121], v[100:101], -v[6:7]
	s_waitcnt vmcnt(3) lgkmcnt(2)
	v_mul_f64 v[240:241], v[124:125], v[106:107]
	v_add_f64 v[4:5], v[4:5], v[6:7]
	v_mul_f64 v[6:7], v[126:127], v[106:107]
	v_fmac_f64_e32 v[240:241], v[126:127], v[104:105]
	v_fma_f64 v[6:7], v[124:125], v[104:105], -v[6:7]
	v_add_f64 v[228:229], v[228:229], v[240:241]
	s_waitcnt vmcnt(2) lgkmcnt(1)
	v_mul_f64 v[240:241], v[224:225], v[114:115]
	v_add_f64 v[4:5], v[4:5], v[6:7]
	v_mul_f64 v[6:7], v[226:227], v[114:115]
	v_fmac_f64_e32 v[240:241], v[226:227], v[112:113]
	v_fma_f64 v[6:7], v[224:225], v[112:113], -v[6:7]
	v_add_f64 v[228:229], v[228:229], v[240:241]
	;; [unrolled: 7-line block ×3, first 2 shown]
	v_add_f64 v[4:5], v[4:5], v[6:7]
	s_waitcnt vmcnt(0)
	v_add_f64 v[4:5], v[250:251], -v[4:5]
	v_add_f64 v[6:7], v[252:253], -v[228:229]
	scratch_store_dwordx4 off, v[4:7], off offset:192
	s_and_saveexec_b64 s[0:1], vcc
	s_cbranch_execz .LBB44_263
; %bb.262:
	scratch_load_dwordx4 v[6:9], off, s29
	v_mov_b32_e32 v3, v2
	v_mov_b32_e32 v4, v2
	;; [unrolled: 1-line block ×3, first 2 shown]
	v_accvgpr_read_b32 v0, a91
	scratch_store_dwordx4 off, v[2:5], off offset:176
	s_waitcnt vmcnt(1)
	ds_write_b128 v0, v[6:9]
.LBB44_263:
	s_or_b64 exec, exec, s[0:1]
	s_waitcnt lgkmcnt(0)
	; wave barrier
	scratch_load_dwordx4 v[144:147], off, off offset:192
	scratch_load_dwordx4 v[152:155], off, off offset:208
	;; [unrolled: 1-line block ×16, first 2 shown]
	ds_read_b128 v[196:199], v2 offset:896
	ds_read_b128 v[188:191], v2 offset:912
	ds_read_b128 v[180:183], v2 offset:928
	scratch_load_dwordx4 v[48:51], off, off offset:448
	ds_read_b128 v[192:195], v2 offset:944
	ds_read_b128 v[184:187], v2 offset:960
	ds_read_b128 v[64:67], v2 offset:976
	scratch_load_dwordx4 v[52:55], off, off offset:464
	;; [unrolled: 4-line block ×5, first 2 shown]
	ds_read_b128 v[116:119], v2 offset:1136
	ds_read_b128 v[112:115], v2 offset:1152
	scratch_load_dwordx4 v[108:111], off, off offset:528
	scratch_load_dwordx4 v[120:123], off, off offset:544
	;; [unrolled: 1-line block ×12, first 2 shown]
	v_cmp_lt_u32_e32 vcc, 9, v246
	s_waitcnt vmcnt(32) lgkmcnt(14)
	v_mul_f64 v[204:205], v[196:197], v[146:147]
	s_waitcnt vmcnt(31)
	v_mul_f64 v[206:207], v[188:189], v[154:155]
	v_fmac_f64_e32 v[204:205], v[198:199], v[144:145]
	s_waitcnt vmcnt(30)
	v_mul_f64 v[208:209], v[180:181], v[158:159]
	v_fmac_f64_e32 v[206:207], v[190:191], v[152:153]
	v_add_f64 v[204:205], v[204:205], 0
	s_waitcnt vmcnt(29) lgkmcnt(13)
	v_mul_f64 v[210:211], v[192:193], v[162:163]
	v_fmac_f64_e32 v[208:209], v[182:183], v[156:157]
	v_add_f64 v[204:205], v[204:205], v[206:207]
	s_waitcnt vmcnt(28) lgkmcnt(12)
	;; [unrolled: 4-line block ×12, first 2 shown]
	v_mul_f64 v[232:233], v[96:97], v[42:43]
	v_fmac_f64_e32 v[230:231], v[102:103], v[36:37]
	v_add_f64 v[204:205], v[204:205], v[228:229]
	v_fmac_f64_e32 v[232:233], v[98:99], v[40:41]
	v_add_f64 v[204:205], v[204:205], v[230:231]
	s_waitcnt vmcnt(17) lgkmcnt(1)
	v_mul_f64 v[206:207], v[116:117], v[46:47]
	v_add_f64 v[204:205], v[204:205], v[232:233]
	v_fmac_f64_e32 v[206:207], v[118:119], v[44:45]
	s_waitcnt vmcnt(16) lgkmcnt(0)
	v_mul_f64 v[210:211], v[112:113], v[50:51]
	v_add_f64 v[208:209], v[204:205], v[206:207]
	ds_read_b128 v[204:207], v2 offset:1168
	v_fmac_f64_e32 v[210:211], v[114:115], v[48:49]
	v_add_f64 v[212:213], v[208:209], v[210:211]
	ds_read_b128 v[208:211], v2 offset:1184
	v_mul_f64 v[146:147], v[198:199], v[146:147]
	s_waitcnt vmcnt(15) lgkmcnt(1)
	v_mul_f64 v[214:215], v[204:205], v[54:55]
	v_fmac_f64_e32 v[214:215], v[206:207], v[52:53]
	v_add_f64 v[216:217], v[212:213], v[214:215]
	s_waitcnt vmcnt(14) lgkmcnt(0)
	v_mul_f64 v[218:219], v[208:209], v[58:59]
	ds_read_b128 v[212:215], v2 offset:1200
	v_fmac_f64_e32 v[218:219], v[210:211], v[56:57]
	v_add_f64 v[220:221], v[216:217], v[218:219]
	ds_read_b128 v[216:219], v2 offset:1216
	v_mul_f64 v[154:155], v[190:191], v[154:155]
	s_waitcnt vmcnt(13) lgkmcnt(1)
	v_mul_f64 v[222:223], v[212:213], v[62:63]
	v_fmac_f64_e32 v[222:223], v[214:215], v[60:61]
	v_add_f64 v[224:225], v[220:221], v[222:223]
	s_waitcnt vmcnt(12) lgkmcnt(0)
	v_mul_f64 v[226:227], v[216:217], v[94:95]
	ds_read_b128 v[220:223], v2 offset:1232
	v_fmac_f64_e32 v[226:227], v[218:219], v[92:93]
	v_add_f64 v[228:229], v[224:225], v[226:227]
	ds_read_b128 v[224:227], v2 offset:1248
	v_fma_f64 v[252:253], v[188:189], v[152:153], -v[154:155]
	s_waitcnt vmcnt(11) lgkmcnt(1)
	v_mul_f64 v[230:231], v[220:221], v[110:111]
	v_fmac_f64_e32 v[230:231], v[222:223], v[108:109]
	v_add_f64 v[232:233], v[228:229], v[230:231]
	s_waitcnt vmcnt(10) lgkmcnt(0)
	v_mul_f64 v[234:235], v[224:225], v[122:123]
	ds_read_b128 v[228:231], v2 offset:1264
	v_fmac_f64_e32 v[234:235], v[226:227], v[120:121]
	v_add_f64 v[236:237], v[232:233], v[234:235]
	ds_read_b128 v[232:235], v2 offset:1280
	ds_read_b128 v[152:155], v2 offset:1328
	s_waitcnt vmcnt(9) lgkmcnt(2)
	v_mul_f64 v[238:239], v[228:229], v[126:127]
	v_fmac_f64_e32 v[238:239], v[230:231], v[124:125]
	v_add_f64 v[240:241], v[236:237], v[238:239]
	s_waitcnt vmcnt(8) lgkmcnt(1)
	v_mul_f64 v[250:251], v[232:233], v[130:131]
	ds_read_b128 v[236:239], v2 offset:1296
	v_fmac_f64_e32 v[250:251], v[234:235], v[128:129]
	v_add_f64 v[240:241], v[240:241], v[250:251]
	v_fma_f64 v[250:251], v[196:197], v[144:145], -v[146:147]
	ds_read_b128 v[144:147], v2 offset:1312
	s_waitcnt vmcnt(7) lgkmcnt(1)
	v_mul_f64 v[196:197], v[236:237], v[134:135]
	v_fmac_f64_e32 v[196:197], v[238:239], v[132:133]
	v_add_f64 v[188:189], v[240:241], v[196:197]
	v_mul_f64 v[158:159], v[182:183], v[158:159]
	s_waitcnt vmcnt(6) lgkmcnt(0)
	v_mul_f64 v[190:191], v[144:145], v[138:139]
	v_fmac_f64_e32 v[190:191], v[146:147], v[136:137]
	v_add_f64 v[196:197], v[188:189], v[190:191]
	ds_read_b128 v[188:191], v2 offset:1344
	v_fma_f64 v[240:241], v[180:181], v[156:157], -v[158:159]
	ds_read_b128 v[156:159], v2 offset:1360
	s_waitcnt vmcnt(5)
	v_mul_f64 v[198:199], v[152:153], v[142:143]
	v_fmac_f64_e32 v[198:199], v[154:155], v[140:141]
	s_waitcnt vmcnt(4) lgkmcnt(1)
	v_mul_f64 v[180:181], v[188:189], v[150:151]
	v_add_f64 v[196:197], v[196:197], v[198:199]
	v_fmac_f64_e32 v[180:181], v[190:191], v[148:149]
	v_mul_f64 v[162:163], v[194:195], v[162:163]
	v_add_f64 v[198:199], v[196:197], v[180:181]
	v_fma_f64 v[196:197], v[192:193], v[160:161], -v[162:163]
	ds_read_b128 v[160:163], v2 offset:1376
	s_waitcnt vmcnt(3) lgkmcnt(1)
	v_mul_f64 v[192:193], v[156:157], v[166:167]
	ds_read_b128 v[180:183], v2 offset:1392
	v_fmac_f64_e32 v[192:193], v[158:159], v[164:165]
	v_mul_f64 v[170:171], v[186:187], v[170:171]
	v_add_f64 v[192:193], v[198:199], v[192:193]
	v_fma_f64 v[198:199], v[184:185], v[168:169], -v[170:171]
	ds_read_b128 v[168:171], v2 offset:1408
	s_waitcnt vmcnt(2) lgkmcnt(2)
	v_mul_f64 v[184:185], v[160:161], v[174:175]
	v_fmac_f64_e32 v[184:185], v[162:163], v[172:173]
	s_waitcnt vmcnt(1) lgkmcnt(1)
	v_mul_f64 v[186:187], v[180:181], v[178:179]
	v_add_f64 v[184:185], v[192:193], v[184:185]
	v_fmac_f64_e32 v[186:187], v[182:183], v[176:177]
	v_add_f64 v[184:185], v[184:185], v[186:187]
	s_waitcnt vmcnt(0) lgkmcnt(0)
	v_mul_f64 v[186:187], v[168:169], v[202:203]
	v_fmac_f64_e32 v[186:187], v[170:171], v[200:201]
	v_add_f64 v[254:255], v[184:185], v[186:187]
	scratch_load_dwordx4 v[184:187], off, off offset:720
	ds_read_b128 v[192:195], v2 offset:1424
	v_add_f64 v[250:251], v[250:251], 0
	v_add_f64 v[250:251], v[250:251], v[252:253]
	;; [unrolled: 1-line block ×4, first 2 shown]
	v_mul_f64 v[6:7], v[66:67], v[6:7]
	v_add_f64 v[196:197], v[196:197], v[198:199]
	v_fma_f64 v[4:5], v[64:65], v[4:5], -v[6:7]
	v_mul_f64 v[6:7], v[78:79], v[10:11]
	v_add_f64 v[4:5], v[196:197], v[4:5]
	v_fma_f64 v[6:7], v[76:77], v[8:9], -v[6:7]
	v_add_f64 v[4:5], v[4:5], v[6:7]
	v_mul_f64 v[6:7], v[74:75], v[14:15]
	v_fma_f64 v[6:7], v[72:73], v[12:13], -v[6:7]
	v_add_f64 v[4:5], v[4:5], v[6:7]
	v_mul_f64 v[6:7], v[70:71], v[18:19]
	;; [unrolled: 3-line block ×23, first 2 shown]
	s_waitcnt vmcnt(0) lgkmcnt(0)
	v_mul_f64 v[2:3], v[192:193], v[186:187]
	v_fmac_f64_e32 v[2:3], v[194:195], v[184:185]
	v_add_f64 v[2:3], v[254:255], v[2:3]
	scratch_load_dwordx4 v[252:255], off, off offset:176
	v_fma_f64 v[6:7], v[156:157], v[164:165], -v[6:7]
	v_add_f64 v[4:5], v[4:5], v[6:7]
	v_mul_f64 v[6:7], v[162:163], v[174:175]
	v_fma_f64 v[6:7], v[160:161], v[172:173], -v[6:7]
	v_add_f64 v[4:5], v[4:5], v[6:7]
	v_mul_f64 v[6:7], v[182:183], v[178:179]
	;; [unrolled: 3-line block ×4, first 2 shown]
	v_fma_f64 v[6:7], v[192:193], v[184:185], -v[6:7]
	v_add_f64 v[4:5], v[4:5], v[6:7]
	s_waitcnt vmcnt(0)
	v_add_f64 v[4:5], v[252:253], -v[4:5]
	v_add_f64 v[6:7], v[254:255], -v[2:3]
	scratch_store_dwordx4 off, v[4:7], off offset:176
	s_and_saveexec_b64 s[0:1], vcc
	s_cbranch_execz .LBB44_265
; %bb.264:
	scratch_load_dwordx4 v[2:5], off, s28
	v_mov_b32_e32 v6, 0
	v_mov_b32_e32 v7, v6
	;; [unrolled: 1-line block ×4, first 2 shown]
	v_accvgpr_read_b32 v0, a91
	scratch_store_dwordx4 off, v[6:9], off offset:160
	s_waitcnt vmcnt(1)
	ds_write_b128 v0, v[2:5]
.LBB44_265:
	s_or_b64 exec, exec, s[0:1]
	s_waitcnt lgkmcnt(0)
	; wave barrier
	scratch_load_dwordx4 v[184:187], off, off offset:176
	scratch_load_dwordx4 v[188:191], off, off offset:192
	;; [unrolled: 1-line block ×32, first 2 shown]
	v_mov_b32_e32 v2, 0
	ds_read_b128 v[192:195], v2 offset:880
	ds_read_b128 v[204:207], v2 offset:896
	ds_read_b128 v[216:219], v2 offset:912
	ds_read_b128 v[224:227], v2 offset:928
	ds_read_b128 v[228:231], v2 offset:944
	ds_read_b128 v[238:241], v2 offset:960
	ds_read_b128 v[250:253], v2 offset:976
	ds_read_b128 v[148:151], v2 offset:992
	ds_read_b128 v[144:147], v2 offset:1008
	ds_read_b128 v[140:143], v2 offset:1024
	ds_read_b128 v[136:139], v2 offset:1040
	ds_read_b128 v[132:135], v2 offset:1056
	ds_read_b128 v[124:127], v2 offset:1072
	ds_read_b128 v[120:123], v2 offset:1088
	ds_read_b128 v[116:119], v2 offset:1104
	ds_read_b128 v[108:111], v2 offset:1120
	v_cmp_lt_u32_e32 vcc, 8, v246
	s_waitcnt vmcnt(31) lgkmcnt(14)
	v_mul_f64 v[104:105], v[192:193], v[186:187]
	s_waitcnt vmcnt(30)
	v_mul_f64 v[106:107], v[204:205], v[190:191]
	v_fmac_f64_e32 v[104:105], v[194:195], v[184:185]
	s_waitcnt vmcnt(29) lgkmcnt(13)
	v_mul_f64 v[112:113], v[216:217], v[198:199]
	v_fmac_f64_e32 v[106:107], v[206:207], v[188:189]
	v_add_f64 v[104:105], v[104:105], 0
	s_waitcnt vmcnt(28) lgkmcnt(12)
	v_mul_f64 v[114:115], v[224:225], v[202:203]
	v_fmac_f64_e32 v[112:113], v[218:219], v[196:197]
	v_add_f64 v[104:105], v[104:105], v[106:107]
	;; [unrolled: 4-line block ×10, first 2 shown]
	ds_read_b128 v[152:155], v2 offset:1136
	ds_read_b128 v[156:159], v2 offset:1152
	s_waitcnt vmcnt(19) lgkmcnt(5)
	v_mul_f64 v[164:165], v[124:125], v[26:27]
	v_fmac_f64_e32 v[162:163], v[134:135], v[20:21]
	v_add_f64 v[104:105], v[104:105], v[160:161]
	s_waitcnt vmcnt(18) lgkmcnt(4)
	v_mul_f64 v[166:167], v[120:121], v[30:31]
	v_fmac_f64_e32 v[164:165], v[126:127], v[24:25]
	v_add_f64 v[104:105], v[104:105], v[162:163]
	;; [unrolled: 4-line block ×4, first 2 shown]
	v_add_f64 v[112:113], v[104:105], v[168:169]
	v_fmac_f64_e32 v[170:171], v[110:111], v[36:37]
	scratch_load_dwordx4 v[104:107], off, off offset:688
	s_waitcnt vmcnt(16) lgkmcnt(1)
	v_mul_f64 v[114:115], v[152:153], v[42:43]
	v_add_f64 v[112:113], v[112:113], v[170:171]
	v_fmac_f64_e32 v[114:115], v[154:155], v[40:41]
	v_add_f64 v[128:129], v[112:113], v[114:115]
	scratch_load_dwordx4 v[112:115], off, off offset:704
	s_waitcnt vmcnt(16) lgkmcnt(0)
	v_mul_f64 v[130:131], v[156:157], v[46:47]
	v_fmac_f64_e32 v[130:131], v[158:159], v[44:45]
	v_add_f64 v[168:169], v[128:129], v[130:131]
	scratch_load_dwordx4 v[128:131], off, off offset:720
	ds_read_b128 v[160:163], v2 offset:1168
	ds_read_b128 v[164:167], v2 offset:1184
	v_mul_f64 v[186:187], v[194:195], v[186:187]
	v_fma_f64 v[254:255], v[192:193], v[184:185], -v[186:187]
	ds_read_b128 v[184:187], v2 offset:1264
	s_waitcnt vmcnt(16) lgkmcnt(2)
	v_mul_f64 v[170:171], v[160:161], v[50:51]
	v_fmac_f64_e32 v[170:171], v[162:163], v[48:49]
	s_waitcnt vmcnt(15) lgkmcnt(1)
	v_mul_f64 v[174:175], v[164:165], v[54:55]
	v_add_f64 v[172:173], v[168:169], v[170:171]
	ds_read_b128 v[168:171], v2 offset:1200
	v_fmac_f64_e32 v[174:175], v[166:167], v[52:53]
	v_add_f64 v[176:177], v[172:173], v[174:175]
	ds_read_b128 v[172:175], v2 offset:1216
	v_mul_f64 v[190:191], v[206:207], v[190:191]
	s_waitcnt vmcnt(14) lgkmcnt(1)
	v_mul_f64 v[178:179], v[168:169], v[58:59]
	v_fmac_f64_e32 v[178:179], v[170:171], v[56:57]
	v_add_f64 v[180:181], v[176:177], v[178:179]
	s_waitcnt vmcnt(13) lgkmcnt(0)
	v_mul_f64 v[182:183], v[172:173], v[62:63]
	ds_read_b128 v[176:179], v2 offset:1232
	v_fmac_f64_e32 v[182:183], v[174:175], v[60:61]
	v_add_f64 v[232:233], v[180:181], v[182:183]
	ds_read_b128 v[180:183], v2 offset:1248
	v_fma_f64 v[242:243], v[204:205], v[188:189], -v[190:191]
	s_waitcnt vmcnt(12) lgkmcnt(1)
	v_mul_f64 v[234:235], v[176:177], v[66:67]
	v_fmac_f64_e32 v[234:235], v[178:179], v[64:65]
	v_add_f64 v[232:233], v[232:233], v[234:235]
	s_waitcnt vmcnt(11) lgkmcnt(0)
	v_mul_f64 v[192:193], v[180:181], v[70:71]
	v_fmac_f64_e32 v[192:193], v[182:183], v[68:69]
	ds_read_b128 v[188:191], v2 offset:1280
	s_waitcnt vmcnt(10)
	v_mul_f64 v[194:195], v[184:185], v[74:75]
	v_add_f64 v[192:193], v[232:233], v[192:193]
	v_fmac_f64_e32 v[194:195], v[186:187], v[72:73]
	v_add_f64 v[204:205], v[192:193], v[194:195]
	ds_read_b128 v[192:195], v2 offset:1296
	v_mul_f64 v[198:199], v[218:219], v[198:199]
	v_fma_f64 v[244:245], v[216:217], v[196:197], -v[198:199]
	ds_read_b128 v[196:199], v2 offset:1312
	s_waitcnt vmcnt(9) lgkmcnt(2)
	v_mul_f64 v[206:207], v[188:189], v[78:79]
	v_fmac_f64_e32 v[206:207], v[190:191], v[76:77]
	v_add_f64 v[204:205], v[204:205], v[206:207]
	s_waitcnt vmcnt(8) lgkmcnt(1)
	v_mul_f64 v[206:207], v[192:193], v[82:83]
	v_fmac_f64_e32 v[206:207], v[194:195], v[80:81]
	v_mul_f64 v[202:203], v[226:227], v[202:203]
	v_add_f64 v[204:205], v[204:205], v[206:207]
	v_fma_f64 v[234:235], v[224:225], v[200:201], -v[202:203]
	ds_read_b128 v[200:203], v2 offset:1328
	s_waitcnt vmcnt(7) lgkmcnt(1)
	v_mul_f64 v[206:207], v[196:197], v[86:87]
	v_fmac_f64_e32 v[206:207], v[198:199], v[84:85]
	v_add_f64 v[216:217], v[204:205], v[206:207]
	ds_read_b128 v[204:207], v2 offset:1344
	v_mul_f64 v[210:211], v[230:231], v[210:211]
	v_fma_f64 v[236:237], v[228:229], v[208:209], -v[210:211]
	ds_read_b128 v[208:211], v2 offset:1360
	s_waitcnt vmcnt(6) lgkmcnt(2)
	v_mul_f64 v[218:219], v[200:201], v[90:91]
	v_fmac_f64_e32 v[218:219], v[202:203], v[88:89]
	v_add_f64 v[216:217], v[216:217], v[218:219]
	s_waitcnt vmcnt(5) lgkmcnt(1)
	v_mul_f64 v[218:219], v[204:205], v[94:95]
	v_fmac_f64_e32 v[218:219], v[206:207], v[92:93]
	v_mul_f64 v[214:215], v[240:241], v[214:215]
	v_fma_f64 v[238:239], v[238:239], v[212:213], -v[214:215]
	ds_read_b128 v[212:215], v2 offset:1376
	v_add_f64 v[216:217], v[216:217], v[218:219]
	s_waitcnt vmcnt(4) lgkmcnt(1)
	v_mul_f64 v[218:219], v[208:209], v[102:103]
	v_fmac_f64_e32 v[218:219], v[210:211], v[100:101]
	v_add_f64 v[224:225], v[216:217], v[218:219]
	ds_read_b128 v[216:219], v2 offset:1392
	v_mul_f64 v[222:223], v[252:253], v[222:223]
	v_fma_f64 v[250:251], v[250:251], v[220:221], -v[222:223]
	ds_read_b128 v[220:223], v2 offset:1408
	s_waitcnt vmcnt(3) lgkmcnt(2)
	v_mul_f64 v[226:227], v[212:213], v[98:99]
	v_fmac_f64_e32 v[226:227], v[214:215], v[96:97]
	v_add_f64 v[224:225], v[224:225], v[226:227]
	s_waitcnt vmcnt(2) lgkmcnt(1)
	v_mul_f64 v[226:227], v[216:217], v[106:107]
	v_fmac_f64_e32 v[226:227], v[218:219], v[104:105]
	v_add_f64 v[224:225], v[224:225], v[226:227]
	;; [unrolled: 4-line block ×3, first 2 shown]
	ds_read_b128 v[224:227], v2 offset:1424
	v_mul_f64 v[6:7], v[150:151], v[6:7]
	v_fma_f64 v[4:5], v[148:149], v[4:5], -v[6:7]
	v_mul_f64 v[6:7], v[146:147], v[10:11]
	v_fma_f64 v[6:7], v[144:145], v[8:9], -v[6:7]
	s_waitcnt vmcnt(0) lgkmcnt(0)
	v_mul_f64 v[230:231], v[224:225], v[130:131]
	v_fmac_f64_e32 v[230:231], v[226:227], v[128:129]
	v_add_f64 v[232:233], v[228:229], v[230:231]
	v_add_f64 v[228:229], v[254:255], 0
	;; [unrolled: 1-line block ×4, first 2 shown]
	scratch_load_dwordx4 v[228:231], off, off offset:160
	v_add_f64 v[234:235], v[252:253], v[234:235]
	v_add_f64 v[234:235], v[234:235], v[236:237]
	;; [unrolled: 1-line block ×6, first 2 shown]
	v_mul_f64 v[6:7], v[142:143], v[14:15]
	v_fma_f64 v[6:7], v[140:141], v[12:13], -v[6:7]
	v_add_f64 v[4:5], v[4:5], v[6:7]
	v_mul_f64 v[6:7], v[138:139], v[18:19]
	v_fma_f64 v[6:7], v[136:137], v[16:17], -v[6:7]
	v_add_f64 v[4:5], v[4:5], v[6:7]
	;; [unrolled: 3-line block ×26, first 2 shown]
	s_waitcnt vmcnt(0)
	v_add_f64 v[4:5], v[228:229], -v[4:5]
	v_add_f64 v[6:7], v[230:231], -v[232:233]
	scratch_store_dwordx4 off, v[4:7], off offset:160
	s_and_saveexec_b64 s[0:1], vcc
	s_cbranch_execz .LBB44_267
; %bb.266:
	scratch_load_dwordx4 v[6:9], off, s27
	v_mov_b32_e32 v3, v2
	v_mov_b32_e32 v4, v2
	;; [unrolled: 1-line block ×3, first 2 shown]
	v_accvgpr_read_b32 v0, a91
	scratch_store_dwordx4 off, v[2:5], off offset:144
	s_waitcnt vmcnt(1)
	ds_write_b128 v0, v[6:9]
.LBB44_267:
	s_or_b64 exec, exec, s[0:1]
	s_waitcnt lgkmcnt(0)
	; wave barrier
	scratch_load_dwordx4 v[140:143], off, off offset:160
	scratch_load_dwordx4 v[144:147], off, off offset:176
	;; [unrolled: 1-line block ×16, first 2 shown]
	ds_read_b128 v[208:211], v2 offset:864
	ds_read_b128 v[200:203], v2 offset:880
	;; [unrolled: 1-line block ×3, first 2 shown]
	scratch_load_dwordx4 v[40:43], off, off offset:416
	ds_read_b128 v[204:207], v2 offset:912
	ds_read_b128 v[192:195], v2 offset:928
	;; [unrolled: 1-line block ×3, first 2 shown]
	scratch_load_dwordx4 v[44:47], off, off offset:432
	ds_read_b128 v[196:199], v2 offset:960
	ds_read_b128 v[64:67], v2 offset:976
	;; [unrolled: 1-line block ×4, first 2 shown]
	scratch_load_dwordx4 v[48:51], off, off offset:448
	ds_read_b128 v[72:75], v2 offset:1024
	ds_read_b128 v[68:71], v2 offset:1040
	scratch_load_dwordx4 v[56:59], off, off offset:464
	ds_read_b128 v[92:95], v2 offset:1056
	ds_read_b128 v[88:91], v2 offset:1072
	;; [unrolled: 1-line block ×4, first 2 shown]
	scratch_load_dwordx4 v[76:79], off, off offset:480
	scratch_load_dwordx4 v[96:99], off, off offset:496
	;; [unrolled: 1-line block ×12, first 2 shown]
	ds_read_b128 v[168:171], v2 offset:1120
	v_accvgpr_write_b32 a90, v246
	v_cmp_lt_u32_e32 vcc, 7, v246
	s_waitcnt vmcnt(31) lgkmcnt(14)
	v_mul_f64 v[172:173], v[208:209], v[142:143]
	s_waitcnt vmcnt(30)
	v_mul_f64 v[174:175], v[200:201], v[146:147]
	v_fmac_f64_e32 v[172:173], v[210:211], v[140:141]
	s_waitcnt vmcnt(29)
	v_mul_f64 v[176:177], v[188:189], v[150:151]
	v_fmac_f64_e32 v[174:175], v[202:203], v[144:145]
	v_add_f64 v[172:173], v[172:173], 0
	s_waitcnt vmcnt(28) lgkmcnt(13)
	v_mul_f64 v[178:179], v[204:205], v[154:155]
	v_fmac_f64_e32 v[176:177], v[190:191], v[148:149]
	v_add_f64 v[172:173], v[172:173], v[174:175]
	s_waitcnt vmcnt(27) lgkmcnt(12)
	;; [unrolled: 4-line block ×10, first 2 shown]
	v_mul_f64 v[224:225], v[92:93], v[26:27]
	v_fmac_f64_e32 v[222:223], v[70:71], v[20:21]
	v_add_f64 v[172:173], v[172:173], v[220:221]
	ds_read_b128 v[212:215], v2 offset:1136
	s_waitcnt vmcnt(18) lgkmcnt(4)
	v_mul_f64 v[226:227], v[88:89], v[30:31]
	v_fmac_f64_e32 v[224:225], v[94:95], v[24:25]
	v_add_f64 v[172:173], v[172:173], v[222:223]
	ds_read_b128 v[216:219], v2 offset:1152
	ds_read_b128 v[220:223], v2 offset:1168
	s_waitcnt vmcnt(17) lgkmcnt(5)
	v_mul_f64 v[228:229], v[84:85], v[34:35]
	v_fmac_f64_e32 v[226:227], v[90:91], v[28:29]
	v_add_f64 v[172:173], v[172:173], v[224:225]
	s_waitcnt vmcnt(16) lgkmcnt(4)
	v_mul_f64 v[230:231], v[80:81], v[38:39]
	v_fmac_f64_e32 v[228:229], v[86:87], v[32:33]
	v_add_f64 v[172:173], v[172:173], v[226:227]
	v_add_f64 v[176:177], v[172:173], v[228:229]
	v_fmac_f64_e32 v[230:231], v[82:83], v[36:37]
	s_waitcnt vmcnt(15) lgkmcnt(3)
	v_mul_f64 v[178:179], v[168:169], v[42:43]
	v_add_f64 v[176:177], v[176:177], v[230:231]
	v_fmac_f64_e32 v[178:179], v[170:171], v[40:41]
	s_waitcnt vmcnt(14) lgkmcnt(2)
	v_mul_f64 v[182:183], v[212:213], v[46:47]
	;; [unrolled: 4-line block ×3, first 2 shown]
	v_add_f64 v[224:225], v[180:181], v[182:183]
	v_fmac_f64_e32 v[226:227], v[218:219], v[48:49]
	v_add_f64 v[228:229], v[224:225], v[226:227]
	ds_read_b128 v[224:227], v2 offset:1184
	s_waitcnt vmcnt(12) lgkmcnt(1)
	v_mul_f64 v[230:231], v[220:221], v[58:59]
	v_fmac_f64_e32 v[230:231], v[222:223], v[56:57]
	v_add_f64 v[232:233], v[228:229], v[230:231]
	ds_read_b128 v[228:231], v2 offset:1200
	s_waitcnt vmcnt(11) lgkmcnt(1)
	v_mul_f64 v[234:235], v[224:225], v[78:79]
	v_fmac_f64_e32 v[234:235], v[226:227], v[76:77]
	v_add_f64 v[236:237], v[232:233], v[234:235]
	ds_read_b128 v[232:235], v2 offset:1216
	s_waitcnt vmcnt(10) lgkmcnt(1)
	v_mul_f64 v[238:239], v[228:229], v[98:99]
	v_fmac_f64_e32 v[238:239], v[230:231], v[96:97]
	v_add_f64 v[240:241], v[236:237], v[238:239]
	ds_read_b128 v[236:239], v2 offset:1232
	s_waitcnt vmcnt(9) lgkmcnt(1)
	v_mul_f64 v[242:243], v[232:233], v[102:103]
	v_fmac_f64_e32 v[242:243], v[234:235], v[100:101]
	v_mul_f64 v[142:143], v[210:211], v[142:143]
	v_add_f64 v[240:241], v[240:241], v[242:243]
	v_fma_f64 v[242:243], v[208:209], v[140:141], -v[142:143]
	ds_read_b128 v[140:143], v2 offset:1248
	s_waitcnt vmcnt(8) lgkmcnt(1)
	v_mul_f64 v[208:209], v[236:237], v[106:107]
	v_fmac_f64_e32 v[208:209], v[238:239], v[104:105]
	v_mul_f64 v[146:147], v[202:203], v[146:147]
	v_add_f64 v[208:209], v[240:241], v[208:209]
	v_fma_f64 v[240:241], v[200:201], v[144:145], -v[146:147]
	ds_read_b128 v[144:147], v2 offset:1264
	s_waitcnt vmcnt(7) lgkmcnt(1)
	v_mul_f64 v[200:201], v[140:141], v[110:111]
	scratch_load_dwordx4 v[172:175], off, off offset:672
	scratch_load_dwordx4 v[176:179], off, off offset:688
	v_fmac_f64_e32 v[200:201], v[142:143], v[108:109]
	v_add_f64 v[208:209], v[208:209], v[200:201]
	ds_read_b128 v[200:203], v2 offset:1280
	v_mul_f64 v[150:151], v[190:191], v[150:151]
	v_fma_f64 v[244:245], v[188:189], v[148:149], -v[150:151]
	ds_read_b128 v[148:151], v2 offset:1296
	s_waitcnt vmcnt(8) lgkmcnt(2)
	v_mul_f64 v[210:211], v[144:145], v[114:115]
	v_fmac_f64_e32 v[210:211], v[146:147], v[112:113]
	s_waitcnt vmcnt(7) lgkmcnt(1)
	v_mul_f64 v[188:189], v[200:201], v[118:119]
	v_add_f64 v[208:209], v[208:209], v[210:211]
	v_fmac_f64_e32 v[188:189], v[202:203], v[116:117]
	v_mul_f64 v[154:155], v[206:207], v[154:155]
	s_waitcnt vmcnt(6) lgkmcnt(0)
	v_mul_f64 v[190:191], v[148:149], v[122:123]
	v_add_f64 v[188:189], v[208:209], v[188:189]
	v_fma_f64 v[250:251], v[204:205], v[152:153], -v[154:155]
	ds_read_b128 v[152:155], v2 offset:1312
	v_fmac_f64_e32 v[190:191], v[150:151], v[120:121]
	scratch_load_dwordx4 v[180:183], off, off offset:704
	v_add_f64 v[204:205], v[188:189], v[190:191]
	ds_read_b128 v[188:191], v2 offset:1328
	s_waitcnt vmcnt(6) lgkmcnt(1)
	v_mul_f64 v[206:207], v[152:153], v[126:127]
	v_mul_f64 v[158:159], v[194:195], v[158:159]
	v_fmac_f64_e32 v[206:207], v[154:155], v[124:125]
	v_fma_f64 v[252:253], v[192:193], v[156:157], -v[158:159]
	s_waitcnt vmcnt(5) lgkmcnt(0)
	v_mul_f64 v[192:193], v[188:189], v[130:131]
	v_add_f64 v[204:205], v[204:205], v[206:207]
	v_fmac_f64_e32 v[192:193], v[190:191], v[128:129]
	v_mul_f64 v[162:163], v[186:187], v[162:163]
	v_fma_f64 v[208:209], v[184:185], v[160:161], -v[162:163]
	v_add_f64 v[184:185], v[204:205], v[192:193]
	scratch_load_dwordx4 v[204:207], off, off offset:720
	ds_read_b128 v[156:159], v2 offset:1344
	ds_read_b128 v[160:163], v2 offset:1360
	v_mul_f64 v[166:167], v[198:199], v[166:167]
	v_fma_f64 v[210:211], v[196:197], v[164:165], -v[166:167]
	ds_read_b128 v[164:167], v2 offset:1392
	s_waitcnt vmcnt(5) lgkmcnt(2)
	v_mul_f64 v[186:187], v[156:157], v[138:139]
	v_fmac_f64_e32 v[186:187], v[158:159], v[136:137]
	v_add_f64 v[192:193], v[184:185], v[186:187]
	ds_read_b128 v[184:187], v2 offset:1376
	s_waitcnt vmcnt(4) lgkmcnt(2)
	v_mul_f64 v[194:195], v[160:161], v[134:135]
	v_fmac_f64_e32 v[194:195], v[162:163], v[132:133]
	v_add_f64 v[192:193], v[192:193], v[194:195]
	v_add_f64 v[242:243], v[242:243], 0
	;; [unrolled: 1-line block ×7, first 2 shown]
	v_mul_f64 v[6:7], v[66:67], v[6:7]
	v_add_f64 v[208:209], v[208:209], v[210:211]
	v_fma_f64 v[4:5], v[64:65], v[4:5], -v[6:7]
	v_mul_f64 v[6:7], v[62:63], v[10:11]
	v_add_f64 v[4:5], v[208:209], v[4:5]
	v_fma_f64 v[6:7], v[60:61], v[8:9], -v[6:7]
	v_add_f64 v[4:5], v[4:5], v[6:7]
	v_mul_f64 v[6:7], v[54:55], v[14:15]
	v_fma_f64 v[6:7], v[52:53], v[12:13], -v[6:7]
	v_add_f64 v[4:5], v[4:5], v[6:7]
	v_mul_f64 v[6:7], v[74:75], v[18:19]
	;; [unrolled: 3-line block ×8, first 2 shown]
	s_waitcnt vmcnt(3) lgkmcnt(0)
	v_mul_f64 v[194:195], v[184:185], v[174:175]
	v_fmac_f64_e32 v[194:195], v[186:187], v[172:173]
	v_add_f64 v[192:193], v[192:193], v[194:195]
	s_waitcnt vmcnt(2)
	v_mul_f64 v[194:195], v[164:165], v[178:179]
	v_fmac_f64_e32 v[194:195], v[166:167], v[176:177]
	v_add_f64 v[196:197], v[192:193], v[194:195]
	ds_read_b128 v[192:195], v2 offset:1408
	v_fma_f64 v[6:7], v[168:169], v[40:41], -v[6:7]
	v_add_f64 v[4:5], v[4:5], v[6:7]
	v_mul_f64 v[6:7], v[214:215], v[46:47]
	v_fma_f64 v[6:7], v[212:213], v[44:45], -v[6:7]
	v_add_f64 v[4:5], v[4:5], v[6:7]
	v_mul_f64 v[6:7], v[218:219], v[50:51]
	;; [unrolled: 3-line block ×4, first 2 shown]
	s_waitcnt vmcnt(1) lgkmcnt(0)
	v_mul_f64 v[198:199], v[192:193], v[182:183]
	v_fmac_f64_e32 v[198:199], v[194:195], v[180:181]
	v_add_f64 v[254:255], v[196:197], v[198:199]
	ds_read_b128 v[196:199], v2 offset:1424
	v_fma_f64 v[6:7], v[224:225], v[76:77], -v[6:7]
	v_add_f64 v[4:5], v[4:5], v[6:7]
	v_mul_f64 v[6:7], v[230:231], v[98:99]
	v_fma_f64 v[6:7], v[228:229], v[96:97], -v[6:7]
	v_add_f64 v[4:5], v[4:5], v[6:7]
	v_mul_f64 v[6:7], v[234:235], v[102:103]
	;; [unrolled: 3-line block ×3, first 2 shown]
	s_waitcnt vmcnt(0) lgkmcnt(0)
	v_mul_f64 v[2:3], v[196:197], v[206:207]
	v_fmac_f64_e32 v[2:3], v[198:199], v[204:205]
	v_add_f64 v[2:3], v[254:255], v[2:3]
	scratch_load_dwordx4 v[252:255], off, off offset:144
	v_fma_f64 v[6:7], v[236:237], v[104:105], -v[6:7]
	v_add_f64 v[4:5], v[4:5], v[6:7]
	v_mul_f64 v[6:7], v[142:143], v[110:111]
	v_fma_f64 v[6:7], v[140:141], v[108:109], -v[6:7]
	v_add_f64 v[4:5], v[4:5], v[6:7]
	v_mul_f64 v[6:7], v[146:147], v[114:115]
	;; [unrolled: 3-line block ×12, first 2 shown]
	v_fma_f64 v[6:7], v[196:197], v[204:205], -v[6:7]
	v_add_f64 v[4:5], v[4:5], v[6:7]
	s_waitcnt vmcnt(0)
	v_add_f64 v[4:5], v[252:253], -v[4:5]
	v_add_f64 v[6:7], v[254:255], -v[2:3]
	scratch_store_dwordx4 off, v[4:7], off offset:144
	s_and_saveexec_b64 s[0:1], vcc
	s_cbranch_execz .LBB44_269
; %bb.268:
	scratch_load_dwordx4 v[2:5], off, s60
	v_mov_b32_e32 v6, 0
	v_mov_b32_e32 v7, v6
	;; [unrolled: 1-line block ×4, first 2 shown]
	v_accvgpr_read_b32 v0, a91
	scratch_store_dwordx4 off, v[6:9], off offset:128
	s_waitcnt vmcnt(1)
	ds_write_b128 v0, v[2:5]
.LBB44_269:
	s_or_b64 exec, exec, s[0:1]
	s_waitcnt lgkmcnt(0)
	; wave barrier
	scratch_load_dwordx4 v[168:171], off, off offset:144
	scratch_load_dwordx4 v[172:175], off, off offset:160
	;; [unrolled: 1-line block ×32, first 2 shown]
	v_mov_b32_e32 v2, 0
	ds_read_b128 v[176:179], v2 offset:848
	ds_read_b128 v[188:191], v2 offset:864
	;; [unrolled: 1-line block ×17, first 2 shown]
	v_accvgpr_read_b32 v0, a90
	v_cmp_lt_u32_e32 vcc, 6, v0
	s_waitcnt vmcnt(31) lgkmcnt(14)
	v_mul_f64 v[104:105], v[176:177], v[170:171]
	s_waitcnt vmcnt(30)
	v_mul_f64 v[106:107], v[188:189], v[174:175]
	v_fmac_f64_e32 v[104:105], v[178:179], v[168:169]
	s_waitcnt vmcnt(29)
	v_mul_f64 v[108:109], v[200:201], v[182:183]
	v_fmac_f64_e32 v[106:107], v[190:191], v[172:173]
	v_add_f64 v[104:105], v[104:105], 0
	s_waitcnt vmcnt(28) lgkmcnt(13)
	v_mul_f64 v[110:111], v[212:213], v[186:187]
	v_fmac_f64_e32 v[108:109], v[202:203], v[180:181]
	v_add_f64 v[104:105], v[104:105], v[106:107]
	s_waitcnt vmcnt(27) lgkmcnt(12)
	;; [unrolled: 4-line block ×12, first 2 shown]
	v_mul_f64 v[156:157], v[112:113], v[26:27]
	v_fmac_f64_e32 v[154:155], v[118:119], v[20:21]
	v_add_f64 v[104:105], v[104:105], v[152:153]
	v_fmac_f64_e32 v[156:157], v[114:115], v[24:25]
	v_add_f64 v[104:105], v[104:105], v[154:155]
	s_waitcnt vmcnt(16) lgkmcnt(1)
	v_mul_f64 v[106:107], v[100:101], v[30:31]
	v_add_f64 v[104:105], v[104:105], v[156:157]
	v_fmac_f64_e32 v[106:107], v[102:103], v[28:29]
	v_add_f64 v[108:109], v[104:105], v[106:107]
	ds_read_b128 v[144:147], v2 offset:1120
	ds_read_b128 v[148:151], v2 offset:1136
	scratch_load_dwordx4 v[104:107], off, off offset:656
	s_waitcnt vmcnt(16) lgkmcnt(2)
	v_mul_f64 v[110:111], v[96:97], v[34:35]
	v_fmac_f64_e32 v[110:111], v[98:99], v[32:33]
	v_add_f64 v[120:121], v[108:109], v[110:111]
	scratch_load_dwordx4 v[108:111], off, off offset:672
	s_waitcnt vmcnt(16) lgkmcnt(1)
	v_mul_f64 v[122:123], v[144:145], v[38:39]
	v_fmac_f64_e32 v[122:123], v[146:147], v[36:37]
	v_add_f64 v[132:133], v[120:121], v[122:123]
	s_waitcnt vmcnt(15) lgkmcnt(0)
	v_mul_f64 v[134:135], v[148:149], v[42:43]
	scratch_load_dwordx4 v[120:123], off, off offset:688
	v_fmac_f64_e32 v[134:135], v[150:151], v[40:41]
	v_add_f64 v[160:161], v[132:133], v[134:135]
	scratch_load_dwordx4 v[132:135], off, off offset:704
	ds_read_b128 v[152:155], v2 offset:1152
	ds_read_b128 v[156:159], v2 offset:1168
	v_mul_f64 v[170:171], v[178:179], v[170:171]
	v_fma_f64 v[242:243], v[176:177], v[168:169], -v[170:171]
	ds_read_b128 v[168:171], v2 offset:1216
	s_waitcnt vmcnt(16) lgkmcnt(2)
	v_mul_f64 v[162:163], v[152:153], v[46:47]
	v_fmac_f64_e32 v[162:163], v[154:155], v[44:45]
	s_waitcnt vmcnt(15) lgkmcnt(1)
	v_mul_f64 v[166:167], v[156:157], v[50:51]
	v_add_f64 v[164:165], v[160:161], v[162:163]
	ds_read_b128 v[160:163], v2 offset:1184
	v_fmac_f64_e32 v[166:167], v[158:159], v[48:49]
	v_add_f64 v[232:233], v[164:165], v[166:167]
	ds_read_b128 v[164:167], v2 offset:1200
	v_mul_f64 v[174:175], v[190:191], v[174:175]
	s_waitcnt vmcnt(14) lgkmcnt(1)
	v_mul_f64 v[234:235], v[160:161], v[54:55]
	v_fmac_f64_e32 v[234:235], v[162:163], v[52:53]
	v_add_f64 v[232:233], v[232:233], v[234:235]
	s_waitcnt vmcnt(13) lgkmcnt(0)
	v_mul_f64 v[176:177], v[164:165], v[58:59]
	v_fmac_f64_e32 v[176:177], v[166:167], v[56:57]
	v_fma_f64 v[244:245], v[188:189], v[172:173], -v[174:175]
	ds_read_b128 v[172:175], v2 offset:1232
	s_waitcnt vmcnt(12)
	v_mul_f64 v[178:179], v[168:169], v[62:63]
	v_add_f64 v[176:177], v[232:233], v[176:177]
	v_fmac_f64_e32 v[178:179], v[170:171], v[60:61]
	v_add_f64 v[188:189], v[176:177], v[178:179]
	ds_read_b128 v[176:179], v2 offset:1248
	v_mul_f64 v[182:183], v[202:203], v[182:183]
	v_fma_f64 v[254:255], v[200:201], v[180:181], -v[182:183]
	ds_read_b128 v[180:183], v2 offset:1264
	s_waitcnt vmcnt(11) lgkmcnt(2)
	v_mul_f64 v[190:191], v[172:173], v[66:67]
	v_fmac_f64_e32 v[190:191], v[174:175], v[64:65]
	v_add_f64 v[188:189], v[188:189], v[190:191]
	s_waitcnt vmcnt(10) lgkmcnt(1)
	v_mul_f64 v[190:191], v[176:177], v[70:71]
	v_fmac_f64_e32 v[190:191], v[178:179], v[68:69]
	v_mul_f64 v[186:187], v[214:215], v[186:187]
	v_fma_f64 v[246:247], v[212:213], v[184:185], -v[186:187]
	ds_read_b128 v[184:187], v2 offset:1280
	v_add_f64 v[188:189], v[188:189], v[190:191]
	s_waitcnt vmcnt(9) lgkmcnt(1)
	v_mul_f64 v[190:191], v[180:181], v[74:75]
	v_fmac_f64_e32 v[190:191], v[182:183], v[72:73]
	v_add_f64 v[200:201], v[188:189], v[190:191]
	ds_read_b128 v[188:191], v2 offset:1296
	v_mul_f64 v[194:195], v[222:223], v[194:195]
	v_fma_f64 v[248:249], v[220:221], v[192:193], -v[194:195]
	ds_read_b128 v[192:195], v2 offset:1312
	s_waitcnt vmcnt(8) lgkmcnt(2)
	v_mul_f64 v[202:203], v[184:185], v[78:79]
	v_fmac_f64_e32 v[202:203], v[186:187], v[76:77]
	v_add_f64 v[200:201], v[200:201], v[202:203]
	s_waitcnt vmcnt(7) lgkmcnt(1)
	v_mul_f64 v[202:203], v[188:189], v[82:83]
	v_fmac_f64_e32 v[202:203], v[190:191], v[80:81]
	v_mul_f64 v[198:199], v[226:227], v[198:199]
	v_add_f64 v[200:201], v[200:201], v[202:203]
	v_fma_f64 v[234:235], v[224:225], v[196:197], -v[198:199]
	ds_read_b128 v[196:199], v2 offset:1328
	s_waitcnt vmcnt(6) lgkmcnt(1)
	v_mul_f64 v[202:203], v[192:193], v[86:87]
	v_fmac_f64_e32 v[202:203], v[194:195], v[84:85]
	v_add_f64 v[212:213], v[200:201], v[202:203]
	ds_read_b128 v[200:203], v2 offset:1344
	v_mul_f64 v[206:207], v[230:231], v[206:207]
	v_fma_f64 v[236:237], v[228:229], v[204:205], -v[206:207]
	ds_read_b128 v[204:207], v2 offset:1360
	s_waitcnt vmcnt(5) lgkmcnt(2)
	v_mul_f64 v[214:215], v[196:197], v[94:95]
	v_fmac_f64_e32 v[214:215], v[198:199], v[92:93]
	v_add_f64 v[212:213], v[212:213], v[214:215]
	s_waitcnt vmcnt(4) lgkmcnt(1)
	v_mul_f64 v[214:215], v[200:201], v[90:91]
	v_fmac_f64_e32 v[214:215], v[202:203], v[88:89]
	v_mul_f64 v[210:211], v[240:241], v[210:211]
	v_fma_f64 v[238:239], v[238:239], v[208:209], -v[210:211]
	ds_read_b128 v[208:211], v2 offset:1376
	v_add_f64 v[212:213], v[212:213], v[214:215]
	s_waitcnt vmcnt(3) lgkmcnt(1)
	v_mul_f64 v[214:215], v[204:205], v[106:107]
	v_fmac_f64_e32 v[214:215], v[206:207], v[104:105]
	v_add_f64 v[220:221], v[212:213], v[214:215]
	ds_read_b128 v[212:215], v2 offset:1392
	v_mul_f64 v[218:219], v[252:253], v[218:219]
	v_fma_f64 v[250:251], v[250:251], v[216:217], -v[218:219]
	ds_read_b128 v[216:219], v2 offset:1408
	ds_read_b128 v[224:227], v2 offset:1424
	s_waitcnt vmcnt(2) lgkmcnt(3)
	v_mul_f64 v[222:223], v[208:209], v[110:111]
	v_fmac_f64_e32 v[222:223], v[210:211], v[108:109]
	v_add_f64 v[220:221], v[220:221], v[222:223]
	s_waitcnt vmcnt(1) lgkmcnt(2)
	v_mul_f64 v[222:223], v[212:213], v[122:123]
	v_fmac_f64_e32 v[222:223], v[214:215], v[120:121]
	v_add_f64 v[220:221], v[220:221], v[222:223]
	;; [unrolled: 4-line block ×3, first 2 shown]
	scratch_load_dwordx4 v[220:223], off, off offset:720
	v_mul_f64 v[6:7], v[142:143], v[6:7]
	v_fma_f64 v[4:5], v[140:141], v[4:5], -v[6:7]
	v_mul_f64 v[6:7], v[138:139], v[10:11]
	v_fma_f64 v[6:7], v[136:137], v[8:9], -v[6:7]
	s_waitcnt vmcnt(0) lgkmcnt(0)
	v_mul_f64 v[230:231], v[224:225], v[222:223]
	v_fmac_f64_e32 v[230:231], v[226:227], v[220:221]
	v_add_f64 v[232:233], v[228:229], v[230:231]
	v_add_f64 v[228:229], v[242:243], 0
	;; [unrolled: 1-line block ×6, first 2 shown]
	scratch_load_dwordx4 v[228:231], off, off offset:128
	v_add_f64 v[234:235], v[252:253], v[234:235]
	v_add_f64 v[234:235], v[234:235], v[236:237]
	;; [unrolled: 1-line block ×6, first 2 shown]
	v_mul_f64 v[6:7], v[130:131], v[14:15]
	v_fma_f64 v[6:7], v[128:129], v[12:13], -v[6:7]
	v_add_f64 v[4:5], v[4:5], v[6:7]
	v_mul_f64 v[6:7], v[126:127], v[18:19]
	v_fma_f64 v[6:7], v[124:125], v[16:17], -v[6:7]
	v_add_f64 v[4:5], v[4:5], v[6:7]
	;; [unrolled: 3-line block ×26, first 2 shown]
	s_waitcnt vmcnt(0)
	v_add_f64 v[4:5], v[228:229], -v[4:5]
	v_add_f64 v[6:7], v[230:231], -v[232:233]
	scratch_store_dwordx4 off, v[4:7], off offset:128
	s_and_saveexec_b64 s[0:1], vcc
	s_cbranch_execz .LBB44_271
; %bb.270:
	scratch_load_dwordx4 v[6:9], off, s59
	v_mov_b32_e32 v3, v2
	v_mov_b32_e32 v4, v2
	;; [unrolled: 1-line block ×3, first 2 shown]
	v_accvgpr_read_b32 v0, a91
	scratch_store_dwordx4 off, v[2:5], off offset:112
	s_waitcnt vmcnt(1)
	ds_write_b128 v0, v[6:9]
.LBB44_271:
	s_or_b64 exec, exec, s[0:1]
	s_waitcnt lgkmcnt(0)
	; wave barrier
	scratch_load_dwordx4 v[168:171], off, off offset:128
	scratch_load_dwordx4 v[172:175], off, off offset:144
	;; [unrolled: 1-line block ×16, first 2 shown]
	ds_read_b128 v[232:235], v2 offset:832
	ds_read_b128 v[176:179], v2 offset:848
	scratch_load_dwordx4 v[32:35], off, off offset:384
	ds_read_b128 v[236:239], v2 offset:864
	ds_read_b128 v[188:191], v2 offset:880
	;; [unrolled: 1-line block ×5, first 2 shown]
	scratch_load_dwordx4 v[36:39], off, off offset:400
	ds_read_b128 v[224:227], v2 offset:944
	ds_read_b128 v[220:223], v2 offset:960
	;; [unrolled: 1-line block ×3, first 2 shown]
	scratch_load_dwordx4 v[40:43], off, off offset:416
	ds_read_b128 v[64:67], v2 offset:992
	ds_read_b128 v[60:63], v2 offset:1008
	;; [unrolled: 1-line block ×4, first 2 shown]
	scratch_load_dwordx4 v[48:51], off, off offset:432
	ds_read_b128 v[80:83], v2 offset:1056
	ds_read_b128 v[72:75], v2 offset:1072
	;; [unrolled: 1-line block ×3, first 2 shown]
	scratch_load_dwordx4 v[76:79], off, off offset:448
	scratch_load_dwordx4 v[84:87], off, off offset:464
	;; [unrolled: 1-line block ×12, first 2 shown]
	v_accvgpr_read_b32 v0, a90
	v_cmp_lt_u32_e32 vcc, 5, v0
	s_waitcnt vmcnt(31) lgkmcnt(14)
	v_mul_f64 v[128:129], v[232:233], v[170:171]
	s_waitcnt vmcnt(30)
	v_mul_f64 v[130:131], v[176:177], v[174:175]
	v_fmac_f64_e32 v[128:129], v[234:235], v[168:169]
	s_waitcnt vmcnt(29)
	v_mul_f64 v[132:133], v[236:237], v[182:183]
	v_fmac_f64_e32 v[130:131], v[178:179], v[172:173]
	v_add_f64 v[128:129], v[128:129], 0
	s_waitcnt vmcnt(28) lgkmcnt(13)
	v_mul_f64 v[134:135], v[188:189], v[186:187]
	v_fmac_f64_e32 v[132:133], v[238:239], v[180:181]
	v_add_f64 v[128:129], v[128:129], v[130:131]
	s_waitcnt vmcnt(27) lgkmcnt(12)
	;; [unrolled: 4-line block ×13, first 2 shown]
	v_mul_f64 v[158:159], v[72:73], v[30:31]
	v_fmac_f64_e32 v[156:157], v[82:83], v[24:25]
	v_add_f64 v[128:129], v[128:129], v[154:155]
	v_add_f64 v[128:129], v[128:129], v[156:157]
	v_fmac_f64_e32 v[158:159], v[74:75], v[28:29]
	v_add_f64 v[132:133], v[128:129], v[158:159]
	ds_read_b128 v[144:147], v2 offset:1104
	ds_read_b128 v[148:151], v2 offset:1120
	scratch_load_dwordx4 v[128:131], off, off offset:640
	s_waitcnt vmcnt(16) lgkmcnt(2)
	v_mul_f64 v[134:135], v[68:69], v[34:35]
	v_fmac_f64_e32 v[134:135], v[70:71], v[32:33]
	s_waitcnt vmcnt(15) lgkmcnt(1)
	v_mul_f64 v[138:139], v[144:145], v[38:39]
	v_add_f64 v[136:137], v[132:133], v[134:135]
	scratch_load_dwordx4 v[132:135], off, off offset:656
	v_fmac_f64_e32 v[138:139], v[146:147], v[36:37]
	v_add_f64 v[140:141], v[136:137], v[138:139]
	s_waitcnt vmcnt(15) lgkmcnt(0)
	v_mul_f64 v[142:143], v[148:149], v[42:43]
	scratch_load_dwordx4 v[136:139], off, off offset:672
	v_fmac_f64_e32 v[142:143], v[150:151], v[40:41]
	v_add_f64 v[160:161], v[140:141], v[142:143]
	scratch_load_dwordx4 v[140:143], off, off offset:688
	ds_read_b128 v[152:155], v2 offset:1136
	ds_read_b128 v[156:159], v2 offset:1152
	v_mul_f64 v[170:171], v[234:235], v[170:171]
	v_mul_f64 v[174:175], v[178:179], v[174:175]
	;; [unrolled: 1-line block ×3, first 2 shown]
	s_waitcnt vmcnt(16) lgkmcnt(1)
	v_mul_f64 v[162:163], v[152:153], v[50:51]
	v_fmac_f64_e32 v[162:163], v[154:155], v[48:49]
	v_add_f64 v[164:165], v[160:161], v[162:163]
	ds_read_b128 v[160:163], v2 offset:1168
	s_waitcnt vmcnt(15) lgkmcnt(1)
	v_mul_f64 v[166:167], v[156:157], v[78:79]
	v_fmac_f64_e32 v[166:167], v[158:159], v[76:77]
	v_add_f64 v[240:241], v[164:165], v[166:167]
	ds_read_b128 v[164:167], v2 offset:1184
	s_waitcnt vmcnt(14) lgkmcnt(1)
	v_mul_f64 v[242:243], v[160:161], v[86:87]
	v_fmac_f64_e32 v[242:243], v[162:163], v[84:85]
	v_add_f64 v[240:241], v[240:241], v[242:243]
	v_fma_f64 v[242:243], v[232:233], v[168:169], -v[170:171]
	ds_read_b128 v[168:171], v2 offset:1200
	s_waitcnt vmcnt(13) lgkmcnt(1)
	v_mul_f64 v[232:233], v[164:165], v[90:91]
	v_fmac_f64_e32 v[232:233], v[166:167], v[88:89]
	v_add_f64 v[232:233], v[240:241], v[232:233]
	v_fma_f64 v[240:241], v[176:177], v[172:173], -v[174:175]
	ds_read_b128 v[172:175], v2 offset:1216
	s_waitcnt vmcnt(12) lgkmcnt(1)
	v_mul_f64 v[176:177], v[168:169], v[94:95]
	v_fmac_f64_e32 v[176:177], v[170:171], v[92:93]
	v_add_f64 v[232:233], v[232:233], v[176:177]
	ds_read_b128 v[176:179], v2 offset:1232
	v_fma_f64 v[236:237], v[236:237], v[180:181], -v[182:183]
	ds_read_b128 v[180:183], v2 offset:1248
	s_waitcnt vmcnt(11) lgkmcnt(2)
	v_mul_f64 v[234:235], v[172:173], v[98:99]
	v_fmac_f64_e32 v[234:235], v[174:175], v[96:97]
	v_add_f64 v[232:233], v[232:233], v[234:235]
	s_waitcnt vmcnt(10) lgkmcnt(1)
	v_mul_f64 v[234:235], v[176:177], v[102:103]
	v_fmac_f64_e32 v[234:235], v[178:179], v[100:101]
	v_mul_f64 v[186:187], v[190:191], v[186:187]
	s_waitcnt vmcnt(9) lgkmcnt(0)
	v_mul_f64 v[190:191], v[180:181], v[106:107]
	v_fma_f64 v[238:239], v[188:189], v[184:185], -v[186:187]
	ds_read_b128 v[184:187], v2 offset:1264
	v_add_f64 v[188:189], v[232:233], v[234:235]
	v_fmac_f64_e32 v[190:191], v[182:183], v[104:105]
	v_add_f64 v[232:233], v[188:189], v[190:191]
	ds_read_b128 v[188:191], v2 offset:1280
	v_mul_f64 v[194:195], v[230:231], v[194:195]
	v_fma_f64 v[244:245], v[228:229], v[192:193], -v[194:195]
	ds_read_b128 v[192:195], v2 offset:1296
	s_waitcnt vmcnt(8) lgkmcnt(2)
	v_mul_f64 v[234:235], v[184:185], v[110:111]
	v_fmac_f64_e32 v[234:235], v[186:187], v[108:109]
	s_waitcnt vmcnt(7) lgkmcnt(1)
	v_mul_f64 v[228:229], v[188:189], v[114:115]
	v_mul_f64 v[198:199], v[202:203], v[198:199]
	v_add_f64 v[232:233], v[232:233], v[234:235]
	v_fmac_f64_e32 v[228:229], v[190:191], v[112:113]
	v_fma_f64 v[246:247], v[200:201], v[196:197], -v[198:199]
	ds_read_b128 v[196:199], v2 offset:1312
	s_waitcnt vmcnt(6) lgkmcnt(1)
	v_mul_f64 v[200:201], v[192:193], v[118:119]
	v_add_f64 v[228:229], v[232:233], v[228:229]
	v_fmac_f64_e32 v[200:201], v[194:195], v[116:117]
	v_add_f64 v[228:229], v[228:229], v[200:201]
	ds_read_b128 v[200:203], v2 offset:1328
	v_mul_f64 v[206:207], v[214:215], v[206:207]
	v_fma_f64 v[248:249], v[212:213], v[204:205], -v[206:207]
	ds_read_b128 v[204:207], v2 offset:1344
	s_waitcnt vmcnt(5) lgkmcnt(2)
	v_mul_f64 v[230:231], v[196:197], v[126:127]
	v_fmac_f64_e32 v[230:231], v[198:199], v[124:125]
	s_waitcnt vmcnt(4) lgkmcnt(1)
	v_mul_f64 v[212:213], v[200:201], v[122:123]
	v_add_f64 v[228:229], v[228:229], v[230:231]
	v_fmac_f64_e32 v[212:213], v[202:203], v[120:121]
	v_mul_f64 v[210:211], v[226:227], v[210:211]
	s_waitcnt vmcnt(3) lgkmcnt(0)
	v_mul_f64 v[214:215], v[204:205], v[130:131]
	v_fma_f64 v[250:251], v[224:225], v[208:209], -v[210:211]
	ds_read_b128 v[208:211], v2 offset:1360
	v_add_f64 v[212:213], v[228:229], v[212:213]
	v_fmac_f64_e32 v[214:215], v[206:207], v[128:129]
	v_add_f64 v[224:225], v[212:213], v[214:215]
	ds_read_b128 v[212:215], v2 offset:1376
	v_mul_f64 v[218:219], v[222:223], v[218:219]
	v_fma_f64 v[252:253], v[220:221], v[216:217], -v[218:219]
	ds_read_b128 v[216:219], v2 offset:1392
	s_waitcnt vmcnt(2) lgkmcnt(2)
	v_mul_f64 v[220:221], v[208:209], v[134:135]
	v_fmac_f64_e32 v[220:221], v[210:211], v[132:133]
	s_waitcnt vmcnt(1) lgkmcnt(1)
	v_mul_f64 v[222:223], v[212:213], v[138:139]
	v_add_f64 v[220:221], v[224:225], v[220:221]
	v_fmac_f64_e32 v[222:223], v[214:215], v[136:137]
	v_add_f64 v[220:221], v[220:221], v[222:223]
	ds_read_b128 v[224:227], v2 offset:1408
	s_waitcnt vmcnt(0) lgkmcnt(1)
	v_mul_f64 v[222:223], v[216:217], v[142:143]
	v_fmac_f64_e32 v[222:223], v[218:219], v[140:141]
	v_add_f64 v[228:229], v[220:221], v[222:223]
	scratch_load_dwordx4 v[220:223], off, off offset:704
	scratch_load_dwordx4 v[232:235], off, off offset:720
	v_add_f64 v[242:243], v[242:243], 0
	v_add_f64 v[240:241], v[242:243], v[240:241]
	;; [unrolled: 1-line block ×6, first 2 shown]
	v_mul_f64 v[6:7], v[46:47], v[6:7]
	v_fma_f64 v[4:5], v[44:45], v[4:5], -v[6:7]
	v_mul_f64 v[6:7], v[66:67], v[10:11]
	v_fma_f64 v[6:7], v[64:65], v[8:9], -v[6:7]
	s_waitcnt vmcnt(1) lgkmcnt(0)
	v_mul_f64 v[230:231], v[224:225], v[222:223]
	v_fmac_f64_e32 v[230:231], v[226:227], v[220:221]
	v_add_f64 v[254:255], v[228:229], v[230:231]
	ds_read_b128 v[228:231], v2 offset:1424
	s_waitcnt vmcnt(0) lgkmcnt(0)
	v_mul_f64 v[2:3], v[228:229], v[234:235]
	v_fmac_f64_e32 v[2:3], v[230:231], v[232:233]
	v_add_f64 v[2:3], v[254:255], v[2:3]
	v_add_f64 v[254:255], v[236:237], v[248:249]
	scratch_load_dwordx4 v[236:239], off, off offset:112
	v_add_f64 v[240:241], v[254:255], v[250:251]
	v_add_f64 v[240:241], v[240:241], v[252:253]
	;; [unrolled: 1-line block ×4, first 2 shown]
	v_mul_f64 v[6:7], v[62:63], v[14:15]
	v_fma_f64 v[6:7], v[60:61], v[12:13], -v[6:7]
	v_add_f64 v[4:5], v[4:5], v[6:7]
	v_mul_f64 v[6:7], v[58:59], v[18:19]
	v_fma_f64 v[6:7], v[56:57], v[16:17], -v[6:7]
	v_add_f64 v[4:5], v[4:5], v[6:7]
	;; [unrolled: 3-line block ×27, first 2 shown]
	s_waitcnt vmcnt(0)
	v_add_f64 v[4:5], v[236:237], -v[4:5]
	v_add_f64 v[6:7], v[238:239], -v[2:3]
	scratch_store_dwordx4 off, v[4:7], off offset:112
	s_and_saveexec_b64 s[0:1], vcc
	s_cbranch_execz .LBB44_273
; %bb.272:
	scratch_load_dwordx4 v[2:5], off, s22
	v_mov_b32_e32 v6, 0
	v_mov_b32_e32 v7, v6
	;; [unrolled: 1-line block ×4, first 2 shown]
	v_accvgpr_read_b32 v0, a91
	scratch_store_dwordx4 off, v[6:9], off offset:96
	s_waitcnt vmcnt(1)
	ds_write_b128 v0, v[2:5]
.LBB44_273:
	s_or_b64 exec, exec, s[0:1]
	s_waitcnt lgkmcnt(0)
	; wave barrier
	scratch_load_dwordx4 v[80:83], off, off offset:112
	scratch_load_dwordx4 v[84:87], off, off offset:128
	;; [unrolled: 1-line block ×31, first 2 shown]
	v_mov_b32_e32 v2, 0
	ds_read_b128 v[196:199], v2 offset:816
	ds_read_b128 v[200:203], v2 offset:832
	ds_read_b128 v[204:207], v2 offset:848
	ds_read_b128 v[208:211], v2 offset:864
	ds_read_b128 v[212:215], v2 offset:880
	ds_read_b128 v[216:219], v2 offset:896
	ds_read_b128 v[220:223], v2 offset:912
	ds_read_b128 v[224:227], v2 offset:928
	ds_read_b128 v[228:231], v2 offset:944
	ds_read_b128 v[238:241], v2 offset:960
	ds_read_b128 v[250:253], v2 offset:976
	ds_read_b128 v[156:159], v2 offset:992
	ds_read_b128 v[148:151], v2 offset:1008
	ds_read_b128 v[144:147], v2 offset:1024
	ds_read_b128 v[136:139], v2 offset:1040
	ds_read_b128 v[132:135], v2 offset:1056
	ds_read_b128 v[128:131], v2 offset:1072
	ds_read_b128 v[184:187], v2 offset:1120
	ds_read_b128 v[188:191], v2 offset:1136
	ds_read_b128 v[192:195], v2 offset:1152
	s_waitcnt vmcnt(30) lgkmcnt(14)
	v_mul_f64 v[140:141], v[196:197], v[82:83]
	s_waitcnt vmcnt(29)
	v_mul_f64 v[142:143], v[200:201], v[86:87]
	v_fmac_f64_e32 v[140:141], v[198:199], v[80:81]
	s_waitcnt vmcnt(28)
	v_mul_f64 v[152:153], v[204:205], v[90:91]
	v_fmac_f64_e32 v[142:143], v[202:203], v[84:85]
	v_add_f64 v[140:141], v[140:141], 0
	s_waitcnt vmcnt(27)
	v_mul_f64 v[154:155], v[208:209], v[94:95]
	v_fmac_f64_e32 v[152:153], v[206:207], v[88:89]
	v_add_f64 v[140:141], v[140:141], v[142:143]
	;; [unrolled: 4-line block ×4, first 2 shown]
	s_waitcnt vmcnt(24) lgkmcnt(13)
	v_mul_f64 v[164:165], v[220:221], v[106:107]
	v_fmac_f64_e32 v[162:163], v[218:219], v[100:101]
	v_add_f64 v[140:141], v[140:141], v[160:161]
	s_waitcnt vmcnt(23) lgkmcnt(12)
	v_mul_f64 v[166:167], v[224:225], v[110:111]
	v_fmac_f64_e32 v[164:165], v[222:223], v[104:105]
	v_add_f64 v[140:141], v[140:141], v[162:163]
	;; [unrolled: 4-line block ×8, first 2 shown]
	v_fmac_f64_e32 v[178:179], v[146:147], v[12:13]
	v_add_f64 v[140:141], v[140:141], v[176:177]
	v_add_f64 v[140:141], v[140:141], v[178:179]
	ds_read_b128 v[176:179], v2 offset:1088
	s_waitcnt vmcnt(16) lgkmcnt(6)
	v_mul_f64 v[180:181], v[136:137], v[18:19]
	s_waitcnt vmcnt(15) lgkmcnt(5)
	v_mul_f64 v[182:183], v[132:133], v[22:23]
	v_fmac_f64_e32 v[180:181], v[138:139], v[16:17]
	v_add_f64 v[152:153], v[140:141], v[180:181]
	v_fmac_f64_e32 v[182:183], v[134:135], v[20:21]
	scratch_load_dwordx4 v[140:143], off, off offset:608
	s_waitcnt vmcnt(15) lgkmcnt(4)
	v_mul_f64 v[154:155], v[128:129], v[26:27]
	v_add_f64 v[152:153], v[152:153], v[182:183]
	v_fmac_f64_e32 v[154:155], v[130:131], v[24:25]
	v_add_f64 v[160:161], v[152:153], v[154:155]
	ds_read_b128 v[180:183], v2 offset:1104
	s_waitcnt vmcnt(14) lgkmcnt(1)
	v_mul_f64 v[162:163], v[176:177], v[30:31]
	scratch_load_dwordx4 v[152:155], off, off offset:624
	v_fmac_f64_e32 v[162:163], v[178:179], v[28:29]
	v_add_f64 v[164:165], v[160:161], v[162:163]
	scratch_load_dwordx4 v[160:163], off, off offset:640
	s_waitcnt vmcnt(15) lgkmcnt(0)
	v_mul_f64 v[166:167], v[180:181], v[34:35]
	v_fmac_f64_e32 v[166:167], v[182:183], v[32:33]
	v_add_f64 v[168:169], v[164:165], v[166:167]
	s_waitcnt vmcnt(14)
	v_mul_f64 v[170:171], v[184:185], v[38:39]
	scratch_load_dwordx4 v[164:167], off, off offset:656
	v_fmac_f64_e32 v[170:171], v[186:187], v[36:37]
	v_add_f64 v[168:169], v[168:169], v[170:171]
	s_waitcnt vmcnt(14)
	v_mul_f64 v[170:171], v[188:189], v[42:43]
	scratch_load_dwordx4 v[172:175], off, off offset:672
	v_fmac_f64_e32 v[170:171], v[190:191], v[40:41]
	v_add_f64 v[232:233], v[168:169], v[170:171]
	scratch_load_dwordx4 v[168:171], off, off offset:688
	v_mul_f64 v[82:83], v[198:199], v[82:83]
	v_fma_f64 v[242:243], v[196:197], v[80:81], -v[82:83]
	ds_read_b128 v[196:199], v2 offset:1168
	s_waitcnt vmcnt(15)
	v_mul_f64 v[80:81], v[192:193], v[46:47]
	v_fmac_f64_e32 v[80:81], v[194:195], v[44:45]
	v_add_f64 v[232:233], v[232:233], v[80:81]
	v_mul_f64 v[80:81], v[202:203], v[86:87]
	v_fma_f64 v[244:245], v[200:201], v[84:85], -v[80:81]
	scratch_load_dwordx4 v[80:83], off, off offset:704
	ds_read_b128 v[84:87], v2 offset:1184
	v_mul_f64 v[90:91], v[206:207], v[90:91]
	v_fma_f64 v[246:247], v[204:205], v[88:89], -v[90:91]
	ds_read_b128 v[88:91], v2 offset:1200
	s_waitcnt vmcnt(15) lgkmcnt(2)
	v_mul_f64 v[200:201], v[196:197], v[50:51]
	v_fmac_f64_e32 v[200:201], v[198:199], v[48:49]
	s_waitcnt vmcnt(14) lgkmcnt(1)
	v_mul_f64 v[202:203], v[84:85], v[54:55]
	v_add_f64 v[200:201], v[232:233], v[200:201]
	v_fmac_f64_e32 v[202:203], v[86:87], v[52:53]
	v_mul_f64 v[94:95], v[210:211], v[94:95]
	v_fma_f64 v[248:249], v[208:209], v[92:93], -v[94:95]
	ds_read_b128 v[92:95], v2 offset:1216
	v_add_f64 v[200:201], v[200:201], v[202:203]
	s_waitcnt vmcnt(13) lgkmcnt(1)
	v_mul_f64 v[202:203], v[88:89], v[58:59]
	v_fmac_f64_e32 v[202:203], v[90:91], v[56:57]
	v_add_f64 v[204:205], v[200:201], v[202:203]
	ds_read_b128 v[200:203], v2 offset:1232
	v_mul_f64 v[98:99], v[214:215], v[98:99]
	v_fma_f64 v[254:255], v[212:213], v[96:97], -v[98:99]
	ds_read_b128 v[96:99], v2 offset:1248
	s_waitcnt vmcnt(12) lgkmcnt(2)
	v_mul_f64 v[206:207], v[92:93], v[62:63]
	v_fmac_f64_e32 v[206:207], v[94:95], v[60:61]
	v_add_f64 v[204:205], v[204:205], v[206:207]
	s_waitcnt vmcnt(11) lgkmcnt(1)
	v_mul_f64 v[206:207], v[200:201], v[66:67]
	v_fmac_f64_e32 v[206:207], v[202:203], v[64:65]
	v_mul_f64 v[102:103], v[218:219], v[102:103]
	v_add_f64 v[204:205], v[204:205], v[206:207]
	v_fma_f64 v[232:233], v[216:217], v[100:101], -v[102:103]
	ds_read_b128 v[100:103], v2 offset:1264
	s_waitcnt vmcnt(10) lgkmcnt(1)
	v_mul_f64 v[206:207], v[96:97], v[70:71]
	v_fmac_f64_e32 v[206:207], v[98:99], v[68:69]
	v_add_f64 v[208:209], v[204:205], v[206:207]
	ds_read_b128 v[204:207], v2 offset:1280
	v_mul_f64 v[106:107], v[222:223], v[106:107]
	v_fma_f64 v[0:1], v[220:221], v[104:105], -v[106:107]
	ds_read_b128 v[104:107], v2 offset:1296
	s_waitcnt vmcnt(9) lgkmcnt(2)
	v_mul_f64 v[210:211], v[100:101], v[74:75]
	v_fmac_f64_e32 v[210:211], v[102:103], v[72:73]
	v_add_f64 v[208:209], v[208:209], v[210:211]
	s_waitcnt vmcnt(8) lgkmcnt(1)
	v_mul_f64 v[210:211], v[204:205], v[78:79]
	v_fmac_f64_e32 v[210:211], v[206:207], v[76:77]
	v_mul_f64 v[110:111], v[226:227], v[110:111]
	v_fma_f64 v[234:235], v[224:225], v[108:109], -v[110:111]
	ds_read_b128 v[108:111], v2 offset:1312
	v_add_f64 v[208:209], v[208:209], v[210:211]
	s_waitcnt vmcnt(7) lgkmcnt(1)
	v_mul_f64 v[210:211], v[104:105], v[126:127]
	v_fmac_f64_e32 v[210:211], v[106:107], v[124:125]
	v_add_f64 v[212:213], v[208:209], v[210:211]
	ds_read_b128 v[208:211], v2 offset:1328
	v_mul_f64 v[114:115], v[230:231], v[114:115]
	v_fma_f64 v[236:237], v[228:229], v[112:113], -v[114:115]
	ds_read_b128 v[112:115], v2 offset:1344
	s_waitcnt vmcnt(6) lgkmcnt(2)
	v_mul_f64 v[214:215], v[108:109], v[142:143]
	v_fmac_f64_e32 v[214:215], v[110:111], v[140:141]
	v_add_f64 v[212:213], v[212:213], v[214:215]
	s_waitcnt vmcnt(5) lgkmcnt(1)
	v_mul_f64 v[214:215], v[208:209], v[154:155]
	v_fmac_f64_e32 v[214:215], v[210:211], v[152:153]
	v_mul_f64 v[118:119], v[240:241], v[118:119]
	v_add_f64 v[212:213], v[212:213], v[214:215]
	v_fma_f64 v[238:239], v[238:239], v[116:117], -v[118:119]
	ds_read_b128 v[116:119], v2 offset:1360
	s_waitcnt vmcnt(4) lgkmcnt(1)
	v_mul_f64 v[214:215], v[112:113], v[162:163]
	v_fmac_f64_e32 v[214:215], v[114:115], v[160:161]
	v_add_f64 v[216:217], v[212:213], v[214:215]
	ds_read_b128 v[212:215], v2 offset:1376
	v_mul_f64 v[122:123], v[252:253], v[122:123]
	v_fma_f64 v[250:251], v[250:251], v[120:121], -v[122:123]
	ds_read_b128 v[120:123], v2 offset:1392
	s_waitcnt vmcnt(3) lgkmcnt(2)
	v_mul_f64 v[218:219], v[116:117], v[166:167]
	v_fmac_f64_e32 v[218:219], v[118:119], v[164:165]
	v_add_f64 v[216:217], v[216:217], v[218:219]
	s_waitcnt vmcnt(2) lgkmcnt(1)
	v_mul_f64 v[218:219], v[212:213], v[174:175]
	v_fmac_f64_e32 v[218:219], v[214:215], v[172:173]
	v_add_f64 v[216:217], v[216:217], v[218:219]
	;; [unrolled: 4-line block ×3, first 2 shown]
	ds_read_b128 v[216:219], v2 offset:1408
	ds_read_b128 v[224:227], v2 offset:1424
	v_mul_f64 v[6:7], v[158:159], v[6:7]
	v_fma_f64 v[4:5], v[156:157], v[4:5], -v[6:7]
	s_waitcnt vmcnt(0) lgkmcnt(1)
	v_mul_f64 v[222:223], v[216:217], v[82:83]
	v_fmac_f64_e32 v[222:223], v[218:219], v[80:81]
	v_add_f64 v[228:229], v[220:221], v[222:223]
	scratch_load_dwordx4 v[220:223], off, off offset:720
	s_waitcnt vmcnt(0) lgkmcnt(0)
	v_mul_f64 v[230:231], v[224:225], v[222:223]
	v_fmac_f64_e32 v[230:231], v[226:227], v[220:221]
	v_add_f64 v[240:241], v[228:229], v[230:231]
	v_add_f64 v[228:229], v[242:243], 0
	;; [unrolled: 1-line block ×8, first 2 shown]
	scratch_load_dwordx4 v[228:231], off, off offset:96
	v_add_f64 v[0:1], v[252:253], v[234:235]
	v_add_f64 v[0:1], v[0:1], v[236:237]
	;; [unrolled: 1-line block ×5, first 2 shown]
	v_mul_f64 v[4:5], v[150:151], v[10:11]
	v_fma_f64 v[4:5], v[148:149], v[8:9], -v[4:5]
	v_add_f64 v[0:1], v[0:1], v[4:5]
	v_mul_f64 v[4:5], v[146:147], v[14:15]
	v_fma_f64 v[4:5], v[144:145], v[12:13], -v[4:5]
	v_add_f64 v[0:1], v[0:1], v[4:5]
	;; [unrolled: 3-line block ×27, first 2 shown]
	s_waitcnt vmcnt(0)
	v_add_f64 v[4:5], v[228:229], -v[0:1]
	v_accvgpr_read_b32 v0, a90
	v_add_f64 v[6:7], v[230:231], -v[240:241]
	v_cmp_lt_u32_e32 vcc, 4, v0
	scratch_store_dwordx4 off, v[4:7], off offset:96
	s_and_saveexec_b64 s[0:1], vcc
	s_cbranch_execz .LBB44_275
; %bb.274:
	scratch_load_dwordx4 v[6:9], off, s14
	v_mov_b32_e32 v3, v2
	v_mov_b32_e32 v4, v2
	;; [unrolled: 1-line block ×3, first 2 shown]
	v_accvgpr_read_b32 v0, a91
	scratch_store_dwordx4 off, v[2:5], off offset:80
	s_waitcnt vmcnt(1)
	ds_write_b128 v0, v[6:9]
.LBB44_275:
	s_or_b64 exec, exec, s[0:1]
	s_waitcnt lgkmcnt(0)
	; wave barrier
	scratch_load_dwordx4 v[132:135], off, off offset:96
	scratch_load_dwordx4 v[160:163], off, off offset:112
	;; [unrolled: 1-line block ×16, first 2 shown]
	ds_read_b128 v[156:159], v2 offset:800
	ds_read_b128 v[172:175], v2 offset:816
	scratch_load_dwordx4 v[24:27], off, off offset:352
	ds_read_b128 v[232:235], v2 offset:832
	ds_read_b128 v[228:231], v2 offset:848
	scratch_load_dwordx4 v[28:31], off, off offset:368
	ds_read_b128 v[236:239], v2 offset:864
	ds_read_b128 v[184:187], v2 offset:880
	;; [unrolled: 1-line block ×5, first 2 shown]
	scratch_load_dwordx4 v[32:35], off, off offset:384
	ds_read_b128 v[220:223], v2 offset:944
	ds_read_b128 v[216:219], v2 offset:960
	;; [unrolled: 1-line block ×3, first 2 shown]
	scratch_load_dwordx4 v[36:39], off, off offset:400
	ds_read_b128 v[64:67], v2 offset:992
	ds_read_b128 v[60:63], v2 offset:1008
	;; [unrolled: 1-line block ×5, first 2 shown]
	scratch_load_dwordx4 v[52:55], off, off offset:416
	scratch_load_dwordx4 v[68:71], off, off offset:432
	;; [unrolled: 1-line block ×11, first 2 shown]
	ds_read_b128 v[144:147], v2 offset:1104
	ds_read_b128 v[148:151], v2 offset:1120
	ds_read_b128 v[152:155], v2 offset:1136
	s_waitcnt vmcnt(30) lgkmcnt(14)
	v_mul_f64 v[0:1], v[156:157], v[134:135]
	s_waitcnt vmcnt(29)
	v_mul_f64 v[108:109], v[172:173], v[162:163]
	v_fmac_f64_e32 v[0:1], v[158:159], v[132:133]
	s_waitcnt vmcnt(28)
	v_mul_f64 v[110:111], v[232:233], v[166:167]
	v_fmac_f64_e32 v[108:109], v[174:175], v[160:161]
	v_add_f64 v[0:1], v[0:1], 0
	s_waitcnt vmcnt(27)
	v_mul_f64 v[112:113], v[228:229], v[170:171]
	v_fmac_f64_e32 v[110:111], v[234:235], v[164:165]
	v_add_f64 v[0:1], v[0:1], v[108:109]
	;; [unrolled: 4-line block ×4, first 2 shown]
	s_waitcnt vmcnt(24) lgkmcnt(13)
	v_mul_f64 v[118:119], v[224:225], v[190:191]
	v_fmac_f64_e32 v[116:117], v[186:187], v[180:181]
	v_add_f64 v[0:1], v[0:1], v[114:115]
	s_waitcnt vmcnt(23) lgkmcnt(12)
	v_mul_f64 v[120:121], v[196:197], v[194:195]
	v_fmac_f64_e32 v[118:119], v[226:227], v[188:189]
	v_add_f64 v[0:1], v[0:1], v[116:117]
	;; [unrolled: 4-line block ×9, first 2 shown]
	v_fmac_f64_e32 v[138:139], v[58:59], v[16:17]
	v_add_f64 v[0:1], v[0:1], v[136:137]
	v_add_f64 v[0:1], v[0:1], v[138:139]
	ds_read_b128 v[136:139], v2 offset:1072
	s_waitcnt vmcnt(15) lgkmcnt(5)
	v_mul_f64 v[140:141], v[48:49], v[22:23]
	v_fmac_f64_e32 v[140:141], v[50:51], v[20:21]
	s_waitcnt vmcnt(14) lgkmcnt(4)
	v_mul_f64 v[112:113], v[44:45], v[26:27]
	scratch_load_dwordx4 v[108:111], off, off offset:592
	v_add_f64 v[0:1], v[0:1], v[140:141]
	v_fmac_f64_e32 v[112:113], v[46:47], v[24:25]
	v_add_f64 v[0:1], v[0:1], v[112:113]
	scratch_load_dwordx4 v[112:115], off, off offset:608
	ds_read_b128 v[140:143], v2 offset:1088
	s_waitcnt vmcnt(15) lgkmcnt(1)
	v_mul_f64 v[116:117], v[136:137], v[30:31]
	v_fmac_f64_e32 v[116:117], v[138:139], v[28:29]
	v_add_f64 v[0:1], v[0:1], v[116:117]
	scratch_load_dwordx4 v[116:119], off, off offset:624
	s_waitcnt vmcnt(15) lgkmcnt(0)
	v_mul_f64 v[120:121], v[140:141], v[34:35]
	v_fmac_f64_e32 v[120:121], v[142:143], v[32:33]
	s_waitcnt vmcnt(14)
	v_mul_f64 v[124:125], v[144:145], v[38:39]
	v_add_f64 v[0:1], v[0:1], v[120:121]
	scratch_load_dwordx4 v[120:123], off, off offset:640
	v_fmac_f64_e32 v[124:125], v[146:147], v[36:37]
	v_add_f64 v[0:1], v[0:1], v[124:125]
	s_waitcnt vmcnt(14)
	v_mul_f64 v[124:125], v[148:149], v[54:55]
	scratch_load_dwordx4 v[128:131], off, off offset:656
	v_fmac_f64_e32 v[124:125], v[150:151], v[52:53]
	v_add_f64 v[0:1], v[0:1], v[124:125]
	scratch_load_dwordx4 v[124:127], off, off offset:672
	v_mul_f64 v[134:135], v[158:159], v[134:135]
	v_fma_f64 v[240:241], v[156:157], v[132:133], -v[134:135]
	ds_read_b128 v[156:159], v2 offset:1152
	s_waitcnt vmcnt(15)
	v_mul_f64 v[132:133], v[152:153], v[70:71]
	v_fmac_f64_e32 v[132:133], v[154:155], v[68:69]
	v_add_f64 v[0:1], v[0:1], v[132:133]
	v_mul_f64 v[132:133], v[174:175], v[162:163]
	v_fma_f64 v[242:243], v[172:173], v[160:161], -v[132:133]
	scratch_load_dwordx4 v[132:135], off, off offset:688
	ds_read_b128 v[160:163], v2 offset:1168
	v_mul_f64 v[166:167], v[234:235], v[166:167]
	v_fma_f64 v[244:245], v[232:233], v[164:165], -v[166:167]
	ds_read_b128 v[164:167], v2 offset:1184
	s_waitcnt vmcnt(15) lgkmcnt(2)
	v_mul_f64 v[172:173], v[156:157], v[74:75]
	v_fmac_f64_e32 v[172:173], v[158:159], v[72:73]
	v_add_f64 v[0:1], v[0:1], v[172:173]
	s_waitcnt vmcnt(14) lgkmcnt(1)
	v_mul_f64 v[172:173], v[160:161], v[78:79]
	v_fmac_f64_e32 v[172:173], v[162:163], v[76:77]
	v_mul_f64 v[170:171], v[230:231], v[170:171]
	v_fma_f64 v[246:247], v[228:229], v[168:169], -v[170:171]
	ds_read_b128 v[168:171], v2 offset:1200
	v_add_f64 v[0:1], v[0:1], v[172:173]
	s_waitcnt vmcnt(13) lgkmcnt(1)
	v_mul_f64 v[172:173], v[164:165], v[82:83]
	v_fmac_f64_e32 v[172:173], v[166:167], v[80:81]
	v_add_f64 v[0:1], v[0:1], v[172:173]
	ds_read_b128 v[172:175], v2 offset:1216
	v_mul_f64 v[178:179], v[238:239], v[178:179]
	v_fma_f64 v[236:237], v[236:237], v[176:177], -v[178:179]
	ds_read_b128 v[176:179], v2 offset:1232
	s_waitcnt vmcnt(12) lgkmcnt(2)
	v_mul_f64 v[228:229], v[168:169], v[86:87]
	v_fmac_f64_e32 v[228:229], v[170:171], v[84:85]
	v_add_f64 v[0:1], v[0:1], v[228:229]
	s_waitcnt vmcnt(11) lgkmcnt(1)
	v_mul_f64 v[228:229], v[172:173], v[90:91]
	v_mul_f64 v[182:183], v[186:187], v[182:183]
	v_fmac_f64_e32 v[228:229], v[174:175], v[88:89]
	v_fma_f64 v[238:239], v[184:185], v[180:181], -v[182:183]
	ds_read_b128 v[180:183], v2 offset:1248
	s_waitcnt vmcnt(10) lgkmcnt(1)
	v_mul_f64 v[184:185], v[176:177], v[94:95]
	v_add_f64 v[0:1], v[0:1], v[228:229]
	v_fmac_f64_e32 v[184:185], v[178:179], v[92:93]
	v_add_f64 v[0:1], v[0:1], v[184:185]
	ds_read_b128 v[184:187], v2 offset:1264
	v_mul_f64 v[190:191], v[226:227], v[190:191]
	v_fma_f64 v[248:249], v[224:225], v[188:189], -v[190:191]
	ds_read_b128 v[188:191], v2 offset:1280
	s_waitcnt vmcnt(9) lgkmcnt(2)
	v_mul_f64 v[228:229], v[180:181], v[98:99]
	v_fmac_f64_e32 v[228:229], v[182:183], v[96:97]
	s_waitcnt vmcnt(8) lgkmcnt(1)
	v_mul_f64 v[224:225], v[184:185], v[102:103]
	v_mul_f64 v[194:195], v[198:199], v[194:195]
	v_add_f64 v[0:1], v[0:1], v[228:229]
	v_fmac_f64_e32 v[224:225], v[186:187], v[100:101]
	v_fma_f64 v[254:255], v[196:197], v[192:193], -v[194:195]
	s_waitcnt vmcnt(7) lgkmcnt(0)
	v_mul_f64 v[196:197], v[188:189], v[106:107]
	ds_read_b128 v[192:195], v2 offset:1296
	v_add_f64 v[0:1], v[0:1], v[224:225]
	v_fmac_f64_e32 v[196:197], v[190:191], v[104:105]
	v_add_f64 v[0:1], v[0:1], v[196:197]
	ds_read_b128 v[196:199], v2 offset:1312
	v_mul_f64 v[202:203], v[210:211], v[202:203]
	v_fma_f64 v[250:251], v[208:209], v[200:201], -v[202:203]
	ds_read_b128 v[200:203], v2 offset:1328
	s_waitcnt vmcnt(6) lgkmcnt(2)
	v_mul_f64 v[224:225], v[192:193], v[110:111]
	v_fmac_f64_e32 v[224:225], v[194:195], v[108:109]
	s_waitcnt vmcnt(5) lgkmcnt(1)
	v_mul_f64 v[208:209], v[196:197], v[114:115]
	v_add_f64 v[0:1], v[0:1], v[224:225]
	v_fmac_f64_e32 v[208:209], v[198:199], v[112:113]
	v_add_f64 v[208:209], v[0:1], v[208:209]
	v_mul_f64 v[0:1], v[222:223], v[206:207]
	v_fma_f64 v[0:1], v[220:221], v[204:205], -v[0:1]
	ds_read_b128 v[204:207], v2 offset:1344
	s_waitcnt vmcnt(4) lgkmcnt(1)
	v_mul_f64 v[210:211], v[200:201], v[118:119]
	v_fmac_f64_e32 v[210:211], v[202:203], v[116:117]
	v_add_f64 v[220:221], v[208:209], v[210:211]
	ds_read_b128 v[208:211], v2 offset:1360
	v_mul_f64 v[214:215], v[218:219], v[214:215]
	v_fma_f64 v[252:253], v[216:217], v[212:213], -v[214:215]
	ds_read_b128 v[212:215], v2 offset:1376
	s_waitcnt vmcnt(3) lgkmcnt(2)
	v_mul_f64 v[216:217], v[204:205], v[122:123]
	v_fmac_f64_e32 v[216:217], v[206:207], v[120:121]
	s_waitcnt vmcnt(2) lgkmcnt(1)
	v_mul_f64 v[218:219], v[208:209], v[130:131]
	v_add_f64 v[216:217], v[220:221], v[216:217]
	v_fmac_f64_e32 v[218:219], v[210:211], v[128:129]
	v_add_f64 v[216:217], v[216:217], v[218:219]
	s_waitcnt vmcnt(1) lgkmcnt(0)
	v_mul_f64 v[218:219], v[212:213], v[126:127]
	v_fmac_f64_e32 v[218:219], v[214:215], v[124:125]
	v_add_f64 v[220:221], v[216:217], v[218:219]
	ds_read_b128 v[216:219], v2 offset:1392
	ds_read_b128 v[224:227], v2 offset:1408
	scratch_load_dwordx4 v[232:235], off, off offset:720
	v_accvgpr_write_b32 a93, v1
	v_accvgpr_write_b32 a92, v0
	s_waitcnt vmcnt(1) lgkmcnt(1)
	v_mul_f64 v[222:223], v[216:217], v[134:135]
	v_fmac_f64_e32 v[222:223], v[218:219], v[132:133]
	v_add_f64 v[228:229], v[220:221], v[222:223]
	scratch_load_dwordx4 v[220:223], off, off offset:704
	v_mul_f64 v[6:7], v[42:43], v[6:7]
	v_fma_f64 v[4:5], v[40:41], v[4:5], -v[6:7]
	s_waitcnt vmcnt(0) lgkmcnt(0)
	v_mul_f64 v[230:231], v[224:225], v[222:223]
	v_fmac_f64_e32 v[230:231], v[226:227], v[220:221]
	v_add_f64 v[0:1], v[228:229], v[230:231]
	ds_read_b128 v[228:231], v2 offset:1424
	s_waitcnt lgkmcnt(0)
	v_mul_f64 v[2:3], v[228:229], v[234:235]
	v_fmac_f64_e32 v[2:3], v[230:231], v[232:233]
	v_add_f64 v[2:3], v[0:1], v[2:3]
	v_add_f64 v[0:1], v[240:241], 0
	;; [unrolled: 1-line block ×7, first 2 shown]
	scratch_load_dwordx4 v[236:239], off, off offset:80
	v_add_f64 v[0:1], v[0:1], v[248:249]
	v_add_f64 v[0:1], v[0:1], v[254:255]
	v_add_f64 v[254:255], v[0:1], v[250:251]
	v_accvgpr_read_b32 v0, a92
	v_accvgpr_read_b32 v1, a93
	v_add_f64 v[0:1], v[254:255], v[0:1]
	v_add_f64 v[0:1], v[0:1], v[252:253]
	;; [unrolled: 1-line block ×3, first 2 shown]
	v_mul_f64 v[4:5], v[66:67], v[10:11]
	v_fma_f64 v[4:5], v[64:65], v[8:9], -v[4:5]
	v_add_f64 v[0:1], v[0:1], v[4:5]
	v_mul_f64 v[4:5], v[62:63], v[14:15]
	v_fma_f64 v[4:5], v[60:61], v[12:13], -v[4:5]
	v_add_f64 v[0:1], v[0:1], v[4:5]
	;; [unrolled: 3-line block ×28, first 2 shown]
	s_waitcnt vmcnt(0)
	v_add_f64 v[4:5], v[236:237], -v[0:1]
	v_accvgpr_read_b32 v0, a90
	v_add_f64 v[6:7], v[238:239], -v[2:3]
	v_cmp_lt_u32_e32 vcc, 3, v0
	scratch_store_dwordx4 off, v[4:7], off offset:80
	s_and_saveexec_b64 s[0:1], vcc
	s_cbranch_execz .LBB44_277
; %bb.276:
	scratch_load_dwordx4 v[2:5], off, s13
	v_mov_b32_e32 v6, 0
	v_mov_b32_e32 v7, v6
	;; [unrolled: 1-line block ×4, first 2 shown]
	v_accvgpr_read_b32 v0, a91
	scratch_store_dwordx4 off, v[6:9], off offset:64
	s_waitcnt vmcnt(1)
	ds_write_b128 v0, v[2:5]
.LBB44_277:
	s_or_b64 exec, exec, s[0:1]
	s_waitcnt lgkmcnt(0)
	; wave barrier
	scratch_load_dwordx4 v[112:115], off, off offset:80
	scratch_load_dwordx4 v[116:119], off, off offset:96
	;; [unrolled: 1-line block ×30, first 2 shown]
	v_mov_b32_e32 v2, 0
	ds_read_b128 v[144:147], v2 offset:784
	ds_read_b128 v[156:159], v2 offset:800
	;; [unrolled: 1-line block ×20, first 2 shown]
	s_waitcnt vmcnt(29) lgkmcnt(14)
	v_mul_f64 v[0:1], v[144:145], v[114:115]
	s_waitcnt vmcnt(28)
	v_mul_f64 v[88:89], v[156:157], v[118:119]
	v_fmac_f64_e32 v[0:1], v[146:147], v[112:113]
	s_waitcnt vmcnt(27)
	v_mul_f64 v[90:91], v[168:169], v[122:123]
	v_fmac_f64_e32 v[88:89], v[158:159], v[116:117]
	v_add_f64 v[0:1], v[0:1], 0
	s_waitcnt vmcnt(26)
	v_mul_f64 v[92:93], v[180:181], v[154:155]
	v_fmac_f64_e32 v[90:91], v[170:171], v[120:121]
	v_add_f64 v[0:1], v[0:1], v[88:89]
	;; [unrolled: 4-line block ×4, first 2 shown]
	s_waitcnt vmcnt(23) lgkmcnt(13)
	v_mul_f64 v[98:99], v[212:213], v[174:175]
	v_fmac_f64_e32 v[96:97], v[206:207], v[164:165]
	v_add_f64 v[0:1], v[0:1], v[94:95]
	s_waitcnt vmcnt(22) lgkmcnt(12)
	v_mul_f64 v[100:101], v[216:217], v[178:179]
	v_fmac_f64_e32 v[98:99], v[214:215], v[172:173]
	v_add_f64 v[0:1], v[0:1], v[96:97]
	;; [unrolled: 4-line block ×9, first 2 shown]
	v_fmac_f64_e32 v[126:127], v[82:83], v[234:235]
	v_add_f64 v[0:1], v[0:1], v[124:125]
	scratch_load_dwordx4 v[88:91], off, off offset:560
	s_waitcnt vmcnt(15) lgkmcnt(4)
	v_mul_f64 v[128:129], v[76:77], v[14:15]
	v_add_f64 v[0:1], v[0:1], v[126:127]
	ds_read_b128 v[124:127], v2 offset:1056
	v_fmac_f64_e32 v[128:129], v[78:79], v[12:13]
	v_add_f64 v[0:1], v[0:1], v[128:129]
	ds_read_b128 v[128:131], v2 offset:1072
	s_waitcnt vmcnt(14) lgkmcnt(5)
	v_mul_f64 v[92:93], v[72:73], v[18:19]
	v_fmac_f64_e32 v[92:93], v[74:75], v[16:17]
	v_add_f64 v[0:1], v[0:1], v[92:93]
	s_waitcnt vmcnt(13) lgkmcnt(1)
	v_mul_f64 v[96:97], v[124:125], v[22:23]
	scratch_load_dwordx4 v[92:95], off, off offset:576
	v_fmac_f64_e32 v[96:97], v[126:127], v[20:21]
	v_add_f64 v[0:1], v[0:1], v[96:97]
	s_waitcnt vmcnt(13) lgkmcnt(0)
	v_mul_f64 v[100:101], v[128:129], v[26:27]
	scratch_load_dwordx4 v[96:99], off, off offset:592
	v_fmac_f64_e32 v[100:101], v[130:131], v[24:25]
	v_add_f64 v[0:1], v[0:1], v[100:101]
	scratch_load_dwordx4 v[100:103], off, off offset:608
	s_waitcnt vmcnt(14)
	v_mul_f64 v[104:105], v[132:133], v[30:31]
	v_fmac_f64_e32 v[104:105], v[134:135], v[28:29]
	v_add_f64 v[0:1], v[0:1], v[104:105]
	s_waitcnt vmcnt(13)
	v_mul_f64 v[104:105], v[136:137], v[34:35]
	v_fmac_f64_e32 v[104:105], v[138:139], v[32:33]
	v_add_f64 v[0:1], v[0:1], v[104:105]
	scratch_load_dwordx4 v[104:107], off, off offset:624
	s_waitcnt vmcnt(13)
	v_mul_f64 v[108:109], v[140:141], v[38:39]
	v_fmac_f64_e32 v[108:109], v[142:143], v[36:37]
	v_add_f64 v[0:1], v[0:1], v[108:109]
	scratch_load_dwordx4 v[108:111], off, off offset:640
	v_mul_f64 v[114:115], v[146:147], v[114:115]
	v_fma_f64 v[242:243], v[144:145], v[112:113], -v[114:115]
	v_mul_f64 v[112:113], v[158:159], v[118:119]
	ds_read_b128 v[148:151], v2 offset:1136
	ds_read_b128 v[144:147], v2 offset:1152
	v_fma_f64 v[244:245], v[156:157], v[116:117], -v[112:113]
	scratch_load_dwordx4 v[116:119], off, off offset:656
	scratch_load_dwordx4 v[112:115], off, off offset:672
	v_mul_f64 v[122:123], v[170:171], v[122:123]
	v_fma_f64 v[246:247], v[168:169], v[120:121], -v[122:123]
	scratch_load_dwordx4 v[120:123], off, off offset:688
	s_waitcnt vmcnt(16) lgkmcnt(1)
	v_mul_f64 v[156:157], v[148:149], v[42:43]
	v_fmac_f64_e32 v[156:157], v[150:151], v[40:41]
	v_mul_f64 v[154:155], v[182:183], v[154:155]
	v_add_f64 v[0:1], v[0:1], v[156:157]
	v_fma_f64 v[248:249], v[180:181], v[152:153], -v[154:155]
	ds_read_b128 v[152:155], v2 offset:1168
	s_waitcnt vmcnt(15) lgkmcnt(1)
	v_mul_f64 v[156:157], v[144:145], v[46:47]
	v_fmac_f64_e32 v[156:157], v[146:147], v[44:45]
	v_add_f64 v[0:1], v[0:1], v[156:157]
	ds_read_b128 v[156:159], v2 offset:1184
	v_mul_f64 v[162:163], v[194:195], v[162:163]
	v_fma_f64 v[254:255], v[192:193], v[160:161], -v[162:163]
	ds_read_b128 v[160:163], v2 offset:1200
	s_waitcnt vmcnt(14) lgkmcnt(2)
	v_mul_f64 v[168:169], v[152:153], v[50:51]
	v_fmac_f64_e32 v[168:169], v[154:155], v[48:49]
	v_add_f64 v[0:1], v[0:1], v[168:169]
	s_waitcnt vmcnt(13) lgkmcnt(1)
	v_mul_f64 v[168:169], v[156:157], v[54:55]
	v_fmac_f64_e32 v[168:169], v[158:159], v[52:53]
	v_mul_f64 v[166:167], v[206:207], v[166:167]
	v_add_f64 v[0:1], v[0:1], v[168:169]
	v_fma_f64 v[232:233], v[204:205], v[164:165], -v[166:167]
	ds_read_b128 v[164:167], v2 offset:1216
	s_waitcnt vmcnt(12) lgkmcnt(1)
	v_mul_f64 v[168:169], v[160:161], v[58:59]
	v_fmac_f64_e32 v[168:169], v[162:163], v[56:57]
	v_add_f64 v[0:1], v[0:1], v[168:169]
	ds_read_b128 v[168:171], v2 offset:1232
	v_accvgpr_write_b32 a95, v7
	v_accvgpr_write_b32 a94, v6
	;; [unrolled: 1-line block ×4, first 2 shown]
	s_waitcnt vmcnt(11) lgkmcnt(1)
	v_mul_f64 v[6:7], v[164:165], v[62:63]
	v_mul_f64 v[174:175], v[214:215], v[174:175]
	v_fmac_f64_e32 v[6:7], v[166:167], v[60:61]
	v_fma_f64 v[8:9], v[212:213], v[172:173], -v[174:175]
	ds_read_b128 v[172:175], v2 offset:1248
	v_add_f64 v[0:1], v[0:1], v[6:7]
	s_waitcnt vmcnt(10) lgkmcnt(1)
	v_mul_f64 v[6:7], v[168:169], v[66:67]
	v_fmac_f64_e32 v[6:7], v[170:171], v[64:65]
	v_add_f64 v[0:1], v[0:1], v[6:7]
	v_mul_f64 v[6:7], v[218:219], v[178:179]
	v_fma_f64 v[4:5], v[216:217], v[176:177], -v[6:7]
	ds_read_b128 v[176:179], v2 offset:1264
	ds_read_b128 v[180:183], v2 offset:1280
	s_waitcnt vmcnt(9) lgkmcnt(2)
	v_mul_f64 v[6:7], v[172:173], v[70:71]
	v_fmac_f64_e32 v[6:7], v[174:175], v[68:69]
	v_add_f64 v[0:1], v[0:1], v[6:7]
	s_waitcnt vmcnt(8) lgkmcnt(1)
	v_mul_f64 v[6:7], v[176:177], v[90:91]
	v_fmac_f64_e32 v[6:7], v[178:179], v[88:89]
	v_add_f64 v[0:1], v[0:1], v[6:7]
	v_mul_f64 v[6:7], v[222:223], v[186:187]
	v_fma_f64 v[10:11], v[220:221], v[184:185], -v[6:7]
	ds_read_b128 v[184:187], v2 offset:1296
	v_mul_f64 v[6:7], v[226:227], v[190:191]
	v_fma_f64 v[6:7], v[224:225], v[188:189], -v[6:7]
	ds_read_b128 v[188:191], v2 offset:1312
	s_waitcnt vmcnt(7) lgkmcnt(2)
	v_mul_f64 v[192:193], v[180:181], v[94:95]
	v_fmac_f64_e32 v[192:193], v[182:183], v[92:93]
	v_add_f64 v[0:1], v[0:1], v[192:193]
	s_waitcnt vmcnt(6) lgkmcnt(1)
	v_mul_f64 v[192:193], v[184:185], v[98:99]
	v_fmac_f64_e32 v[192:193], v[186:187], v[96:97]
	v_add_f64 v[0:1], v[0:1], v[192:193]
	s_waitcnt vmcnt(5) lgkmcnt(0)
	v_mul_f64 v[204:205], v[188:189], v[102:103]
	ds_read_b128 v[192:195], v2 offset:1328
	v_fmac_f64_e32 v[204:205], v[190:191], v[100:101]
	v_add_f64 v[204:205], v[0:1], v[204:205]
	v_mul_f64 v[0:1], v[230:231], v[198:199]
	v_fma_f64 v[0:1], v[228:229], v[196:197], -v[0:1]
	ds_read_b128 v[196:199], v2 offset:1344
	v_mul_f64 v[202:203], v[240:241], v[202:203]
	s_waitcnt vmcnt(4) lgkmcnt(1)
	v_mul_f64 v[206:207], v[192:193], v[106:107]
	v_fma_f64 v[238:239], v[238:239], v[200:201], -v[202:203]
	ds_read_b128 v[200:203], v2 offset:1360
	v_fmac_f64_e32 v[206:207], v[194:195], v[104:105]
	v_add_f64 v[212:213], v[204:205], v[206:207]
	ds_read_b128 v[204:207], v2 offset:1376
	s_waitcnt vmcnt(3) lgkmcnt(2)
	v_mul_f64 v[214:215], v[196:197], v[110:111]
	v_mul_f64 v[210:211], v[252:253], v[210:211]
	v_fmac_f64_e32 v[214:215], v[198:199], v[108:109]
	v_fma_f64 v[250:251], v[250:251], v[208:209], -v[210:211]
	ds_read_b128 v[208:211], v2 offset:1392
	ds_read_b128 v[216:219], v2 offset:1408
	v_add_f64 v[212:213], v[212:213], v[214:215]
	s_waitcnt vmcnt(2) lgkmcnt(3)
	v_mul_f64 v[214:215], v[200:201], v[118:119]
	v_fmac_f64_e32 v[214:215], v[202:203], v[116:117]
	v_add_f64 v[212:213], v[212:213], v[214:215]
	s_waitcnt vmcnt(1) lgkmcnt(2)
	v_mul_f64 v[214:215], v[204:205], v[114:115]
	v_fmac_f64_e32 v[214:215], v[206:207], v[112:113]
	;; [unrolled: 4-line block ×3, first 2 shown]
	v_add_f64 v[220:221], v[212:213], v[214:215]
	scratch_load_dwordx4 v[212:215], off, off offset:704
	ds_read_b128 v[224:227], v2 offset:1424
	s_waitcnt vmcnt(0) lgkmcnt(1)
	v_mul_f64 v[222:223], v[216:217], v[214:215]
	v_fmac_f64_e32 v[222:223], v[218:219], v[212:213]
	v_add_f64 v[228:229], v[220:221], v[222:223]
	scratch_load_dwordx4 v[220:223], off, off offset:720
	s_waitcnt vmcnt(0) lgkmcnt(0)
	v_mul_f64 v[230:231], v[224:225], v[222:223]
	v_fmac_f64_e32 v[230:231], v[226:227], v[220:221]
	v_add_f64 v[240:241], v[228:229], v[230:231]
	v_add_f64 v[228:229], v[242:243], 0
	;; [unrolled: 1-line block ×8, first 2 shown]
	scratch_load_dwordx4 v[228:231], off, off offset:64
	v_add_f64 v[4:5], v[8:9], v[4:5]
	v_add_f64 v[252:253], v[4:5], v[10:11]
	v_add_f64 v[4:5], v[252:253], v[6:7]
	v_accvgpr_read_b32 v6, a92
	v_add_f64 v[0:1], v[4:5], v[0:1]
	v_accvgpr_read_b32 v8, a94
	v_accvgpr_read_b32 v9, a95
	v_add_f64 v[0:1], v[0:1], v[238:239]
	v_accvgpr_read_b32 v7, a93
	v_mul_f64 v[4:5], v[86:87], v[8:9]
	v_add_f64 v[0:1], v[0:1], v[250:251]
	v_fma_f64 v[4:5], v[84:85], v[6:7], -v[4:5]
	v_add_f64 v[0:1], v[0:1], v[4:5]
	v_mul_f64 v[4:5], v[82:83], v[236:237]
	v_fma_f64 v[4:5], v[80:81], v[234:235], -v[4:5]
	v_add_f64 v[0:1], v[0:1], v[4:5]
	v_mul_f64 v[4:5], v[78:79], v[14:15]
	v_fma_f64 v[4:5], v[76:77], v[12:13], -v[4:5]
	v_add_f64 v[0:1], v[0:1], v[4:5]
	v_mul_f64 v[4:5], v[74:75], v[18:19]
	v_fma_f64 v[4:5], v[72:73], v[16:17], -v[4:5]
	v_add_f64 v[0:1], v[0:1], v[4:5]
	v_mul_f64 v[4:5], v[126:127], v[22:23]
	v_fma_f64 v[4:5], v[124:125], v[20:21], -v[4:5]
	v_add_f64 v[0:1], v[0:1], v[4:5]
	v_mul_f64 v[4:5], v[130:131], v[26:27]
	v_fma_f64 v[4:5], v[128:129], v[24:25], -v[4:5]
	v_add_f64 v[0:1], v[0:1], v[4:5]
	v_mul_f64 v[4:5], v[134:135], v[30:31]
	v_fma_f64 v[4:5], v[132:133], v[28:29], -v[4:5]
	v_add_f64 v[0:1], v[0:1], v[4:5]
	v_mul_f64 v[4:5], v[138:139], v[34:35]
	v_fma_f64 v[4:5], v[136:137], v[32:33], -v[4:5]
	v_add_f64 v[0:1], v[0:1], v[4:5]
	v_mul_f64 v[4:5], v[142:143], v[38:39]
	v_fma_f64 v[4:5], v[140:141], v[36:37], -v[4:5]
	v_add_f64 v[0:1], v[0:1], v[4:5]
	v_mul_f64 v[4:5], v[150:151], v[42:43]
	v_fma_f64 v[4:5], v[148:149], v[40:41], -v[4:5]
	v_add_f64 v[0:1], v[0:1], v[4:5]
	v_mul_f64 v[4:5], v[146:147], v[46:47]
	v_fma_f64 v[4:5], v[144:145], v[44:45], -v[4:5]
	v_add_f64 v[0:1], v[0:1], v[4:5]
	v_mul_f64 v[4:5], v[154:155], v[50:51]
	v_fma_f64 v[4:5], v[152:153], v[48:49], -v[4:5]
	v_add_f64 v[0:1], v[0:1], v[4:5]
	v_mul_f64 v[4:5], v[158:159], v[54:55]
	v_fma_f64 v[4:5], v[156:157], v[52:53], -v[4:5]
	v_add_f64 v[0:1], v[0:1], v[4:5]
	v_mul_f64 v[4:5], v[162:163], v[58:59]
	v_fma_f64 v[4:5], v[160:161], v[56:57], -v[4:5]
	v_add_f64 v[0:1], v[0:1], v[4:5]
	v_mul_f64 v[4:5], v[166:167], v[62:63]
	v_fma_f64 v[4:5], v[164:165], v[60:61], -v[4:5]
	v_add_f64 v[0:1], v[0:1], v[4:5]
	v_mul_f64 v[4:5], v[170:171], v[66:67]
	v_fma_f64 v[4:5], v[168:169], v[64:65], -v[4:5]
	v_add_f64 v[0:1], v[0:1], v[4:5]
	v_mul_f64 v[4:5], v[174:175], v[70:71]
	v_fma_f64 v[4:5], v[172:173], v[68:69], -v[4:5]
	v_add_f64 v[0:1], v[0:1], v[4:5]
	v_mul_f64 v[4:5], v[178:179], v[90:91]
	v_fma_f64 v[4:5], v[176:177], v[88:89], -v[4:5]
	v_add_f64 v[0:1], v[0:1], v[4:5]
	v_mul_f64 v[4:5], v[182:183], v[94:95]
	v_fma_f64 v[4:5], v[180:181], v[92:93], -v[4:5]
	v_add_f64 v[0:1], v[0:1], v[4:5]
	v_mul_f64 v[4:5], v[186:187], v[98:99]
	v_fma_f64 v[4:5], v[184:185], v[96:97], -v[4:5]
	v_add_f64 v[0:1], v[0:1], v[4:5]
	v_mul_f64 v[4:5], v[190:191], v[102:103]
	v_fma_f64 v[4:5], v[188:189], v[100:101], -v[4:5]
	v_add_f64 v[0:1], v[0:1], v[4:5]
	v_mul_f64 v[4:5], v[194:195], v[106:107]
	v_fma_f64 v[4:5], v[192:193], v[104:105], -v[4:5]
	v_add_f64 v[0:1], v[0:1], v[4:5]
	v_mul_f64 v[4:5], v[198:199], v[110:111]
	v_fma_f64 v[4:5], v[196:197], v[108:109], -v[4:5]
	v_add_f64 v[0:1], v[0:1], v[4:5]
	v_mul_f64 v[4:5], v[202:203], v[118:119]
	v_fma_f64 v[4:5], v[200:201], v[116:117], -v[4:5]
	v_add_f64 v[0:1], v[0:1], v[4:5]
	v_mul_f64 v[4:5], v[206:207], v[114:115]
	v_fma_f64 v[4:5], v[204:205], v[112:113], -v[4:5]
	v_add_f64 v[0:1], v[0:1], v[4:5]
	v_mul_f64 v[4:5], v[210:211], v[122:123]
	v_fma_f64 v[4:5], v[208:209], v[120:121], -v[4:5]
	v_add_f64 v[0:1], v[0:1], v[4:5]
	v_mul_f64 v[4:5], v[218:219], v[214:215]
	v_fma_f64 v[4:5], v[216:217], v[212:213], -v[4:5]
	v_add_f64 v[0:1], v[0:1], v[4:5]
	v_mul_f64 v[4:5], v[226:227], v[222:223]
	v_fma_f64 v[4:5], v[224:225], v[220:221], -v[4:5]
	v_add_f64 v[0:1], v[0:1], v[4:5]
	s_waitcnt vmcnt(0)
	v_add_f64 v[4:5], v[228:229], -v[0:1]
	v_accvgpr_read_b32 v0, a90
	v_add_f64 v[6:7], v[230:231], -v[240:241]
	v_cmp_lt_u32_e32 vcc, 2, v0
	scratch_store_dwordx4 off, v[4:7], off offset:64
	s_and_saveexec_b64 s[0:1], vcc
	s_cbranch_execz .LBB44_279
; %bb.278:
	scratch_load_dwordx4 v[6:9], off, s12
	v_mov_b32_e32 v3, v2
	v_mov_b32_e32 v4, v2
	;; [unrolled: 1-line block ×3, first 2 shown]
	v_accvgpr_read_b32 v0, a91
	scratch_store_dwordx4 off, v[2:5], off offset:48
	s_waitcnt vmcnt(1)
	ds_write_b128 v0, v[6:9]
.LBB44_279:
	s_or_b64 exec, exec, s[0:1]
	s_waitcnt lgkmcnt(0)
	; wave barrier
	scratch_load_dwordx4 v[88:91], off, off offset:64
	scratch_load_dwordx4 v[92:95], off, off offset:80
	;; [unrolled: 1-line block ×17, first 2 shown]
	ds_read_b128 v[212:215], v2 offset:768
	ds_read_b128 v[204:207], v2 offset:784
	;; [unrolled: 1-line block ×3, first 2 shown]
	scratch_load_dwordx4 v[20:23], off, off offset:336
	ds_read_b128 v[216:219], v2 offset:816
	ds_read_b128 v[208:211], v2 offset:832
	;; [unrolled: 1-line block ×5, first 2 shown]
	scratch_load_dwordx4 v[24:27], off, off offset:352
	ds_read_b128 v[180:183], v2 offset:896
	ds_read_b128 v[160:163], v2 offset:912
	ds_read_b128 v[144:147], v2 offset:928
	scratch_load_dwordx4 v[28:31], off, off offset:368
	ds_read_b128 v[172:175], v2 offset:944
	ds_read_b128 v[148:151], v2 offset:960
	;; [unrolled: 1-line block ×5, first 2 shown]
	scratch_load_dwordx4 v[36:39], off, off offset:384
	ds_read_b128 v[48:51], v2 offset:1024
	scratch_load_dwordx4 v[52:55], off, off offset:400
	scratch_load_dwordx4 v[56:59], off, off offset:416
	;; [unrolled: 1-line block ×9, first 2 shown]
	ds_read_b128 v[140:143], v2 offset:1040
	ds_read_b128 v[232:235], v2 offset:1104
	ds_read_b128 v[228:231], v2 offset:1088
	s_waitcnt vmcnt(29) lgkmcnt(14)
	v_mul_f64 v[0:1], v[212:213], v[90:91]
	s_waitcnt vmcnt(28)
	v_mul_f64 v[152:153], v[204:205], v[94:95]
	v_fmac_f64_e32 v[0:1], v[214:215], v[88:89]
	s_waitcnt vmcnt(27)
	v_mul_f64 v[154:155], v[196:197], v[98:99]
	v_fmac_f64_e32 v[152:153], v[206:207], v[92:93]
	v_add_f64 v[0:1], v[0:1], 0
	s_waitcnt vmcnt(26)
	v_mul_f64 v[164:165], v[216:217], v[102:103]
	v_fmac_f64_e32 v[154:155], v[198:199], v[96:97]
	v_add_f64 v[0:1], v[0:1], v[152:153]
	;; [unrolled: 4-line block ×4, first 2 shown]
	s_waitcnt vmcnt(23) lgkmcnt(13)
	v_mul_f64 v[170:171], v[184:185], v[114:115]
	v_fmac_f64_e32 v[168:169], v[202:203], v[108:109]
	v_add_f64 v[0:1], v[0:1], v[166:167]
	s_waitcnt vmcnt(22) lgkmcnt(12)
	v_mul_f64 v[176:177], v[156:157], v[118:119]
	v_fmac_f64_e32 v[170:171], v[186:187], v[112:113]
	v_add_f64 v[0:1], v[0:1], v[168:169]
	;; [unrolled: 4-line block ×10, first 2 shown]
	v_fmac_f64_e32 v[224:225], v[34:35], v[12:13]
	v_add_f64 v[0:1], v[0:1], v[222:223]
	ds_read_b128 v[220:223], v2 offset:1056
	v_add_f64 v[0:1], v[0:1], v[224:225]
	ds_read_b128 v[224:227], v2 offset:1072
	s_waitcnt vmcnt(13) lgkmcnt(5)
	v_mul_f64 v[164:165], v[48:49], v[18:19]
	scratch_load_dwordx4 v[152:155], off, off offset:544
	v_fmac_f64_e32 v[164:165], v[50:51], v[16:17]
	s_waitcnt vmcnt(13) lgkmcnt(4)
	v_mul_f64 v[168:169], v[140:141], v[22:23]
	v_add_f64 v[0:1], v[0:1], v[164:165]
	v_fmac_f64_e32 v[168:169], v[142:143], v[20:21]
	scratch_load_dwordx4 v[164:167], off, off offset:560
	v_add_f64 v[0:1], v[0:1], v[168:169]
	s_waitcnt vmcnt(13) lgkmcnt(1)
	v_mul_f64 v[176:177], v[220:221], v[26:27]
	scratch_load_dwordx4 v[168:171], off, off offset:576
	v_fmac_f64_e32 v[176:177], v[222:223], v[24:25]
	s_waitcnt vmcnt(13) lgkmcnt(0)
	v_mul_f64 v[188:189], v[224:225], v[30:31]
	v_add_f64 v[0:1], v[0:1], v[176:177]
	scratch_load_dwordx4 v[176:179], off, off offset:592
	v_fmac_f64_e32 v[188:189], v[226:227], v[28:29]
	v_add_f64 v[0:1], v[0:1], v[188:189]
	s_waitcnt vmcnt(13)
	v_mul_f64 v[188:189], v[228:229], v[38:39]
	v_fmac_f64_e32 v[188:189], v[230:231], v[36:37]
	v_add_f64 v[0:1], v[0:1], v[188:189]
	scratch_load_dwordx4 v[188:191], off, off offset:608
	s_waitcnt vmcnt(13)
	v_mul_f64 v[192:193], v[232:233], v[54:55]
	v_fmac_f64_e32 v[192:193], v[234:235], v[52:53]
	v_mul_f64 v[90:91], v[214:215], v[90:91]
	v_add_f64 v[0:1], v[0:1], v[192:193]
	scratch_load_dwordx4 v[192:195], off, off offset:624
	v_fma_f64 v[240:241], v[212:213], v[88:89], -v[90:91]
	v_mul_f64 v[88:89], v[206:207], v[94:95]
	ds_read_b128 v[236:239], v2 offset:1120
	ds_read_b128 v[212:215], v2 offset:1136
	v_fma_f64 v[242:243], v[204:205], v[92:93], -v[88:89]
	scratch_load_dwordx4 v[92:95], off, off offset:640
	scratch_load_dwordx4 v[88:91], off, off offset:656
	v_mul_f64 v[98:99], v[198:199], v[98:99]
	v_fma_f64 v[244:245], v[196:197], v[96:97], -v[98:99]
	scratch_load_dwordx4 v[96:99], off, off offset:672
	s_waitcnt vmcnt(16) lgkmcnt(1)
	v_mul_f64 v[204:205], v[236:237], v[58:59]
	v_mul_f64 v[102:103], v[218:219], v[102:103]
	v_fmac_f64_e32 v[204:205], v[238:239], v[56:57]
	v_fma_f64 v[216:217], v[216:217], v[100:101], -v[102:103]
	ds_read_b128 v[100:103], v2 offset:1152
	s_waitcnt vmcnt(15) lgkmcnt(1)
	v_mul_f64 v[196:197], v[212:213], v[62:63]
	v_add_f64 v[0:1], v[0:1], v[204:205]
	v_fmac_f64_e32 v[196:197], v[214:215], v[60:61]
	v_add_f64 v[0:1], v[0:1], v[196:197]
	ds_read_b128 v[196:199], v2 offset:1168
	v_mul_f64 v[106:107], v[210:211], v[106:107]
	v_fma_f64 v[218:219], v[208:209], v[104:105], -v[106:107]
	ds_read_b128 v[104:107], v2 offset:1184
	s_waitcnt vmcnt(14) lgkmcnt(2)
	v_mul_f64 v[204:205], v[100:101], v[66:67]
	v_fmac_f64_e32 v[204:205], v[102:103], v[64:65]
	v_add_f64 v[0:1], v[0:1], v[204:205]
	s_waitcnt vmcnt(13) lgkmcnt(1)
	v_mul_f64 v[204:205], v[196:197], v[70:71]
	v_mul_f64 v[110:111], v[202:203], v[110:111]
	v_fmac_f64_e32 v[204:205], v[198:199], v[68:69]
	v_fma_f64 v[246:247], v[200:201], v[108:109], -v[110:111]
	ds_read_b128 v[108:111], v2 offset:1200
	s_waitcnt vmcnt(12) lgkmcnt(1)
	v_mul_f64 v[200:201], v[104:105], v[74:75]
	v_add_f64 v[0:1], v[0:1], v[204:205]
	v_fmac_f64_e32 v[200:201], v[106:107], v[72:73]
	v_add_f64 v[0:1], v[0:1], v[200:201]
	ds_read_b128 v[200:203], v2 offset:1216
	v_mul_f64 v[114:115], v[186:187], v[114:115]
	v_fma_f64 v[248:249], v[184:185], v[112:113], -v[114:115]
	ds_read_b128 v[112:115], v2 offset:1232
	s_waitcnt vmcnt(11) lgkmcnt(2)
	v_mul_f64 v[184:185], v[108:109], v[78:79]
	v_fmac_f64_e32 v[184:185], v[110:111], v[76:77]
	v_add_f64 v[0:1], v[0:1], v[184:185]
	s_waitcnt vmcnt(10) lgkmcnt(1)
	v_mul_f64 v[184:185], v[200:201], v[82:83]
	v_mul_f64 v[118:119], v[158:159], v[118:119]
	v_fmac_f64_e32 v[184:185], v[202:203], v[80:81]
	v_fma_f64 v[254:255], v[156:157], v[116:117], -v[118:119]
	s_waitcnt vmcnt(9) lgkmcnt(0)
	v_mul_f64 v[156:157], v[112:113], v[86:87]
	v_add_f64 v[0:1], v[0:1], v[184:185]
	ds_read_b128 v[116:119], v2 offset:1248
	v_fmac_f64_e32 v[156:157], v[114:115], v[84:85]
	v_add_f64 v[0:1], v[0:1], v[156:157]
	ds_read_b128 v[156:159], v2 offset:1264
	v_mul_f64 v[122:123], v[182:183], v[122:123]
	v_fma_f64 v[250:251], v[180:181], v[120:121], -v[122:123]
	ds_read_b128 v[120:123], v2 offset:1280
	v_accvgpr_write_b32 a95, v7
	v_mul_f64 v[126:127], v[162:163], v[126:127]
	v_accvgpr_write_b32 a94, v6
	v_accvgpr_write_b32 a93, v5
	;; [unrolled: 1-line block ×3, first 2 shown]
	v_fma_f64 v[4:5], v[160:161], v[124:125], -v[126:127]
	ds_read_b128 v[124:127], v2 offset:1296
	s_waitcnt vmcnt(8) lgkmcnt(3)
	v_mul_f64 v[184:185], v[116:117], v[154:155]
	v_fmac_f64_e32 v[184:185], v[118:119], v[152:153]
	s_waitcnt vmcnt(7) lgkmcnt(2)
	v_mul_f64 v[180:181], v[156:157], v[166:167]
	v_add_f64 v[0:1], v[0:1], v[184:185]
	v_fmac_f64_e32 v[180:181], v[158:159], v[164:165]
	s_waitcnt vmcnt(6) lgkmcnt(1)
	v_mul_f64 v[6:7], v[120:121], v[170:171]
	ds_read_b128 v[160:163], v2 offset:1312
	v_add_f64 v[0:1], v[0:1], v[180:181]
	v_fmac_f64_e32 v[6:7], v[122:123], v[168:169]
	v_add_f64 v[0:1], v[0:1], v[6:7]
	s_waitcnt vmcnt(5) lgkmcnt(1)
	v_mul_f64 v[6:7], v[124:125], v[178:179]
	v_fmac_f64_e32 v[6:7], v[126:127], v[176:177]
	v_add_f64 v[0:1], v[0:1], v[6:7]
	v_mul_f64 v[6:7], v[146:147], v[130:131]
	v_fma_f64 v[6:7], v[144:145], v[128:129], -v[6:7]
	ds_read_b128 v[128:131], v2 offset:1328
	s_waitcnt vmcnt(4) lgkmcnt(1)
	v_mul_f64 v[144:145], v[160:161], v[190:191]
	v_fmac_f64_e32 v[144:145], v[162:163], v[188:189]
	v_add_f64 v[180:181], v[0:1], v[144:145]
	v_mul_f64 v[0:1], v[174:175], v[134:135]
	v_fma_f64 v[0:1], v[172:173], v[132:133], -v[0:1]
	ds_read_b128 v[132:135], v2 offset:1344
	ds_read_b128 v[144:147], v2 offset:1360
	v_mul_f64 v[138:139], v[150:151], v[138:139]
	v_fma_f64 v[252:253], v[148:149], v[136:137], -v[138:139]
	ds_read_b128 v[136:139], v2 offset:1376
	s_waitcnt vmcnt(3) lgkmcnt(3)
	v_mul_f64 v[172:173], v[128:129], v[194:195]
	v_fmac_f64_e32 v[172:173], v[130:131], v[192:193]
	s_waitcnt vmcnt(2) lgkmcnt(2)
	v_mul_f64 v[148:149], v[132:133], v[94:95]
	v_add_f64 v[172:173], v[180:181], v[172:173]
	v_fmac_f64_e32 v[148:149], v[134:135], v[92:93]
	s_waitcnt vmcnt(1) lgkmcnt(1)
	v_mul_f64 v[150:151], v[144:145], v[90:91]
	v_add_f64 v[148:149], v[172:173], v[148:149]
	v_fmac_f64_e32 v[150:151], v[146:147], v[88:89]
	v_add_f64 v[148:149], v[148:149], v[150:151]
	ds_read_b128 v[172:175], v2 offset:1392
	scratch_load_dwordx4 v[208:211], off, off offset:720
	s_waitcnt vmcnt(1) lgkmcnt(1)
	v_mul_f64 v[150:151], v[136:137], v[98:99]
	v_fmac_f64_e32 v[150:151], v[138:139], v[96:97]
	v_add_f64 v[180:181], v[148:149], v[150:151]
	scratch_load_dwordx4 v[148:151], off, off offset:688
	ds_read_b128 v[184:187], v2 offset:1408
	v_accvgpr_write_b32 a97, v1
	v_accvgpr_write_b32 a96, v0
	s_waitcnt vmcnt(0) lgkmcnt(1)
	v_mul_f64 v[182:183], v[172:173], v[150:151]
	v_fmac_f64_e32 v[182:183], v[174:175], v[148:149]
	v_add_f64 v[204:205], v[180:181], v[182:183]
	scratch_load_dwordx4 v[180:183], off, off offset:704
	s_waitcnt vmcnt(0) lgkmcnt(0)
	v_mul_f64 v[206:207], v[184:185], v[182:183]
	v_fmac_f64_e32 v[206:207], v[186:187], v[180:181]
	v_add_f64 v[0:1], v[204:205], v[206:207]
	ds_read_b128 v[204:207], v2 offset:1424
	s_waitcnt lgkmcnt(0)
	v_mul_f64 v[2:3], v[204:205], v[210:211]
	v_fmac_f64_e32 v[2:3], v[206:207], v[208:209]
	v_add_f64 v[2:3], v[0:1], v[2:3]
	v_add_f64 v[0:1], v[240:241], 0
	v_add_f64 v[0:1], v[0:1], v[242:243]
	v_add_f64 v[0:1], v[0:1], v[244:245]
	v_add_f64 v[0:1], v[0:1], v[216:217]
	v_add_f64 v[0:1], v[0:1], v[218:219]
	scratch_load_dwordx4 v[216:219], off, off offset:48
	v_add_f64 v[0:1], v[0:1], v[246:247]
	v_add_f64 v[0:1], v[0:1], v[248:249]
	;; [unrolled: 1-line block ×6, first 2 shown]
	v_accvgpr_read_b32 v0, a96
	v_accvgpr_read_b32 v243, a95
	;; [unrolled: 1-line block ×4, first 2 shown]
	v_add_f64 v[0:1], v[254:255], v[0:1]
	v_accvgpr_read_b32 v241, a93
	v_accvgpr_read_b32 v240, a92
	v_mul_f64 v[4:5], v[46:47], v[242:243]
	v_add_f64 v[0:1], v[0:1], v[252:253]
	v_fma_f64 v[4:5], v[44:45], v[240:241], -v[4:5]
	v_add_f64 v[0:1], v[0:1], v[4:5]
	v_mul_f64 v[4:5], v[42:43], v[10:11]
	v_fma_f64 v[4:5], v[40:41], v[8:9], -v[4:5]
	v_add_f64 v[0:1], v[0:1], v[4:5]
	v_mul_f64 v[4:5], v[34:35], v[14:15]
	v_fma_f64 v[4:5], v[32:33], v[12:13], -v[4:5]
	v_add_f64 v[0:1], v[0:1], v[4:5]
	v_mul_f64 v[4:5], v[50:51], v[18:19]
	v_fma_f64 v[4:5], v[48:49], v[16:17], -v[4:5]
	v_add_f64 v[0:1], v[0:1], v[4:5]
	v_mul_f64 v[4:5], v[142:143], v[22:23]
	v_fma_f64 v[4:5], v[140:141], v[20:21], -v[4:5]
	v_add_f64 v[0:1], v[0:1], v[4:5]
	v_mul_f64 v[4:5], v[222:223], v[26:27]
	v_fma_f64 v[4:5], v[220:221], v[24:25], -v[4:5]
	v_add_f64 v[0:1], v[0:1], v[4:5]
	v_mul_f64 v[4:5], v[226:227], v[30:31]
	v_fma_f64 v[4:5], v[224:225], v[28:29], -v[4:5]
	v_add_f64 v[0:1], v[0:1], v[4:5]
	v_mul_f64 v[4:5], v[230:231], v[38:39]
	v_fma_f64 v[4:5], v[228:229], v[36:37], -v[4:5]
	v_add_f64 v[0:1], v[0:1], v[4:5]
	v_mul_f64 v[4:5], v[234:235], v[54:55]
	v_fma_f64 v[4:5], v[232:233], v[52:53], -v[4:5]
	v_add_f64 v[0:1], v[0:1], v[4:5]
	v_mul_f64 v[4:5], v[238:239], v[58:59]
	v_fma_f64 v[4:5], v[236:237], v[56:57], -v[4:5]
	v_add_f64 v[0:1], v[0:1], v[4:5]
	v_mul_f64 v[4:5], v[214:215], v[62:63]
	v_fma_f64 v[4:5], v[212:213], v[60:61], -v[4:5]
	v_add_f64 v[0:1], v[0:1], v[4:5]
	v_mul_f64 v[4:5], v[102:103], v[66:67]
	v_fma_f64 v[4:5], v[100:101], v[64:65], -v[4:5]
	v_add_f64 v[0:1], v[0:1], v[4:5]
	v_mul_f64 v[4:5], v[198:199], v[70:71]
	v_fma_f64 v[4:5], v[196:197], v[68:69], -v[4:5]
	v_add_f64 v[0:1], v[0:1], v[4:5]
	v_mul_f64 v[4:5], v[106:107], v[74:75]
	v_fma_f64 v[4:5], v[104:105], v[72:73], -v[4:5]
	v_add_f64 v[0:1], v[0:1], v[4:5]
	v_mul_f64 v[4:5], v[110:111], v[78:79]
	v_fma_f64 v[4:5], v[108:109], v[76:77], -v[4:5]
	v_add_f64 v[0:1], v[0:1], v[4:5]
	v_mul_f64 v[4:5], v[202:203], v[82:83]
	v_fma_f64 v[4:5], v[200:201], v[80:81], -v[4:5]
	v_add_f64 v[0:1], v[0:1], v[4:5]
	v_mul_f64 v[4:5], v[114:115], v[86:87]
	v_fma_f64 v[4:5], v[112:113], v[84:85], -v[4:5]
	v_add_f64 v[0:1], v[0:1], v[4:5]
	v_mul_f64 v[4:5], v[118:119], v[154:155]
	v_fma_f64 v[4:5], v[116:117], v[152:153], -v[4:5]
	v_add_f64 v[0:1], v[0:1], v[4:5]
	v_mul_f64 v[4:5], v[158:159], v[166:167]
	v_fma_f64 v[4:5], v[156:157], v[164:165], -v[4:5]
	v_add_f64 v[0:1], v[0:1], v[4:5]
	v_mul_f64 v[4:5], v[122:123], v[170:171]
	v_fma_f64 v[4:5], v[120:121], v[168:169], -v[4:5]
	v_add_f64 v[0:1], v[0:1], v[4:5]
	v_mul_f64 v[4:5], v[126:127], v[178:179]
	v_fma_f64 v[4:5], v[124:125], v[176:177], -v[4:5]
	v_add_f64 v[0:1], v[0:1], v[4:5]
	v_mul_f64 v[4:5], v[162:163], v[190:191]
	v_fma_f64 v[4:5], v[160:161], v[188:189], -v[4:5]
	v_add_f64 v[0:1], v[0:1], v[4:5]
	v_mul_f64 v[4:5], v[130:131], v[194:195]
	v_fma_f64 v[4:5], v[128:129], v[192:193], -v[4:5]
	v_add_f64 v[0:1], v[0:1], v[4:5]
	v_mul_f64 v[4:5], v[134:135], v[94:95]
	v_fma_f64 v[4:5], v[132:133], v[92:93], -v[4:5]
	v_add_f64 v[0:1], v[0:1], v[4:5]
	v_mul_f64 v[4:5], v[146:147], v[90:91]
	v_fma_f64 v[4:5], v[144:145], v[88:89], -v[4:5]
	v_add_f64 v[0:1], v[0:1], v[4:5]
	v_mul_f64 v[4:5], v[138:139], v[98:99]
	v_fma_f64 v[4:5], v[136:137], v[96:97], -v[4:5]
	v_add_f64 v[0:1], v[0:1], v[4:5]
	v_mul_f64 v[4:5], v[174:175], v[150:151]
	v_fma_f64 v[4:5], v[172:173], v[148:149], -v[4:5]
	v_add_f64 v[0:1], v[0:1], v[4:5]
	v_mul_f64 v[4:5], v[186:187], v[182:183]
	v_fma_f64 v[4:5], v[184:185], v[180:181], -v[4:5]
	v_add_f64 v[0:1], v[0:1], v[4:5]
	v_mul_f64 v[4:5], v[206:207], v[210:211]
	v_fma_f64 v[4:5], v[204:205], v[208:209], -v[4:5]
	v_add_f64 v[0:1], v[0:1], v[4:5]
	s_waitcnt vmcnt(0)
	v_add_f64 v[4:5], v[216:217], -v[0:1]
	v_accvgpr_read_b32 v0, a90
	v_add_f64 v[6:7], v[218:219], -v[2:3]
	v_cmp_lt_u32_e32 vcc, 1, v0
	scratch_store_dwordx4 off, v[4:7], off offset:48
	s_and_saveexec_b64 s[0:1], vcc
	s_cbranch_execz .LBB44_281
; %bb.280:
	scratch_load_dwordx4 v[2:5], off, s15
	v_mov_b32_e32 v6, 0
	v_mov_b32_e32 v7, v6
	;; [unrolled: 1-line block ×4, first 2 shown]
	v_accvgpr_read_b32 v0, a91
	scratch_store_dwordx4 off, v[6:9], off offset:32
	s_waitcnt vmcnt(1)
	ds_write_b128 v0, v[2:5]
.LBB44_281:
	s_or_b64 exec, exec, s[0:1]
	s_waitcnt lgkmcnt(0)
	; wave barrier
	scratch_load_dwordx4 v[96:99], off, off offset:48
	scratch_load_dwordx4 v[100:103], off, off offset:64
	;; [unrolled: 1-line block ×30, first 2 shown]
	v_mov_b32_e32 v2, 0
	ds_read_b128 v[136:139], v2 offset:752
	ds_read_b128 v[144:147], v2 offset:768
	;; [unrolled: 1-line block ×20, first 2 shown]
	s_waitcnt vmcnt(29) lgkmcnt(14)
	v_mul_f64 v[0:1], v[136:137], v[98:99]
	s_waitcnt vmcnt(28)
	v_mul_f64 v[72:73], v[144:145], v[102:103]
	v_fmac_f64_e32 v[0:1], v[138:139], v[96:97]
	s_waitcnt vmcnt(27)
	v_mul_f64 v[74:75], v[148:149], v[106:107]
	v_fmac_f64_e32 v[72:73], v[146:147], v[100:101]
	v_add_f64 v[0:1], v[0:1], 0
	s_waitcnt vmcnt(26)
	v_mul_f64 v[76:77], v[164:165], v[110:111]
	v_fmac_f64_e32 v[74:75], v[150:151], v[104:105]
	v_add_f64 v[0:1], v[0:1], v[72:73]
	;; [unrolled: 4-line block ×4, first 2 shown]
	s_waitcnt vmcnt(23) lgkmcnt(13)
	v_mul_f64 v[82:83], v[200:201], v[158:159]
	v_fmac_f64_e32 v[80:81], v[190:191], v[152:153]
	v_add_f64 v[0:1], v[0:1], v[78:79]
	s_waitcnt vmcnt(22) lgkmcnt(12)
	v_mul_f64 v[84:85], v[208:209], v[162:163]
	v_fmac_f64_e32 v[82:83], v[202:203], v[156:157]
	v_add_f64 v[0:1], v[0:1], v[80:81]
	;; [unrolled: 4-line block ×9, first 2 shown]
	s_waitcnt vmcnt(14) lgkmcnt(4)
	v_mul_f64 v[120:121], v[68:69], v[6:7]
	v_fmac_f64_e32 v[118:119], v[252:253], v[204:205]
	v_accvgpr_write_b32 a95, v7
	v_add_f64 v[0:1], v[0:1], v[116:117]
	v_fmac_f64_e32 v[120:121], v[70:71], v[4:5]
	v_accvgpr_write_b32 a94, v6
	v_accvgpr_write_b32 a93, v5
	;; [unrolled: 1-line block ×3, first 2 shown]
	v_add_f64 v[0:1], v[0:1], v[118:119]
	ds_read_b128 v[116:119], v2 offset:1024
	s_waitcnt vmcnt(13)
	v_mov_b64_e32 v[4:5], v[8:9]
	v_mov_b64_e32 v[6:7], v[10:11]
	s_waitcnt lgkmcnt(4)
	v_mul_f64 v[76:77], v[64:65], v[6:7]
	scratch_load_dwordx4 v[72:75], off, off offset:528
	v_add_f64 v[0:1], v[0:1], v[120:121]
	v_fmac_f64_e32 v[76:77], v[66:67], v[4:5]
	v_add_f64 v[0:1], v[0:1], v[76:77]
	scratch_load_dwordx4 v[76:79], off, off offset:544
	ds_read_b128 v[120:123], v2 offset:1040
	s_waitcnt vmcnt(14) lgkmcnt(1)
	v_mul_f64 v[80:81], v[116:117], v[236:237]
	v_fmac_f64_e32 v[80:81], v[118:119], v[234:235]
	v_add_f64 v[0:1], v[0:1], v[80:81]
	scratch_load_dwordx4 v[80:83], off, off offset:560
	s_waitcnt vmcnt(14) lgkmcnt(0)
	v_mul_f64 v[84:85], v[120:121], v[18:19]
	v_fmac_f64_e32 v[84:85], v[122:123], v[16:17]
	s_waitcnt vmcnt(13)
	v_mul_f64 v[88:89], v[124:125], v[22:23]
	v_add_f64 v[0:1], v[0:1], v[84:85]
	v_fmac_f64_e32 v[88:89], v[126:127], v[20:21]
	scratch_load_dwordx4 v[84:87], off, off offset:576
	v_add_f64 v[0:1], v[0:1], v[88:89]
	s_waitcnt vmcnt(13)
	v_mul_f64 v[88:89], v[128:129], v[26:27]
	v_fmac_f64_e32 v[88:89], v[130:131], v[24:25]
	v_add_f64 v[0:1], v[0:1], v[88:89]
	scratch_load_dwordx4 v[88:91], off, off offset:592
	s_waitcnt vmcnt(13)
	v_mul_f64 v[92:93], v[132:133], v[30:31]
	v_fmac_f64_e32 v[92:93], v[134:135], v[28:29]
	v_add_f64 v[0:1], v[0:1], v[92:93]
	scratch_load_dwordx4 v[92:95], off, off offset:608
	v_mul_f64 v[98:99], v[138:139], v[98:99]
	v_fma_f64 v[242:243], v[136:137], v[96:97], -v[98:99]
	v_mul_f64 v[96:97], v[146:147], v[102:103]
	ds_read_b128 v[140:143], v2 offset:1104
	ds_read_b128 v[136:139], v2 offset:1120
	v_fma_f64 v[244:245], v[144:145], v[100:101], -v[96:97]
	scratch_load_dwordx4 v[100:103], off, off offset:624
	scratch_load_dwordx4 v[96:99], off, off offset:640
	s_waitcnt vmcnt(15) lgkmcnt(1)
	v_mul_f64 v[144:145], v[140:141], v[34:35]
	v_fmac_f64_e32 v[144:145], v[142:143], v[32:33]
	v_mul_f64 v[106:107], v[150:151], v[106:107]
	v_add_f64 v[0:1], v[0:1], v[144:145]
	s_waitcnt vmcnt(14) lgkmcnt(0)
	v_mul_f64 v[144:145], v[136:137], v[38:39]
	v_fma_f64 v[246:247], v[148:149], v[104:105], -v[106:107]
	v_mul_f64 v[104:105], v[166:167], v[110:111]
	v_fmac_f64_e32 v[144:145], v[138:139], v[36:37]
	v_fma_f64 v[248:249], v[164:165], v[108:109], -v[104:105]
	scratch_load_dwordx4 v[104:107], off, off offset:656
	v_add_f64 v[0:1], v[0:1], v[144:145]
	ds_read_b128 v[144:147], v2 offset:1136
	ds_read_b128 v[148:151], v2 offset:1152
	v_mul_f64 v[108:109], v[178:179], v[114:115]
	v_fma_f64 v[254:255], v[176:177], v[112:113], -v[108:109]
	scratch_load_dwordx4 v[108:111], off, off offset:672
	s_waitcnt vmcnt(15) lgkmcnt(1)
	v_mul_f64 v[112:113], v[144:145], v[42:43]
	v_fmac_f64_e32 v[112:113], v[146:147], v[40:41]
	v_add_f64 v[0:1], v[0:1], v[112:113]
	v_mul_f64 v[112:113], v[190:191], v[154:155]
	v_fma_f64 v[232:233], v[188:189], v[152:153], -v[112:113]
	scratch_load_dwordx4 v[112:115], off, off offset:688
	ds_read_b128 v[152:155], v2 offset:1168
	s_waitcnt vmcnt(15) lgkmcnt(1)
	v_mul_f64 v[164:165], v[148:149], v[46:47]
	v_mul_f64 v[158:159], v[202:203], v[158:159]
	v_fmac_f64_e32 v[164:165], v[150:151], v[44:45]
	v_fma_f64 v[12:13], v[200:201], v[156:157], -v[158:159]
	ds_read_b128 v[156:159], v2 offset:1184
	s_waitcnt vmcnt(14) lgkmcnt(1)
	v_mul_f64 v[6:7], v[152:153], v[50:51]
	v_add_f64 v[0:1], v[0:1], v[164:165]
	v_fmac_f64_e32 v[6:7], v[154:155], v[48:49]
	v_accvgpr_write_b32 a99, v11
	v_add_f64 v[0:1], v[0:1], v[6:7]
	v_mul_f64 v[6:7], v[210:211], v[162:163]
	v_accvgpr_write_b32 a98, v10
	v_accvgpr_write_b32 a97, v9
	;; [unrolled: 1-line block ×3, first 2 shown]
	v_fma_f64 v[8:9], v[208:209], v[160:161], -v[6:7]
	ds_read_b128 v[160:163], v2 offset:1200
	ds_read_b128 v[164:167], v2 offset:1216
	s_waitcnt vmcnt(13) lgkmcnt(2)
	v_mul_f64 v[6:7], v[156:157], v[54:55]
	v_fmac_f64_e32 v[6:7], v[158:159], v[52:53]
	v_add_f64 v[0:1], v[0:1], v[6:7]
	s_waitcnt vmcnt(12) lgkmcnt(1)
	v_mul_f64 v[6:7], v[160:161], v[62:63]
	v_fmac_f64_e32 v[6:7], v[162:163], v[60:61]
	v_add_f64 v[0:1], v[0:1], v[6:7]
	v_mul_f64 v[6:7], v[214:215], v[170:171]
	v_fma_f64 v[10:11], v[212:213], v[168:169], -v[6:7]
	s_waitcnt vmcnt(11) lgkmcnt(0)
	v_mul_f64 v[6:7], v[164:165], v[58:59]
	v_fmac_f64_e32 v[6:7], v[166:167], v[56:57]
	ds_read_b128 v[168:171], v2 offset:1232
	v_add_f64 v[0:1], v[0:1], v[6:7]
	v_mul_f64 v[6:7], v[218:219], v[174:175]
	v_fma_f64 v[4:5], v[216:217], v[172:173], -v[6:7]
	ds_read_b128 v[172:175], v2 offset:1248
	s_waitcnt vmcnt(10) lgkmcnt(1)
	v_mul_f64 v[6:7], v[168:169], v[74:75]
	ds_read_b128 v[176:179], v2 offset:1264
	v_fmac_f64_e32 v[6:7], v[170:171], v[72:73]
	v_add_f64 v[0:1], v[0:1], v[6:7]
	s_waitcnt vmcnt(9) lgkmcnt(1)
	v_mul_f64 v[6:7], v[172:173], v[78:79]
	v_fmac_f64_e32 v[6:7], v[174:175], v[76:77]
	v_add_f64 v[0:1], v[0:1], v[6:7]
	v_mul_f64 v[6:7], v[222:223], v[182:183]
	v_fma_f64 v[14:15], v[220:221], v[180:181], -v[6:7]
	ds_read_b128 v[180:183], v2 offset:1280
	s_waitcnt vmcnt(8) lgkmcnt(1)
	v_mul_f64 v[6:7], v[176:177], v[82:83]
	v_fmac_f64_e32 v[6:7], v[178:179], v[80:81]
	v_add_f64 v[0:1], v[0:1], v[6:7]
	v_mul_f64 v[6:7], v[226:227], v[186:187]
	v_fma_f64 v[6:7], v[224:225], v[184:185], -v[6:7]
	ds_read_b128 v[184:187], v2 offset:1296
	s_waitcnt vmcnt(7) lgkmcnt(1)
	v_mul_f64 v[188:189], v[180:181], v[86:87]
	v_fmac_f64_e32 v[188:189], v[182:183], v[84:85]
	v_add_f64 v[0:1], v[0:1], v[188:189]
	ds_read_b128 v[188:191], v2 offset:1312
	s_waitcnt vmcnt(6) lgkmcnt(1)
	v_mul_f64 v[200:201], v[184:185], v[90:91]
	v_fmac_f64_e32 v[200:201], v[186:187], v[88:89]
	v_add_f64 v[200:201], v[0:1], v[200:201]
	v_mul_f64 v[0:1], v[230:231], v[194:195]
	v_fma_f64 v[0:1], v[228:229], v[192:193], -v[0:1]
	ds_read_b128 v[192:195], v2 offset:1328
	s_waitcnt vmcnt(5) lgkmcnt(1)
	v_mul_f64 v[202:203], v[188:189], v[94:95]
	v_fmac_f64_e32 v[202:203], v[190:191], v[92:93]
	v_mul_f64 v[198:199], v[240:241], v[198:199]
	v_fma_f64 v[238:239], v[238:239], v[196:197], -v[198:199]
	ds_read_b128 v[196:199], v2 offset:1344
	v_add_f64 v[200:201], v[200:201], v[202:203]
	s_waitcnt vmcnt(4) lgkmcnt(1)
	v_mul_f64 v[202:203], v[192:193], v[102:103]
	v_fmac_f64_e32 v[202:203], v[194:195], v[100:101]
	v_add_f64 v[208:209], v[200:201], v[202:203]
	ds_read_b128 v[200:203], v2 offset:1360
	v_mul_f64 v[206:207], v[252:253], v[206:207]
	v_fma_f64 v[250:251], v[250:251], v[204:205], -v[206:207]
	ds_read_b128 v[204:207], v2 offset:1376
	s_waitcnt vmcnt(3) lgkmcnt(2)
	v_mul_f64 v[210:211], v[196:197], v[98:99]
	v_fmac_f64_e32 v[210:211], v[198:199], v[96:97]
	v_add_f64 v[208:209], v[208:209], v[210:211]
	s_waitcnt vmcnt(2) lgkmcnt(1)
	v_mul_f64 v[210:211], v[200:201], v[106:107]
	v_fmac_f64_e32 v[210:211], v[202:203], v[104:105]
	v_add_f64 v[208:209], v[208:209], v[210:211]
	;; [unrolled: 4-line block ×3, first 2 shown]
	ds_read_b128 v[208:211], v2 offset:1392
	ds_read_b128 v[216:219], v2 offset:1408
	;; [unrolled: 1-line block ×3, first 2 shown]
	s_waitcnt vmcnt(0) lgkmcnt(2)
	v_mul_f64 v[214:215], v[208:209], v[114:115]
	v_fmac_f64_e32 v[214:215], v[210:211], v[112:113]
	v_add_f64 v[220:221], v[212:213], v[214:215]
	scratch_load_dwordx4 v[212:215], off, off offset:704
	s_waitcnt vmcnt(0) lgkmcnt(1)
	v_mul_f64 v[222:223], v[216:217], v[214:215]
	v_fmac_f64_e32 v[222:223], v[218:219], v[212:213]
	v_add_f64 v[228:229], v[220:221], v[222:223]
	scratch_load_dwordx4 v[220:223], off, off offset:720
	s_waitcnt vmcnt(0) lgkmcnt(0)
	v_mul_f64 v[230:231], v[224:225], v[222:223]
	v_fmac_f64_e32 v[230:231], v[226:227], v[220:221]
	v_add_f64 v[240:241], v[228:229], v[230:231]
	v_add_f64 v[228:229], v[242:243], 0
	;; [unrolled: 1-line block ×8, first 2 shown]
	scratch_load_dwordx4 v[228:231], off, off offset:32
	v_add_f64 v[8:9], v[12:13], v[8:9]
	v_add_f64 v[8:9], v[8:9], v[10:11]
	;; [unrolled: 1-line block ×5, first 2 shown]
	v_accvgpr_read_b32 v6, a92
	v_accvgpr_read_b32 v8, a94
	;; [unrolled: 1-line block ×3, first 2 shown]
	v_add_f64 v[0:1], v[4:5], v[0:1]
	v_accvgpr_read_b32 v7, a93
	v_mul_f64 v[4:5], v[70:71], v[8:9]
	v_add_f64 v[0:1], v[0:1], v[238:239]
	v_fma_f64 v[4:5], v[68:69], v[6:7], -v[4:5]
	v_accvgpr_read_b32 v6, a96
	v_add_f64 v[0:1], v[0:1], v[250:251]
	v_accvgpr_read_b32 v8, a98
	v_accvgpr_read_b32 v9, a99
	v_add_f64 v[0:1], v[0:1], v[4:5]
	v_accvgpr_read_b32 v7, a97
	v_mul_f64 v[4:5], v[66:67], v[8:9]
	v_fma_f64 v[4:5], v[64:65], v[6:7], -v[4:5]
	v_add_f64 v[0:1], v[0:1], v[4:5]
	v_mul_f64 v[4:5], v[118:119], v[236:237]
	v_fma_f64 v[4:5], v[116:117], v[234:235], -v[4:5]
	v_add_f64 v[0:1], v[0:1], v[4:5]
	;; [unrolled: 3-line block ×27, first 2 shown]
	s_waitcnt vmcnt(0)
	v_add_f64 v[4:5], v[228:229], -v[0:1]
	v_accvgpr_read_b32 v0, a90
	v_add_f64 v[6:7], v[230:231], -v[240:241]
	v_cmp_ne_u32_e32 vcc, 0, v0
	scratch_store_dwordx4 off, v[4:7], off offset:32
	s_and_saveexec_b64 s[0:1], vcc
	s_cbranch_execz .LBB44_283
; %bb.282:
	scratch_load_dwordx4 v[6:9], off, off offset:16
	v_mov_b32_e32 v3, v2
	v_mov_b32_e32 v4, v2
	;; [unrolled: 1-line block ×3, first 2 shown]
	v_accvgpr_read_b32 v0, a91
	scratch_store_dwordx4 off, v[2:5], off offset:16
	s_waitcnt vmcnt(1)
	ds_write_b128 v0, v[6:9]
.LBB44_283:
	s_or_b64 exec, exec, s[0:1]
	s_waitcnt lgkmcnt(0)
	; wave barrier
	scratch_load_dwordx4 v[72:75], off, off offset:32
	scratch_load_dwordx4 v[76:79], off, off offset:48
	scratch_load_dwordx4 v[80:83], off, off offset:64
	scratch_load_dwordx4 v[84:87], off, off offset:80
	scratch_load_dwordx4 v[88:91], off, off offset:96
	scratch_load_dwordx4 v[92:95], off, off offset:112
	scratch_load_dwordx4 v[96:99], off, off offset:128
	scratch_load_dwordx4 v[100:103], off, off offset:144
	scratch_load_dwordx4 v[104:107], off, off offset:160
	scratch_load_dwordx4 v[108:111], off, off offset:176
	scratch_load_dwordx4 v[112:115], off, off offset:192
	scratch_load_dwordx4 v[116:119], off, off offset:208
	scratch_load_dwordx4 v[120:123], off, off offset:224
	scratch_load_dwordx4 v[124:127], off, off offset:240
	scratch_load_dwordx4 v[128:131], off, off offset:256
	scratch_load_dwordx4 v[4:7], off, off offset:272
	scratch_load_dwordx4 v[36:39], off, off offset:288
	ds_read_b128 v[228:231], v2 offset:736
	ds_read_b128 v[212:215], v2 offset:752
	scratch_load_dwordx4 v[28:31], off, off offset:304
	ds_read_b128 v[236:239], v2 offset:768
	ds_read_b128 v[232:235], v2 offset:784
	;; [unrolled: 1-line block ×5, first 2 shown]
	scratch_load_dwordx4 v[178:181], off, off offset:320
	ds_read_b128 v[224:227], v2 offset:848
	ds_read_b128 v[204:207], v2 offset:864
	;; [unrolled: 1-line block ×3, first 2 shown]
	scratch_load_dwordx4 v[20:23], off, off offset:336
	ds_read_b128 v[208:211], v2 offset:896
	ds_read_b128 v[188:191], v2 offset:912
	ds_read_b128 v[164:167], v2 offset:928
	ds_read_b128 v[160:163], v2 offset:944
	ds_read_b128 v[156:159], v2 offset:960
	scratch_load_dwordx4 v[16:19], off, off offset:352
	ds_read_b128 v[24:27], v2 offset:976
	ds_read_b128 v[40:43], v2 offset:992
	;; [unrolled: 1-line block ×3, first 2 shown]
	scratch_load_dwordx4 v[12:15], off, off offset:368
	scratch_load_dwordx4 v[44:47], off, off offset:384
	;; [unrolled: 1-line block ×9, first 2 shown]
	ds_read_b128 v[192:195], v2 offset:1088
	ds_read_b128 v[196:199], v2 offset:1104
	s_waitcnt lgkmcnt(4)
	v_accvgpr_write_b32 a97, v27
	v_accvgpr_write_b32 a96, v26
	;; [unrolled: 1-line block ×4, first 2 shown]
	s_and_b64 vcc, exec, s[18:19]
	s_waitcnt vmcnt(29)
	v_mul_f64 v[0:1], v[228:229], v[74:75]
	s_waitcnt vmcnt(28)
	v_mul_f64 v[136:137], v[212:213], v[78:79]
	v_fmac_f64_e32 v[0:1], v[230:231], v[72:73]
	s_waitcnt vmcnt(27)
	v_mul_f64 v[138:139], v[236:237], v[82:83]
	v_fmac_f64_e32 v[136:137], v[214:215], v[76:77]
	v_add_f64 v[0:1], v[0:1], 0
	s_waitcnt vmcnt(26)
	v_mul_f64 v[140:141], v[232:233], v[86:87]
	v_fmac_f64_e32 v[138:139], v[238:239], v[80:81]
	v_add_f64 v[0:1], v[0:1], v[136:137]
	;; [unrolled: 4-line block ×14, first 2 shown]
	v_fmac_f64_e32 v[176:177], v[26:27], v[4:5]
	v_add_f64 v[0:1], v[0:1], v[174:175]
	s_waitcnt vmcnt(13) lgkmcnt(3)
	v_mul_f64 v[136:137], v[40:41], v[38:39]
	v_add_f64 v[0:1], v[0:1], v[176:177]
	v_fmac_f64_e32 v[136:137], v[42:43], v[36:37]
	v_add_f64 v[0:1], v[0:1], v[136:137]
	s_waitcnt vmcnt(12) lgkmcnt(2)
	v_mul_f64 v[140:141], v[32:33], v[30:31]
	scratch_load_dwordx4 v[136:139], off, off offset:512
	ds_read_b128 v[168:171], v2 offset:1024
	ds_read_b128 v[172:175], v2 offset:1040
	v_fmac_f64_e32 v[140:141], v[34:35], v[28:29]
	v_add_f64 v[0:1], v[0:1], v[140:141]
	s_waitcnt vmcnt(12)
	v_mov_b64_e32 v[24:25], v[178:179]
	scratch_load_dwordx4 v[140:143], off, off offset:528
	v_mov_b64_e32 v[26:27], v[180:181]
	ds_read_b128 v[176:179], v2 offset:1056
	ds_read_b128 v[180:183], v2 offset:1072
	s_waitcnt lgkmcnt(3)
	v_mul_f64 v[144:145], v[168:169], v[26:27]
	v_fmac_f64_e32 v[144:145], v[170:171], v[24:25]
	s_waitcnt vmcnt(12) lgkmcnt(2)
	v_mul_f64 v[148:149], v[172:173], v[22:23]
	v_add_f64 v[0:1], v[0:1], v[144:145]
	v_fmac_f64_e32 v[148:149], v[174:175], v[20:21]
	s_waitcnt vmcnt(11) lgkmcnt(1)
	v_mul_f64 v[152:153], v[176:177], v[18:19]
	scratch_load_dwordx4 v[144:147], off, off offset:544
	v_add_f64 v[0:1], v[0:1], v[148:149]
	v_fmac_f64_e32 v[152:153], v[178:179], v[16:17]
	scratch_load_dwordx4 v[148:151], off, off offset:560
	v_add_f64 v[0:1], v[0:1], v[152:153]
	s_waitcnt vmcnt(12) lgkmcnt(0)
	v_mul_f64 v[152:153], v[180:181], v[14:15]
	v_fmac_f64_e32 v[152:153], v[182:183], v[12:13]
	v_add_f64 v[0:1], v[0:1], v[152:153]
	scratch_load_dwordx4 v[152:155], off, off offset:576
	v_mul_f64 v[74:75], v[230:231], v[74:75]
	v_fma_f64 v[240:241], v[228:229], v[72:73], -v[74:75]
	scratch_load_dwordx4 v[72:75], off, off offset:592
	v_mul_f64 v[78:79], v[214:215], v[78:79]
	v_fma_f64 v[242:243], v[212:213], v[76:77], -v[78:79]
	;; [unrolled: 3-line block ×6, first 2 shown]
	scratch_load_dwordx4 v[92:95], off, off offset:672
	s_waitcnt vmcnt(18)
	v_mul_f64 v[228:229], v[192:193], v[46:47]
	v_fmac_f64_e32 v[228:229], v[194:195], v[44:45]
	v_add_f64 v[0:1], v[0:1], v[228:229]
	s_waitcnt vmcnt(17)
	v_mul_f64 v[228:229], v[196:197], v[50:51]
	ds_read_b128 v[212:215], v2 offset:1120
	v_fmac_f64_e32 v[228:229], v[198:199], v[48:49]
	v_add_f64 v[0:1], v[0:1], v[228:229]
	ds_read_b128 v[228:231], v2 offset:1136
	ds_read_b128 v[216:219], v2 offset:1152
	s_waitcnt vmcnt(16) lgkmcnt(2)
	v_mul_f64 v[220:221], v[212:213], v[54:55]
	v_fmac_f64_e32 v[220:221], v[214:215], v[52:53]
	v_mul_f64 v[98:99], v[202:203], v[98:99]
	v_add_f64 v[0:1], v[0:1], v[220:221]
	s_waitcnt vmcnt(15) lgkmcnt(1)
	v_mul_f64 v[220:221], v[228:229], v[58:59]
	v_fma_f64 v[248:249], v[200:201], v[96:97], -v[98:99]
	ds_read_b128 v[96:99], v2 offset:1168
	v_fmac_f64_e32 v[220:221], v[230:231], v[56:57]
	s_waitcnt vmcnt(14) lgkmcnt(1)
	v_mul_f64 v[200:201], v[216:217], v[62:63]
	v_mul_f64 v[102:103], v[226:227], v[102:103]
	v_add_f64 v[0:1], v[0:1], v[220:221]
	v_fmac_f64_e32 v[200:201], v[218:219], v[60:61]
	v_fma_f64 v[252:253], v[224:225], v[100:101], -v[102:103]
	ds_read_b128 v[100:103], v2 offset:1184
	v_add_f64 v[0:1], v[0:1], v[200:201]
	ds_read_b128 v[200:203], v2 offset:1200
	v_mul_f64 v[106:107], v[206:207], v[106:107]
	v_fma_f64 v[254:255], v[204:205], v[104:105], -v[106:107]
	ds_read_b128 v[104:107], v2 offset:1216
	s_waitcnt vmcnt(13) lgkmcnt(3)
	v_mul_f64 v[220:221], v[96:97], v[66:67]
	v_mul_f64 v[110:111], v[186:187], v[110:111]
	v_fmac_f64_e32 v[220:221], v[98:99], v[64:65]
	v_fma_f64 v[8:9], v[184:185], v[108:109], -v[110:111]
	ds_read_b128 v[108:111], v2 offset:1232
	v_add_f64 v[0:1], v[0:1], v[220:221]
	s_waitcnt vmcnt(12) lgkmcnt(3)
	v_mul_f64 v[220:221], v[100:101], v[70:71]
	v_accvgpr_write_b32 a93, v7
	v_fmac_f64_e32 v[220:221], v[102:103], v[68:69]
	s_waitcnt vmcnt(11) lgkmcnt(2)
	v_mul_f64 v[204:205], v[200:201], v[134:135]
	v_accvgpr_write_b32 a92, v6
	v_accvgpr_write_b32 a91, v5
	;; [unrolled: 1-line block ×3, first 2 shown]
	v_add_f64 v[0:1], v[0:1], v[220:221]
	v_fmac_f64_e32 v[204:205], v[202:203], v[132:133]
	s_waitcnt vmcnt(10) lgkmcnt(1)
	v_mul_f64 v[6:7], v[104:105], v[138:139]
	v_add_f64 v[0:1], v[0:1], v[204:205]
	v_fmac_f64_e32 v[6:7], v[106:107], v[136:137]
	v_add_f64 v[0:1], v[0:1], v[6:7]
	s_waitcnt vmcnt(9) lgkmcnt(0)
	v_mul_f64 v[6:7], v[108:109], v[142:143]
	v_fmac_f64_e32 v[6:7], v[110:111], v[140:141]
	ds_read_b128 v[184:187], v2 offset:1248
	v_add_f64 v[0:1], v[0:1], v[6:7]
	v_mul_f64 v[6:7], v[210:211], v[114:115]
	v_fma_f64 v[6:7], v[208:209], v[112:113], -v[6:7]
	ds_read_b128 v[112:115], v2 offset:1264
	v_mul_f64 v[118:119], v[190:191], v[118:119]
	v_fma_f64 v[4:5], v[188:189], v[116:117], -v[118:119]
	ds_read_b128 v[116:119], v2 offset:1280
	ds_read_b128 v[188:191], v2 offset:1296
	s_waitcnt vmcnt(8) lgkmcnt(3)
	v_mul_f64 v[204:205], v[184:185], v[146:147]
	v_fmac_f64_e32 v[204:205], v[186:187], v[144:145]
	s_waitcnt vmcnt(7) lgkmcnt(2)
	v_mul_f64 v[10:11], v[112:113], v[150:151]
	v_add_f64 v[0:1], v[0:1], v[204:205]
	v_fmac_f64_e32 v[10:11], v[114:115], v[148:149]
	v_add_f64 v[0:1], v[0:1], v[10:11]
	s_waitcnt vmcnt(6) lgkmcnt(1)
	v_mul_f64 v[10:11], v[116:117], v[154:155]
	v_fmac_f64_e32 v[10:11], v[118:119], v[152:153]
	v_add_f64 v[0:1], v[0:1], v[10:11]
	v_mul_f64 v[10:11], v[166:167], v[122:123]
	v_fma_f64 v[10:11], v[164:165], v[120:121], -v[10:11]
	ds_read_b128 v[120:123], v2 offset:1312
	v_mul_f64 v[126:127], v[162:163], v[126:127]
	v_fma_f64 v[124:125], v[160:161], v[124:125], -v[126:127]
	s_waitcnt vmcnt(5) lgkmcnt(1)
	v_mul_f64 v[164:165], v[188:189], v[74:75]
	v_accvgpr_write_b32 a98, v124
	v_fmac_f64_e32 v[164:165], v[190:191], v[72:73]
	v_accvgpr_write_b32 a99, v125
	ds_read_b128 v[124:127], v2 offset:1328
	s_waitcnt vmcnt(4) lgkmcnt(1)
	v_mul_f64 v[160:161], v[120:121], v[78:79]
	v_add_f64 v[0:1], v[0:1], v[164:165]
	v_fmac_f64_e32 v[160:161], v[122:123], v[76:77]
	v_add_f64 v[0:1], v[0:1], v[160:161]
	ds_read_b128 v[160:163], v2 offset:1344
	v_mul_f64 v[130:131], v[158:159], v[130:131]
	v_fma_f64 v[250:251], v[156:157], v[128:129], -v[130:131]
	ds_read_b128 v[128:131], v2 offset:1360
	s_waitcnt vmcnt(3) lgkmcnt(2)
	v_mul_f64 v[156:157], v[124:125], v[82:83]
	v_fmac_f64_e32 v[156:157], v[126:127], v[80:81]
	v_add_f64 v[0:1], v[0:1], v[156:157]
	s_waitcnt vmcnt(2) lgkmcnt(1)
	v_mul_f64 v[156:157], v[160:161], v[86:87]
	v_fmac_f64_e32 v[156:157], v[162:163], v[84:85]
	v_add_f64 v[0:1], v[0:1], v[156:157]
	;; [unrolled: 4-line block ×3, first 2 shown]
	ds_read_b128 v[156:159], v2 offset:1376
	ds_read_b128 v[204:207], v2 offset:1392
	;; [unrolled: 1-line block ×3, first 2 shown]
	s_waitcnt vmcnt(0) lgkmcnt(2)
	v_mul_f64 v[164:165], v[156:157], v[94:95]
	v_fmac_f64_e32 v[164:165], v[158:159], v[92:93]
	v_add_f64 v[0:1], v[0:1], v[164:165]
	scratch_load_dwordx4 v[164:167], off, off offset:688
	s_waitcnt vmcnt(0) lgkmcnt(1)
	v_mul_f64 v[208:209], v[204:205], v[166:167]
	v_fmac_f64_e32 v[208:209], v[206:207], v[164:165]
	v_add_f64 v[0:1], v[0:1], v[208:209]
	scratch_load_dwordx4 v[208:211], off, off offset:704
	;; [unrolled: 5-line block ×3, first 2 shown]
	ds_read_b128 v[0:3], v2 offset:1424
	s_waitcnt vmcnt(0) lgkmcnt(0)
	v_mul_f64 v[238:239], v[0:1], v[226:227]
	v_fmac_f64_e32 v[238:239], v[2:3], v[224:225]
	v_add_f64 v[236:237], v[236:237], v[238:239]
	v_add_f64 v[238:239], v[240:241], 0
	v_add_f64 v[238:239], v[238:239], v[242:243]
	v_add_f64 v[238:239], v[238:239], v[244:245]
	v_add_f64 v[232:233], v[238:239], v[232:233]
	v_add_f64 v[232:233], v[232:233], v[234:235]
	v_add_f64 v[232:233], v[232:233], v[246:247]
	v_add_f64 v[232:233], v[232:233], v[248:249]
	v_add_f64 v[232:233], v[232:233], v[252:253]
	v_add_f64 v[232:233], v[232:233], v[254:255]
	v_add_f64 v[8:9], v[232:233], v[8:9]
	scratch_load_dwordx4 v[232:235], off, off offset:16
	v_add_f64 v[6:7], v[8:9], v[6:7]
	v_add_f64 v[4:5], v[6:7], v[4:5]
	;; [unrolled: 1-line block ×3, first 2 shown]
	v_accvgpr_read_b32 v4, a98
	v_accvgpr_read_b32 v8, a90
	;; [unrolled: 1-line block ×7, first 2 shown]
	v_add_f64 v[4:5], v[252:253], v[4:5]
	v_accvgpr_read_b32 v9, a91
	v_accvgpr_read_b32 v239, a95
	v_accvgpr_read_b32 v238, a94
	v_mul_f64 v[6:7], v[240:241], v[10:11]
	v_add_f64 v[4:5], v[4:5], v[250:251]
	v_fma_f64 v[6:7], v[238:239], v[8:9], -v[6:7]
	v_add_f64 v[4:5], v[4:5], v[6:7]
	v_mul_f64 v[6:7], v[42:43], v[38:39]
	v_fma_f64 v[6:7], v[40:41], v[36:37], -v[6:7]
	v_add_f64 v[4:5], v[4:5], v[6:7]
	v_mul_f64 v[6:7], v[34:35], v[30:31]
	v_fma_f64 v[6:7], v[32:33], v[28:29], -v[6:7]
	v_add_f64 v[4:5], v[4:5], v[6:7]
	v_mul_f64 v[6:7], v[170:171], v[26:27]
	v_fma_f64 v[6:7], v[168:169], v[24:25], -v[6:7]
	v_add_f64 v[4:5], v[4:5], v[6:7]
	v_mul_f64 v[6:7], v[174:175], v[22:23]
	v_fma_f64 v[6:7], v[172:173], v[20:21], -v[6:7]
	v_add_f64 v[4:5], v[4:5], v[6:7]
	v_mul_f64 v[6:7], v[178:179], v[18:19]
	v_fma_f64 v[6:7], v[176:177], v[16:17], -v[6:7]
	v_add_f64 v[4:5], v[4:5], v[6:7]
	v_mul_f64 v[6:7], v[182:183], v[14:15]
	v_fma_f64 v[6:7], v[180:181], v[12:13], -v[6:7]
	v_add_f64 v[4:5], v[4:5], v[6:7]
	v_mul_f64 v[6:7], v[194:195], v[46:47]
	v_fma_f64 v[6:7], v[192:193], v[44:45], -v[6:7]
	v_add_f64 v[4:5], v[4:5], v[6:7]
	v_mul_f64 v[6:7], v[198:199], v[50:51]
	v_fma_f64 v[6:7], v[196:197], v[48:49], -v[6:7]
	v_add_f64 v[4:5], v[4:5], v[6:7]
	v_mul_f64 v[6:7], v[214:215], v[54:55]
	v_fma_f64 v[6:7], v[212:213], v[52:53], -v[6:7]
	v_add_f64 v[4:5], v[4:5], v[6:7]
	v_mul_f64 v[6:7], v[230:231], v[58:59]
	v_fma_f64 v[6:7], v[228:229], v[56:57], -v[6:7]
	v_add_f64 v[4:5], v[4:5], v[6:7]
	v_mul_f64 v[6:7], v[218:219], v[62:63]
	v_fma_f64 v[6:7], v[216:217], v[60:61], -v[6:7]
	v_add_f64 v[4:5], v[4:5], v[6:7]
	v_mul_f64 v[6:7], v[98:99], v[66:67]
	v_fma_f64 v[6:7], v[96:97], v[64:65], -v[6:7]
	v_add_f64 v[4:5], v[4:5], v[6:7]
	v_mul_f64 v[6:7], v[102:103], v[70:71]
	v_fma_f64 v[6:7], v[100:101], v[68:69], -v[6:7]
	v_add_f64 v[4:5], v[4:5], v[6:7]
	v_mul_f64 v[6:7], v[202:203], v[134:135]
	v_fma_f64 v[6:7], v[200:201], v[132:133], -v[6:7]
	v_add_f64 v[4:5], v[4:5], v[6:7]
	v_mul_f64 v[6:7], v[106:107], v[138:139]
	v_fma_f64 v[6:7], v[104:105], v[136:137], -v[6:7]
	v_add_f64 v[4:5], v[4:5], v[6:7]
	v_mul_f64 v[6:7], v[110:111], v[142:143]
	v_fma_f64 v[6:7], v[108:109], v[140:141], -v[6:7]
	v_add_f64 v[4:5], v[4:5], v[6:7]
	v_mul_f64 v[6:7], v[186:187], v[146:147]
	v_fma_f64 v[6:7], v[184:185], v[144:145], -v[6:7]
	v_add_f64 v[4:5], v[4:5], v[6:7]
	v_mul_f64 v[6:7], v[114:115], v[150:151]
	v_fma_f64 v[6:7], v[112:113], v[148:149], -v[6:7]
	v_add_f64 v[4:5], v[4:5], v[6:7]
	v_mul_f64 v[6:7], v[118:119], v[154:155]
	v_fma_f64 v[6:7], v[116:117], v[152:153], -v[6:7]
	v_add_f64 v[4:5], v[4:5], v[6:7]
	v_mul_f64 v[6:7], v[190:191], v[74:75]
	v_fma_f64 v[6:7], v[188:189], v[72:73], -v[6:7]
	v_add_f64 v[4:5], v[4:5], v[6:7]
	v_mul_f64 v[6:7], v[122:123], v[78:79]
	v_fma_f64 v[6:7], v[120:121], v[76:77], -v[6:7]
	v_add_f64 v[4:5], v[4:5], v[6:7]
	v_mul_f64 v[6:7], v[126:127], v[82:83]
	v_fma_f64 v[6:7], v[124:125], v[80:81], -v[6:7]
	v_add_f64 v[4:5], v[4:5], v[6:7]
	v_mul_f64 v[6:7], v[162:163], v[86:87]
	v_fma_f64 v[6:7], v[160:161], v[84:85], -v[6:7]
	v_add_f64 v[4:5], v[4:5], v[6:7]
	v_mul_f64 v[6:7], v[130:131], v[90:91]
	v_fma_f64 v[6:7], v[128:129], v[88:89], -v[6:7]
	v_add_f64 v[4:5], v[4:5], v[6:7]
	v_mul_f64 v[6:7], v[158:159], v[94:95]
	v_fma_f64 v[6:7], v[156:157], v[92:93], -v[6:7]
	v_add_f64 v[4:5], v[4:5], v[6:7]
	v_mul_f64 v[6:7], v[206:207], v[166:167]
	v_fma_f64 v[6:7], v[204:205], v[164:165], -v[6:7]
	v_add_f64 v[4:5], v[4:5], v[6:7]
	v_mul_f64 v[6:7], v[222:223], v[210:211]
	v_fma_f64 v[6:7], v[220:221], v[208:209], -v[6:7]
	v_mul_f64 v[2:3], v[2:3], v[226:227]
	v_add_f64 v[4:5], v[4:5], v[6:7]
	v_fma_f64 v[0:1], v[0:1], v[224:225], -v[2:3]
	v_add_f64 v[0:1], v[4:5], v[0:1]
	s_waitcnt vmcnt(0)
	v_add_f64 v[0:1], v[232:233], -v[0:1]
	v_add_f64 v[2:3], v[234:235], -v[236:237]
	scratch_store_dwordx4 off, v[0:3], off offset:16
	s_cbranch_vccz .LBB44_372
; %bb.284:
	s_nop 0
	v_mov_b32_e32 v0, 0
	global_load_dword v1, v0, s[16:17] offset:172
	s_waitcnt vmcnt(0)
	v_readfirstlane_b32 s0, v1
	s_add_i32 s0, s0, -1
	s_cmp_lg_u32 s0, 43
	s_cbranch_scc0 .LBB44_286
; %bb.285:
	s_lshl_b32 s0, s0, 4
	s_add_i32 s0, s0, 16
	scratch_load_dwordx4 v[2:5], off, s0
	scratch_load_dwordx4 v[6:9], off, s20
	s_waitcnt vmcnt(1)
	scratch_store_dwordx4 off, v[2:5], s20
	s_waitcnt vmcnt(1)
	scratch_store_dwordx4 off, v[6:9], s0
.LBB44_286:
	global_load_dword v0, v0, s[16:17] offset:168
	s_waitcnt vmcnt(0)
	v_readfirstlane_b32 s0, v0
	s_add_i32 s0, s0, -1
	s_cmp_eq_u32 s0, 42
	s_cbranch_scc1 .LBB44_288
; %bb.287:
	s_lshl_b32 s0, s0, 4
	s_add_i32 s0, s0, 16
	scratch_load_dwordx4 v[0:3], off, s0
	scratch_load_dwordx4 v[4:7], off, s24
	s_waitcnt vmcnt(1)
	scratch_store_dwordx4 off, v[0:3], s24
	s_waitcnt vmcnt(1)
	scratch_store_dwordx4 off, v[4:7], s0
.LBB44_288:
	v_mov_b32_e32 v0, 0
	global_load_dword v1, v0, s[16:17] offset:164
	s_waitcnt vmcnt(0)
	v_readfirstlane_b32 s0, v1
	s_add_i32 s0, s0, -1
	s_cmp_eq_u32 s0, 41
	s_cbranch_scc1 .LBB44_290
; %bb.289:
	s_lshl_b32 s0, s0, 4
	s_add_i32 s0, s0, 16
	scratch_load_dwordx4 v[2:5], off, s0
	scratch_load_dwordx4 v[6:9], off, s23
	s_waitcnt vmcnt(1)
	scratch_store_dwordx4 off, v[2:5], s23
	s_waitcnt vmcnt(1)
	scratch_store_dwordx4 off, v[6:9], s0
.LBB44_290:
	global_load_dword v0, v0, s[16:17] offset:160
	s_waitcnt vmcnt(0)
	v_readfirstlane_b32 s0, v0
	s_add_i32 s0, s0, -1
	s_cmp_eq_u32 s0, 40
	s_cbranch_scc1 .LBB44_292
; %bb.291:
	s_lshl_b32 s0, s0, 4
	s_add_i32 s0, s0, 16
	scratch_load_dwordx4 v[0:3], off, s0
	scratch_load_dwordx4 v[4:7], off, s26
	s_waitcnt vmcnt(1)
	scratch_store_dwordx4 off, v[0:3], s26
	s_waitcnt vmcnt(1)
	scratch_store_dwordx4 off, v[4:7], s0
.LBB44_292:
	v_mov_b32_e32 v0, 0
	global_load_dword v1, v0, s[16:17] offset:156
	s_waitcnt vmcnt(0)
	v_readfirstlane_b32 s0, v1
	s_add_i32 s0, s0, -1
	s_cmp_eq_u32 s0, 39
	s_cbranch_scc1 .LBB44_294
; %bb.293:
	s_lshl_b32 s0, s0, 4
	s_add_i32 s0, s0, 16
	scratch_load_dwordx4 v[2:5], off, s0
	scratch_load_dwordx4 v[6:9], off, s25
	s_waitcnt vmcnt(1)
	scratch_store_dwordx4 off, v[2:5], s25
	s_waitcnt vmcnt(1)
	scratch_store_dwordx4 off, v[6:9], s0
.LBB44_294:
	;; [unrolled: 33-line block ×21, first 2 shown]
	global_load_dword v0, v0, s[16:17]
	s_waitcnt vmcnt(0)
	v_readfirstlane_b32 s0, v0
	s_add_i32 s0, s0, -1
	s_cmp_eq_u32 s0, 0
	s_cbranch_scc1 .LBB44_372
; %bb.371:
	s_lshl_b32 s0, s0, 4
	s_add_i32 s0, s0, 16
	scratch_load_dwordx4 v[0:3], off, s0
	scratch_load_dwordx4 v[4:7], off, off offset:16
	s_waitcnt vmcnt(1)
	scratch_store_dwordx4 off, v[0:3], off offset:16
	s_waitcnt vmcnt(1)
	scratch_store_dwordx4 off, v[4:7], s0
.LBB44_372:
	scratch_load_dwordx4 v[0:3], off, off offset:16
	s_nop 0
	scratch_load_dwordx4 v[4:7], off, s15
	scratch_load_dwordx4 v[8:11], off, s12
	;; [unrolled: 1-line block ×8, first 2 shown]
                                        ; kill: killed $sgpr15
                                        ; kill: killed $sgpr60
                                        ; kill: killed $sgpr59
                                        ; kill: killed $sgpr22
                                        ; kill: killed $sgpr14
                                        ; kill: killed $sgpr13
                                        ; kill: killed $sgpr12
                                        ; kill: killed $sgpr27
	scratch_load_dwordx4 v[36:39], off, s28
	scratch_load_dwordx4 v[40:43], off, s29
	scratch_load_dwordx4 v[44:47], off, s30
	scratch_load_dwordx4 v[48:51], off, s31
	scratch_load_dwordx4 v[52:55], off, s33
	scratch_load_dwordx4 v[56:59], off, s34
	scratch_load_dwordx4 v[60:63], off, s35
	scratch_load_dwordx4 v[64:67], off, s36
	scratch_load_dwordx4 v[68:71], off, s37
	scratch_load_dwordx4 v[72:75], off, s38
	scratch_load_dwordx4 v[76:79], off, s39
	scratch_load_dwordx4 v[80:83], off, s40
	scratch_load_dwordx4 v[84:87], off, s41
	scratch_load_dwordx4 v[88:91], off, s42
	scratch_load_dwordx4 v[92:95], off, s43
	scratch_load_dwordx4 v[96:99], off, s44
	scratch_load_dwordx4 v[100:103], off, s45
	scratch_load_dwordx4 v[104:107], off, s46
	scratch_load_dwordx4 v[108:111], off, s47
	scratch_load_dwordx4 v[112:115], off, s48
	scratch_load_dwordx4 v[116:119], off, s49
	scratch_load_dwordx4 v[120:123], off, s50
	scratch_load_dwordx4 v[124:127], off, s51
	scratch_load_dwordx4 v[128:131], off, s52
	scratch_load_dwordx4 v[132:135], off, s53
	scratch_load_dwordx4 v[136:139], off, s54
	scratch_load_dwordx4 v[140:143], off, s55
	scratch_load_dwordx4 v[144:147], off, s56
	scratch_load_dwordx4 v[148:151], off, s57
	scratch_load_dwordx4 v[152:155], off, s58
	v_accvgpr_read_b32 v157, a1
	v_accvgpr_read_b32 v156, a0
	;; [unrolled: 1-line block ×8, first 2 shown]
	s_waitcnt vmcnt(38)
	global_store_dwordx4 v[156:157], v[0:3], off
	scratch_load_dwordx4 v[0:3], off, s25
	s_nop 0
	scratch_load_dwordx4 v[156:159], off, s26
	s_waitcnt vmcnt(40)
	global_store_dwordx4 v[160:161], v[4:7], off
	scratch_load_dwordx4 v[4:7], off, s23
	s_nop 0
	scratch_load_dwordx4 v[160:163], off, s24
	;; [unrolled: 5-line block ×3, first 2 shown]
	s_waitcnt vmcnt(44)
	global_store_dwordx4 v[168:169], v[12:15], off
	s_nop 1
	v_accvgpr_read_b32 v13, a9
	v_accvgpr_read_b32 v12, a8
	s_waitcnt vmcnt(44)
	global_store_dwordx4 v[12:13], v[16:19], off
	v_accvgpr_read_b32 v13, a11
	v_accvgpr_read_b32 v12, a10
	s_waitcnt vmcnt(44)
	global_store_dwordx4 v[12:13], v[20:23], off
	;; [unrolled: 4-line block ×36, first 2 shown]
	s_nop 1
	v_accvgpr_read_b32 v0, a80
	v_accvgpr_read_b32 v1, a81
	s_waitcnt vmcnt(43)
	global_store_dwordx4 v[0:1], v[156:159], off
	v_accvgpr_read_b32 v0, a82
	v_accvgpr_read_b32 v1, a83
	s_waitcnt vmcnt(42)
	global_store_dwordx4 v[0:1], v[4:7], off
	;; [unrolled: 4-line block ×5, first 2 shown]
	s_endpgm
	.section	.rodata,"a",@progbits
	.p2align	6, 0x0
	.amdhsa_kernel _ZN9rocsolver6v33100L18getri_kernel_smallILi45E19rocblas_complex_numIdEPS3_EEvT1_iilPiilS6_bb
		.amdhsa_group_segment_fixed_size 1448
		.amdhsa_private_segment_fixed_size 752
		.amdhsa_kernarg_size 60
		.amdhsa_user_sgpr_count 2
		.amdhsa_user_sgpr_dispatch_ptr 0
		.amdhsa_user_sgpr_queue_ptr 0
		.amdhsa_user_sgpr_kernarg_segment_ptr 1
		.amdhsa_user_sgpr_dispatch_id 0
		.amdhsa_user_sgpr_kernarg_preload_length 0
		.amdhsa_user_sgpr_kernarg_preload_offset 0
		.amdhsa_user_sgpr_private_segment_size 0
		.amdhsa_uses_dynamic_stack 0
		.amdhsa_enable_private_segment 1
		.amdhsa_system_sgpr_workgroup_id_x 1
		.amdhsa_system_sgpr_workgroup_id_y 0
		.amdhsa_system_sgpr_workgroup_id_z 0
		.amdhsa_system_sgpr_workgroup_info 0
		.amdhsa_system_vgpr_workitem_id 0
		.amdhsa_next_free_vgpr 356
		.amdhsa_next_free_sgpr 61
		.amdhsa_accum_offset 256
		.amdhsa_reserve_vcc 1
		.amdhsa_float_round_mode_32 0
		.amdhsa_float_round_mode_16_64 0
		.amdhsa_float_denorm_mode_32 3
		.amdhsa_float_denorm_mode_16_64 3
		.amdhsa_dx10_clamp 1
		.amdhsa_ieee_mode 1
		.amdhsa_fp16_overflow 0
		.amdhsa_tg_split 0
		.amdhsa_exception_fp_ieee_invalid_op 0
		.amdhsa_exception_fp_denorm_src 0
		.amdhsa_exception_fp_ieee_div_zero 0
		.amdhsa_exception_fp_ieee_overflow 0
		.amdhsa_exception_fp_ieee_underflow 0
		.amdhsa_exception_fp_ieee_inexact 0
		.amdhsa_exception_int_div_zero 0
	.end_amdhsa_kernel
	.section	.text._ZN9rocsolver6v33100L18getri_kernel_smallILi45E19rocblas_complex_numIdEPS3_EEvT1_iilPiilS6_bb,"axG",@progbits,_ZN9rocsolver6v33100L18getri_kernel_smallILi45E19rocblas_complex_numIdEPS3_EEvT1_iilPiilS6_bb,comdat
.Lfunc_end44:
	.size	_ZN9rocsolver6v33100L18getri_kernel_smallILi45E19rocblas_complex_numIdEPS3_EEvT1_iilPiilS6_bb, .Lfunc_end44-_ZN9rocsolver6v33100L18getri_kernel_smallILi45E19rocblas_complex_numIdEPS3_EEvT1_iilPiilS6_bb
                                        ; -- End function
	.set _ZN9rocsolver6v33100L18getri_kernel_smallILi45E19rocblas_complex_numIdEPS3_EEvT1_iilPiilS6_bb.num_vgpr, 256
	.set _ZN9rocsolver6v33100L18getri_kernel_smallILi45E19rocblas_complex_numIdEPS3_EEvT1_iilPiilS6_bb.num_agpr, 100
	.set _ZN9rocsolver6v33100L18getri_kernel_smallILi45E19rocblas_complex_numIdEPS3_EEvT1_iilPiilS6_bb.numbered_sgpr, 61
	.set _ZN9rocsolver6v33100L18getri_kernel_smallILi45E19rocblas_complex_numIdEPS3_EEvT1_iilPiilS6_bb.num_named_barrier, 0
	.set _ZN9rocsolver6v33100L18getri_kernel_smallILi45E19rocblas_complex_numIdEPS3_EEvT1_iilPiilS6_bb.private_seg_size, 752
	.set _ZN9rocsolver6v33100L18getri_kernel_smallILi45E19rocblas_complex_numIdEPS3_EEvT1_iilPiilS6_bb.uses_vcc, 1
	.set _ZN9rocsolver6v33100L18getri_kernel_smallILi45E19rocblas_complex_numIdEPS3_EEvT1_iilPiilS6_bb.uses_flat_scratch, 0
	.set _ZN9rocsolver6v33100L18getri_kernel_smallILi45E19rocblas_complex_numIdEPS3_EEvT1_iilPiilS6_bb.has_dyn_sized_stack, 0
	.set _ZN9rocsolver6v33100L18getri_kernel_smallILi45E19rocblas_complex_numIdEPS3_EEvT1_iilPiilS6_bb.has_recursion, 0
	.set _ZN9rocsolver6v33100L18getri_kernel_smallILi45E19rocblas_complex_numIdEPS3_EEvT1_iilPiilS6_bb.has_indirect_call, 0
	.section	.AMDGPU.csdata,"",@progbits
; Kernel info:
; codeLenInByte = 86828
; TotalNumSgprs: 67
; NumVgprs: 256
; NumAgprs: 100
; TotalNumVgprs: 356
; ScratchSize: 752
; MemoryBound: 0
; FloatMode: 240
; IeeeMode: 1
; LDSByteSize: 1448 bytes/workgroup (compile time only)
; SGPRBlocks: 8
; VGPRBlocks: 44
; NumSGPRsForWavesPerEU: 67
; NumVGPRsForWavesPerEU: 356
; AccumOffset: 256
; Occupancy: 1
; WaveLimiterHint : 1
; COMPUTE_PGM_RSRC2:SCRATCH_EN: 1
; COMPUTE_PGM_RSRC2:USER_SGPR: 2
; COMPUTE_PGM_RSRC2:TRAP_HANDLER: 0
; COMPUTE_PGM_RSRC2:TGID_X_EN: 1
; COMPUTE_PGM_RSRC2:TGID_Y_EN: 0
; COMPUTE_PGM_RSRC2:TGID_Z_EN: 0
; COMPUTE_PGM_RSRC2:TIDIG_COMP_CNT: 0
; COMPUTE_PGM_RSRC3_GFX90A:ACCUM_OFFSET: 63
; COMPUTE_PGM_RSRC3_GFX90A:TG_SPLIT: 0
	.section	.text._ZN9rocsolver6v33100L18getri_kernel_smallILi46E19rocblas_complex_numIdEPS3_EEvT1_iilPiilS6_bb,"axG",@progbits,_ZN9rocsolver6v33100L18getri_kernel_smallILi46E19rocblas_complex_numIdEPS3_EEvT1_iilPiilS6_bb,comdat
	.globl	_ZN9rocsolver6v33100L18getri_kernel_smallILi46E19rocblas_complex_numIdEPS3_EEvT1_iilPiilS6_bb ; -- Begin function _ZN9rocsolver6v33100L18getri_kernel_smallILi46E19rocblas_complex_numIdEPS3_EEvT1_iilPiilS6_bb
	.p2align	8
	.type	_ZN9rocsolver6v33100L18getri_kernel_smallILi46E19rocblas_complex_numIdEPS3_EEvT1_iilPiilS6_bb,@function
_ZN9rocsolver6v33100L18getri_kernel_smallILi46E19rocblas_complex_numIdEPS3_EEvT1_iilPiilS6_bb: ; @_ZN9rocsolver6v33100L18getri_kernel_smallILi46E19rocblas_complex_numIdEPS3_EEvT1_iilPiilS6_bb
; %bb.0:
	v_mov_b32_e32 v248, v0
	v_cmp_gt_u32_e32 vcc, 46, v248
	s_and_saveexec_b64 s[4:5], vcc
	s_cbranch_execz .LBB45_198
; %bb.1:
	s_load_dword s8, s[0:1], 0x38
	s_load_dwordx4 s[12:15], s[0:1], 0x10
	s_load_dwordx4 s[4:7], s[0:1], 0x28
                                        ; implicit-def: $sgpr16_sgpr17
	s_waitcnt lgkmcnt(0)
	s_bitcmp1_b32 s8, 8
	s_cselect_b64 s[18:19], -1, 0
	s_ashr_i32 s3, s2, 31
	s_bfe_u32 s8, s8, 0x10008
	s_cmp_eq_u32 s8, 0
	s_cbranch_scc1 .LBB45_3
; %bb.2:
	s_load_dword s8, s[0:1], 0x20
	s_mul_i32 s9, s4, s3
	s_mul_hi_u32 s10, s4, s2
	s_mul_i32 s5, s5, s2
	s_add_i32 s10, s10, s9
	s_add_i32 s5, s10, s5
	s_mul_i32 s4, s4, s2
	s_waitcnt lgkmcnt(0)
	s_ashr_i32 s9, s8, 31
	s_lshl_b64 s[4:5], s[4:5], 2
	s_add_u32 s10, s14, s4
	s_addc_u32 s11, s15, s5
	s_lshl_b64 s[4:5], s[8:9], 2
	s_add_u32 s16, s10, s4
	s_addc_u32 s17, s11, s5
.LBB45_3:
	s_load_dwordx4 s[8:11], s[0:1], 0x0
	s_load_dword s4, s[0:1], 0x38
	s_mul_i32 s5, s12, s3
	s_mul_hi_u32 s14, s12, s2
	s_add_i32 s5, s14, s5
	s_waitcnt lgkmcnt(0)
	s_ashr_i32 s1, s10, 31
	s_mov_b32 s0, s10
	s_mul_i32 s10, s13, s2
	s_add_i32 s13, s5, s10
	s_mul_i32 s12, s12, s2
	s_lshl_b64 s[12:13], s[12:13], 4
	s_add_u32 s5, s8, s12
	s_addc_u32 s8, s9, s13
	s_lshl_b64 s[0:1], s[0:1], 4
	s_add_u32 s0, s5, s0
	s_addc_u32 s1, s8, s1
	v_lshlrev_b32_e32 v58, 4, v248
	v_mov_b32_e32 v59, 0
	s_add_i32 s5, s11, s11
	v_lshl_add_u64 v[0:1], s[0:1], 0, v[58:59]
	v_add_u32_e32 v2, s5, v248
	s_ashr_i32 s9, s11, 31
	s_mov_b32 s8, s11
	v_accvgpr_write_b32 a0, v0
	v_ashrrev_i32_e32 v3, 31, v2
	v_accvgpr_write_b32 a1, v1
	v_lshl_add_u64 v[0:1], s[8:9], 4, v[0:1]
	v_lshl_add_u64 v[4:5], v[2:3], 4, s[0:1]
	v_add_u32_e32 v2, s11, v2
	v_accvgpr_write_b32 a3, v1
	v_ashrrev_i32_e32 v3, 31, v2
	global_load_dwordx4 v[42:45], v58, s[0:1]
	global_load_dwordx4 v[46:49], v[0:1], off
	v_accvgpr_write_b32 a2, v0
	v_lshl_add_u64 v[0:1], v[2:3], 4, s[0:1]
	v_add_u32_e32 v2, s11, v2
	v_accvgpr_write_b32 a4, v4
	v_ashrrev_i32_e32 v3, 31, v2
	v_accvgpr_write_b32 a5, v5
	global_load_dwordx4 v[50:53], v[4:5], off
	global_load_dwordx4 v[54:57], v[0:1], off
	v_lshl_add_u64 v[4:5], v[2:3], 4, s[0:1]
	v_add_u32_e32 v2, s11, v2
	v_accvgpr_write_b32 a7, v1
	v_ashrrev_i32_e32 v3, 31, v2
	v_accvgpr_write_b32 a6, v0
	v_lshl_add_u64 v[0:1], v[2:3], 4, s[0:1]
	v_add_u32_e32 v2, s11, v2
	v_accvgpr_write_b32 a9, v5
	global_load_dwordx4 v[60:63], v[4:5], off
	global_load_dwordx4 v[64:67], v[0:1], off
	v_ashrrev_i32_e32 v3, 31, v2
	v_accvgpr_write_b32 a8, v4
	v_lshl_add_u64 v[4:5], v[2:3], 4, s[0:1]
	global_load_dwordx4 v[68:71], v[4:5], off
	v_accvgpr_write_b32 a13, v5
	v_add_u32_e32 v2, s11, v2
	v_accvgpr_write_b32 a12, v4
	v_add_u32_e32 v4, s11, v2
	v_add_u32_e32 v10, s11, v4
	v_accvgpr_write_b32 a11, v1
	v_ashrrev_i32_e32 v3, 31, v2
	v_ashrrev_i32_e32 v5, 31, v4
	v_add_u32_e32 v12, s11, v10
	v_accvgpr_write_b32 a10, v0
	v_lshl_add_u64 v[0:1], v[2:3], 4, s[0:1]
	v_lshl_add_u64 v[6:7], v[4:5], 4, s[0:1]
	v_add_u32_e32 v18, s11, v12
	v_ashrrev_i32_e32 v11, 31, v10
	v_accvgpr_write_b32 a15, v1
	v_accvgpr_write_b32 a17, v7
	v_ashrrev_i32_e32 v13, 31, v12
	v_add_u32_e32 v20, s11, v18
	v_accvgpr_write_b32 a14, v0
	global_load_dwordx4 v[2:5], v[0:1], off
	v_accvgpr_write_b32 a16, v6
	global_load_dwordx4 v[6:9], v[6:7], off
	v_lshl_add_u64 v[0:1], v[10:11], 4, s[0:1]
	v_lshl_add_u64 v[14:15], v[12:13], 4, s[0:1]
	v_add_u32_e32 v26, s11, v20
	v_ashrrev_i32_e32 v19, 31, v18
	v_accvgpr_write_b32 a19, v1
	v_accvgpr_write_b32 a21, v15
	v_ashrrev_i32_e32 v21, 31, v20
	v_add_u32_e32 v28, s11, v26
	v_accvgpr_write_b32 a18, v0
	global_load_dwordx4 v[10:13], v[0:1], off
	v_accvgpr_write_b32 a20, v14
	global_load_dwordx4 v[14:17], v[14:15], off
	;; [unrolled: 12-line block ×3, first 2 shown]
	v_lshl_add_u64 v[0:1], v[26:27], 4, s[0:1]
	v_lshl_add_u64 v[30:31], v[28:29], 4, s[0:1]
	v_ashrrev_i32_e32 v37, 31, v36
	v_ashrrev_i32_e32 v35, 31, v34
	v_accvgpr_write_b32 a27, v1
	v_accvgpr_write_b32 a28, v30
	v_add_u32_e32 v72, s11, v36
	v_lshl_add_u64 v[38:39], v[36:37], 4, s[0:1]
	v_accvgpr_write_b32 a26, v0
	global_load_dwordx4 v[26:29], v[0:1], off
	v_accvgpr_write_b32 a29, v31
	global_load_dwordx4 v[30:33], v[30:31], off
	v_lshl_add_u64 v[0:1], v[34:35], 4, s[0:1]
	v_add_u32_e32 v74, s11, v72
	v_accvgpr_write_b32 a32, v38
	global_load_dwordx4 v[34:37], v[0:1], off
	v_accvgpr_write_b32 a33, v39
	global_load_dwordx4 v[38:41], v[38:39], off
	s_waitcnt vmcnt(16)
	scratch_store_dwordx4 off, v[42:45], off offset:16
	s_waitcnt vmcnt(16)
	scratch_store_dwordx4 off, v[46:49], off offset:32
	;; [unrolled: 2-line block ×7, first 2 shown]
	v_add_u32_e32 v50, s11, v74
	v_add_u32_e32 v60, s11, v50
	v_ashrrev_i32_e32 v61, 31, v60
	v_ashrrev_i32_e32 v73, 31, v72
	v_accvgpr_write_b32 a31, v1
	v_lshl_add_u64 v[54:55], v[60:61], 4, s[0:1]
	v_add_u32_e32 v60, s11, v60
	v_accvgpr_write_b32 a30, v0
	v_lshl_add_u64 v[0:1], v[72:73], 4, s[0:1]
	v_add_u32_e32 v68, s11, v60
	v_accvgpr_write_b32 a35, v1
	v_ashrrev_i32_e32 v51, 31, v50
	v_accvgpr_write_b32 a40, v54
	v_ashrrev_i32_e32 v69, 31, v68
	v_ashrrev_i32_e32 v75, 31, v74
	v_accvgpr_write_b32 a34, v0
	global_load_dwordx4 v[42:45], v[0:1], off
	v_accvgpr_write_b32 a41, v55
	global_load_dwordx4 v[54:57], v[54:55], off
	v_lshl_add_u64 v[0:1], v[50:51], 4, s[0:1]
	v_lshl_add_u64 v[64:65], v[68:69], 4, s[0:1]
	v_add_u32_e32 v68, s11, v68
	v_lshl_add_u64 v[72:73], v[74:75], 4, s[0:1]
	v_accvgpr_write_b32 a39, v1
	v_ashrrev_i32_e32 v61, 31, v60
	v_accvgpr_write_b32 a44, v64
	v_add_u32_e32 v76, s11, v68
	v_accvgpr_write_b32 a36, v72
	v_accvgpr_write_b32 a38, v0
	global_load_dwordx4 v[50:53], v[0:1], off
	v_accvgpr_write_b32 a45, v65
	global_load_dwordx4 v[64:67], v[64:65], off
	v_lshl_add_u64 v[0:1], v[60:61], 4, s[0:1]
	v_ashrrev_i32_e32 v77, 31, v76
	v_accvgpr_write_b32 a37, v73
	global_load_dwordx4 v[46:49], v[72:73], off
	global_load_dwordx4 v[60:63], v[0:1], off
	v_lshl_add_u64 v[72:73], v[76:77], 4, s[0:1]
	v_add_u32_e32 v76, s11, v76
	v_add_u32_e32 v84, s11, v76
	v_ashrrev_i32_e32 v85, 31, v84
	v_lshl_add_u64 v[80:81], v[84:85], 4, s[0:1]
	v_add_u32_e32 v84, s11, v84
	v_add_u32_e32 v92, s11, v84
	v_ashrrev_i32_e32 v93, 31, v92
	;; [unrolled: 4-line block ×3, first 2 shown]
	v_accvgpr_write_b32 a43, v1
	v_ashrrev_i32_e32 v69, 31, v68
	v_lshl_add_u64 v[96:97], v[100:101], 4, s[0:1]
	v_add_u32_e32 v100, s11, v100
	v_accvgpr_write_b32 a42, v0
	v_lshl_add_u64 v[0:1], v[68:69], 4, s[0:1]
	v_add_u32_e32 v108, s11, v100
	v_accvgpr_write_b32 a47, v1
	global_load_dwordx4 v[68:71], v[0:1], off
	v_accvgpr_write_b32 a48, v72
	v_ashrrev_i32_e32 v77, 31, v76
	v_ashrrev_i32_e32 v109, 31, v108
	v_accvgpr_write_b32 a46, v0
	v_accvgpr_write_b32 a49, v73
	global_load_dwordx4 v[72:75], v[72:73], off
	v_lshl_add_u64 v[0:1], v[76:77], 4, s[0:1]
	v_lshl_add_u64 v[104:105], v[108:109], 4, s[0:1]
	v_add_u32_e32 v108, s11, v108
	v_accvgpr_write_b32 a51, v1
	global_load_dwordx4 v[76:79], v[0:1], off
	v_accvgpr_write_b32 a52, v80
	v_ashrrev_i32_e32 v85, 31, v84
	v_add_u32_e32 v116, s11, v108
	v_accvgpr_write_b32 a50, v0
	v_accvgpr_write_b32 a53, v81
	global_load_dwordx4 v[80:83], v[80:81], off
	v_lshl_add_u64 v[0:1], v[84:85], 4, s[0:1]
	v_ashrrev_i32_e32 v117, 31, v116
	v_accvgpr_write_b32 a55, v1
	global_load_dwordx4 v[84:87], v[0:1], off
	v_accvgpr_write_b32 a56, v88
	v_ashrrev_i32_e32 v93, 31, v92
	v_lshl_add_u64 v[112:113], v[116:117], 4, s[0:1]
	v_add_u32_e32 v116, s11, v116
	v_accvgpr_write_b32 a54, v0
	v_accvgpr_write_b32 a57, v89
	global_load_dwordx4 v[88:91], v[88:89], off
	v_lshl_add_u64 v[0:1], v[92:93], 4, s[0:1]
	v_add_u32_e32 v124, s11, v116
	v_accvgpr_write_b32 a59, v1
	global_load_dwordx4 v[92:95], v[0:1], off
	v_accvgpr_write_b32 a60, v96
	v_ashrrev_i32_e32 v101, 31, v100
	v_ashrrev_i32_e32 v125, 31, v124
	v_accvgpr_write_b32 a58, v0
	v_accvgpr_write_b32 a61, v97
	global_load_dwordx4 v[96:99], v[96:97], off
	v_lshl_add_u64 v[0:1], v[100:101], 4, s[0:1]
	v_lshl_add_u64 v[120:121], v[124:125], 4, s[0:1]
	v_add_u32_e32 v124, s11, v124
	v_accvgpr_write_b32 a63, v1
	global_load_dwordx4 v[100:103], v[0:1], off
	v_accvgpr_write_b32 a64, v104
	v_ashrrev_i32_e32 v109, 31, v108
	v_add_u32_e32 v132, s11, v124
	v_accvgpr_write_b32 a62, v0
	v_accvgpr_write_b32 a65, v105
	global_load_dwordx4 v[104:107], v[104:105], off
	v_lshl_add_u64 v[0:1], v[108:109], 4, s[0:1]
	v_ashrrev_i32_e32 v133, 31, v132
	v_accvgpr_write_b32 a67, v1
	global_load_dwordx4 v[108:111], v[0:1], off
	v_accvgpr_write_b32 a68, v112
	v_ashrrev_i32_e32 v117, 31, v116
	v_lshl_add_u64 v[128:129], v[132:133], 4, s[0:1]
	v_add_u32_e32 v132, s11, v132
	v_accvgpr_write_b32 a66, v0
	v_accvgpr_write_b32 a69, v113
	global_load_dwordx4 v[112:115], v[112:113], off
	;; [unrolled: 32-line block ×3, first 2 shown]
	v_lshl_add_u64 v[0:1], v[140:141], 4, s[0:1]
	v_add_u32_e32 v156, s11, v148
	v_accvgpr_write_b32 a83, v1
	global_load_dwordx4 v[140:143], v[0:1], off
	v_accvgpr_write_b32 a84, v144
	v_ashrrev_i32_e32 v149, 31, v148
	v_ashrrev_i32_e32 v157, 31, v156
	v_accvgpr_write_b32 a82, v0
	v_accvgpr_write_b32 a85, v145
	global_load_dwordx4 v[144:147], v[144:145], off
	v_lshl_add_u64 v[0:1], v[148:149], 4, s[0:1]
	v_lshl_add_u64 v[152:153], v[156:157], 4, s[0:1]
	v_add_u32_e32 v156, s11, v156
	v_accvgpr_write_b32 a87, v1
	global_load_dwordx4 v[148:151], v[0:1], off
	v_accvgpr_write_b32 a88, v152
	v_ashrrev_i32_e32 v157, 31, v156
	v_accvgpr_write_b32 a86, v0
	v_accvgpr_write_b32 a89, v153
	global_load_dwordx4 v[152:155], v[152:153], off
	v_lshl_add_u64 v[0:1], v[156:157], 4, s[0:1]
	s_movk_i32 s0, 0x50
	global_load_dwordx4 v[156:159], v[0:1], off
	s_add_i32 s26, s0, 16
	s_movk_i32 s0, 0x60
	s_add_i32 s60, s0, 16
	s_movk_i32 s0, 0x70
	;; [unrolled: 2-line block ×40, first 2 shown]
	v_accvgpr_write_b32 a91, v1
	s_add_i32 s59, s0, 16
	v_accvgpr_write_b32 a90, v0
	s_mov_b32 s25, 32
	s_mov_b32 s22, 48
	;; [unrolled: 1-line block ×3, first 2 shown]
	s_movk_i32 s24, 0x50
	s_bitcmp0_b32 s4, 0
	s_mov_b64 s[4:5], -1
	s_waitcnt vmcnt(45)
	scratch_store_dwordx4 off, v[2:5], off offset:128
	s_waitcnt vmcnt(45)
	scratch_store_dwordx4 off, v[6:9], off offset:144
	;; [unrolled: 2-line block ×12, first 2 shown]
	scratch_store_dwordx4 off, v[50:53], off offset:320
	scratch_store_dwordx4 off, v[54:57], off offset:336
	s_waitcnt vmcnt(37)
	scratch_store_dwordx4 off, v[60:63], off offset:352
	scratch_store_dwordx4 off, v[64:67], off offset:368
	s_waitcnt vmcnt(38)
	scratch_store_dwordx4 off, v[68:71], off offset:384
	s_waitcnt vmcnt(38)
	;; [unrolled: 2-line block ×23, first 2 shown]
	scratch_store_dwordx4 off, v[156:159], off offset:736
	s_cbranch_scc1 .LBB45_196
; %bb.4:
	v_cmp_eq_u32_e64 s[0:1], 0, v248
	s_and_saveexec_b64 s[4:5], s[0:1]
; %bb.5:
	v_mov_b32_e32 v0, 0
	ds_write_b32 v0, v0 offset:1472
; %bb.6:
	s_or_b64 exec, exec, s[4:5]
	s_waitcnt lgkmcnt(0)
	; wave barrier
	scratch_load_dwordx4 v[2:5], v58, off offset:16
	s_waitcnt vmcnt(0)
	v_cmp_eq_f64_e32 vcc, 0, v[2:3]
	v_cmp_eq_f64_e64 s[4:5], 0, v[4:5]
	s_and_b64 s[4:5], vcc, s[4:5]
	s_and_saveexec_b64 s[8:9], s[4:5]
	s_cbranch_execz .LBB45_10
; %bb.7:
	v_mov_b32_e32 v1, 0
	ds_read_b32 v0, v1 offset:1472
	v_add_u32_e32 v2, 1, v248
	s_waitcnt lgkmcnt(0)
	v_readfirstlane_b32 s4, v0
	s_cmp_eq_u32 s4, 0
	s_cselect_b64 s[10:11], -1, 0
	v_cmp_gt_i32_e32 vcc, s4, v2
	s_or_b64 s[10:11], s[10:11], vcc
	s_and_b64 exec, exec, s[10:11]
	s_cbranch_execz .LBB45_10
; %bb.8:
	s_mov_b64 s[10:11], 0
	v_mov_b32_e32 v3, s4
.LBB45_9:                               ; =>This Inner Loop Header: Depth=1
	ds_cmpst_rtn_b32 v3, v1, v3, v2 offset:1472
	s_waitcnt lgkmcnt(0)
	v_cmp_ne_u32_e32 vcc, 0, v3
	v_cmp_le_i32_e64 s[4:5], v3, v2
	s_and_b64 s[4:5], vcc, s[4:5]
	s_and_b64 s[4:5], exec, s[4:5]
	s_or_b64 s[10:11], s[4:5], s[10:11]
	s_andn2_b64 exec, exec, s[10:11]
	s_cbranch_execnz .LBB45_9
.LBB45_10:
	s_or_b64 exec, exec, s[8:9]
	v_mov_b32_e32 v2, 0
	; wave barrier
	ds_read_b32 v1, v2 offset:1472
	s_and_saveexec_b64 s[4:5], s[0:1]
	s_cbranch_execz .LBB45_12
; %bb.11:
	s_lshl_b64 s[8:9], s[2:3], 2
	s_add_u32 s8, s6, s8
	s_addc_u32 s9, s7, s9
	s_waitcnt lgkmcnt(0)
	global_store_dword v2, v1, s[8:9]
.LBB45_12:
	s_or_b64 exec, exec, s[4:5]
	s_waitcnt lgkmcnt(0)
	v_cmp_ne_u32_e32 vcc, 0, v1
	s_mov_b64 s[4:5], 0
	s_cbranch_vccnz .LBB45_196
; %bb.13:
	v_add_u32_e32 v14, 16, v58
	scratch_load_dwordx4 v[2:5], v14, off
                                        ; implicit-def: $vgpr6_vgpr7
                                        ; implicit-def: $vgpr10_vgpr11
	s_waitcnt vmcnt(0)
	v_cmp_ngt_f64_e64 s[4:5], |v[2:3]|, |v[4:5]|
	s_and_saveexec_b64 s[8:9], s[4:5]
	s_xor_b64 s[4:5], exec, s[8:9]
	s_cbranch_execz .LBB45_15
; %bb.14:
	v_div_scale_f64 v[6:7], s[8:9], v[4:5], v[4:5], v[2:3]
	v_rcp_f64_e32 v[8:9], v[6:7]
	v_div_scale_f64 v[10:11], vcc, v[2:3], v[4:5], v[2:3]
	v_fma_f64 v[12:13], -v[6:7], v[8:9], 1.0
	v_fmac_f64_e32 v[8:9], v[8:9], v[12:13]
	v_fma_f64 v[12:13], -v[6:7], v[8:9], 1.0
	v_fmac_f64_e32 v[8:9], v[8:9], v[12:13]
	v_mul_f64 v[12:13], v[10:11], v[8:9]
	v_fma_f64 v[6:7], -v[6:7], v[12:13], v[10:11]
	v_div_fmas_f64 v[6:7], v[6:7], v[8:9], v[12:13]
	v_div_fixup_f64 v[6:7], v[6:7], v[4:5], v[2:3]
	v_fmac_f64_e32 v[4:5], v[2:3], v[6:7]
	v_div_scale_f64 v[2:3], s[8:9], v[4:5], v[4:5], 1.0
	v_rcp_f64_e32 v[8:9], v[2:3]
	s_nop 0
	v_fma_f64 v[10:11], -v[2:3], v[8:9], 1.0
	v_fmac_f64_e32 v[8:9], v[8:9], v[10:11]
	v_fma_f64 v[10:11], -v[2:3], v[8:9], 1.0
	v_fmac_f64_e32 v[8:9], v[8:9], v[10:11]
	v_div_scale_f64 v[10:11], vcc, 1.0, v[4:5], 1.0
	v_mul_f64 v[12:13], v[10:11], v[8:9]
	v_fma_f64 v[2:3], -v[2:3], v[12:13], v[10:11]
	s_nop 1
	v_div_fmas_f64 v[2:3], v[2:3], v[8:9], v[12:13]
	v_div_fixup_f64 v[8:9], v[2:3], v[4:5], 1.0
	v_mul_f64 v[6:7], v[6:7], v[8:9]
	v_xor_b32_e32 v9, 0x80000000, v9
	v_xor_b32_e32 v11, 0x80000000, v7
	v_mov_b32_e32 v10, v6
                                        ; implicit-def: $vgpr2_vgpr3
.LBB45_15:
	s_andn2_saveexec_b64 s[4:5], s[4:5]
	s_cbranch_execz .LBB45_17
; %bb.16:
	v_div_scale_f64 v[6:7], s[8:9], v[2:3], v[2:3], v[4:5]
	v_rcp_f64_e32 v[8:9], v[6:7]
	v_div_scale_f64 v[10:11], vcc, v[4:5], v[2:3], v[4:5]
	v_fma_f64 v[12:13], -v[6:7], v[8:9], 1.0
	v_fmac_f64_e32 v[8:9], v[8:9], v[12:13]
	v_fma_f64 v[12:13], -v[6:7], v[8:9], 1.0
	v_fmac_f64_e32 v[8:9], v[8:9], v[12:13]
	v_mul_f64 v[12:13], v[10:11], v[8:9]
	v_fma_f64 v[6:7], -v[6:7], v[12:13], v[10:11]
	v_div_fmas_f64 v[6:7], v[6:7], v[8:9], v[12:13]
	v_div_fixup_f64 v[8:9], v[6:7], v[2:3], v[4:5]
	v_fmac_f64_e32 v[2:3], v[4:5], v[8:9]
	v_div_scale_f64 v[4:5], s[8:9], v[2:3], v[2:3], 1.0
	v_rcp_f64_e32 v[6:7], v[4:5]
	s_nop 0
	v_fma_f64 v[10:11], -v[4:5], v[6:7], 1.0
	v_fmac_f64_e32 v[6:7], v[6:7], v[10:11]
	v_fma_f64 v[10:11], -v[4:5], v[6:7], 1.0
	v_fmac_f64_e32 v[6:7], v[6:7], v[10:11]
	v_div_scale_f64 v[10:11], vcc, 1.0, v[2:3], 1.0
	v_mul_f64 v[12:13], v[10:11], v[6:7]
	v_fma_f64 v[4:5], -v[4:5], v[12:13], v[10:11]
	s_nop 1
	v_div_fmas_f64 v[4:5], v[4:5], v[6:7], v[12:13]
	v_div_fixup_f64 v[6:7], v[4:5], v[2:3], 1.0
	v_xor_b32_e32 v11, 0x80000000, v7
	v_mov_b32_e32 v10, v6
	v_mul_f64 v[8:9], v[8:9], -v[6:7]
.LBB45_17:
	s_or_b64 exec, exec, s[4:5]
	scratch_store_dwordx4 v14, v[6:9], off
	scratch_load_dwordx4 v[2:5], off, s25
	v_xor_b32_e32 v13, 0x80000000, v9
	v_mov_b32_e32 v12, v8
	v_add_u32_e32 v1, 0x2e0, v58
	ds_write_b128 v58, v[10:13]
	s_waitcnt vmcnt(0)
	ds_write_b128 v58, v[2:5] offset:736
	s_waitcnt lgkmcnt(0)
	; wave barrier
	s_and_saveexec_b64 s[4:5], s[0:1]
	s_cbranch_execz .LBB45_19
; %bb.18:
	scratch_load_dwordx4 v[2:5], v14, off
	ds_read_b128 v[6:9], v1
	v_mov_b32_e32 v0, 0
	ds_read_b128 v[10:13], v0 offset:16
	s_waitcnt vmcnt(0) lgkmcnt(1)
	v_mul_f64 v[16:17], v[8:9], v[4:5]
	v_mul_f64 v[4:5], v[6:7], v[4:5]
	v_fma_f64 v[6:7], v[6:7], v[2:3], -v[16:17]
	v_fmac_f64_e32 v[4:5], v[8:9], v[2:3]
	v_add_f64 v[2:3], v[6:7], 0
	v_add_f64 v[6:7], v[4:5], 0
	s_waitcnt lgkmcnt(0)
	v_mul_f64 v[8:9], v[6:7], v[12:13]
	v_mul_f64 v[4:5], v[2:3], v[12:13]
	v_fma_f64 v[2:3], v[2:3], v[10:11], -v[8:9]
	v_fmac_f64_e32 v[4:5], v[6:7], v[10:11]
	scratch_store_dwordx4 off, v[2:5], off offset:32
.LBB45_19:
	s_or_b64 exec, exec, s[4:5]
	; wave barrier
	scratch_load_dwordx4 v[2:5], off, s22
	v_cmp_gt_u32_e32 vcc, 2, v248
	s_waitcnt vmcnt(0)
	ds_write_b128 v1, v[2:5]
	s_waitcnt lgkmcnt(0)
	; wave barrier
	s_and_saveexec_b64 s[4:5], vcc
	s_cbranch_execz .LBB45_23
; %bb.20:
	scratch_load_dwordx4 v[2:5], v14, off
	ds_read_b128 v[6:9], v1
	s_waitcnt vmcnt(0) lgkmcnt(0)
	v_mul_f64 v[10:11], v[8:9], v[4:5]
	v_mul_f64 v[12:13], v[6:7], v[4:5]
	v_fma_f64 v[4:5], v[6:7], v[2:3], -v[10:11]
	v_fmac_f64_e32 v[12:13], v[8:9], v[2:3]
	v_add_f64 v[4:5], v[4:5], 0
	v_add_f64 v[2:3], v[12:13], 0
	s_and_saveexec_b64 s[8:9], s[0:1]
	s_cbranch_execz .LBB45_22
; %bb.21:
	scratch_load_dwordx4 v[6:9], off, off offset:32
	v_mov_b32_e32 v0, 0
	ds_read_b128 v[10:13], v0 offset:752
	s_waitcnt vmcnt(0) lgkmcnt(0)
	v_mul_f64 v[14:15], v[10:11], v[8:9]
	v_mul_f64 v[8:9], v[12:13], v[8:9]
	v_fmac_f64_e32 v[14:15], v[12:13], v[6:7]
	v_fma_f64 v[6:7], v[10:11], v[6:7], -v[8:9]
	v_add_f64 v[2:3], v[2:3], v[14:15]
	v_add_f64 v[4:5], v[4:5], v[6:7]
.LBB45_22:
	s_or_b64 exec, exec, s[8:9]
	v_mov_b32_e32 v0, 0
	ds_read_b128 v[6:9], v0 offset:32
	s_waitcnt lgkmcnt(0)
	v_mul_f64 v[12:13], v[2:3], v[8:9]
	v_mul_f64 v[10:11], v[4:5], v[8:9]
	v_fma_f64 v[8:9], v[4:5], v[6:7], -v[12:13]
	v_fmac_f64_e32 v[10:11], v[2:3], v[6:7]
	scratch_store_dwordx4 off, v[8:11], off offset:48
.LBB45_23:
	s_or_b64 exec, exec, s[4:5]
	; wave barrier
	scratch_load_dwordx4 v[2:5], off, s23
	v_cmp_gt_u32_e32 vcc, 3, v248
	v_add_u32_e32 v6, -1, v248
	s_waitcnt vmcnt(0)
	ds_write_b128 v1, v[2:5]
	s_waitcnt lgkmcnt(0)
	; wave barrier
	s_and_saveexec_b64 s[0:1], vcc
	s_cbranch_execz .LBB45_27
; %bb.24:
	v_add_u32_e32 v7, -1, v248
	v_add_u32_e32 v8, 0x2e0, v58
	v_add_u32_e32 v9, 16, v58
	v_mov_b64_e32 v[2:3], 0
	s_mov_b64 s[4:5], 0
	v_mov_b64_e32 v[4:5], 0
.LBB45_25:                              ; =>This Inner Loop Header: Depth=1
	scratch_load_dwordx4 v[10:13], v9, off
	ds_read_b128 v[14:17], v8
	v_add_u32_e32 v7, 1, v7
	v_cmp_lt_u32_e32 vcc, 1, v7
	v_add_u32_e32 v8, 16, v8
	v_add_u32_e32 v9, 16, v9
	s_or_b64 s[4:5], vcc, s[4:5]
	s_waitcnt vmcnt(0) lgkmcnt(0)
	v_mul_f64 v[18:19], v[16:17], v[12:13]
	v_mul_f64 v[12:13], v[14:15], v[12:13]
	v_fma_f64 v[14:15], v[14:15], v[10:11], -v[18:19]
	v_fmac_f64_e32 v[12:13], v[16:17], v[10:11]
	v_add_f64 v[4:5], v[4:5], v[14:15]
	v_add_f64 v[2:3], v[2:3], v[12:13]
	s_andn2_b64 exec, exec, s[4:5]
	s_cbranch_execnz .LBB45_25
; %bb.26:
	s_or_b64 exec, exec, s[4:5]
	v_mov_b32_e32 v0, 0
	ds_read_b128 v[8:11], v0 offset:48
	s_waitcnt lgkmcnt(0)
	v_mul_f64 v[14:15], v[2:3], v[10:11]
	v_mul_f64 v[12:13], v[4:5], v[10:11]
	v_fma_f64 v[10:11], v[4:5], v[8:9], -v[14:15]
	v_fmac_f64_e32 v[12:13], v[2:3], v[8:9]
	scratch_store_dwordx4 off, v[10:13], off offset:64
.LBB45_27:
	s_or_b64 exec, exec, s[0:1]
	; wave barrier
	scratch_load_dwordx4 v[2:5], off, s24
	v_cmp_gt_u32_e32 vcc, 4, v248
	s_waitcnt vmcnt(0)
	ds_write_b128 v1, v[2:5]
	s_waitcnt lgkmcnt(0)
	; wave barrier
	s_and_saveexec_b64 s[0:1], vcc
	s_cbranch_execz .LBB45_31
; %bb.28:
	v_add_u32_e32 v7, -1, v248
	v_add_u32_e32 v8, 0x2e0, v58
	v_add_u32_e32 v9, 16, v58
	v_mov_b64_e32 v[2:3], 0
	s_mov_b64 s[4:5], 0
	v_mov_b64_e32 v[4:5], 0
.LBB45_29:                              ; =>This Inner Loop Header: Depth=1
	scratch_load_dwordx4 v[10:13], v9, off
	ds_read_b128 v[14:17], v8
	v_add_u32_e32 v7, 1, v7
	v_cmp_lt_u32_e32 vcc, 2, v7
	v_add_u32_e32 v8, 16, v8
	v_add_u32_e32 v9, 16, v9
	s_or_b64 s[4:5], vcc, s[4:5]
	s_waitcnt vmcnt(0) lgkmcnt(0)
	v_mul_f64 v[18:19], v[16:17], v[12:13]
	v_mul_f64 v[12:13], v[14:15], v[12:13]
	v_fma_f64 v[14:15], v[14:15], v[10:11], -v[18:19]
	v_fmac_f64_e32 v[12:13], v[16:17], v[10:11]
	v_add_f64 v[4:5], v[4:5], v[14:15]
	v_add_f64 v[2:3], v[2:3], v[12:13]
	s_andn2_b64 exec, exec, s[4:5]
	s_cbranch_execnz .LBB45_29
; %bb.30:
	s_or_b64 exec, exec, s[4:5]
	v_mov_b32_e32 v0, 0
	ds_read_b128 v[8:11], v0 offset:64
	s_waitcnt lgkmcnt(0)
	v_mul_f64 v[14:15], v[2:3], v[10:11]
	v_mul_f64 v[12:13], v[4:5], v[10:11]
	v_fma_f64 v[10:11], v[4:5], v[8:9], -v[14:15]
	v_fmac_f64_e32 v[12:13], v[2:3], v[8:9]
	scratch_store_dwordx4 off, v[10:13], off offset:80
.LBB45_31:
	s_or_b64 exec, exec, s[0:1]
	; wave barrier
	scratch_load_dwordx4 v[2:5], off, s26
	v_cmp_gt_u32_e32 vcc, 5, v248
	;; [unrolled: 45-line block ×19, first 2 shown]
	s_waitcnt vmcnt(0)
	ds_write_b128 v1, v[2:5]
	s_waitcnt lgkmcnt(0)
	; wave barrier
	s_and_saveexec_b64 s[0:1], vcc
	s_cbranch_execz .LBB45_103
; %bb.100:
	v_add_u32_e32 v7, -1, v248
	v_add_u32_e32 v8, 0x2e0, v58
	v_add_u32_e32 v9, 16, v58
	v_mov_b64_e32 v[2:3], 0
	s_mov_b64 s[4:5], 0
	v_mov_b64_e32 v[4:5], 0
.LBB45_101:                             ; =>This Inner Loop Header: Depth=1
	scratch_load_dwordx4 v[10:13], v9, off
	ds_read_b128 v[14:17], v8
	v_add_u32_e32 v7, 1, v7
	v_cmp_lt_u32_e32 vcc, 20, v7
	v_add_u32_e32 v8, 16, v8
	v_add_u32_e32 v9, 16, v9
	s_or_b64 s[4:5], vcc, s[4:5]
	s_waitcnt vmcnt(0) lgkmcnt(0)
	v_mul_f64 v[18:19], v[16:17], v[12:13]
	v_mul_f64 v[12:13], v[14:15], v[12:13]
	v_fma_f64 v[14:15], v[14:15], v[10:11], -v[18:19]
	v_fmac_f64_e32 v[12:13], v[16:17], v[10:11]
	v_add_f64 v[4:5], v[4:5], v[14:15]
	v_add_f64 v[2:3], v[2:3], v[12:13]
	s_andn2_b64 exec, exec, s[4:5]
	s_cbranch_execnz .LBB45_101
; %bb.102:
	s_or_b64 exec, exec, s[4:5]
	v_mov_b32_e32 v0, 0
	ds_read_b128 v[8:11], v0 offset:352
	s_waitcnt lgkmcnt(0)
	v_mul_f64 v[14:15], v[2:3], v[10:11]
	v_mul_f64 v[12:13], v[4:5], v[10:11]
	v_fma_f64 v[10:11], v[4:5], v[8:9], -v[14:15]
	v_fmac_f64_e32 v[12:13], v[2:3], v[8:9]
	scratch_store_dwordx4 off, v[10:13], off offset:368
.LBB45_103:
	s_or_b64 exec, exec, s[0:1]
	; wave barrier
	scratch_load_dwordx4 v[2:5], off, s43
	v_cmp_gt_u32_e32 vcc, 23, v248
	s_waitcnt vmcnt(0)
	ds_write_b128 v1, v[2:5]
	s_waitcnt lgkmcnt(0)
	; wave barrier
	s_and_saveexec_b64 s[0:1], vcc
	s_cbranch_execz .LBB45_107
; %bb.104:
	v_add_u32_e32 v7, -1, v248
	v_add_u32_e32 v8, 0x2e0, v58
	v_add_u32_e32 v9, 16, v58
	v_mov_b64_e32 v[2:3], 0
	s_mov_b64 s[4:5], 0
	v_mov_b64_e32 v[4:5], 0
.LBB45_105:                             ; =>This Inner Loop Header: Depth=1
	scratch_load_dwordx4 v[10:13], v9, off
	ds_read_b128 v[14:17], v8
	v_add_u32_e32 v7, 1, v7
	v_cmp_lt_u32_e32 vcc, 21, v7
	v_add_u32_e32 v8, 16, v8
	v_add_u32_e32 v9, 16, v9
	s_or_b64 s[4:5], vcc, s[4:5]
	s_waitcnt vmcnt(0) lgkmcnt(0)
	v_mul_f64 v[18:19], v[16:17], v[12:13]
	v_mul_f64 v[12:13], v[14:15], v[12:13]
	v_fma_f64 v[14:15], v[14:15], v[10:11], -v[18:19]
	v_fmac_f64_e32 v[12:13], v[16:17], v[10:11]
	v_add_f64 v[4:5], v[4:5], v[14:15]
	v_add_f64 v[2:3], v[2:3], v[12:13]
	s_andn2_b64 exec, exec, s[4:5]
	s_cbranch_execnz .LBB45_105
; %bb.106:
	s_or_b64 exec, exec, s[4:5]
	v_mov_b32_e32 v0, 0
	ds_read_b128 v[8:11], v0 offset:368
	s_waitcnt lgkmcnt(0)
	v_mul_f64 v[14:15], v[2:3], v[10:11]
	v_mul_f64 v[12:13], v[4:5], v[10:11]
	v_fma_f64 v[10:11], v[4:5], v[8:9], -v[14:15]
	v_fmac_f64_e32 v[12:13], v[2:3], v[8:9]
	scratch_store_dwordx4 off, v[10:13], off offset:384
.LBB45_107:
	s_or_b64 exec, exec, s[0:1]
	; wave barrier
	scratch_load_dwordx4 v[2:5], off, s44
	v_cmp_gt_u32_e32 vcc, 24, v248
	;; [unrolled: 45-line block ×22, first 2 shown]
	s_waitcnt vmcnt(0)
	ds_write_b128 v1, v[2:5]
	s_waitcnt lgkmcnt(0)
	; wave barrier
	s_and_saveexec_b64 s[0:1], vcc
	s_cbranch_execz .LBB45_191
; %bb.188:
	v_add_u32_e32 v7, -1, v248
	v_add_u32_e32 v8, 0x2e0, v58
	v_add_u32_e32 v9, 16, v58
	v_mov_b64_e32 v[2:3], 0
	s_mov_b64 s[4:5], 0
	v_mov_b64_e32 v[4:5], 0
.LBB45_189:                             ; =>This Inner Loop Header: Depth=1
	scratch_load_dwordx4 v[10:13], v9, off
	ds_read_b128 v[14:17], v8
	v_add_u32_e32 v7, 1, v7
	v_cmp_lt_u32_e32 vcc, 42, v7
	v_add_u32_e32 v8, 16, v8
	v_add_u32_e32 v9, 16, v9
	s_or_b64 s[4:5], vcc, s[4:5]
	s_waitcnt vmcnt(0) lgkmcnt(0)
	v_mul_f64 v[18:19], v[16:17], v[12:13]
	v_mul_f64 v[12:13], v[14:15], v[12:13]
	v_fma_f64 v[14:15], v[14:15], v[10:11], -v[18:19]
	v_fmac_f64_e32 v[12:13], v[16:17], v[10:11]
	v_add_f64 v[4:5], v[4:5], v[14:15]
	v_add_f64 v[2:3], v[2:3], v[12:13]
	s_andn2_b64 exec, exec, s[4:5]
	s_cbranch_execnz .LBB45_189
; %bb.190:
	s_or_b64 exec, exec, s[4:5]
	v_mov_b32_e32 v0, 0
	ds_read_b128 v[8:11], v0 offset:704
	s_waitcnt lgkmcnt(0)
	v_mul_f64 v[14:15], v[2:3], v[10:11]
	v_mul_f64 v[12:13], v[4:5], v[10:11]
	v_fma_f64 v[10:11], v[4:5], v[8:9], -v[14:15]
	v_fmac_f64_e32 v[12:13], v[2:3], v[8:9]
	scratch_store_dwordx4 off, v[10:13], off offset:720
.LBB45_191:
	s_or_b64 exec, exec, s[0:1]
	; wave barrier
	scratch_load_dwordx4 v[2:5], off, s59
	v_cmp_ne_u32_e32 vcc, 45, v248
	s_waitcnt vmcnt(0)
	ds_write_b128 v1, v[2:5]
	s_waitcnt lgkmcnt(0)
	; wave barrier
	s_and_saveexec_b64 s[0:1], vcc
	s_cbranch_execz .LBB45_195
; %bb.192:
	v_add_u32_e32 v1, 0x2e0, v58
	v_add_u32_e32 v7, 16, v58
	v_mov_b64_e32 v[2:3], 0
	s_mov_b64 s[4:5], 0
	v_mov_b64_e32 v[4:5], 0
.LBB45_193:                             ; =>This Inner Loop Header: Depth=1
	scratch_load_dwordx4 v[8:11], v7, off
	ds_read_b128 v[12:15], v1
	v_add_u32_e32 v6, 1, v6
	v_cmp_lt_u32_e32 vcc, 43, v6
	v_add_u32_e32 v1, 16, v1
	v_add_u32_e32 v7, 16, v7
	s_or_b64 s[4:5], vcc, s[4:5]
	s_waitcnt vmcnt(0) lgkmcnt(0)
	v_mul_f64 v[16:17], v[14:15], v[10:11]
	v_mul_f64 v[10:11], v[12:13], v[10:11]
	v_fma_f64 v[12:13], v[12:13], v[8:9], -v[16:17]
	v_fmac_f64_e32 v[10:11], v[14:15], v[8:9]
	v_add_f64 v[4:5], v[4:5], v[12:13]
	v_add_f64 v[2:3], v[2:3], v[10:11]
	s_andn2_b64 exec, exec, s[4:5]
	s_cbranch_execnz .LBB45_193
; %bb.194:
	s_or_b64 exec, exec, s[4:5]
	v_mov_b32_e32 v0, 0
	ds_read_b128 v[6:9], v0 offset:720
	s_waitcnt lgkmcnt(0)
	v_mul_f64 v[12:13], v[2:3], v[8:9]
	v_mul_f64 v[10:11], v[4:5], v[8:9]
	v_fma_f64 v[8:9], v[4:5], v[6:7], -v[12:13]
	v_fmac_f64_e32 v[10:11], v[2:3], v[6:7]
	scratch_store_dwordx4 off, v[8:11], off offset:736
.LBB45_195:
	s_or_b64 exec, exec, s[0:1]
	s_mov_b64 s[4:5], -1
	; wave barrier
.LBB45_196:
	s_and_b64 vcc, exec, s[4:5]
	s_cbranch_vccz .LBB45_198
; %bb.197:
	s_lshl_b64 s[0:1], s[2:3], 2
	s_add_u32 s0, s6, s0
	s_addc_u32 s1, s7, s1
	v_mov_b32_e32 v0, 0
	global_load_dword v0, v0, s[0:1]
	s_waitcnt vmcnt(0)
	v_cmp_ne_u32_e32 vcc, 0, v0
	s_cbranch_vccz .LBB45_199
.LBB45_198:
	s_endpgm
.LBB45_199:
	v_mov_b32_e32 v0, 0x2e0
	v_lshl_add_u32 v0, v248, 4, v0
	v_accvgpr_write_b32 a93, v0
	v_cmp_eq_u32_e32 vcc, 45, v248
	s_and_saveexec_b64 s[0:1], vcc
	s_cbranch_execz .LBB45_201
; %bb.200:
	scratch_load_dwordx4 v[2:5], off, s21
	v_mov_b32_e32 v6, 0
	v_mov_b32_e32 v7, v6
	;; [unrolled: 1-line block ×4, first 2 shown]
	v_accvgpr_read_b32 v0, a93
	scratch_store_dwordx4 off, v[6:9], off offset:720
	s_waitcnt vmcnt(1)
	ds_write_b128 v0, v[2:5]
.LBB45_201:
	s_or_b64 exec, exec, s[0:1]
	s_waitcnt lgkmcnt(0)
	; wave barrier
	scratch_load_dwordx4 v[4:7], off, off offset:736
	scratch_load_dwordx4 v[8:11], off, off offset:720
	v_mov_b32_e32 v2, 0
	ds_read_b128 v[12:15], v2 offset:1456
	v_cmp_lt_u32_e32 vcc, 43, v248
	s_waitcnt vmcnt(1) lgkmcnt(0)
	v_mul_f64 v[16:17], v[12:13], v[6:7]
	v_mul_f64 v[6:7], v[14:15], v[6:7]
	v_fmac_f64_e32 v[16:17], v[14:15], v[4:5]
	v_fma_f64 v[4:5], v[12:13], v[4:5], -v[6:7]
	v_add_f64 v[6:7], v[16:17], 0
	v_add_f64 v[4:5], v[4:5], 0
	s_waitcnt vmcnt(0)
	v_add_f64 v[4:5], v[8:9], -v[4:5]
	v_add_f64 v[6:7], v[10:11], -v[6:7]
	scratch_store_dwordx4 off, v[4:7], off offset:720
	s_and_saveexec_b64 s[0:1], vcc
	s_cbranch_execz .LBB45_203
; %bb.202:
	scratch_load_dwordx4 v[6:9], off, s20
	v_mov_b32_e32 v3, v2
	v_mov_b32_e32 v4, v2
	;; [unrolled: 1-line block ×3, first 2 shown]
	v_accvgpr_read_b32 v0, a93
	scratch_store_dwordx4 off, v[2:5], off offset:704
	s_waitcnt vmcnt(1)
	ds_write_b128 v0, v[6:9]
.LBB45_203:
	s_or_b64 exec, exec, s[0:1]
	s_waitcnt lgkmcnt(0)
	; wave barrier
	scratch_load_dwordx4 v[4:7], off, off offset:720
	scratch_load_dwordx4 v[8:11], off, off offset:736
	;; [unrolled: 1-line block ×3, first 2 shown]
	ds_read_b128 v[16:19], v2 offset:1440
	ds_read_b128 v[20:23], v2 offset:1456
	v_cmp_lt_u32_e32 vcc, 42, v248
	s_waitcnt vmcnt(2) lgkmcnt(1)
	v_mul_f64 v[2:3], v[16:17], v[6:7]
	v_mul_f64 v[6:7], v[18:19], v[6:7]
	s_waitcnt vmcnt(1) lgkmcnt(0)
	v_mul_f64 v[24:25], v[20:21], v[10:11]
	v_mul_f64 v[10:11], v[22:23], v[10:11]
	v_fmac_f64_e32 v[2:3], v[18:19], v[4:5]
	v_fma_f64 v[4:5], v[16:17], v[4:5], -v[6:7]
	v_fmac_f64_e32 v[24:25], v[22:23], v[8:9]
	v_fma_f64 v[6:7], v[20:21], v[8:9], -v[10:11]
	v_add_f64 v[2:3], v[2:3], 0
	v_add_f64 v[4:5], v[4:5], 0
	;; [unrolled: 1-line block ×4, first 2 shown]
	s_waitcnt vmcnt(0)
	v_add_f64 v[2:3], v[12:13], -v[2:3]
	v_add_f64 v[4:5], v[14:15], -v[8:9]
	scratch_store_dwordx4 off, v[2:5], off offset:704
	s_and_saveexec_b64 s[0:1], vcc
	s_cbranch_execz .LBB45_205
; %bb.204:
	scratch_load_dwordx4 v[2:5], off, s15
	v_mov_b32_e32 v6, 0
	v_mov_b32_e32 v7, v6
	;; [unrolled: 1-line block ×4, first 2 shown]
	v_accvgpr_read_b32 v0, a93
	scratch_store_dwordx4 off, v[6:9], off offset:688
	s_waitcnt vmcnt(1)
	ds_write_b128 v0, v[2:5]
.LBB45_205:
	s_or_b64 exec, exec, s[0:1]
	v_mov_b32_e32 v2, 0
	s_waitcnt lgkmcnt(0)
	; wave barrier
	ds_read_b128 v[4:7], v2 offset:1424
	ds_read_b128 v[8:11], v2 offset:1440
	;; [unrolled: 1-line block ×3, first 2 shown]
	scratch_load_dwordx4 v[16:19], off, off offset:704
	v_cmp_lt_u32_e32 vcc, 41, v248
	s_waitcnt vmcnt(0) lgkmcnt(2)
	v_mul_f64 v[20:21], v[4:5], v[18:19]
	v_fmac_f64_e32 v[20:21], v[6:7], v[16:17]
	v_add_f64 v[24:25], v[20:21], 0
	scratch_load_dwordx4 v[20:23], off, off offset:720
	v_mul_f64 v[6:7], v[6:7], v[18:19]
	v_fma_f64 v[4:5], v[4:5], v[16:17], -v[6:7]
	v_add_f64 v[4:5], v[4:5], 0
	s_waitcnt vmcnt(0) lgkmcnt(1)
	v_mul_f64 v[26:27], v[8:9], v[22:23]
	v_fmac_f64_e32 v[26:27], v[10:11], v[20:21]
	v_add_f64 v[28:29], v[24:25], v[26:27]
	scratch_load_dwordx4 v[24:27], off, off offset:736
	v_mul_f64 v[6:7], v[10:11], v[22:23]
	v_fma_f64 v[6:7], v[8:9], v[20:21], -v[6:7]
	v_add_f64 v[4:5], v[4:5], v[6:7]
	s_waitcnt vmcnt(0) lgkmcnt(0)
	v_mul_f64 v[6:7], v[14:15], v[26:27]
	v_fma_f64 v[6:7], v[12:13], v[24:25], -v[6:7]
	v_add_f64 v[8:9], v[4:5], v[6:7]
	scratch_load_dwordx4 v[4:7], off, off offset:688
	v_mul_f64 v[30:31], v[12:13], v[26:27]
	v_fmac_f64_e32 v[30:31], v[14:15], v[24:25]
	v_add_f64 v[28:29], v[28:29], v[30:31]
	s_waitcnt vmcnt(0)
	v_add_f64 v[4:5], v[4:5], -v[8:9]
	v_add_f64 v[6:7], v[6:7], -v[28:29]
	scratch_store_dwordx4 off, v[4:7], off offset:688
	s_and_saveexec_b64 s[0:1], vcc
	s_cbranch_execz .LBB45_207
; %bb.206:
	scratch_load_dwordx4 v[6:9], off, s14
	v_mov_b32_e32 v3, v2
	v_mov_b32_e32 v4, v2
	;; [unrolled: 1-line block ×3, first 2 shown]
	v_accvgpr_read_b32 v0, a93
	scratch_store_dwordx4 off, v[2:5], off offset:672
	s_waitcnt vmcnt(1)
	ds_write_b128 v0, v[6:9]
.LBB45_207:
	s_or_b64 exec, exec, s[0:1]
	s_waitcnt lgkmcnt(0)
	; wave barrier
	scratch_load_dwordx4 v[4:7], off, off offset:688
	scratch_load_dwordx4 v[8:11], off, off offset:704
	;; [unrolled: 1-line block ×5, first 2 shown]
	ds_read_b128 v[24:27], v2 offset:1408
	ds_read_b128 v[28:31], v2 offset:1424
	;; [unrolled: 1-line block ×4, first 2 shown]
	v_cmp_lt_u32_e32 vcc, 40, v248
	s_waitcnt vmcnt(4) lgkmcnt(3)
	v_mul_f64 v[2:3], v[24:25], v[6:7]
	v_mul_f64 v[6:7], v[26:27], v[6:7]
	s_waitcnt vmcnt(3) lgkmcnt(2)
	v_mul_f64 v[40:41], v[28:29], v[10:11]
	v_mul_f64 v[10:11], v[30:31], v[10:11]
	v_fmac_f64_e32 v[2:3], v[26:27], v[4:5]
	v_fma_f64 v[4:5], v[24:25], v[4:5], -v[6:7]
	s_waitcnt vmcnt(2) lgkmcnt(1)
	v_mul_f64 v[42:43], v[32:33], v[14:15]
	v_mul_f64 v[14:15], v[34:35], v[14:15]
	v_fmac_f64_e32 v[40:41], v[30:31], v[8:9]
	v_fma_f64 v[6:7], v[28:29], v[8:9], -v[10:11]
	v_add_f64 v[2:3], v[2:3], 0
	v_add_f64 v[4:5], v[4:5], 0
	s_waitcnt vmcnt(1) lgkmcnt(0)
	v_mul_f64 v[44:45], v[36:37], v[18:19]
	v_mul_f64 v[18:19], v[38:39], v[18:19]
	v_fmac_f64_e32 v[42:43], v[34:35], v[12:13]
	v_fma_f64 v[8:9], v[32:33], v[12:13], -v[14:15]
	v_add_f64 v[2:3], v[2:3], v[40:41]
	v_add_f64 v[4:5], v[4:5], v[6:7]
	v_fmac_f64_e32 v[44:45], v[38:39], v[16:17]
	v_fma_f64 v[10:11], v[36:37], v[16:17], -v[18:19]
	v_add_f64 v[2:3], v[2:3], v[42:43]
	v_add_f64 v[4:5], v[4:5], v[8:9]
	v_add_f64 v[6:7], v[2:3], v[44:45]
	v_add_f64 v[2:3], v[4:5], v[10:11]
	s_waitcnt vmcnt(0)
	v_add_f64 v[2:3], v[20:21], -v[2:3]
	v_add_f64 v[4:5], v[22:23], -v[6:7]
	scratch_store_dwordx4 off, v[2:5], off offset:672
	s_and_saveexec_b64 s[0:1], vcc
	s_cbranch_execz .LBB45_209
; %bb.208:
	scratch_load_dwordx4 v[2:5], off, s13
	v_mov_b32_e32 v6, 0
	v_mov_b32_e32 v7, v6
	;; [unrolled: 1-line block ×4, first 2 shown]
	v_accvgpr_read_b32 v0, a93
	scratch_store_dwordx4 off, v[6:9], off offset:656
	s_waitcnt vmcnt(1)
	ds_write_b128 v0, v[2:5]
.LBB45_209:
	s_or_b64 exec, exec, s[0:1]
	s_waitcnt lgkmcnt(0)
	; wave barrier
	scratch_load_dwordx4 v[4:7], off, off offset:672
	scratch_load_dwordx4 v[8:11], off, off offset:688
	;; [unrolled: 1-line block ×6, first 2 shown]
	v_mov_b32_e32 v2, 0
	ds_read_b128 v[28:31], v2 offset:1392
	ds_read_b128 v[32:35], v2 offset:1408
	;; [unrolled: 1-line block ×5, first 2 shown]
	v_cmp_lt_u32_e32 vcc, 39, v248
	s_waitcnt vmcnt(5) lgkmcnt(4)
	v_mul_f64 v[48:49], v[28:29], v[6:7]
	v_mul_f64 v[6:7], v[30:31], v[6:7]
	s_waitcnt vmcnt(4) lgkmcnt(3)
	v_mul_f64 v[50:51], v[32:33], v[10:11]
	s_waitcnt vmcnt(3) lgkmcnt(2)
	v_mul_f64 v[52:53], v[36:37], v[14:15]
	v_mul_f64 v[10:11], v[34:35], v[10:11]
	;; [unrolled: 1-line block ×3, first 2 shown]
	v_fmac_f64_e32 v[48:49], v[30:31], v[4:5]
	v_fma_f64 v[4:5], v[28:29], v[4:5], -v[6:7]
	v_fmac_f64_e32 v[50:51], v[34:35], v[8:9]
	v_fma_f64 v[6:7], v[32:33], v[8:9], -v[10:11]
	v_fma_f64 v[8:9], v[36:37], v[12:13], -v[14:15]
	v_add_f64 v[14:15], v[48:49], 0
	v_add_f64 v[4:5], v[4:5], 0
	s_waitcnt vmcnt(2) lgkmcnt(1)
	v_mul_f64 v[54:55], v[40:41], v[18:19]
	v_mul_f64 v[18:19], v[42:43], v[18:19]
	v_fmac_f64_e32 v[52:53], v[38:39], v[12:13]
	v_add_f64 v[14:15], v[14:15], v[50:51]
	v_add_f64 v[4:5], v[4:5], v[6:7]
	s_waitcnt vmcnt(1) lgkmcnt(0)
	v_mul_f64 v[56:57], v[44:45], v[22:23]
	v_mul_f64 v[22:23], v[46:47], v[22:23]
	v_fmac_f64_e32 v[54:55], v[42:43], v[16:17]
	v_fma_f64 v[10:11], v[40:41], v[16:17], -v[18:19]
	v_add_f64 v[6:7], v[14:15], v[52:53]
	v_add_f64 v[4:5], v[4:5], v[8:9]
	v_fmac_f64_e32 v[56:57], v[46:47], v[20:21]
	v_fma_f64 v[12:13], v[44:45], v[20:21], -v[22:23]
	v_add_f64 v[6:7], v[6:7], v[54:55]
	v_add_f64 v[4:5], v[4:5], v[10:11]
	v_add_f64 v[6:7], v[6:7], v[56:57]
	v_add_f64 v[4:5], v[4:5], v[12:13]
	s_waitcnt vmcnt(0)
	v_add_f64 v[4:5], v[24:25], -v[4:5]
	v_add_f64 v[6:7], v[26:27], -v[6:7]
	scratch_store_dwordx4 off, v[4:7], off offset:656
	s_and_saveexec_b64 s[0:1], vcc
	s_cbranch_execz .LBB45_211
; %bb.210:
	scratch_load_dwordx4 v[6:9], off, s12
	v_mov_b32_e32 v3, v2
	v_mov_b32_e32 v4, v2
	;; [unrolled: 1-line block ×3, first 2 shown]
	v_accvgpr_read_b32 v0, a93
	scratch_store_dwordx4 off, v[2:5], off offset:640
	s_waitcnt vmcnt(1)
	ds_write_b128 v0, v[6:9]
.LBB45_211:
	s_or_b64 exec, exec, s[0:1]
	s_waitcnt lgkmcnt(0)
	; wave barrier
	scratch_load_dwordx4 v[4:7], off, off offset:656
	scratch_load_dwordx4 v[8:11], off, off offset:672
	;; [unrolled: 1-line block ×7, first 2 shown]
	ds_read_b128 v[32:35], v2 offset:1376
	ds_read_b128 v[36:39], v2 offset:1392
	;; [unrolled: 1-line block ×6, first 2 shown]
	v_cmp_lt_u32_e32 vcc, 38, v248
	s_waitcnt vmcnt(6) lgkmcnt(5)
	v_mul_f64 v[2:3], v[32:33], v[6:7]
	v_mul_f64 v[6:7], v[34:35], v[6:7]
	s_waitcnt vmcnt(5) lgkmcnt(4)
	v_mul_f64 v[56:57], v[36:37], v[10:11]
	v_mul_f64 v[10:11], v[38:39], v[10:11]
	v_fmac_f64_e32 v[2:3], v[34:35], v[4:5]
	v_fma_f64 v[4:5], v[32:33], v[4:5], -v[6:7]
	s_waitcnt vmcnt(4) lgkmcnt(3)
	v_mul_f64 v[58:59], v[40:41], v[14:15]
	v_mul_f64 v[14:15], v[42:43], v[14:15]
	v_fmac_f64_e32 v[56:57], v[38:39], v[8:9]
	v_fma_f64 v[6:7], v[36:37], v[8:9], -v[10:11]
	v_add_f64 v[2:3], v[2:3], 0
	v_add_f64 v[4:5], v[4:5], 0
	s_waitcnt vmcnt(3) lgkmcnt(2)
	v_mul_f64 v[60:61], v[44:45], v[18:19]
	v_mul_f64 v[18:19], v[46:47], v[18:19]
	v_fmac_f64_e32 v[58:59], v[42:43], v[12:13]
	v_fma_f64 v[8:9], v[40:41], v[12:13], -v[14:15]
	v_add_f64 v[2:3], v[2:3], v[56:57]
	v_add_f64 v[4:5], v[4:5], v[6:7]
	;; [unrolled: 7-line block ×4, first 2 shown]
	v_fmac_f64_e32 v[64:65], v[54:55], v[24:25]
	v_fma_f64 v[14:15], v[52:53], v[24:25], -v[26:27]
	v_add_f64 v[2:3], v[2:3], v[62:63]
	v_add_f64 v[4:5], v[4:5], v[12:13]
	;; [unrolled: 1-line block ×4, first 2 shown]
	s_waitcnt vmcnt(0)
	v_add_f64 v[2:3], v[28:29], -v[2:3]
	v_add_f64 v[4:5], v[30:31], -v[6:7]
	scratch_store_dwordx4 off, v[2:5], off offset:640
	s_and_saveexec_b64 s[0:1], vcc
	s_cbranch_execz .LBB45_213
; %bb.212:
	scratch_load_dwordx4 v[2:5], off, s58
	v_mov_b32_e32 v6, 0
	v_mov_b32_e32 v7, v6
	;; [unrolled: 1-line block ×4, first 2 shown]
	v_accvgpr_read_b32 v0, a93
	scratch_store_dwordx4 off, v[6:9], off offset:624
	s_waitcnt vmcnt(1)
	ds_write_b128 v0, v[2:5]
.LBB45_213:
	s_or_b64 exec, exec, s[0:1]
	v_mov_b32_e32 v2, 0
	s_waitcnt lgkmcnt(0)
	; wave barrier
	ds_read_b128 v[4:7], v2 offset:1360
	ds_read_b128 v[8:11], v2 offset:1376
	;; [unrolled: 1-line block ×4, first 2 shown]
	scratch_load_dwordx4 v[20:23], off, off offset:640
	scratch_load_dwordx4 v[40:43], off, off offset:704
	v_cmp_lt_u32_e32 vcc, 37, v248
	scratch_load_dwordx4 v[48:51], off, off offset:720
	scratch_load_dwordx4 v[56:59], off, off offset:736
	s_waitcnt vmcnt(3) lgkmcnt(3)
	v_mul_f64 v[24:25], v[4:5], v[22:23]
	v_fmac_f64_e32 v[24:25], v[6:7], v[20:21]
	v_add_f64 v[28:29], v[24:25], 0
	scratch_load_dwordx4 v[24:27], off, off offset:656
	v_mul_f64 v[6:7], v[6:7], v[22:23]
	v_fma_f64 v[4:5], v[4:5], v[20:21], -v[6:7]
	v_add_f64 v[4:5], v[4:5], 0
	s_waitcnt vmcnt(0) lgkmcnt(2)
	v_mul_f64 v[30:31], v[8:9], v[26:27]
	v_fmac_f64_e32 v[30:31], v[10:11], v[24:25]
	v_add_f64 v[32:33], v[28:29], v[30:31]
	scratch_load_dwordx4 v[28:31], off, off offset:672
	v_mul_f64 v[6:7], v[10:11], v[26:27]
	v_fma_f64 v[6:7], v[8:9], v[24:25], -v[6:7]
	v_add_f64 v[4:5], v[4:5], v[6:7]
	;; [unrolled: 8-line block ×3, first 2 shown]
	s_waitcnt vmcnt(0) lgkmcnt(0)
	v_mul_f64 v[38:39], v[16:17], v[34:35]
	v_fmac_f64_e32 v[38:39], v[18:19], v[32:33]
	v_add_f64 v[44:45], v[36:37], v[38:39]
	ds_read_b128 v[36:39], v2 offset:1424
	v_mul_f64 v[6:7], v[18:19], v[34:35]
	v_fma_f64 v[6:7], v[16:17], v[32:33], -v[6:7]
	v_add_f64 v[4:5], v[4:5], v[6:7]
	s_waitcnt lgkmcnt(0)
	v_mul_f64 v[46:47], v[36:37], v[42:43]
	v_fmac_f64_e32 v[46:47], v[38:39], v[40:41]
	v_add_f64 v[52:53], v[44:45], v[46:47]
	ds_read_b128 v[44:47], v2 offset:1440
	v_mul_f64 v[6:7], v[38:39], v[42:43]
	v_fma_f64 v[6:7], v[36:37], v[40:41], -v[6:7]
	v_add_f64 v[4:5], v[4:5], v[6:7]
	s_waitcnt lgkmcnt(0)
	;; [unrolled: 8-line block ×3, first 2 shown]
	v_mul_f64 v[6:7], v[54:55], v[58:59]
	v_fma_f64 v[6:7], v[52:53], v[56:57], -v[6:7]
	v_add_f64 v[8:9], v[4:5], v[6:7]
	scratch_load_dwordx4 v[4:7], off, off offset:624
	v_mul_f64 v[62:63], v[52:53], v[58:59]
	v_fmac_f64_e32 v[62:63], v[54:55], v[56:57]
	v_add_f64 v[60:61], v[60:61], v[62:63]
	s_waitcnt vmcnt(0)
	v_add_f64 v[4:5], v[4:5], -v[8:9]
	v_add_f64 v[6:7], v[6:7], -v[60:61]
	scratch_store_dwordx4 off, v[4:7], off offset:624
	s_and_saveexec_b64 s[0:1], vcc
	s_cbranch_execz .LBB45_215
; %bb.214:
	scratch_load_dwordx4 v[6:9], off, s57
	v_mov_b32_e32 v3, v2
	v_mov_b32_e32 v4, v2
	;; [unrolled: 1-line block ×3, first 2 shown]
	v_accvgpr_read_b32 v0, a93
	scratch_store_dwordx4 off, v[2:5], off offset:608
	s_waitcnt vmcnt(1)
	ds_write_b128 v0, v[6:9]
.LBB45_215:
	s_or_b64 exec, exec, s[0:1]
	s_waitcnt lgkmcnt(0)
	; wave barrier
	ds_read_b128 v[4:7], v2 offset:1344
	ds_read_b128 v[8:11], v2 offset:1360
	;; [unrolled: 1-line block ×4, first 2 shown]
	scratch_load_dwordx4 v[20:23], off, off offset:624
	scratch_load_dwordx4 v[40:43], off, off offset:688
	v_cmp_lt_u32_e32 vcc, 36, v248
	scratch_load_dwordx4 v[48:51], off, off offset:704
	scratch_load_dwordx4 v[56:59], off, off offset:720
	;; [unrolled: 1-line block ×3, first 2 shown]
	s_waitcnt vmcnt(4) lgkmcnt(3)
	v_mul_f64 v[24:25], v[4:5], v[22:23]
	v_fmac_f64_e32 v[24:25], v[6:7], v[20:21]
	v_add_f64 v[28:29], v[24:25], 0
	scratch_load_dwordx4 v[24:27], off, off offset:640
	s_waitcnt vmcnt(0) lgkmcnt(2)
	v_mul_f64 v[30:31], v[8:9], v[26:27]
	v_fmac_f64_e32 v[30:31], v[10:11], v[24:25]
	v_add_f64 v[32:33], v[28:29], v[30:31]
	scratch_load_dwordx4 v[28:31], off, off offset:656
	;; [unrolled: 5-line block ×3, first 2 shown]
	s_waitcnt vmcnt(0) lgkmcnt(0)
	v_mul_f64 v[38:39], v[16:17], v[34:35]
	v_fmac_f64_e32 v[38:39], v[18:19], v[32:33]
	v_add_f64 v[44:45], v[36:37], v[38:39]
	ds_read_b128 v[36:39], v2 offset:1408
	s_waitcnt lgkmcnt(0)
	v_mul_f64 v[46:47], v[36:37], v[42:43]
	v_fmac_f64_e32 v[46:47], v[38:39], v[40:41]
	v_add_f64 v[52:53], v[44:45], v[46:47]
	ds_read_b128 v[44:47], v2 offset:1424
	s_waitcnt lgkmcnt(0)
	;; [unrolled: 5-line block ×4, first 2 shown]
	v_mul_f64 v[2:3], v[60:61], v[66:67]
	v_fmac_f64_e32 v[2:3], v[62:63], v[64:65]
	v_add_f64 v[68:69], v[68:69], v[2:3]
	v_mul_f64 v[2:3], v[6:7], v[22:23]
	v_fma_f64 v[2:3], v[4:5], v[20:21], -v[2:3]
	v_mul_f64 v[4:5], v[10:11], v[26:27]
	v_add_f64 v[2:3], v[2:3], 0
	v_fma_f64 v[4:5], v[8:9], v[24:25], -v[4:5]
	v_add_f64 v[2:3], v[2:3], v[4:5]
	v_mul_f64 v[4:5], v[14:15], v[30:31]
	v_fma_f64 v[4:5], v[12:13], v[28:29], -v[4:5]
	v_add_f64 v[2:3], v[2:3], v[4:5]
	v_mul_f64 v[4:5], v[18:19], v[34:35]
	;; [unrolled: 3-line block ×6, first 2 shown]
	v_fma_f64 v[4:5], v[60:61], v[64:65], -v[4:5]
	v_add_f64 v[6:7], v[2:3], v[4:5]
	scratch_load_dwordx4 v[2:5], off, off offset:608
	s_waitcnt vmcnt(0)
	v_add_f64 v[2:3], v[2:3], -v[6:7]
	v_add_f64 v[4:5], v[4:5], -v[68:69]
	scratch_store_dwordx4 off, v[2:5], off offset:608
	s_and_saveexec_b64 s[0:1], vcc
	s_cbranch_execz .LBB45_217
; %bb.216:
	scratch_load_dwordx4 v[2:5], off, s56
	v_mov_b32_e32 v6, 0
	v_mov_b32_e32 v7, v6
	;; [unrolled: 1-line block ×4, first 2 shown]
	v_accvgpr_read_b32 v0, a93
	scratch_store_dwordx4 off, v[6:9], off offset:592
	s_waitcnt vmcnt(1)
	ds_write_b128 v0, v[2:5]
.LBB45_217:
	s_or_b64 exec, exec, s[0:1]
	s_waitcnt lgkmcnt(0)
	; wave barrier
	scratch_load_dwordx4 v[4:7], off, off offset:608
	scratch_load_dwordx4 v[8:11], off, off offset:624
	scratch_load_dwordx4 v[12:15], off, off offset:640
	scratch_load_dwordx4 v[16:19], off, off offset:656
	scratch_load_dwordx4 v[20:23], off, off offset:672
	scratch_load_dwordx4 v[24:27], off, off offset:688
	scratch_load_dwordx4 v[28:31], off, off offset:704
	scratch_load_dwordx4 v[32:35], off, off offset:720
	scratch_load_dwordx4 v[36:39], off, off offset:736
	scratch_load_dwordx4 v[40:43], off, off offset:592
	v_mov_b32_e32 v2, 0
	ds_read_b128 v[44:47], v2 offset:1328
	ds_read_b128 v[48:51], v2 offset:1344
	;; [unrolled: 1-line block ×9, first 2 shown]
	v_cmp_lt_u32_e32 vcc, 35, v248
	s_waitcnt vmcnt(9) lgkmcnt(8)
	v_mul_f64 v[80:81], v[44:45], v[6:7]
	v_mul_f64 v[6:7], v[46:47], v[6:7]
	s_waitcnt vmcnt(8) lgkmcnt(7)
	v_mul_f64 v[82:83], v[48:49], v[10:11]
	s_waitcnt vmcnt(7) lgkmcnt(6)
	;; [unrolled: 2-line block ×3, first 2 shown]
	v_mul_f64 v[88:89], v[60:61], v[22:23]
	v_mul_f64 v[10:11], v[50:51], v[10:11]
	;; [unrolled: 1-line block ×4, first 2 shown]
	v_fmac_f64_e32 v[80:81], v[46:47], v[4:5]
	v_fma_f64 v[4:5], v[44:45], v[4:5], -v[6:7]
	v_fmac_f64_e32 v[82:83], v[50:51], v[8:9]
	v_fmac_f64_e32 v[84:85], v[54:55], v[12:13]
	v_fma_f64 v[6:7], v[48:49], v[8:9], -v[10:11]
	v_fma_f64 v[8:9], v[52:53], v[12:13], -v[14:15]
	;; [unrolled: 1-line block ×3, first 2 shown]
	v_add_f64 v[22:23], v[80:81], 0
	v_add_f64 v[4:5], v[4:5], 0
	v_mul_f64 v[86:87], v[56:57], v[18:19]
	v_mul_f64 v[18:19], v[58:59], v[18:19]
	v_add_f64 v[22:23], v[22:23], v[82:83]
	v_add_f64 v[4:5], v[4:5], v[6:7]
	v_fmac_f64_e32 v[86:87], v[58:59], v[16:17]
	v_fma_f64 v[10:11], v[56:57], v[16:17], -v[18:19]
	v_add_f64 v[6:7], v[22:23], v[84:85]
	v_add_f64 v[4:5], v[4:5], v[8:9]
	s_waitcnt vmcnt(4) lgkmcnt(3)
	v_mul_f64 v[90:91], v[64:65], v[26:27]
	v_mul_f64 v[26:27], v[66:67], v[26:27]
	v_fmac_f64_e32 v[88:89], v[62:63], v[20:21]
	v_add_f64 v[6:7], v[6:7], v[86:87]
	v_add_f64 v[4:5], v[4:5], v[10:11]
	s_waitcnt vmcnt(3) lgkmcnt(2)
	v_mul_f64 v[92:93], v[68:69], v[30:31]
	v_mul_f64 v[30:31], v[70:71], v[30:31]
	v_fmac_f64_e32 v[90:91], v[66:67], v[24:25]
	v_fma_f64 v[14:15], v[64:65], v[24:25], -v[26:27]
	v_add_f64 v[6:7], v[6:7], v[88:89]
	v_add_f64 v[4:5], v[4:5], v[12:13]
	s_waitcnt vmcnt(2) lgkmcnt(1)
	v_mul_f64 v[94:95], v[72:73], v[34:35]
	v_mul_f64 v[34:35], v[74:75], v[34:35]
	v_fmac_f64_e32 v[92:93], v[70:71], v[28:29]
	v_fma_f64 v[16:17], v[68:69], v[28:29], -v[30:31]
	v_add_f64 v[6:7], v[6:7], v[90:91]
	v_add_f64 v[4:5], v[4:5], v[14:15]
	s_waitcnt vmcnt(1) lgkmcnt(0)
	v_mul_f64 v[96:97], v[76:77], v[38:39]
	v_mul_f64 v[38:39], v[78:79], v[38:39]
	v_fmac_f64_e32 v[94:95], v[74:75], v[32:33]
	v_fma_f64 v[18:19], v[72:73], v[32:33], -v[34:35]
	v_add_f64 v[6:7], v[6:7], v[92:93]
	v_add_f64 v[4:5], v[4:5], v[16:17]
	v_fmac_f64_e32 v[96:97], v[78:79], v[36:37]
	v_fma_f64 v[20:21], v[76:77], v[36:37], -v[38:39]
	v_add_f64 v[6:7], v[6:7], v[94:95]
	v_add_f64 v[4:5], v[4:5], v[18:19]
	;; [unrolled: 1-line block ×4, first 2 shown]
	s_waitcnt vmcnt(0)
	v_add_f64 v[4:5], v[40:41], -v[4:5]
	v_add_f64 v[6:7], v[42:43], -v[6:7]
	scratch_store_dwordx4 off, v[4:7], off offset:592
	s_and_saveexec_b64 s[0:1], vcc
	s_cbranch_execz .LBB45_219
; %bb.218:
	scratch_load_dwordx4 v[6:9], off, s55
	v_mov_b32_e32 v3, v2
	v_mov_b32_e32 v4, v2
	;; [unrolled: 1-line block ×3, first 2 shown]
	v_accvgpr_read_b32 v0, a93
	scratch_store_dwordx4 off, v[2:5], off offset:576
	s_waitcnt vmcnt(1)
	ds_write_b128 v0, v[6:9]
.LBB45_219:
	s_or_b64 exec, exec, s[0:1]
	s_waitcnt lgkmcnt(0)
	; wave barrier
	scratch_load_dwordx4 v[4:7], off, off offset:592
	scratch_load_dwordx4 v[8:11], off, off offset:608
	;; [unrolled: 1-line block ×11, first 2 shown]
	ds_read_b128 v[48:51], v2 offset:1312
	ds_read_b128 v[52:55], v2 offset:1328
	;; [unrolled: 1-line block ×10, first 2 shown]
	v_cmp_lt_u32_e32 vcc, 34, v248
	s_waitcnt vmcnt(10) lgkmcnt(9)
	v_mul_f64 v[2:3], v[48:49], v[6:7]
	v_mul_f64 v[6:7], v[50:51], v[6:7]
	s_waitcnt vmcnt(9) lgkmcnt(8)
	v_mul_f64 v[88:89], v[52:53], v[10:11]
	v_mul_f64 v[10:11], v[54:55], v[10:11]
	v_fmac_f64_e32 v[2:3], v[50:51], v[4:5]
	v_fma_f64 v[4:5], v[48:49], v[4:5], -v[6:7]
	s_waitcnt vmcnt(8) lgkmcnt(7)
	v_mul_f64 v[90:91], v[56:57], v[14:15]
	v_mul_f64 v[14:15], v[58:59], v[14:15]
	v_fmac_f64_e32 v[88:89], v[54:55], v[8:9]
	v_fma_f64 v[6:7], v[52:53], v[8:9], -v[10:11]
	v_add_f64 v[2:3], v[2:3], 0
	v_add_f64 v[4:5], v[4:5], 0
	s_waitcnt vmcnt(7) lgkmcnt(6)
	v_mul_f64 v[92:93], v[60:61], v[18:19]
	v_mul_f64 v[18:19], v[62:63], v[18:19]
	v_fmac_f64_e32 v[90:91], v[58:59], v[12:13]
	v_fma_f64 v[8:9], v[56:57], v[12:13], -v[14:15]
	v_add_f64 v[2:3], v[2:3], v[88:89]
	v_add_f64 v[4:5], v[4:5], v[6:7]
	;; [unrolled: 7-line block ×8, first 2 shown]
	v_fmac_f64_e32 v[104:105], v[86:87], v[40:41]
	v_fma_f64 v[22:23], v[84:85], v[40:41], -v[42:43]
	v_add_f64 v[2:3], v[2:3], v[102:103]
	v_add_f64 v[4:5], v[4:5], v[20:21]
	;; [unrolled: 1-line block ×4, first 2 shown]
	s_waitcnt vmcnt(0)
	v_add_f64 v[2:3], v[44:45], -v[2:3]
	v_add_f64 v[4:5], v[46:47], -v[6:7]
	scratch_store_dwordx4 off, v[2:5], off offset:576
	s_and_saveexec_b64 s[0:1], vcc
	s_cbranch_execz .LBB45_221
; %bb.220:
	scratch_load_dwordx4 v[2:5], off, s54
	v_mov_b32_e32 v6, 0
	v_mov_b32_e32 v7, v6
	;; [unrolled: 1-line block ×4, first 2 shown]
	v_accvgpr_read_b32 v0, a93
	scratch_store_dwordx4 off, v[6:9], off offset:560
	s_waitcnt vmcnt(1)
	ds_write_b128 v0, v[2:5]
.LBB45_221:
	s_or_b64 exec, exec, s[0:1]
	s_waitcnt lgkmcnt(0)
	; wave barrier
	scratch_load_dwordx4 v[4:7], off, off offset:576
	scratch_load_dwordx4 v[8:11], off, off offset:592
	;; [unrolled: 1-line block ×12, first 2 shown]
	v_mov_b32_e32 v2, 0
	ds_read_b128 v[52:55], v2 offset:1296
	ds_read_b128 v[56:59], v2 offset:1312
	;; [unrolled: 1-line block ×11, first 2 shown]
	v_cmp_lt_u32_e32 vcc, 33, v248
	s_waitcnt vmcnt(11) lgkmcnt(10)
	v_mul_f64 v[96:97], v[52:53], v[6:7]
	v_mul_f64 v[6:7], v[54:55], v[6:7]
	s_waitcnt vmcnt(10) lgkmcnt(9)
	v_mul_f64 v[98:99], v[56:57], v[10:11]
	s_waitcnt vmcnt(9) lgkmcnt(8)
	v_mul_f64 v[100:101], v[60:61], v[14:15]
	v_mul_f64 v[10:11], v[58:59], v[10:11]
	s_waitcnt vmcnt(6) lgkmcnt(5)
	v_mul_f64 v[106:107], v[72:73], v[26:27]
	v_mul_f64 v[14:15], v[62:63], v[14:15]
	;; [unrolled: 1-line block ×3, first 2 shown]
	v_fmac_f64_e32 v[96:97], v[54:55], v[4:5]
	v_fma_f64 v[4:5], v[52:53], v[4:5], -v[6:7]
	v_fmac_f64_e32 v[98:99], v[58:59], v[8:9]
	v_fma_f64 v[6:7], v[56:57], v[8:9], -v[10:11]
	v_fma_f64 v[8:9], v[60:61], v[12:13], -v[14:15]
	;; [unrolled: 1-line block ×3, first 2 shown]
	v_add_f64 v[26:27], v[96:97], 0
	v_add_f64 v[4:5], v[4:5], 0
	v_mul_f64 v[102:103], v[64:65], v[18:19]
	v_mul_f64 v[18:19], v[66:67], v[18:19]
	v_fmac_f64_e32 v[100:101], v[62:63], v[12:13]
	v_add_f64 v[26:27], v[26:27], v[98:99]
	v_add_f64 v[4:5], v[4:5], v[6:7]
	v_mul_f64 v[104:105], v[68:69], v[22:23]
	v_mul_f64 v[22:23], v[70:71], v[22:23]
	v_fmac_f64_e32 v[102:103], v[66:67], v[16:17]
	v_fma_f64 v[10:11], v[64:65], v[16:17], -v[18:19]
	v_add_f64 v[6:7], v[26:27], v[100:101]
	v_add_f64 v[4:5], v[4:5], v[8:9]
	v_fmac_f64_e32 v[104:105], v[70:71], v[20:21]
	v_fma_f64 v[12:13], v[68:69], v[20:21], -v[22:23]
	v_add_f64 v[6:7], v[6:7], v[102:103]
	v_add_f64 v[4:5], v[4:5], v[10:11]
	s_waitcnt vmcnt(5) lgkmcnt(4)
	v_mul_f64 v[108:109], v[76:77], v[30:31]
	v_mul_f64 v[30:31], v[78:79], v[30:31]
	v_fmac_f64_e32 v[106:107], v[74:75], v[24:25]
	v_add_f64 v[6:7], v[6:7], v[104:105]
	v_add_f64 v[4:5], v[4:5], v[12:13]
	s_waitcnt vmcnt(4) lgkmcnt(3)
	v_mul_f64 v[110:111], v[80:81], v[34:35]
	v_mul_f64 v[34:35], v[82:83], v[34:35]
	v_fmac_f64_e32 v[108:109], v[78:79], v[28:29]
	v_fma_f64 v[16:17], v[76:77], v[28:29], -v[30:31]
	v_add_f64 v[6:7], v[6:7], v[106:107]
	v_add_f64 v[4:5], v[4:5], v[14:15]
	s_waitcnt vmcnt(3) lgkmcnt(2)
	v_mul_f64 v[112:113], v[84:85], v[38:39]
	v_mul_f64 v[38:39], v[86:87], v[38:39]
	v_fmac_f64_e32 v[110:111], v[82:83], v[32:33]
	v_fma_f64 v[18:19], v[80:81], v[32:33], -v[34:35]
	;; [unrolled: 7-line block ×4, first 2 shown]
	v_add_f64 v[6:7], v[6:7], v[112:113]
	v_add_f64 v[4:5], v[4:5], v[20:21]
	v_fmac_f64_e32 v[116:117], v[94:95], v[44:45]
	v_fma_f64 v[24:25], v[92:93], v[44:45], -v[46:47]
	v_add_f64 v[6:7], v[6:7], v[114:115]
	v_add_f64 v[4:5], v[4:5], v[22:23]
	;; [unrolled: 1-line block ×4, first 2 shown]
	s_waitcnt vmcnt(0)
	v_add_f64 v[4:5], v[48:49], -v[4:5]
	v_add_f64 v[6:7], v[50:51], -v[6:7]
	scratch_store_dwordx4 off, v[4:7], off offset:560
	s_and_saveexec_b64 s[0:1], vcc
	s_cbranch_execz .LBB45_223
; %bb.222:
	scratch_load_dwordx4 v[6:9], off, s53
	v_mov_b32_e32 v3, v2
	v_mov_b32_e32 v4, v2
	;; [unrolled: 1-line block ×3, first 2 shown]
	v_accvgpr_read_b32 v0, a93
	scratch_store_dwordx4 off, v[2:5], off offset:544
	s_waitcnt vmcnt(1)
	ds_write_b128 v0, v[6:9]
.LBB45_223:
	s_or_b64 exec, exec, s[0:1]
	s_waitcnt lgkmcnt(0)
	; wave barrier
	scratch_load_dwordx4 v[4:7], off, off offset:560
	scratch_load_dwordx4 v[8:11], off, off offset:576
	;; [unrolled: 1-line block ×12, first 2 shown]
	ds_read_b128 v[52:55], v2 offset:1280
	ds_read_b128 v[56:59], v2 offset:1296
	;; [unrolled: 1-line block ×4, first 2 shown]
	scratch_load_dwordx4 v[68:71], off, off offset:544
	ds_read_b128 v[72:75], v2 offset:1344
	ds_read_b128 v[76:79], v2 offset:1360
	;; [unrolled: 1-line block ×8, first 2 shown]
	v_cmp_lt_u32_e32 vcc, 32, v248
	s_waitcnt vmcnt(12) lgkmcnt(11)
	v_mul_f64 v[2:3], v[52:53], v[6:7]
	s_waitcnt vmcnt(11) lgkmcnt(10)
	v_mul_f64 v[104:105], v[56:57], v[10:11]
	v_fmac_f64_e32 v[2:3], v[54:55], v[4:5]
	s_waitcnt vmcnt(10) lgkmcnt(9)
	v_mul_f64 v[106:107], v[60:61], v[14:15]
	v_mul_f64 v[6:7], v[54:55], v[6:7]
	v_fmac_f64_e32 v[104:105], v[58:59], v[8:9]
	v_add_f64 v[2:3], v[2:3], 0
	s_waitcnt vmcnt(9) lgkmcnt(8)
	v_mul_f64 v[108:109], v[64:65], v[18:19]
	v_mul_f64 v[10:11], v[58:59], v[10:11]
	v_fmac_f64_e32 v[106:107], v[62:63], v[12:13]
	v_fma_f64 v[4:5], v[52:53], v[4:5], -v[6:7]
	v_add_f64 v[2:3], v[2:3], v[104:105]
	s_waitcnt vmcnt(8) lgkmcnt(7)
	v_mul_f64 v[110:111], v[72:73], v[22:23]
	v_mul_f64 v[14:15], v[62:63], v[14:15]
	v_fmac_f64_e32 v[108:109], v[66:67], v[16:17]
	v_fma_f64 v[6:7], v[56:57], v[8:9], -v[10:11]
	v_add_f64 v[4:5], v[4:5], 0
	v_add_f64 v[2:3], v[2:3], v[106:107]
	s_waitcnt vmcnt(7) lgkmcnt(6)
	v_mul_f64 v[112:113], v[76:77], v[26:27]
	v_mul_f64 v[18:19], v[66:67], v[18:19]
	v_fmac_f64_e32 v[110:111], v[74:75], v[20:21]
	v_fma_f64 v[8:9], v[60:61], v[12:13], -v[14:15]
	v_add_f64 v[4:5], v[4:5], v[6:7]
	;; [unrolled: 7-line block ×8, first 2 shown]
	v_add_f64 v[2:3], v[2:3], v[120:121]
	v_mul_f64 v[46:47], v[98:99], v[46:47]
	v_fmac_f64_e32 v[124:125], v[102:103], v[48:49]
	v_fma_f64 v[22:23], v[92:93], v[40:41], -v[42:43]
	v_add_f64 v[4:5], v[4:5], v[20:21]
	v_add_f64 v[2:3], v[2:3], v[122:123]
	;; [unrolled: 1-line block ×4, first 2 shown]
	v_fma_f64 v[2:3], v[96:97], v[44:45], -v[46:47]
	v_add_f64 v[2:3], v[4:5], v[2:3]
	v_mul_f64 v[4:5], v[102:103], v[50:51]
	v_fma_f64 v[4:5], v[100:101], v[48:49], -v[4:5]
	v_add_f64 v[2:3], v[2:3], v[4:5]
	s_waitcnt vmcnt(0)
	v_add_f64 v[2:3], v[68:69], -v[2:3]
	v_add_f64 v[4:5], v[70:71], -v[6:7]
	scratch_store_dwordx4 off, v[2:5], off offset:544
	s_and_saveexec_b64 s[0:1], vcc
	s_cbranch_execz .LBB45_225
; %bb.224:
	scratch_load_dwordx4 v[2:5], off, s52
	v_mov_b32_e32 v6, 0
	v_mov_b32_e32 v7, v6
	;; [unrolled: 1-line block ×4, first 2 shown]
	v_accvgpr_read_b32 v0, a93
	scratch_store_dwordx4 off, v[6:9], off offset:528
	s_waitcnt vmcnt(1)
	ds_write_b128 v0, v[2:5]
.LBB45_225:
	s_or_b64 exec, exec, s[0:1]
	s_waitcnt lgkmcnt(0)
	; wave barrier
	scratch_load_dwordx4 v[4:7], off, off offset:544
	scratch_load_dwordx4 v[8:11], off, off offset:560
	;; [unrolled: 1-line block ×14, first 2 shown]
	v_mov_b32_e32 v2, 0
	ds_read_b128 v[60:63], v2 offset:1264
	ds_read_b128 v[64:67], v2 offset:1280
	;; [unrolled: 1-line block ×13, first 2 shown]
	v_cmp_lt_u32_e32 vcc, 31, v248
	s_waitcnt vmcnt(13) lgkmcnt(12)
	v_mul_f64 v[112:113], v[60:61], v[6:7]
	v_mul_f64 v[6:7], v[62:63], v[6:7]
	s_waitcnt vmcnt(12) lgkmcnt(11)
	v_mul_f64 v[114:115], v[64:65], v[10:11]
	v_mul_f64 v[10:11], v[66:67], v[10:11]
	v_fmac_f64_e32 v[112:113], v[62:63], v[4:5]
	v_fma_f64 v[4:5], v[60:61], v[4:5], -v[6:7]
	s_waitcnt vmcnt(11) lgkmcnt(10)
	v_mul_f64 v[116:117], v[68:69], v[14:15]
	v_mul_f64 v[14:15], v[70:71], v[14:15]
	v_fma_f64 v[6:7], v[64:65], v[8:9], -v[10:11]
	v_add_f64 v[4:5], v[4:5], 0
	s_waitcnt vmcnt(10) lgkmcnt(9)
	v_mul_f64 v[118:119], v[72:73], v[18:19]
	v_mul_f64 v[18:19], v[74:75], v[18:19]
	v_fmac_f64_e32 v[114:115], v[66:67], v[8:9]
	v_fma_f64 v[8:9], v[68:69], v[12:13], -v[14:15]
	v_add_f64 v[4:5], v[4:5], v[6:7]
	s_waitcnt vmcnt(9) lgkmcnt(8)
	v_mul_f64 v[120:121], v[76:77], v[22:23]
	v_mul_f64 v[22:23], v[78:79], v[22:23]
	v_fma_f64 v[10:11], v[72:73], v[16:17], -v[18:19]
	v_add_f64 v[4:5], v[4:5], v[8:9]
	s_waitcnt vmcnt(8) lgkmcnt(7)
	v_mul_f64 v[122:123], v[80:81], v[26:27]
	v_mul_f64 v[26:27], v[82:83], v[26:27]
	v_fmac_f64_e32 v[116:117], v[70:71], v[12:13]
	v_fma_f64 v[12:13], v[76:77], v[20:21], -v[22:23]
	v_add_f64 v[22:23], v[112:113], 0
	v_add_f64 v[4:5], v[4:5], v[10:11]
	s_waitcnt vmcnt(7) lgkmcnt(6)
	v_mul_f64 v[124:125], v[84:85], v[30:31]
	v_mul_f64 v[30:31], v[86:87], v[30:31]
	v_fma_f64 v[14:15], v[80:81], v[24:25], -v[26:27]
	v_add_f64 v[22:23], v[22:23], v[114:115]
	v_add_f64 v[4:5], v[4:5], v[12:13]
	s_waitcnt vmcnt(6) lgkmcnt(5)
	v_mul_f64 v[126:127], v[88:89], v[34:35]
	v_mul_f64 v[34:35], v[90:91], v[34:35]
	v_fmac_f64_e32 v[118:119], v[74:75], v[16:17]
	v_fma_f64 v[16:17], v[84:85], v[28:29], -v[30:31]
	v_add_f64 v[6:7], v[22:23], v[116:117]
	v_add_f64 v[4:5], v[4:5], v[14:15]
	s_waitcnt vmcnt(5) lgkmcnt(4)
	v_mul_f64 v[128:129], v[92:93], v[38:39]
	v_mul_f64 v[38:39], v[94:95], v[38:39]
	v_fmac_f64_e32 v[120:121], v[78:79], v[20:21]
	v_fma_f64 v[18:19], v[88:89], v[32:33], -v[34:35]
	v_add_f64 v[6:7], v[6:7], v[118:119]
	v_add_f64 v[4:5], v[4:5], v[16:17]
	v_fmac_f64_e32 v[122:123], v[82:83], v[24:25]
	v_fma_f64 v[20:21], v[92:93], v[36:37], -v[38:39]
	v_add_f64 v[6:7], v[6:7], v[120:121]
	v_add_f64 v[4:5], v[4:5], v[18:19]
	s_waitcnt vmcnt(4) lgkmcnt(3)
	v_mul_f64 v[8:9], v[98:99], v[42:43]
	v_fmac_f64_e32 v[124:125], v[86:87], v[28:29]
	v_add_f64 v[6:7], v[6:7], v[122:123]
	v_add_f64 v[4:5], v[4:5], v[20:21]
	v_fma_f64 v[8:9], v[96:97], v[40:41], -v[8:9]
	v_fmac_f64_e32 v[126:127], v[90:91], v[32:33]
	v_add_f64 v[6:7], v[6:7], v[124:125]
	v_add_f64 v[4:5], v[4:5], v[8:9]
	s_waitcnt vmcnt(3) lgkmcnt(2)
	v_mul_f64 v[8:9], v[102:103], v[46:47]
	v_mul_f64 v[130:131], v[96:97], v[42:43]
	v_fmac_f64_e32 v[128:129], v[94:95], v[36:37]
	v_add_f64 v[6:7], v[6:7], v[126:127]
	v_fma_f64 v[8:9], v[100:101], v[44:45], -v[8:9]
	v_mul_f64 v[132:133], v[100:101], v[46:47]
	v_fmac_f64_e32 v[130:131], v[98:99], v[40:41]
	v_add_f64 v[6:7], v[6:7], v[128:129]
	v_add_f64 v[4:5], v[4:5], v[8:9]
	s_waitcnt vmcnt(2) lgkmcnt(1)
	v_mul_f64 v[8:9], v[106:107], v[50:51]
	v_mul_f64 v[134:135], v[104:105], v[50:51]
	v_fmac_f64_e32 v[132:133], v[102:103], v[44:45]
	v_add_f64 v[6:7], v[6:7], v[130:131]
	v_fma_f64 v[8:9], v[104:105], v[48:49], -v[8:9]
	s_waitcnt vmcnt(1) lgkmcnt(0)
	v_mul_f64 v[136:137], v[108:109], v[54:55]
	v_fmac_f64_e32 v[134:135], v[106:107], v[48:49]
	v_add_f64 v[6:7], v[6:7], v[132:133]
	v_add_f64 v[4:5], v[4:5], v[8:9]
	v_mul_f64 v[8:9], v[110:111], v[54:55]
	v_fmac_f64_e32 v[136:137], v[110:111], v[52:53]
	v_add_f64 v[6:7], v[6:7], v[134:135]
	v_fma_f64 v[8:9], v[108:109], v[52:53], -v[8:9]
	v_add_f64 v[6:7], v[6:7], v[136:137]
	v_add_f64 v[4:5], v[4:5], v[8:9]
	s_waitcnt vmcnt(0)
	v_add_f64 v[4:5], v[56:57], -v[4:5]
	v_add_f64 v[6:7], v[58:59], -v[6:7]
	scratch_store_dwordx4 off, v[4:7], off offset:528
	s_and_saveexec_b64 s[0:1], vcc
	s_cbranch_execz .LBB45_227
; %bb.226:
	scratch_load_dwordx4 v[6:9], off, s51
	v_mov_b32_e32 v3, v2
	v_mov_b32_e32 v4, v2
	;; [unrolled: 1-line block ×3, first 2 shown]
	v_accvgpr_read_b32 v0, a93
	scratch_store_dwordx4 off, v[2:5], off offset:512
	s_waitcnt vmcnt(1)
	ds_write_b128 v0, v[6:9]
.LBB45_227:
	s_or_b64 exec, exec, s[0:1]
	s_waitcnt lgkmcnt(0)
	; wave barrier
	scratch_load_dwordx4 v[4:7], off, off offset:528
	scratch_load_dwordx4 v[8:11], off, off offset:544
	;; [unrolled: 1-line block ×14, first 2 shown]
	ds_read_b128 v[60:63], v2 offset:1248
	ds_read_b128 v[64:67], v2 offset:1264
	;; [unrolled: 1-line block ×14, first 2 shown]
	scratch_load_dwordx4 v[116:119], off, off offset:512
	v_cmp_lt_u32_e32 vcc, 30, v248
	s_waitcnt vmcnt(14) lgkmcnt(13)
	v_mul_f64 v[2:3], v[60:61], v[6:7]
	s_waitcnt vmcnt(13) lgkmcnt(12)
	v_mul_f64 v[120:121], v[64:65], v[10:11]
	v_fmac_f64_e32 v[2:3], v[62:63], v[4:5]
	s_waitcnt vmcnt(12) lgkmcnt(11)
	v_mul_f64 v[122:123], v[68:69], v[14:15]
	v_fmac_f64_e32 v[120:121], v[66:67], v[8:9]
	v_add_f64 v[2:3], v[2:3], 0
	s_waitcnt vmcnt(11) lgkmcnt(10)
	v_mul_f64 v[124:125], v[72:73], v[18:19]
	v_fmac_f64_e32 v[122:123], v[70:71], v[12:13]
	v_add_f64 v[2:3], v[2:3], v[120:121]
	;; [unrolled: 4-line block ×4, first 2 shown]
	s_waitcnt vmcnt(8) lgkmcnt(7)
	v_mul_f64 v[130:131], v[84:85], v[30:31]
	v_mul_f64 v[6:7], v[62:63], v[6:7]
	v_fmac_f64_e32 v[128:129], v[82:83], v[24:25]
	v_add_f64 v[2:3], v[2:3], v[126:127]
	s_waitcnt vmcnt(7) lgkmcnt(6)
	v_mul_f64 v[132:133], v[88:89], v[34:35]
	v_mul_f64 v[10:11], v[66:67], v[10:11]
	v_fmac_f64_e32 v[130:131], v[86:87], v[28:29]
	v_fma_f64 v[4:5], v[60:61], v[4:5], -v[6:7]
	v_add_f64 v[2:3], v[2:3], v[128:129]
	s_waitcnt vmcnt(6) lgkmcnt(5)
	v_mul_f64 v[134:135], v[92:93], v[38:39]
	v_mul_f64 v[14:15], v[70:71], v[14:15]
	v_fmac_f64_e32 v[132:133], v[90:91], v[32:33]
	v_fma_f64 v[6:7], v[64:65], v[8:9], -v[10:11]
	v_add_f64 v[4:5], v[4:5], 0
	v_add_f64 v[2:3], v[2:3], v[130:131]
	s_waitcnt vmcnt(5) lgkmcnt(4)
	v_mul_f64 v[136:137], v[96:97], v[42:43]
	v_mul_f64 v[18:19], v[74:75], v[18:19]
	v_fmac_f64_e32 v[134:135], v[94:95], v[36:37]
	v_fma_f64 v[8:9], v[68:69], v[12:13], -v[14:15]
	v_add_f64 v[4:5], v[4:5], v[6:7]
	v_add_f64 v[2:3], v[2:3], v[132:133]
	s_waitcnt vmcnt(4) lgkmcnt(3)
	v_mul_f64 v[138:139], v[100:101], v[46:47]
	v_mul_f64 v[22:23], v[78:79], v[22:23]
	v_fmac_f64_e32 v[136:137], v[98:99], v[40:41]
	v_fma_f64 v[10:11], v[72:73], v[16:17], -v[18:19]
	v_add_f64 v[4:5], v[4:5], v[8:9]
	v_add_f64 v[2:3], v[2:3], v[134:135]
	s_waitcnt vmcnt(3) lgkmcnt(2)
	v_mul_f64 v[140:141], v[104:105], v[50:51]
	v_mul_f64 v[26:27], v[82:83], v[26:27]
	v_fmac_f64_e32 v[138:139], v[102:103], v[44:45]
	v_fma_f64 v[12:13], v[76:77], v[20:21], -v[22:23]
	v_add_f64 v[4:5], v[4:5], v[10:11]
	v_add_f64 v[2:3], v[2:3], v[136:137]
	s_waitcnt vmcnt(2) lgkmcnt(1)
	v_mul_f64 v[142:143], v[108:109], v[54:55]
	v_mul_f64 v[30:31], v[86:87], v[30:31]
	v_fmac_f64_e32 v[140:141], v[106:107], v[48:49]
	v_fma_f64 v[14:15], v[80:81], v[24:25], -v[26:27]
	v_add_f64 v[4:5], v[4:5], v[12:13]
	v_add_f64 v[2:3], v[2:3], v[138:139]
	s_waitcnt vmcnt(1) lgkmcnt(0)
	v_mul_f64 v[144:145], v[112:113], v[58:59]
	v_mul_f64 v[34:35], v[90:91], v[34:35]
	v_fmac_f64_e32 v[142:143], v[110:111], v[52:53]
	v_fma_f64 v[16:17], v[84:85], v[28:29], -v[30:31]
	v_add_f64 v[4:5], v[4:5], v[14:15]
	v_add_f64 v[2:3], v[2:3], v[140:141]
	v_fmac_f64_e32 v[144:145], v[114:115], v[56:57]
	v_fma_f64 v[18:19], v[88:89], v[32:33], -v[34:35]
	v_add_f64 v[4:5], v[4:5], v[16:17]
	v_add_f64 v[2:3], v[2:3], v[142:143]
	v_add_f64 v[6:7], v[2:3], v[144:145]
	v_add_f64 v[2:3], v[4:5], v[18:19]
	v_mul_f64 v[4:5], v[94:95], v[38:39]
	v_fma_f64 v[4:5], v[92:93], v[36:37], -v[4:5]
	v_add_f64 v[2:3], v[2:3], v[4:5]
	v_mul_f64 v[4:5], v[98:99], v[42:43]
	v_fma_f64 v[4:5], v[96:97], v[40:41], -v[4:5]
	v_add_f64 v[2:3], v[2:3], v[4:5]
	;; [unrolled: 3-line block ×6, first 2 shown]
	s_waitcnt vmcnt(0)
	v_add_f64 v[2:3], v[116:117], -v[2:3]
	v_add_f64 v[4:5], v[118:119], -v[6:7]
	scratch_store_dwordx4 off, v[2:5], off offset:512
	s_and_saveexec_b64 s[0:1], vcc
	s_cbranch_execz .LBB45_229
; %bb.228:
	scratch_load_dwordx4 v[2:5], off, s50
	v_mov_b32_e32 v6, 0
	v_mov_b32_e32 v7, v6
	;; [unrolled: 1-line block ×4, first 2 shown]
	v_accvgpr_read_b32 v0, a93
	scratch_store_dwordx4 off, v[6:9], off offset:496
	s_waitcnt vmcnt(1)
	ds_write_b128 v0, v[2:5]
.LBB45_229:
	s_or_b64 exec, exec, s[0:1]
	s_waitcnt lgkmcnt(0)
	; wave barrier
	scratch_load_dwordx4 v[4:7], off, off offset:512
	scratch_load_dwordx4 v[8:11], off, off offset:528
	;; [unrolled: 1-line block ×16, first 2 shown]
	v_mov_b32_e32 v2, 0
	ds_read_b128 v[68:71], v2 offset:1232
	ds_read_b128 v[72:75], v2 offset:1248
	ds_read_b128 v[76:79], v2 offset:1264
	ds_read_b128 v[80:83], v2 offset:1280
	ds_read_b128 v[84:87], v2 offset:1296
	ds_read_b128 v[88:91], v2 offset:1312
	ds_read_b128 v[92:95], v2 offset:1328
	ds_read_b128 v[96:99], v2 offset:1344
	ds_read_b128 v[100:103], v2 offset:1360
	ds_read_b128 v[104:107], v2 offset:1376
	ds_read_b128 v[108:111], v2 offset:1392
	ds_read_b128 v[112:115], v2 offset:1408
	ds_read_b128 v[116:119], v2 offset:1424
	ds_read_b128 v[120:123], v2 offset:1440
	ds_read_b128 v[124:127], v2 offset:1456
	v_cmp_lt_u32_e32 vcc, 29, v248
	s_waitcnt vmcnt(15) lgkmcnt(14)
	v_mul_f64 v[128:129], v[68:69], v[6:7]
	v_mul_f64 v[6:7], v[70:71], v[6:7]
	s_waitcnt vmcnt(14) lgkmcnt(13)
	v_mul_f64 v[130:131], v[72:73], v[10:11]
	v_mul_f64 v[10:11], v[74:75], v[10:11]
	v_fmac_f64_e32 v[128:129], v[70:71], v[4:5]
	v_fma_f64 v[4:5], v[68:69], v[4:5], -v[6:7]
	s_waitcnt vmcnt(13) lgkmcnt(12)
	v_mul_f64 v[132:133], v[76:77], v[14:15]
	v_mul_f64 v[14:15], v[78:79], v[14:15]
	v_fma_f64 v[6:7], v[72:73], v[8:9], -v[10:11]
	v_add_f64 v[4:5], v[4:5], 0
	s_waitcnt vmcnt(12) lgkmcnt(11)
	v_mul_f64 v[134:135], v[80:81], v[18:19]
	v_mul_f64 v[18:19], v[82:83], v[18:19]
	v_fmac_f64_e32 v[130:131], v[74:75], v[8:9]
	v_fma_f64 v[8:9], v[76:77], v[12:13], -v[14:15]
	v_add_f64 v[4:5], v[4:5], v[6:7]
	s_waitcnt vmcnt(11) lgkmcnt(10)
	v_mul_f64 v[136:137], v[84:85], v[22:23]
	v_mul_f64 v[22:23], v[86:87], v[22:23]
	v_fma_f64 v[10:11], v[80:81], v[16:17], -v[18:19]
	v_add_f64 v[4:5], v[4:5], v[8:9]
	s_waitcnt vmcnt(10) lgkmcnt(9)
	v_mul_f64 v[138:139], v[88:89], v[26:27]
	v_mul_f64 v[26:27], v[90:91], v[26:27]
	v_fmac_f64_e32 v[132:133], v[78:79], v[12:13]
	v_fma_f64 v[12:13], v[84:85], v[20:21], -v[22:23]
	v_add_f64 v[4:5], v[4:5], v[10:11]
	v_fma_f64 v[14:15], v[88:89], v[24:25], -v[26:27]
	v_add_f64 v[4:5], v[4:5], v[12:13]
	s_waitcnt vmcnt(9) lgkmcnt(8)
	v_mul_f64 v[8:9], v[94:95], v[30:31]
	v_add_f64 v[4:5], v[4:5], v[14:15]
	v_fma_f64 v[8:9], v[92:93], v[28:29], -v[8:9]
	v_add_f64 v[4:5], v[4:5], v[8:9]
	s_waitcnt vmcnt(8) lgkmcnt(7)
	v_mul_f64 v[8:9], v[98:99], v[34:35]
	v_fma_f64 v[8:9], v[96:97], v[32:33], -v[8:9]
	v_fmac_f64_e32 v[134:135], v[82:83], v[16:17]
	v_add_f64 v[16:17], v[128:129], 0
	v_add_f64 v[4:5], v[4:5], v[8:9]
	s_waitcnt vmcnt(7) lgkmcnt(6)
	v_mul_f64 v[8:9], v[102:103], v[38:39]
	v_add_f64 v[16:17], v[16:17], v[130:131]
	v_fma_f64 v[8:9], v[100:101], v[36:37], -v[8:9]
	v_add_f64 v[6:7], v[16:17], v[132:133]
	v_add_f64 v[4:5], v[4:5], v[8:9]
	s_waitcnt vmcnt(6) lgkmcnt(5)
	v_mul_f64 v[8:9], v[106:107], v[42:43]
	v_fmac_f64_e32 v[136:137], v[86:87], v[20:21]
	v_add_f64 v[6:7], v[6:7], v[134:135]
	v_fma_f64 v[8:9], v[104:105], v[40:41], -v[8:9]
	v_mul_f64 v[140:141], v[92:93], v[30:31]
	v_fmac_f64_e32 v[138:139], v[90:91], v[24:25]
	v_add_f64 v[6:7], v[6:7], v[136:137]
	v_add_f64 v[4:5], v[4:5], v[8:9]
	s_waitcnt vmcnt(5) lgkmcnt(4)
	v_mul_f64 v[8:9], v[110:111], v[46:47]
	v_mul_f64 v[142:143], v[96:97], v[34:35]
	v_fmac_f64_e32 v[140:141], v[94:95], v[28:29]
	v_add_f64 v[6:7], v[6:7], v[138:139]
	v_fma_f64 v[8:9], v[108:109], v[44:45], -v[8:9]
	v_mul_f64 v[144:145], v[100:101], v[38:39]
	v_fmac_f64_e32 v[142:143], v[98:99], v[32:33]
	v_add_f64 v[6:7], v[6:7], v[140:141]
	v_add_f64 v[4:5], v[4:5], v[8:9]
	s_waitcnt vmcnt(4) lgkmcnt(3)
	v_mul_f64 v[8:9], v[114:115], v[50:51]
	;; [unrolled: 10-line block ×4, first 2 shown]
	v_mul_f64 v[154:155], v[120:121], v[58:59]
	v_fmac_f64_e32 v[152:153], v[118:119], v[52:53]
	v_add_f64 v[6:7], v[6:7], v[150:151]
	v_fma_f64 v[8:9], v[120:121], v[56:57], -v[8:9]
	s_waitcnt vmcnt(1) lgkmcnt(0)
	v_mul_f64 v[156:157], v[124:125], v[62:63]
	v_fmac_f64_e32 v[154:155], v[122:123], v[56:57]
	v_add_f64 v[6:7], v[6:7], v[152:153]
	v_add_f64 v[4:5], v[4:5], v[8:9]
	v_mul_f64 v[8:9], v[126:127], v[62:63]
	v_fmac_f64_e32 v[156:157], v[126:127], v[60:61]
	v_add_f64 v[6:7], v[6:7], v[154:155]
	v_fma_f64 v[8:9], v[124:125], v[60:61], -v[8:9]
	v_add_f64 v[6:7], v[6:7], v[156:157]
	v_add_f64 v[4:5], v[4:5], v[8:9]
	s_waitcnt vmcnt(0)
	v_add_f64 v[4:5], v[64:65], -v[4:5]
	v_add_f64 v[6:7], v[66:67], -v[6:7]
	scratch_store_dwordx4 off, v[4:7], off offset:496
	s_and_saveexec_b64 s[0:1], vcc
	s_cbranch_execz .LBB45_231
; %bb.230:
	scratch_load_dwordx4 v[6:9], off, s49
	v_mov_b32_e32 v3, v2
	v_mov_b32_e32 v4, v2
	;; [unrolled: 1-line block ×3, first 2 shown]
	v_accvgpr_read_b32 v0, a93
	scratch_store_dwordx4 off, v[2:5], off offset:480
	s_waitcnt vmcnt(1)
	ds_write_b128 v0, v[6:9]
.LBB45_231:
	s_or_b64 exec, exec, s[0:1]
	s_waitcnt lgkmcnt(0)
	; wave barrier
	ds_read_b128 v[16:19], v2 offset:1216
	ds_read_b128 v[12:15], v2 offset:1232
	;; [unrolled: 1-line block ×4, first 2 shown]
	scratch_load_dwordx4 v[20:23], off, off offset:496
	scratch_load_dwordx4 v[40:43], off, off offset:560
	;; [unrolled: 1-line block ×10, first 2 shown]
	v_cmp_lt_u32_e32 vcc, 28, v248
	scratch_load_dwordx4 v[48:51], off, off offset:576
	scratch_load_dwordx4 v[56:59], off, off offset:592
	;; [unrolled: 1-line block ×3, first 2 shown]
	s_waitcnt vmcnt(12) lgkmcnt(3)
	v_mul_f64 v[24:25], v[16:17], v[22:23]
	v_fmac_f64_e32 v[24:25], v[18:19], v[20:21]
	v_add_f64 v[28:29], v[24:25], 0
	scratch_load_dwordx4 v[24:27], off, off offset:512
	s_waitcnt vmcnt(0) lgkmcnt(2)
	v_mul_f64 v[30:31], v[12:13], v[26:27]
	v_fmac_f64_e32 v[30:31], v[14:15], v[24:25]
	v_add_f64 v[32:33], v[28:29], v[30:31]
	scratch_load_dwordx4 v[28:31], off, off offset:528
	v_mul_f64 v[14:15], v[14:15], v[26:27]
	v_fma_f64 v[12:13], v[12:13], v[24:25], -v[14:15]
	s_waitcnt vmcnt(0) lgkmcnt(1)
	v_mul_f64 v[34:35], v[8:9], v[30:31]
	v_fmac_f64_e32 v[34:35], v[10:11], v[28:29]
	v_add_f64 v[36:37], v[32:33], v[34:35]
	scratch_load_dwordx4 v[32:35], off, off offset:544
	v_mul_f64 v[10:11], v[10:11], v[30:31]
	v_fma_f64 v[8:9], v[8:9], v[28:29], -v[10:11]
	s_waitcnt vmcnt(0) lgkmcnt(0)
	v_mul_f64 v[38:39], v[4:5], v[34:35]
	v_fmac_f64_e32 v[38:39], v[6:7], v[32:33]
	v_add_f64 v[44:45], v[36:37], v[38:39]
	ds_read_b128 v[36:39], v2 offset:1280
	v_mul_f64 v[6:7], v[6:7], v[34:35]
	v_fma_f64 v[4:5], v[4:5], v[32:33], -v[6:7]
	s_waitcnt lgkmcnt(0)
	v_mul_f64 v[46:47], v[36:37], v[42:43]
	v_fmac_f64_e32 v[46:47], v[38:39], v[40:41]
	v_add_f64 v[52:53], v[44:45], v[46:47]
	ds_read_b128 v[44:47], v2 offset:1296
	s_waitcnt lgkmcnt(0)
	v_mul_f64 v[54:55], v[44:45], v[50:51]
	v_fmac_f64_e32 v[54:55], v[46:47], v[48:49]
	v_add_f64 v[60:61], v[52:53], v[54:55]
	ds_read_b128 v[52:55], v2 offset:1312
	;; [unrolled: 5-line block ×11, first 2 shown]
	s_waitcnt lgkmcnt(0)
	v_mul_f64 v[2:3], v[126:127], v[132:133]
	v_fmac_f64_e32 v[2:3], v[128:129], v[130:131]
	v_add_f64 v[64:65], v[64:65], v[2:3]
	v_mul_f64 v[2:3], v[18:19], v[22:23]
	v_fma_f64 v[2:3], v[16:17], v[20:21], -v[2:3]
	v_add_f64 v[2:3], v[2:3], 0
	v_add_f64 v[2:3], v[2:3], v[12:13]
	;; [unrolled: 1-line block ×4, first 2 shown]
	v_mul_f64 v[4:5], v[38:39], v[42:43]
	v_fma_f64 v[4:5], v[36:37], v[40:41], -v[4:5]
	v_add_f64 v[2:3], v[2:3], v[4:5]
	v_mul_f64 v[4:5], v[46:47], v[50:51]
	v_fma_f64 v[4:5], v[44:45], v[48:49], -v[4:5]
	v_add_f64 v[2:3], v[2:3], v[4:5]
	;; [unrolled: 3-line block ×12, first 2 shown]
	scratch_load_dwordx4 v[2:5], off, off offset:480
	s_waitcnt vmcnt(0)
	v_add_f64 v[2:3], v[2:3], -v[6:7]
	v_add_f64 v[4:5], v[4:5], -v[64:65]
	scratch_store_dwordx4 off, v[2:5], off offset:480
	s_and_saveexec_b64 s[0:1], vcc
	s_cbranch_execz .LBB45_233
; %bb.232:
	scratch_load_dwordx4 v[2:5], off, s48
	v_mov_b32_e32 v6, 0
	v_mov_b32_e32 v7, v6
	;; [unrolled: 1-line block ×4, first 2 shown]
	v_accvgpr_read_b32 v0, a93
	scratch_store_dwordx4 off, v[6:9], off offset:464
	s_waitcnt vmcnt(1)
	ds_write_b128 v0, v[2:5]
.LBB45_233:
	s_or_b64 exec, exec, s[0:1]
	v_mov_b32_e32 v2, 0
	s_waitcnt lgkmcnt(0)
	; wave barrier
	ds_read_b128 v[16:19], v2 offset:1200
	ds_read_b128 v[12:15], v2 offset:1216
	;; [unrolled: 1-line block ×4, first 2 shown]
	scratch_load_dwordx4 v[20:23], off, off offset:480
	scratch_load_dwordx4 v[40:43], off, off offset:544
	;; [unrolled: 1-line block ×11, first 2 shown]
	v_cmp_lt_u32_e32 vcc, 27, v248
	scratch_load_dwordx4 v[48:51], off, off offset:560
	scratch_load_dwordx4 v[56:59], off, off offset:576
	;; [unrolled: 1-line block ×3, first 2 shown]
	s_waitcnt vmcnt(13) lgkmcnt(3)
	v_mul_f64 v[24:25], v[16:17], v[22:23]
	v_fmac_f64_e32 v[24:25], v[18:19], v[20:21]
	v_add_f64 v[28:29], v[24:25], 0
	scratch_load_dwordx4 v[24:27], off, off offset:496
	v_mul_f64 v[18:19], v[18:19], v[22:23]
	v_fma_f64 v[16:17], v[16:17], v[20:21], -v[18:19]
	v_add_f64 v[16:17], v[16:17], 0
	s_waitcnt vmcnt(0) lgkmcnt(2)
	v_mul_f64 v[30:31], v[12:13], v[26:27]
	v_fmac_f64_e32 v[30:31], v[14:15], v[24:25]
	v_add_f64 v[32:33], v[28:29], v[30:31]
	scratch_load_dwordx4 v[28:31], off, off offset:512
	v_mul_f64 v[14:15], v[14:15], v[26:27]
	v_fma_f64 v[12:13], v[12:13], v[24:25], -v[14:15]
	v_add_f64 v[12:13], v[16:17], v[12:13]
	;; [unrolled: 8-line block ×3, first 2 shown]
	s_waitcnt vmcnt(0) lgkmcnt(0)
	v_mul_f64 v[38:39], v[4:5], v[34:35]
	v_fmac_f64_e32 v[38:39], v[6:7], v[32:33]
	v_add_f64 v[44:45], v[36:37], v[38:39]
	ds_read_b128 v[36:39], v2 offset:1264
	v_mul_f64 v[6:7], v[6:7], v[34:35]
	v_fma_f64 v[4:5], v[4:5], v[32:33], -v[6:7]
	v_add_f64 v[4:5], v[8:9], v[4:5]
	s_waitcnt lgkmcnt(0)
	v_mul_f64 v[46:47], v[36:37], v[42:43]
	v_fmac_f64_e32 v[46:47], v[38:39], v[40:41]
	v_add_f64 v[52:53], v[44:45], v[46:47]
	ds_read_b128 v[44:47], v2 offset:1280
	v_mul_f64 v[6:7], v[38:39], v[42:43]
	v_fma_f64 v[6:7], v[36:37], v[40:41], -v[6:7]
	v_add_f64 v[4:5], v[4:5], v[6:7]
	s_waitcnt lgkmcnt(0)
	;; [unrolled: 8-line block ×13, first 2 shown]
	v_mul_f64 v[6:7], v[136:137], v[140:141]
	v_fma_f64 v[6:7], v[134:135], v[138:139], -v[6:7]
	v_add_f64 v[8:9], v[4:5], v[6:7]
	scratch_load_dwordx4 v[4:7], off, off offset:464
	v_mul_f64 v[142:143], v[134:135], v[140:141]
	v_fmac_f64_e32 v[142:143], v[136:137], v[138:139]
	v_add_f64 v[72:73], v[72:73], v[142:143]
	s_waitcnt vmcnt(0)
	v_add_f64 v[4:5], v[4:5], -v[8:9]
	v_add_f64 v[6:7], v[6:7], -v[72:73]
	scratch_store_dwordx4 off, v[4:7], off offset:464
	s_and_saveexec_b64 s[0:1], vcc
	s_cbranch_execz .LBB45_235
; %bb.234:
	scratch_load_dwordx4 v[6:9], off, s47
	v_mov_b32_e32 v3, v2
	v_mov_b32_e32 v4, v2
	;; [unrolled: 1-line block ×3, first 2 shown]
	v_accvgpr_read_b32 v0, a93
	scratch_store_dwordx4 off, v[2:5], off offset:448
	s_waitcnt vmcnt(1)
	ds_write_b128 v0, v[6:9]
.LBB45_235:
	s_or_b64 exec, exec, s[0:1]
	s_waitcnt lgkmcnt(0)
	; wave barrier
	ds_read_b128 v[16:19], v2 offset:1184
	ds_read_b128 v[12:15], v2 offset:1200
	;; [unrolled: 1-line block ×4, first 2 shown]
	scratch_load_dwordx4 v[20:23], off, off offset:464
	scratch_load_dwordx4 v[40:43], off, off offset:528
	;; [unrolled: 1-line block ×12, first 2 shown]
	v_cmp_lt_u32_e32 vcc, 26, v248
	scratch_load_dwordx4 v[48:51], off, off offset:544
	scratch_load_dwordx4 v[56:59], off, off offset:560
	;; [unrolled: 1-line block ×3, first 2 shown]
	s_waitcnt vmcnt(14) lgkmcnt(3)
	v_mul_f64 v[24:25], v[16:17], v[22:23]
	v_fmac_f64_e32 v[24:25], v[18:19], v[20:21]
	v_add_f64 v[28:29], v[24:25], 0
	scratch_load_dwordx4 v[24:27], off, off offset:480
	s_waitcnt vmcnt(0) lgkmcnt(2)
	v_mul_f64 v[30:31], v[12:13], v[26:27]
	v_fmac_f64_e32 v[30:31], v[14:15], v[24:25]
	v_add_f64 v[32:33], v[28:29], v[30:31]
	scratch_load_dwordx4 v[28:31], off, off offset:496
	v_mul_f64 v[14:15], v[14:15], v[26:27]
	v_fma_f64 v[12:13], v[12:13], v[24:25], -v[14:15]
	s_waitcnt vmcnt(0) lgkmcnt(1)
	v_mul_f64 v[34:35], v[8:9], v[30:31]
	v_fmac_f64_e32 v[34:35], v[10:11], v[28:29]
	v_add_f64 v[36:37], v[32:33], v[34:35]
	scratch_load_dwordx4 v[32:35], off, off offset:512
	v_mul_f64 v[10:11], v[10:11], v[30:31]
	v_fma_f64 v[8:9], v[8:9], v[28:29], -v[10:11]
	s_waitcnt vmcnt(0) lgkmcnt(0)
	v_mul_f64 v[38:39], v[4:5], v[34:35]
	v_fmac_f64_e32 v[38:39], v[6:7], v[32:33]
	v_add_f64 v[44:45], v[36:37], v[38:39]
	ds_read_b128 v[36:39], v2 offset:1248
	v_mul_f64 v[6:7], v[6:7], v[34:35]
	v_fma_f64 v[4:5], v[4:5], v[32:33], -v[6:7]
	s_waitcnt lgkmcnt(0)
	v_mul_f64 v[46:47], v[36:37], v[42:43]
	v_fmac_f64_e32 v[46:47], v[38:39], v[40:41]
	v_add_f64 v[52:53], v[44:45], v[46:47]
	ds_read_b128 v[44:47], v2 offset:1264
	s_waitcnt lgkmcnt(0)
	v_mul_f64 v[54:55], v[44:45], v[50:51]
	v_fmac_f64_e32 v[54:55], v[46:47], v[48:49]
	v_add_f64 v[60:61], v[52:53], v[54:55]
	ds_read_b128 v[52:55], v2 offset:1280
	;; [unrolled: 5-line block ×13, first 2 shown]
	s_waitcnt lgkmcnt(0)
	v_mul_f64 v[2:3], v[142:143], v[148:149]
	v_fmac_f64_e32 v[2:3], v[144:145], v[146:147]
	v_add_f64 v[80:81], v[80:81], v[2:3]
	v_mul_f64 v[2:3], v[18:19], v[22:23]
	v_fma_f64 v[2:3], v[16:17], v[20:21], -v[2:3]
	v_add_f64 v[2:3], v[2:3], 0
	v_add_f64 v[2:3], v[2:3], v[12:13]
	;; [unrolled: 1-line block ×4, first 2 shown]
	v_mul_f64 v[4:5], v[38:39], v[42:43]
	v_fma_f64 v[4:5], v[36:37], v[40:41], -v[4:5]
	v_add_f64 v[2:3], v[2:3], v[4:5]
	v_mul_f64 v[4:5], v[46:47], v[50:51]
	v_fma_f64 v[4:5], v[44:45], v[48:49], -v[4:5]
	v_add_f64 v[2:3], v[2:3], v[4:5]
	;; [unrolled: 3-line block ×14, first 2 shown]
	scratch_load_dwordx4 v[2:5], off, off offset:448
	s_waitcnt vmcnt(0)
	v_add_f64 v[2:3], v[2:3], -v[6:7]
	v_add_f64 v[4:5], v[4:5], -v[80:81]
	scratch_store_dwordx4 off, v[2:5], off offset:448
	s_and_saveexec_b64 s[0:1], vcc
	s_cbranch_execz .LBB45_237
; %bb.236:
	scratch_load_dwordx4 v[2:5], off, s46
	v_mov_b32_e32 v6, 0
	v_mov_b32_e32 v7, v6
	;; [unrolled: 1-line block ×4, first 2 shown]
	v_accvgpr_read_b32 v0, a93
	scratch_store_dwordx4 off, v[6:9], off offset:432
	s_waitcnt vmcnt(1)
	ds_write_b128 v0, v[2:5]
.LBB45_237:
	s_or_b64 exec, exec, s[0:1]
	v_mov_b32_e32 v2, 0
	s_waitcnt lgkmcnt(0)
	; wave barrier
	ds_read_b128 v[16:19], v2 offset:1168
	ds_read_b128 v[12:15], v2 offset:1184
	ds_read_b128 v[8:11], v2 offset:1200
	ds_read_b128 v[4:7], v2 offset:1216
	scratch_load_dwordx4 v[20:23], off, off offset:448
	scratch_load_dwordx4 v[40:43], off, off offset:512
	;; [unrolled: 1-line block ×13, first 2 shown]
	v_cmp_lt_u32_e32 vcc, 25, v248
	scratch_load_dwordx4 v[48:51], off, off offset:528
	scratch_load_dwordx4 v[56:59], off, off offset:544
	;; [unrolled: 1-line block ×3, first 2 shown]
	s_waitcnt vmcnt(15) lgkmcnt(3)
	v_mul_f64 v[24:25], v[16:17], v[22:23]
	v_fmac_f64_e32 v[24:25], v[18:19], v[20:21]
	v_add_f64 v[28:29], v[24:25], 0
	scratch_load_dwordx4 v[24:27], off, off offset:464
	v_mul_f64 v[18:19], v[18:19], v[22:23]
	v_fma_f64 v[16:17], v[16:17], v[20:21], -v[18:19]
	v_add_f64 v[16:17], v[16:17], 0
	s_waitcnt vmcnt(0) lgkmcnt(2)
	v_mul_f64 v[30:31], v[12:13], v[26:27]
	v_fmac_f64_e32 v[30:31], v[14:15], v[24:25]
	v_add_f64 v[32:33], v[28:29], v[30:31]
	scratch_load_dwordx4 v[28:31], off, off offset:480
	v_mul_f64 v[14:15], v[14:15], v[26:27]
	v_fma_f64 v[12:13], v[12:13], v[24:25], -v[14:15]
	v_add_f64 v[12:13], v[16:17], v[12:13]
	;; [unrolled: 8-line block ×3, first 2 shown]
	s_waitcnt vmcnt(0) lgkmcnt(0)
	v_mul_f64 v[38:39], v[4:5], v[34:35]
	v_fmac_f64_e32 v[38:39], v[6:7], v[32:33]
	v_add_f64 v[44:45], v[36:37], v[38:39]
	ds_read_b128 v[36:39], v2 offset:1232
	v_mul_f64 v[6:7], v[6:7], v[34:35]
	v_fma_f64 v[4:5], v[4:5], v[32:33], -v[6:7]
	v_add_f64 v[4:5], v[8:9], v[4:5]
	s_waitcnt lgkmcnt(0)
	v_mul_f64 v[46:47], v[36:37], v[42:43]
	v_fmac_f64_e32 v[46:47], v[38:39], v[40:41]
	v_add_f64 v[52:53], v[44:45], v[46:47]
	ds_read_b128 v[44:47], v2 offset:1248
	v_mul_f64 v[6:7], v[38:39], v[42:43]
	v_fma_f64 v[6:7], v[36:37], v[40:41], -v[6:7]
	v_add_f64 v[4:5], v[4:5], v[6:7]
	s_waitcnt lgkmcnt(0)
	;; [unrolled: 8-line block ×15, first 2 shown]
	v_mul_f64 v[6:7], v[152:153], v[156:157]
	v_fma_f64 v[6:7], v[150:151], v[154:155], -v[6:7]
	v_add_f64 v[8:9], v[4:5], v[6:7]
	scratch_load_dwordx4 v[4:7], off, off offset:432
	v_mul_f64 v[158:159], v[150:151], v[156:157]
	v_fmac_f64_e32 v[158:159], v[152:153], v[154:155]
	v_add_f64 v[88:89], v[88:89], v[158:159]
	s_waitcnt vmcnt(0)
	v_add_f64 v[4:5], v[4:5], -v[8:9]
	v_add_f64 v[6:7], v[6:7], -v[88:89]
	scratch_store_dwordx4 off, v[4:7], off offset:432
	s_and_saveexec_b64 s[0:1], vcc
	s_cbranch_execz .LBB45_239
; %bb.238:
	scratch_load_dwordx4 v[6:9], off, s45
	v_mov_b32_e32 v3, v2
	v_mov_b32_e32 v4, v2
	;; [unrolled: 1-line block ×3, first 2 shown]
	v_accvgpr_read_b32 v0, a93
	scratch_store_dwordx4 off, v[2:5], off offset:416
	s_waitcnt vmcnt(1)
	ds_write_b128 v0, v[6:9]
.LBB45_239:
	s_or_b64 exec, exec, s[0:1]
	s_waitcnt lgkmcnt(0)
	; wave barrier
	ds_read_b128 v[16:19], v2 offset:1152
	ds_read_b128 v[12:15], v2 offset:1168
	;; [unrolled: 1-line block ×4, first 2 shown]
	scratch_load_dwordx4 v[20:23], off, off offset:432
	scratch_load_dwordx4 v[40:43], off, off offset:496
	;; [unrolled: 1-line block ×14, first 2 shown]
	v_cmp_lt_u32_e32 vcc, 24, v248
	scratch_load_dwordx4 v[48:51], off, off offset:512
	scratch_load_dwordx4 v[56:59], off, off offset:528
	;; [unrolled: 1-line block ×3, first 2 shown]
	s_waitcnt vmcnt(16) lgkmcnt(3)
	v_mul_f64 v[24:25], v[16:17], v[22:23]
	v_fmac_f64_e32 v[24:25], v[18:19], v[20:21]
	v_add_f64 v[28:29], v[24:25], 0
	scratch_load_dwordx4 v[24:27], off, off offset:448
	s_waitcnt vmcnt(0) lgkmcnt(2)
	v_mul_f64 v[30:31], v[12:13], v[26:27]
	v_fmac_f64_e32 v[30:31], v[14:15], v[24:25]
	v_add_f64 v[32:33], v[28:29], v[30:31]
	scratch_load_dwordx4 v[28:31], off, off offset:464
	v_mul_f64 v[14:15], v[14:15], v[26:27]
	v_fma_f64 v[12:13], v[12:13], v[24:25], -v[14:15]
	s_waitcnt vmcnt(0) lgkmcnt(1)
	v_mul_f64 v[34:35], v[8:9], v[30:31]
	v_fmac_f64_e32 v[34:35], v[10:11], v[28:29]
	v_add_f64 v[36:37], v[32:33], v[34:35]
	scratch_load_dwordx4 v[32:35], off, off offset:480
	v_mul_f64 v[10:11], v[10:11], v[30:31]
	v_fma_f64 v[8:9], v[8:9], v[28:29], -v[10:11]
	s_waitcnt vmcnt(0) lgkmcnt(0)
	v_mul_f64 v[38:39], v[4:5], v[34:35]
	v_fmac_f64_e32 v[38:39], v[6:7], v[32:33]
	v_add_f64 v[44:45], v[36:37], v[38:39]
	ds_read_b128 v[36:39], v2 offset:1216
	v_mul_f64 v[6:7], v[6:7], v[34:35]
	v_fma_f64 v[4:5], v[4:5], v[32:33], -v[6:7]
	s_waitcnt lgkmcnt(0)
	v_mul_f64 v[46:47], v[36:37], v[42:43]
	v_fmac_f64_e32 v[46:47], v[38:39], v[40:41]
	v_add_f64 v[52:53], v[44:45], v[46:47]
	ds_read_b128 v[44:47], v2 offset:1232
	s_waitcnt lgkmcnt(0)
	v_mul_f64 v[54:55], v[44:45], v[50:51]
	v_fmac_f64_e32 v[54:55], v[46:47], v[48:49]
	v_add_f64 v[60:61], v[52:53], v[54:55]
	ds_read_b128 v[52:55], v2 offset:1248
	;; [unrolled: 5-line block ×15, first 2 shown]
	s_waitcnt lgkmcnt(0)
	v_mul_f64 v[2:3], v[158:159], v[164:165]
	v_fmac_f64_e32 v[2:3], v[160:161], v[162:163]
	v_add_f64 v[96:97], v[96:97], v[2:3]
	v_mul_f64 v[2:3], v[18:19], v[22:23]
	v_fma_f64 v[2:3], v[16:17], v[20:21], -v[2:3]
	v_add_f64 v[2:3], v[2:3], 0
	v_add_f64 v[2:3], v[2:3], v[12:13]
	;; [unrolled: 1-line block ×4, first 2 shown]
	v_mul_f64 v[4:5], v[38:39], v[42:43]
	v_fma_f64 v[4:5], v[36:37], v[40:41], -v[4:5]
	v_add_f64 v[2:3], v[2:3], v[4:5]
	v_mul_f64 v[4:5], v[46:47], v[50:51]
	v_fma_f64 v[4:5], v[44:45], v[48:49], -v[4:5]
	v_add_f64 v[2:3], v[2:3], v[4:5]
	;; [unrolled: 3-line block ×16, first 2 shown]
	scratch_load_dwordx4 v[2:5], off, off offset:416
	s_waitcnt vmcnt(0)
	v_add_f64 v[2:3], v[2:3], -v[6:7]
	v_add_f64 v[4:5], v[4:5], -v[96:97]
	scratch_store_dwordx4 off, v[2:5], off offset:416
	s_and_saveexec_b64 s[0:1], vcc
	s_cbranch_execz .LBB45_241
; %bb.240:
	scratch_load_dwordx4 v[2:5], off, s44
	v_mov_b32_e32 v6, 0
	v_mov_b32_e32 v7, v6
	;; [unrolled: 1-line block ×4, first 2 shown]
	v_accvgpr_read_b32 v0, a93
	scratch_store_dwordx4 off, v[6:9], off offset:400
	s_waitcnt vmcnt(1)
	ds_write_b128 v0, v[2:5]
.LBB45_241:
	s_or_b64 exec, exec, s[0:1]
	v_mov_b32_e32 v2, 0
	s_waitcnt lgkmcnt(0)
	; wave barrier
	ds_read_b128 v[16:19], v2 offset:1136
	ds_read_b128 v[12:15], v2 offset:1152
	;; [unrolled: 1-line block ×4, first 2 shown]
	scratch_load_dwordx4 v[20:23], off, off offset:416
	scratch_load_dwordx4 v[40:43], off, off offset:480
	;; [unrolled: 1-line block ×15, first 2 shown]
	v_cmp_lt_u32_e32 vcc, 23, v248
	scratch_load_dwordx4 v[48:51], off, off offset:496
	scratch_load_dwordx4 v[56:59], off, off offset:512
	;; [unrolled: 1-line block ×3, first 2 shown]
	s_waitcnt vmcnt(17) lgkmcnt(3)
	v_mul_f64 v[24:25], v[16:17], v[22:23]
	v_fmac_f64_e32 v[24:25], v[18:19], v[20:21]
	v_add_f64 v[28:29], v[24:25], 0
	scratch_load_dwordx4 v[24:27], off, off offset:432
	v_mul_f64 v[18:19], v[18:19], v[22:23]
	v_fma_f64 v[16:17], v[16:17], v[20:21], -v[18:19]
	v_add_f64 v[16:17], v[16:17], 0
	s_waitcnt vmcnt(0) lgkmcnt(2)
	v_mul_f64 v[30:31], v[12:13], v[26:27]
	v_fmac_f64_e32 v[30:31], v[14:15], v[24:25]
	v_add_f64 v[32:33], v[28:29], v[30:31]
	scratch_load_dwordx4 v[28:31], off, off offset:448
	v_mul_f64 v[14:15], v[14:15], v[26:27]
	v_fma_f64 v[12:13], v[12:13], v[24:25], -v[14:15]
	v_add_f64 v[12:13], v[16:17], v[12:13]
	;; [unrolled: 8-line block ×3, first 2 shown]
	s_waitcnt vmcnt(0) lgkmcnt(0)
	v_mul_f64 v[38:39], v[4:5], v[34:35]
	v_fmac_f64_e32 v[38:39], v[6:7], v[32:33]
	v_add_f64 v[44:45], v[36:37], v[38:39]
	ds_read_b128 v[36:39], v2 offset:1200
	v_mul_f64 v[6:7], v[6:7], v[34:35]
	v_fma_f64 v[4:5], v[4:5], v[32:33], -v[6:7]
	v_add_f64 v[4:5], v[8:9], v[4:5]
	s_waitcnt lgkmcnt(0)
	v_mul_f64 v[46:47], v[36:37], v[42:43]
	v_fmac_f64_e32 v[46:47], v[38:39], v[40:41]
	v_add_f64 v[52:53], v[44:45], v[46:47]
	ds_read_b128 v[44:47], v2 offset:1216
	v_mul_f64 v[6:7], v[38:39], v[42:43]
	v_fma_f64 v[6:7], v[36:37], v[40:41], -v[6:7]
	v_add_f64 v[4:5], v[4:5], v[6:7]
	s_waitcnt lgkmcnt(0)
	;; [unrolled: 8-line block ×17, first 2 shown]
	v_mul_f64 v[6:7], v[168:169], v[172:173]
	v_fma_f64 v[6:7], v[166:167], v[170:171], -v[6:7]
	v_add_f64 v[8:9], v[4:5], v[6:7]
	scratch_load_dwordx4 v[4:7], off, off offset:400
	v_mul_f64 v[174:175], v[166:167], v[172:173]
	v_fmac_f64_e32 v[174:175], v[168:169], v[170:171]
	v_add_f64 v[104:105], v[104:105], v[174:175]
	s_waitcnt vmcnt(0)
	v_add_f64 v[4:5], v[4:5], -v[8:9]
	v_add_f64 v[6:7], v[6:7], -v[104:105]
	scratch_store_dwordx4 off, v[4:7], off offset:400
	s_and_saveexec_b64 s[0:1], vcc
	s_cbranch_execz .LBB45_243
; %bb.242:
	scratch_load_dwordx4 v[6:9], off, s43
	v_mov_b32_e32 v3, v2
	v_mov_b32_e32 v4, v2
	;; [unrolled: 1-line block ×3, first 2 shown]
	v_accvgpr_read_b32 v0, a93
	scratch_store_dwordx4 off, v[2:5], off offset:384
	s_waitcnt vmcnt(1)
	ds_write_b128 v0, v[6:9]
.LBB45_243:
	s_or_b64 exec, exec, s[0:1]
	s_waitcnt lgkmcnt(0)
	; wave barrier
	ds_read_b128 v[16:19], v2 offset:1120
	ds_read_b128 v[12:15], v2 offset:1136
	;; [unrolled: 1-line block ×4, first 2 shown]
	scratch_load_dwordx4 v[20:23], off, off offset:400
	scratch_load_dwordx4 v[40:43], off, off offset:464
	;; [unrolled: 1-line block ×16, first 2 shown]
	v_cmp_lt_u32_e32 vcc, 22, v248
	scratch_load_dwordx4 v[48:51], off, off offset:480
	scratch_load_dwordx4 v[56:59], off, off offset:496
	;; [unrolled: 1-line block ×3, first 2 shown]
	s_waitcnt vmcnt(18) lgkmcnt(3)
	v_mul_f64 v[24:25], v[16:17], v[22:23]
	v_fmac_f64_e32 v[24:25], v[18:19], v[20:21]
	v_add_f64 v[28:29], v[24:25], 0
	scratch_load_dwordx4 v[24:27], off, off offset:416
	s_waitcnt vmcnt(0) lgkmcnt(2)
	v_mul_f64 v[30:31], v[12:13], v[26:27]
	v_fmac_f64_e32 v[30:31], v[14:15], v[24:25]
	v_add_f64 v[32:33], v[28:29], v[30:31]
	scratch_load_dwordx4 v[28:31], off, off offset:432
	v_mul_f64 v[14:15], v[14:15], v[26:27]
	v_fma_f64 v[12:13], v[12:13], v[24:25], -v[14:15]
	s_waitcnt vmcnt(0) lgkmcnt(1)
	v_mul_f64 v[34:35], v[8:9], v[30:31]
	v_fmac_f64_e32 v[34:35], v[10:11], v[28:29]
	v_add_f64 v[36:37], v[32:33], v[34:35]
	scratch_load_dwordx4 v[32:35], off, off offset:448
	v_mul_f64 v[10:11], v[10:11], v[30:31]
	v_fma_f64 v[8:9], v[8:9], v[28:29], -v[10:11]
	s_waitcnt vmcnt(0) lgkmcnt(0)
	v_mul_f64 v[38:39], v[4:5], v[34:35]
	v_fmac_f64_e32 v[38:39], v[6:7], v[32:33]
	v_add_f64 v[44:45], v[36:37], v[38:39]
	ds_read_b128 v[36:39], v2 offset:1184
	v_mul_f64 v[6:7], v[6:7], v[34:35]
	v_fma_f64 v[4:5], v[4:5], v[32:33], -v[6:7]
	s_waitcnt lgkmcnt(0)
	v_mul_f64 v[46:47], v[36:37], v[42:43]
	v_fmac_f64_e32 v[46:47], v[38:39], v[40:41]
	v_add_f64 v[52:53], v[44:45], v[46:47]
	ds_read_b128 v[44:47], v2 offset:1200
	s_waitcnt lgkmcnt(0)
	v_mul_f64 v[54:55], v[44:45], v[50:51]
	v_fmac_f64_e32 v[54:55], v[46:47], v[48:49]
	v_add_f64 v[60:61], v[52:53], v[54:55]
	ds_read_b128 v[52:55], v2 offset:1216
	;; [unrolled: 5-line block ×17, first 2 shown]
	s_waitcnt lgkmcnt(0)
	v_mul_f64 v[2:3], v[174:175], v[180:181]
	v_fmac_f64_e32 v[2:3], v[176:177], v[178:179]
	v_add_f64 v[120:121], v[120:121], v[2:3]
	v_mul_f64 v[2:3], v[18:19], v[22:23]
	v_fma_f64 v[2:3], v[16:17], v[20:21], -v[2:3]
	v_add_f64 v[2:3], v[2:3], 0
	v_add_f64 v[2:3], v[2:3], v[12:13]
	;; [unrolled: 1-line block ×4, first 2 shown]
	v_mul_f64 v[4:5], v[38:39], v[42:43]
	v_fma_f64 v[4:5], v[36:37], v[40:41], -v[4:5]
	v_add_f64 v[2:3], v[2:3], v[4:5]
	v_mul_f64 v[4:5], v[46:47], v[50:51]
	v_fma_f64 v[4:5], v[44:45], v[48:49], -v[4:5]
	v_add_f64 v[2:3], v[2:3], v[4:5]
	;; [unrolled: 3-line block ×18, first 2 shown]
	scratch_load_dwordx4 v[2:5], off, off offset:384
	s_waitcnt vmcnt(0)
	v_add_f64 v[2:3], v[2:3], -v[6:7]
	v_add_f64 v[4:5], v[4:5], -v[120:121]
	scratch_store_dwordx4 off, v[2:5], off offset:384
	s_and_saveexec_b64 s[0:1], vcc
	s_cbranch_execz .LBB45_245
; %bb.244:
	scratch_load_dwordx4 v[2:5], off, s42
	v_mov_b32_e32 v6, 0
	v_mov_b32_e32 v7, v6
	;; [unrolled: 1-line block ×4, first 2 shown]
	v_accvgpr_read_b32 v0, a93
	scratch_store_dwordx4 off, v[6:9], off offset:368
	s_waitcnt vmcnt(1)
	ds_write_b128 v0, v[2:5]
.LBB45_245:
	s_or_b64 exec, exec, s[0:1]
	v_mov_b32_e32 v2, 0
	s_waitcnt lgkmcnt(0)
	; wave barrier
	ds_read_b128 v[16:19], v2 offset:1104
	ds_read_b128 v[12:15], v2 offset:1120
	;; [unrolled: 1-line block ×4, first 2 shown]
	scratch_load_dwordx4 v[20:23], off, off offset:384
	scratch_load_dwordx4 v[40:43], off, off offset:448
	;; [unrolled: 1-line block ×17, first 2 shown]
	v_cmp_lt_u32_e32 vcc, 21, v248
	scratch_load_dwordx4 v[48:51], off, off offset:464
	scratch_load_dwordx4 v[56:59], off, off offset:480
	;; [unrolled: 1-line block ×3, first 2 shown]
	s_waitcnt vmcnt(19) lgkmcnt(3)
	v_mul_f64 v[24:25], v[16:17], v[22:23]
	v_fmac_f64_e32 v[24:25], v[18:19], v[20:21]
	v_add_f64 v[28:29], v[24:25], 0
	scratch_load_dwordx4 v[24:27], off, off offset:400
	v_mul_f64 v[18:19], v[18:19], v[22:23]
	v_fma_f64 v[16:17], v[16:17], v[20:21], -v[18:19]
	v_add_f64 v[16:17], v[16:17], 0
	s_waitcnt vmcnt(0) lgkmcnt(2)
	v_mul_f64 v[30:31], v[12:13], v[26:27]
	v_fmac_f64_e32 v[30:31], v[14:15], v[24:25]
	v_add_f64 v[32:33], v[28:29], v[30:31]
	scratch_load_dwordx4 v[28:31], off, off offset:416
	v_mul_f64 v[14:15], v[14:15], v[26:27]
	v_fma_f64 v[12:13], v[12:13], v[24:25], -v[14:15]
	v_add_f64 v[12:13], v[16:17], v[12:13]
	;; [unrolled: 8-line block ×3, first 2 shown]
	s_waitcnt vmcnt(0) lgkmcnt(0)
	v_mul_f64 v[38:39], v[4:5], v[34:35]
	v_fmac_f64_e32 v[38:39], v[6:7], v[32:33]
	v_add_f64 v[44:45], v[36:37], v[38:39]
	ds_read_b128 v[36:39], v2 offset:1168
	v_mul_f64 v[6:7], v[6:7], v[34:35]
	v_fma_f64 v[4:5], v[4:5], v[32:33], -v[6:7]
	v_add_f64 v[4:5], v[8:9], v[4:5]
	s_waitcnt lgkmcnt(0)
	v_mul_f64 v[46:47], v[36:37], v[42:43]
	v_fmac_f64_e32 v[46:47], v[38:39], v[40:41]
	v_add_f64 v[52:53], v[44:45], v[46:47]
	ds_read_b128 v[44:47], v2 offset:1184
	v_mul_f64 v[6:7], v[38:39], v[42:43]
	v_fma_f64 v[6:7], v[36:37], v[40:41], -v[6:7]
	v_add_f64 v[4:5], v[4:5], v[6:7]
	s_waitcnt lgkmcnt(0)
	v_mul_f64 v[54:55], v[44:45], v[50:51]
	v_fmac_f64_e32 v[54:55], v[46:47], v[48:49]
	v_add_f64 v[60:61], v[52:53], v[54:55]
	ds_read_b128 v[52:55], v2 offset:1200
	v_mul_f64 v[6:7], v[46:47], v[50:51]
	v_fma_f64 v[6:7], v[44:45], v[48:49], -v[6:7]
	v_add_f64 v[4:5], v[4:5], v[6:7]
	s_waitcnt lgkmcnt(0)
	v_mul_f64 v[62:63], v[52:53], v[58:59]
	v_fmac_f64_e32 v[62:63], v[54:55], v[56:57]
	v_add_f64 v[68:69], v[60:61], v[62:63]
	ds_read_b128 v[60:63], v2 offset:1216
	v_mul_f64 v[6:7], v[54:55], v[58:59]
	v_fma_f64 v[6:7], v[52:53], v[56:57], -v[6:7]
	v_add_f64 v[4:5], v[4:5], v[6:7]
	s_waitcnt lgkmcnt(0)
	v_mul_f64 v[70:71], v[60:61], v[66:67]
	v_fmac_f64_e32 v[70:71], v[62:63], v[64:65]
	v_add_f64 v[76:77], v[68:69], v[70:71]
	ds_read_b128 v[68:71], v2 offset:1232
	v_mul_f64 v[6:7], v[62:63], v[66:67]
	v_fma_f64 v[6:7], v[60:61], v[64:65], -v[6:7]
	v_add_f64 v[4:5], v[4:5], v[6:7]
	s_waitcnt lgkmcnt(0)
	v_mul_f64 v[78:79], v[68:69], v[74:75]
	v_fmac_f64_e32 v[78:79], v[70:71], v[72:73]
	v_add_f64 v[84:85], v[76:77], v[78:79]
	ds_read_b128 v[76:79], v2 offset:1248
	v_mul_f64 v[6:7], v[70:71], v[74:75]
	v_fma_f64 v[6:7], v[68:69], v[72:73], -v[6:7]
	v_add_f64 v[4:5], v[4:5], v[6:7]
	s_waitcnt lgkmcnt(0)
	v_mul_f64 v[86:87], v[76:77], v[82:83]
	v_fmac_f64_e32 v[86:87], v[78:79], v[80:81]
	v_add_f64 v[92:93], v[84:85], v[86:87]
	ds_read_b128 v[84:87], v2 offset:1264
	v_mul_f64 v[6:7], v[78:79], v[82:83]
	v_fma_f64 v[6:7], v[76:77], v[80:81], -v[6:7]
	v_add_f64 v[4:5], v[4:5], v[6:7]
	s_waitcnt lgkmcnt(0)
	v_mul_f64 v[94:95], v[84:85], v[90:91]
	v_fmac_f64_e32 v[94:95], v[86:87], v[88:89]
	v_add_f64 v[100:101], v[92:93], v[94:95]
	ds_read_b128 v[92:95], v2 offset:1280
	v_mul_f64 v[6:7], v[86:87], v[90:91]
	v_fma_f64 v[6:7], v[84:85], v[88:89], -v[6:7]
	v_add_f64 v[4:5], v[4:5], v[6:7]
	s_waitcnt lgkmcnt(0)
	v_mul_f64 v[102:103], v[92:93], v[98:99]
	v_fmac_f64_e32 v[102:103], v[94:95], v[96:97]
	v_add_f64 v[108:109], v[100:101], v[102:103]
	ds_read_b128 v[100:103], v2 offset:1296
	v_mul_f64 v[6:7], v[94:95], v[98:99]
	v_fma_f64 v[6:7], v[92:93], v[96:97], -v[6:7]
	v_add_f64 v[4:5], v[4:5], v[6:7]
	s_waitcnt lgkmcnt(0)
	v_mul_f64 v[110:111], v[100:101], v[106:107]
	v_fmac_f64_e32 v[110:111], v[102:103], v[104:105]
	v_add_f64 v[116:117], v[108:109], v[110:111]
	ds_read_b128 v[108:111], v2 offset:1312
	v_mul_f64 v[6:7], v[102:103], v[106:107]
	v_fma_f64 v[6:7], v[100:101], v[104:105], -v[6:7]
	v_add_f64 v[4:5], v[4:5], v[6:7]
	s_waitcnt lgkmcnt(0)
	v_mul_f64 v[118:119], v[108:109], v[114:115]
	v_fmac_f64_e32 v[118:119], v[110:111], v[112:113]
	v_add_f64 v[124:125], v[116:117], v[118:119]
	ds_read_b128 v[116:119], v2 offset:1328
	v_mul_f64 v[6:7], v[110:111], v[114:115]
	v_fma_f64 v[6:7], v[108:109], v[112:113], -v[6:7]
	v_add_f64 v[4:5], v[4:5], v[6:7]
	s_waitcnt lgkmcnt(0)
	v_mul_f64 v[126:127], v[116:117], v[122:123]
	v_fmac_f64_e32 v[126:127], v[118:119], v[120:121]
	v_add_f64 v[128:129], v[124:125], v[126:127]
	ds_read_b128 v[124:127], v2 offset:1344
	v_mul_f64 v[6:7], v[118:119], v[122:123]
	v_fma_f64 v[6:7], v[116:117], v[120:121], -v[6:7]
	v_add_f64 v[4:5], v[4:5], v[6:7]
	s_waitcnt lgkmcnt(0)
	v_mul_f64 v[134:135], v[124:125], v[132:133]
	v_fmac_f64_e32 v[134:135], v[126:127], v[130:131]
	v_add_f64 v[128:129], v[128:129], v[134:135]
	ds_read_b128 v[134:137], v2 offset:1360
	v_mul_f64 v[6:7], v[126:127], v[132:133]
	v_fma_f64 v[6:7], v[124:125], v[130:131], -v[6:7]
	v_add_f64 v[4:5], v[4:5], v[6:7]
	s_waitcnt lgkmcnt(0)
	v_mul_f64 v[142:143], v[134:135], v[140:141]
	v_fmac_f64_e32 v[142:143], v[136:137], v[138:139]
	v_add_f64 v[128:129], v[128:129], v[142:143]
	ds_read_b128 v[142:145], v2 offset:1376
	v_mul_f64 v[6:7], v[136:137], v[140:141]
	v_fma_f64 v[6:7], v[134:135], v[138:139], -v[6:7]
	v_add_f64 v[4:5], v[4:5], v[6:7]
	s_waitcnt lgkmcnt(0)
	v_mul_f64 v[150:151], v[142:143], v[148:149]
	v_fmac_f64_e32 v[150:151], v[144:145], v[146:147]
	v_add_f64 v[128:129], v[128:129], v[150:151]
	ds_read_b128 v[150:153], v2 offset:1392
	v_mul_f64 v[6:7], v[144:145], v[148:149]
	v_fma_f64 v[6:7], v[142:143], v[146:147], -v[6:7]
	v_add_f64 v[4:5], v[4:5], v[6:7]
	s_waitcnt lgkmcnt(0)
	v_mul_f64 v[158:159], v[150:151], v[156:157]
	v_fmac_f64_e32 v[158:159], v[152:153], v[154:155]
	v_add_f64 v[128:129], v[128:129], v[158:159]
	ds_read_b128 v[158:161], v2 offset:1408
	v_mul_f64 v[6:7], v[152:153], v[156:157]
	v_fma_f64 v[6:7], v[150:151], v[154:155], -v[6:7]
	v_add_f64 v[4:5], v[4:5], v[6:7]
	s_waitcnt lgkmcnt(0)
	v_mul_f64 v[166:167], v[158:159], v[164:165]
	v_fmac_f64_e32 v[166:167], v[160:161], v[162:163]
	v_add_f64 v[128:129], v[128:129], v[166:167]
	ds_read_b128 v[166:169], v2 offset:1424
	v_mul_f64 v[6:7], v[160:161], v[164:165]
	v_fma_f64 v[6:7], v[158:159], v[162:163], -v[6:7]
	v_add_f64 v[4:5], v[4:5], v[6:7]
	s_waitcnt lgkmcnt(0)
	v_mul_f64 v[174:175], v[166:167], v[172:173]
	v_fmac_f64_e32 v[174:175], v[168:169], v[170:171]
	v_add_f64 v[128:129], v[128:129], v[174:175]
	ds_read_b128 v[174:177], v2 offset:1440
	v_mul_f64 v[6:7], v[168:169], v[172:173]
	v_fma_f64 v[6:7], v[166:167], v[170:171], -v[6:7]
	v_add_f64 v[4:5], v[4:5], v[6:7]
	s_waitcnt lgkmcnt(0)
	v_mul_f64 v[182:183], v[174:175], v[180:181]
	v_fmac_f64_e32 v[182:183], v[176:177], v[178:179]
	v_add_f64 v[128:129], v[128:129], v[182:183]
	ds_read_b128 v[182:185], v2 offset:1456
	v_mul_f64 v[6:7], v[176:177], v[180:181]
	v_fma_f64 v[6:7], v[174:175], v[178:179], -v[6:7]
	v_add_f64 v[4:5], v[4:5], v[6:7]
	s_waitcnt lgkmcnt(0)
	v_mul_f64 v[6:7], v[184:185], v[188:189]
	v_fma_f64 v[6:7], v[182:183], v[186:187], -v[6:7]
	v_add_f64 v[8:9], v[4:5], v[6:7]
	scratch_load_dwordx4 v[4:7], off, off offset:368
	v_mul_f64 v[190:191], v[182:183], v[188:189]
	v_fmac_f64_e32 v[190:191], v[184:185], v[186:187]
	v_add_f64 v[128:129], v[128:129], v[190:191]
	s_waitcnt vmcnt(0)
	v_add_f64 v[4:5], v[4:5], -v[8:9]
	v_add_f64 v[6:7], v[6:7], -v[128:129]
	scratch_store_dwordx4 off, v[4:7], off offset:368
	s_and_saveexec_b64 s[0:1], vcc
	s_cbranch_execz .LBB45_247
; %bb.246:
	scratch_load_dwordx4 v[6:9], off, s41
	v_mov_b32_e32 v3, v2
	v_mov_b32_e32 v4, v2
	;; [unrolled: 1-line block ×3, first 2 shown]
	v_accvgpr_read_b32 v0, a93
	scratch_store_dwordx4 off, v[2:5], off offset:352
	s_waitcnt vmcnt(1)
	ds_write_b128 v0, v[6:9]
.LBB45_247:
	s_or_b64 exec, exec, s[0:1]
	s_waitcnt lgkmcnt(0)
	; wave barrier
	ds_read_b128 v[16:19], v2 offset:1088
	ds_read_b128 v[12:15], v2 offset:1104
	;; [unrolled: 1-line block ×4, first 2 shown]
	scratch_load_dwordx4 v[20:23], off, off offset:368
	scratch_load_dwordx4 v[40:43], off, off offset:432
	;; [unrolled: 1-line block ×18, first 2 shown]
	v_cmp_lt_u32_e32 vcc, 20, v248
	scratch_load_dwordx4 v[48:51], off, off offset:448
	scratch_load_dwordx4 v[56:59], off, off offset:464
	;; [unrolled: 1-line block ×3, first 2 shown]
	s_waitcnt vmcnt(20) lgkmcnt(3)
	v_mul_f64 v[24:25], v[16:17], v[22:23]
	v_fmac_f64_e32 v[24:25], v[18:19], v[20:21]
	v_add_f64 v[28:29], v[24:25], 0
	scratch_load_dwordx4 v[24:27], off, off offset:384
	s_waitcnt vmcnt(0) lgkmcnt(2)
	v_mul_f64 v[30:31], v[12:13], v[26:27]
	v_fmac_f64_e32 v[30:31], v[14:15], v[24:25]
	v_add_f64 v[32:33], v[28:29], v[30:31]
	scratch_load_dwordx4 v[28:31], off, off offset:400
	v_mul_f64 v[14:15], v[14:15], v[26:27]
	v_fma_f64 v[12:13], v[12:13], v[24:25], -v[14:15]
	s_waitcnt vmcnt(0) lgkmcnt(1)
	v_mul_f64 v[34:35], v[8:9], v[30:31]
	v_fmac_f64_e32 v[34:35], v[10:11], v[28:29]
	v_add_f64 v[36:37], v[32:33], v[34:35]
	scratch_load_dwordx4 v[32:35], off, off offset:416
	v_mul_f64 v[10:11], v[10:11], v[30:31]
	v_fma_f64 v[8:9], v[8:9], v[28:29], -v[10:11]
	s_waitcnt vmcnt(0) lgkmcnt(0)
	v_mul_f64 v[38:39], v[4:5], v[34:35]
	v_fmac_f64_e32 v[38:39], v[6:7], v[32:33]
	v_add_f64 v[44:45], v[36:37], v[38:39]
	ds_read_b128 v[36:39], v2 offset:1152
	v_mul_f64 v[6:7], v[6:7], v[34:35]
	v_fma_f64 v[4:5], v[4:5], v[32:33], -v[6:7]
	s_waitcnt lgkmcnt(0)
	v_mul_f64 v[46:47], v[36:37], v[42:43]
	v_fmac_f64_e32 v[46:47], v[38:39], v[40:41]
	v_add_f64 v[52:53], v[44:45], v[46:47]
	ds_read_b128 v[44:47], v2 offset:1168
	s_waitcnt lgkmcnt(0)
	v_mul_f64 v[54:55], v[44:45], v[50:51]
	v_fmac_f64_e32 v[54:55], v[46:47], v[48:49]
	v_add_f64 v[60:61], v[52:53], v[54:55]
	ds_read_b128 v[52:55], v2 offset:1184
	;; [unrolled: 5-line block ×19, first 2 shown]
	s_waitcnt lgkmcnt(0)
	v_mul_f64 v[2:3], v[190:191], v[196:197]
	v_fmac_f64_e32 v[2:3], v[192:193], v[194:195]
	v_add_f64 v[148:149], v[148:149], v[2:3]
	v_mul_f64 v[2:3], v[18:19], v[22:23]
	v_fma_f64 v[2:3], v[16:17], v[20:21], -v[2:3]
	v_add_f64 v[2:3], v[2:3], 0
	v_add_f64 v[2:3], v[2:3], v[12:13]
	;; [unrolled: 1-line block ×4, first 2 shown]
	v_mul_f64 v[4:5], v[38:39], v[42:43]
	v_fma_f64 v[4:5], v[36:37], v[40:41], -v[4:5]
	v_add_f64 v[2:3], v[2:3], v[4:5]
	v_mul_f64 v[4:5], v[46:47], v[50:51]
	v_fma_f64 v[4:5], v[44:45], v[48:49], -v[4:5]
	v_add_f64 v[2:3], v[2:3], v[4:5]
	;; [unrolled: 3-line block ×20, first 2 shown]
	scratch_load_dwordx4 v[2:5], off, off offset:352
	s_waitcnt vmcnt(0)
	v_add_f64 v[2:3], v[2:3], -v[6:7]
	v_add_f64 v[4:5], v[4:5], -v[148:149]
	scratch_store_dwordx4 off, v[2:5], off offset:352
	s_and_saveexec_b64 s[0:1], vcc
	s_cbranch_execz .LBB45_249
; %bb.248:
	scratch_load_dwordx4 v[2:5], off, s40
	v_mov_b32_e32 v6, 0
	v_mov_b32_e32 v7, v6
	;; [unrolled: 1-line block ×4, first 2 shown]
	v_accvgpr_read_b32 v0, a93
	scratch_store_dwordx4 off, v[6:9], off offset:336
	s_waitcnt vmcnt(1)
	ds_write_b128 v0, v[2:5]
.LBB45_249:
	s_or_b64 exec, exec, s[0:1]
	v_mov_b32_e32 v2, 0
	s_waitcnt lgkmcnt(0)
	; wave barrier
	ds_read_b128 v[16:19], v2 offset:1072
	ds_read_b128 v[12:15], v2 offset:1088
	;; [unrolled: 1-line block ×4, first 2 shown]
	scratch_load_dwordx4 v[20:23], off, off offset:352
	scratch_load_dwordx4 v[40:43], off, off offset:416
	;; [unrolled: 1-line block ×19, first 2 shown]
	v_cmp_lt_u32_e32 vcc, 19, v248
	scratch_load_dwordx4 v[48:51], off, off offset:432
	scratch_load_dwordx4 v[56:59], off, off offset:448
	scratch_load_dwordx4 v[64:67], off, off offset:464
	s_waitcnt vmcnt(21) lgkmcnt(3)
	v_mul_f64 v[24:25], v[16:17], v[22:23]
	v_fmac_f64_e32 v[24:25], v[18:19], v[20:21]
	v_add_f64 v[28:29], v[24:25], 0
	scratch_load_dwordx4 v[24:27], off, off offset:368
	v_mul_f64 v[18:19], v[18:19], v[22:23]
	v_fma_f64 v[16:17], v[16:17], v[20:21], -v[18:19]
	v_add_f64 v[16:17], v[16:17], 0
	s_waitcnt vmcnt(0) lgkmcnt(2)
	v_mul_f64 v[30:31], v[12:13], v[26:27]
	v_fmac_f64_e32 v[30:31], v[14:15], v[24:25]
	v_add_f64 v[32:33], v[28:29], v[30:31]
	scratch_load_dwordx4 v[28:31], off, off offset:384
	v_mul_f64 v[14:15], v[14:15], v[26:27]
	v_fma_f64 v[12:13], v[12:13], v[24:25], -v[14:15]
	v_add_f64 v[12:13], v[16:17], v[12:13]
	s_waitcnt vmcnt(0) lgkmcnt(1)
	v_mul_f64 v[34:35], v[8:9], v[30:31]
	v_fmac_f64_e32 v[34:35], v[10:11], v[28:29]
	v_add_f64 v[36:37], v[32:33], v[34:35]
	scratch_load_dwordx4 v[32:35], off, off offset:400
	v_mul_f64 v[10:11], v[10:11], v[30:31]
	v_fma_f64 v[8:9], v[8:9], v[28:29], -v[10:11]
	v_add_f64 v[8:9], v[12:13], v[8:9]
	s_waitcnt vmcnt(0) lgkmcnt(0)
	v_mul_f64 v[38:39], v[4:5], v[34:35]
	v_fmac_f64_e32 v[38:39], v[6:7], v[32:33]
	v_add_f64 v[44:45], v[36:37], v[38:39]
	ds_read_b128 v[36:39], v2 offset:1136
	v_mul_f64 v[6:7], v[6:7], v[34:35]
	v_fma_f64 v[4:5], v[4:5], v[32:33], -v[6:7]
	v_add_f64 v[4:5], v[8:9], v[4:5]
	s_waitcnt lgkmcnt(0)
	v_mul_f64 v[46:47], v[36:37], v[42:43]
	v_fmac_f64_e32 v[46:47], v[38:39], v[40:41]
	v_add_f64 v[52:53], v[44:45], v[46:47]
	ds_read_b128 v[44:47], v2 offset:1152
	v_mul_f64 v[6:7], v[38:39], v[42:43]
	v_fma_f64 v[6:7], v[36:37], v[40:41], -v[6:7]
	v_add_f64 v[4:5], v[4:5], v[6:7]
	s_waitcnt lgkmcnt(0)
	;; [unrolled: 8-line block ×21, first 2 shown]
	v_mul_f64 v[6:7], v[200:201], v[204:205]
	v_fma_f64 v[6:7], v[198:199], v[202:203], -v[6:7]
	v_add_f64 v[8:9], v[4:5], v[6:7]
	scratch_load_dwordx4 v[4:7], off, off offset:336
	v_mul_f64 v[206:207], v[198:199], v[204:205]
	v_fmac_f64_e32 v[206:207], v[200:201], v[202:203]
	v_add_f64 v[144:145], v[144:145], v[206:207]
	s_waitcnt vmcnt(0)
	v_add_f64 v[4:5], v[4:5], -v[8:9]
	v_add_f64 v[6:7], v[6:7], -v[144:145]
	scratch_store_dwordx4 off, v[4:7], off offset:336
	s_and_saveexec_b64 s[0:1], vcc
	s_cbranch_execz .LBB45_251
; %bb.250:
	scratch_load_dwordx4 v[6:9], off, s39
	v_mov_b32_e32 v3, v2
	v_mov_b32_e32 v4, v2
	;; [unrolled: 1-line block ×3, first 2 shown]
	v_accvgpr_read_b32 v0, a93
	scratch_store_dwordx4 off, v[2:5], off offset:320
	s_waitcnt vmcnt(1)
	ds_write_b128 v0, v[6:9]
.LBB45_251:
	s_or_b64 exec, exec, s[0:1]
	s_waitcnt lgkmcnt(0)
	; wave barrier
	ds_read_b128 v[16:19], v2 offset:1056
	ds_read_b128 v[12:15], v2 offset:1072
	;; [unrolled: 1-line block ×4, first 2 shown]
	scratch_load_dwordx4 v[20:23], off, off offset:336
	scratch_load_dwordx4 v[40:43], off, off offset:400
	;; [unrolled: 1-line block ×20, first 2 shown]
	v_cmp_lt_u32_e32 vcc, 18, v248
	scratch_load_dwordx4 v[48:51], off, off offset:416
	scratch_load_dwordx4 v[56:59], off, off offset:432
	;; [unrolled: 1-line block ×3, first 2 shown]
	s_waitcnt vmcnt(22) lgkmcnt(3)
	v_mul_f64 v[24:25], v[16:17], v[22:23]
	v_fmac_f64_e32 v[24:25], v[18:19], v[20:21]
	v_add_f64 v[28:29], v[24:25], 0
	scratch_load_dwordx4 v[24:27], off, off offset:352
	s_waitcnt vmcnt(0) lgkmcnt(2)
	v_mul_f64 v[30:31], v[12:13], v[26:27]
	v_fmac_f64_e32 v[30:31], v[14:15], v[24:25]
	v_add_f64 v[32:33], v[28:29], v[30:31]
	scratch_load_dwordx4 v[28:31], off, off offset:368
	v_mul_f64 v[14:15], v[14:15], v[26:27]
	v_fma_f64 v[12:13], v[12:13], v[24:25], -v[14:15]
	s_waitcnt vmcnt(0) lgkmcnt(1)
	v_mul_f64 v[34:35], v[8:9], v[30:31]
	v_fmac_f64_e32 v[34:35], v[10:11], v[28:29]
	v_add_f64 v[36:37], v[32:33], v[34:35]
	scratch_load_dwordx4 v[32:35], off, off offset:384
	v_mul_f64 v[10:11], v[10:11], v[30:31]
	v_fma_f64 v[8:9], v[8:9], v[28:29], -v[10:11]
	s_waitcnt vmcnt(0) lgkmcnt(0)
	v_mul_f64 v[38:39], v[4:5], v[34:35]
	v_fmac_f64_e32 v[38:39], v[6:7], v[32:33]
	v_add_f64 v[44:45], v[36:37], v[38:39]
	ds_read_b128 v[36:39], v2 offset:1120
	v_mul_f64 v[6:7], v[6:7], v[34:35]
	v_fma_f64 v[4:5], v[4:5], v[32:33], -v[6:7]
	s_waitcnt lgkmcnt(0)
	v_mul_f64 v[46:47], v[36:37], v[42:43]
	v_fmac_f64_e32 v[46:47], v[38:39], v[40:41]
	v_add_f64 v[52:53], v[44:45], v[46:47]
	ds_read_b128 v[44:47], v2 offset:1136
	s_waitcnt lgkmcnt(0)
	v_mul_f64 v[54:55], v[44:45], v[50:51]
	v_fmac_f64_e32 v[54:55], v[46:47], v[48:49]
	v_add_f64 v[60:61], v[52:53], v[54:55]
	ds_read_b128 v[52:55], v2 offset:1152
	;; [unrolled: 5-line block ×21, first 2 shown]
	s_waitcnt lgkmcnt(0)
	v_mul_f64 v[2:3], v[206:207], v[212:213]
	v_fmac_f64_e32 v[2:3], v[208:209], v[210:211]
	v_add_f64 v[168:169], v[168:169], v[2:3]
	v_mul_f64 v[2:3], v[18:19], v[22:23]
	v_fma_f64 v[2:3], v[16:17], v[20:21], -v[2:3]
	v_add_f64 v[2:3], v[2:3], 0
	v_add_f64 v[2:3], v[2:3], v[12:13]
	;; [unrolled: 1-line block ×4, first 2 shown]
	v_mul_f64 v[4:5], v[38:39], v[42:43]
	v_fma_f64 v[4:5], v[36:37], v[40:41], -v[4:5]
	v_add_f64 v[2:3], v[2:3], v[4:5]
	v_mul_f64 v[4:5], v[46:47], v[50:51]
	v_fma_f64 v[4:5], v[44:45], v[48:49], -v[4:5]
	v_add_f64 v[2:3], v[2:3], v[4:5]
	;; [unrolled: 3-line block ×22, first 2 shown]
	scratch_load_dwordx4 v[2:5], off, off offset:320
	s_waitcnt vmcnt(0)
	v_add_f64 v[2:3], v[2:3], -v[6:7]
	v_add_f64 v[4:5], v[4:5], -v[168:169]
	scratch_store_dwordx4 off, v[2:5], off offset:320
	s_and_saveexec_b64 s[0:1], vcc
	s_cbranch_execz .LBB45_253
; %bb.252:
	scratch_load_dwordx4 v[2:5], off, s38
	v_mov_b32_e32 v6, 0
	v_mov_b32_e32 v7, v6
	;; [unrolled: 1-line block ×4, first 2 shown]
	v_accvgpr_read_b32 v0, a93
	scratch_store_dwordx4 off, v[6:9], off offset:304
	s_waitcnt vmcnt(1)
	ds_write_b128 v0, v[2:5]
.LBB45_253:
	s_or_b64 exec, exec, s[0:1]
	v_mov_b32_e32 v2, 0
	s_waitcnt lgkmcnt(0)
	; wave barrier
	ds_read_b128 v[16:19], v2 offset:1040
	ds_read_b128 v[12:15], v2 offset:1056
	ds_read_b128 v[8:11], v2 offset:1072
	ds_read_b128 v[4:7], v2 offset:1088
	scratch_load_dwordx4 v[20:23], off, off offset:320
	scratch_load_dwordx4 v[40:43], off, off offset:384
	;; [unrolled: 1-line block ×21, first 2 shown]
	v_cmp_lt_u32_e32 vcc, 17, v248
	scratch_load_dwordx4 v[48:51], off, off offset:400
	scratch_load_dwordx4 v[56:59], off, off offset:416
	;; [unrolled: 1-line block ×3, first 2 shown]
	s_waitcnt vmcnt(23) lgkmcnt(3)
	v_mul_f64 v[24:25], v[16:17], v[22:23]
	v_fmac_f64_e32 v[24:25], v[18:19], v[20:21]
	v_add_f64 v[28:29], v[24:25], 0
	scratch_load_dwordx4 v[24:27], off, off offset:336
	v_mul_f64 v[18:19], v[18:19], v[22:23]
	v_fma_f64 v[16:17], v[16:17], v[20:21], -v[18:19]
	v_add_f64 v[16:17], v[16:17], 0
	s_waitcnt vmcnt(0) lgkmcnt(2)
	v_mul_f64 v[30:31], v[12:13], v[26:27]
	v_fmac_f64_e32 v[30:31], v[14:15], v[24:25]
	v_add_f64 v[32:33], v[28:29], v[30:31]
	scratch_load_dwordx4 v[28:31], off, off offset:352
	v_mul_f64 v[14:15], v[14:15], v[26:27]
	v_fma_f64 v[12:13], v[12:13], v[24:25], -v[14:15]
	v_add_f64 v[12:13], v[16:17], v[12:13]
	;; [unrolled: 8-line block ×3, first 2 shown]
	s_waitcnt vmcnt(0) lgkmcnt(0)
	v_mul_f64 v[38:39], v[4:5], v[34:35]
	v_fmac_f64_e32 v[38:39], v[6:7], v[32:33]
	v_add_f64 v[44:45], v[36:37], v[38:39]
	ds_read_b128 v[36:39], v2 offset:1104
	v_mul_f64 v[6:7], v[6:7], v[34:35]
	v_fma_f64 v[4:5], v[4:5], v[32:33], -v[6:7]
	v_add_f64 v[4:5], v[8:9], v[4:5]
	s_waitcnt lgkmcnt(0)
	v_mul_f64 v[46:47], v[36:37], v[42:43]
	v_fmac_f64_e32 v[46:47], v[38:39], v[40:41]
	v_add_f64 v[52:53], v[44:45], v[46:47]
	ds_read_b128 v[44:47], v2 offset:1120
	v_mul_f64 v[6:7], v[38:39], v[42:43]
	v_fma_f64 v[6:7], v[36:37], v[40:41], -v[6:7]
	v_add_f64 v[4:5], v[4:5], v[6:7]
	s_waitcnt lgkmcnt(0)
	;; [unrolled: 8-line block ×23, first 2 shown]
	v_mul_f64 v[6:7], v[216:217], v[220:221]
	v_fma_f64 v[6:7], v[214:215], v[218:219], -v[6:7]
	v_add_f64 v[8:9], v[4:5], v[6:7]
	scratch_load_dwordx4 v[4:7], off, off offset:304
	v_mul_f64 v[222:223], v[214:215], v[220:221]
	v_fmac_f64_e32 v[222:223], v[216:217], v[218:219]
	v_add_f64 v[160:161], v[160:161], v[222:223]
	s_waitcnt vmcnt(0)
	v_add_f64 v[4:5], v[4:5], -v[8:9]
	v_add_f64 v[6:7], v[6:7], -v[160:161]
	scratch_store_dwordx4 off, v[4:7], off offset:304
	s_and_saveexec_b64 s[0:1], vcc
	s_cbranch_execz .LBB45_255
; %bb.254:
	scratch_load_dwordx4 v[6:9], off, s37
	v_mov_b32_e32 v3, v2
	v_mov_b32_e32 v4, v2
	;; [unrolled: 1-line block ×3, first 2 shown]
	v_accvgpr_read_b32 v0, a93
	scratch_store_dwordx4 off, v[2:5], off offset:288
	s_waitcnt vmcnt(1)
	ds_write_b128 v0, v[6:9]
.LBB45_255:
	s_or_b64 exec, exec, s[0:1]
	s_waitcnt lgkmcnt(0)
	; wave barrier
	ds_read_b128 v[16:19], v2 offset:1024
	ds_read_b128 v[12:15], v2 offset:1040
	;; [unrolled: 1-line block ×4, first 2 shown]
	scratch_load_dwordx4 v[20:23], off, off offset:304
	scratch_load_dwordx4 v[40:43], off, off offset:368
	;; [unrolled: 1-line block ×22, first 2 shown]
	v_cmp_lt_u32_e32 vcc, 16, v248
	scratch_load_dwordx4 v[48:51], off, off offset:384
	scratch_load_dwordx4 v[56:59], off, off offset:400
	;; [unrolled: 1-line block ×3, first 2 shown]
	s_waitcnt vmcnt(24) lgkmcnt(3)
	v_mul_f64 v[24:25], v[16:17], v[22:23]
	v_fmac_f64_e32 v[24:25], v[18:19], v[20:21]
	v_add_f64 v[28:29], v[24:25], 0
	scratch_load_dwordx4 v[24:27], off, off offset:320
	s_waitcnt vmcnt(0) lgkmcnt(2)
	v_mul_f64 v[30:31], v[12:13], v[26:27]
	v_fmac_f64_e32 v[30:31], v[14:15], v[24:25]
	v_add_f64 v[32:33], v[28:29], v[30:31]
	scratch_load_dwordx4 v[28:31], off, off offset:336
	v_mul_f64 v[14:15], v[14:15], v[26:27]
	v_fma_f64 v[12:13], v[12:13], v[24:25], -v[14:15]
	s_waitcnt vmcnt(0) lgkmcnt(1)
	v_mul_f64 v[34:35], v[8:9], v[30:31]
	v_fmac_f64_e32 v[34:35], v[10:11], v[28:29]
	v_add_f64 v[36:37], v[32:33], v[34:35]
	scratch_load_dwordx4 v[32:35], off, off offset:352
	v_mul_f64 v[10:11], v[10:11], v[30:31]
	v_fma_f64 v[8:9], v[8:9], v[28:29], -v[10:11]
	s_waitcnt vmcnt(0) lgkmcnt(0)
	v_mul_f64 v[38:39], v[4:5], v[34:35]
	v_fmac_f64_e32 v[38:39], v[6:7], v[32:33]
	v_add_f64 v[44:45], v[36:37], v[38:39]
	ds_read_b128 v[36:39], v2 offset:1088
	v_mul_f64 v[6:7], v[6:7], v[34:35]
	v_fma_f64 v[4:5], v[4:5], v[32:33], -v[6:7]
	s_waitcnt lgkmcnt(0)
	v_mul_f64 v[46:47], v[36:37], v[42:43]
	v_fmac_f64_e32 v[46:47], v[38:39], v[40:41]
	v_add_f64 v[52:53], v[44:45], v[46:47]
	ds_read_b128 v[44:47], v2 offset:1104
	s_waitcnt lgkmcnt(0)
	v_mul_f64 v[54:55], v[44:45], v[50:51]
	v_fmac_f64_e32 v[54:55], v[46:47], v[48:49]
	v_add_f64 v[60:61], v[52:53], v[54:55]
	ds_read_b128 v[52:55], v2 offset:1120
	;; [unrolled: 5-line block ×23, first 2 shown]
	s_waitcnt lgkmcnt(0)
	v_mul_f64 v[2:3], v[222:223], v[228:229]
	v_fmac_f64_e32 v[2:3], v[224:225], v[226:227]
	v_add_f64 v[176:177], v[176:177], v[2:3]
	v_mul_f64 v[2:3], v[18:19], v[22:23]
	v_fma_f64 v[2:3], v[16:17], v[20:21], -v[2:3]
	v_add_f64 v[2:3], v[2:3], 0
	v_add_f64 v[2:3], v[2:3], v[12:13]
	;; [unrolled: 1-line block ×4, first 2 shown]
	v_mul_f64 v[4:5], v[38:39], v[42:43]
	v_fma_f64 v[4:5], v[36:37], v[40:41], -v[4:5]
	v_add_f64 v[2:3], v[2:3], v[4:5]
	v_mul_f64 v[4:5], v[46:47], v[50:51]
	v_fma_f64 v[4:5], v[44:45], v[48:49], -v[4:5]
	v_add_f64 v[2:3], v[2:3], v[4:5]
	;; [unrolled: 3-line block ×24, first 2 shown]
	scratch_load_dwordx4 v[2:5], off, off offset:288
	s_waitcnt vmcnt(0)
	v_add_f64 v[2:3], v[2:3], -v[6:7]
	v_add_f64 v[4:5], v[4:5], -v[176:177]
	scratch_store_dwordx4 off, v[2:5], off offset:288
	s_and_saveexec_b64 s[0:1], vcc
	s_cbranch_execz .LBB45_257
; %bb.256:
	scratch_load_dwordx4 v[2:5], off, s36
	v_mov_b32_e32 v6, 0
	v_mov_b32_e32 v7, v6
	;; [unrolled: 1-line block ×4, first 2 shown]
	v_accvgpr_read_b32 v0, a93
	scratch_store_dwordx4 off, v[6:9], off offset:272
	s_waitcnt vmcnt(1)
	ds_write_b128 v0, v[2:5]
.LBB45_257:
	s_or_b64 exec, exec, s[0:1]
	v_mov_b32_e32 v2, 0
	s_waitcnt lgkmcnt(0)
	; wave barrier
	ds_read_b128 v[16:19], v2 offset:1008
	ds_read_b128 v[12:15], v2 offset:1024
	;; [unrolled: 1-line block ×4, first 2 shown]
	scratch_load_dwordx4 v[20:23], off, off offset:288
	scratch_load_dwordx4 v[40:43], off, off offset:352
	;; [unrolled: 1-line block ×23, first 2 shown]
	v_cmp_lt_u32_e32 vcc, 15, v248
	scratch_load_dwordx4 v[48:51], off, off offset:368
	scratch_load_dwordx4 v[56:59], off, off offset:384
	scratch_load_dwordx4 v[64:67], off, off offset:400
	s_waitcnt vmcnt(25) lgkmcnt(3)
	v_mul_f64 v[24:25], v[16:17], v[22:23]
	v_fmac_f64_e32 v[24:25], v[18:19], v[20:21]
	v_add_f64 v[28:29], v[24:25], 0
	scratch_load_dwordx4 v[24:27], off, off offset:304
	v_mul_f64 v[18:19], v[18:19], v[22:23]
	v_fma_f64 v[16:17], v[16:17], v[20:21], -v[18:19]
	v_add_f64 v[16:17], v[16:17], 0
	s_waitcnt vmcnt(0) lgkmcnt(2)
	v_mul_f64 v[30:31], v[12:13], v[26:27]
	v_fmac_f64_e32 v[30:31], v[14:15], v[24:25]
	v_add_f64 v[32:33], v[28:29], v[30:31]
	scratch_load_dwordx4 v[28:31], off, off offset:320
	v_mul_f64 v[14:15], v[14:15], v[26:27]
	v_fma_f64 v[12:13], v[12:13], v[24:25], -v[14:15]
	v_add_f64 v[12:13], v[16:17], v[12:13]
	;; [unrolled: 8-line block ×3, first 2 shown]
	s_waitcnt vmcnt(0) lgkmcnt(0)
	v_mul_f64 v[38:39], v[4:5], v[34:35]
	v_fmac_f64_e32 v[38:39], v[6:7], v[32:33]
	v_add_f64 v[44:45], v[36:37], v[38:39]
	ds_read_b128 v[36:39], v2 offset:1072
	v_mul_f64 v[6:7], v[6:7], v[34:35]
	v_fma_f64 v[4:5], v[4:5], v[32:33], -v[6:7]
	v_add_f64 v[4:5], v[8:9], v[4:5]
	s_waitcnt lgkmcnt(0)
	v_mul_f64 v[46:47], v[36:37], v[42:43]
	v_fmac_f64_e32 v[46:47], v[38:39], v[40:41]
	v_add_f64 v[52:53], v[44:45], v[46:47]
	ds_read_b128 v[44:47], v2 offset:1088
	v_mul_f64 v[6:7], v[38:39], v[42:43]
	v_fma_f64 v[6:7], v[36:37], v[40:41], -v[6:7]
	v_add_f64 v[4:5], v[4:5], v[6:7]
	s_waitcnt lgkmcnt(0)
	v_mul_f64 v[54:55], v[44:45], v[50:51]
	v_fmac_f64_e32 v[54:55], v[46:47], v[48:49]
	v_add_f64 v[60:61], v[52:53], v[54:55]
	ds_read_b128 v[52:55], v2 offset:1104
	v_mul_f64 v[6:7], v[46:47], v[50:51]
	v_fma_f64 v[6:7], v[44:45], v[48:49], -v[6:7]
	v_add_f64 v[4:5], v[4:5], v[6:7]
	s_waitcnt lgkmcnt(0)
	v_mul_f64 v[62:63], v[52:53], v[58:59]
	v_fmac_f64_e32 v[62:63], v[54:55], v[56:57]
	v_add_f64 v[68:69], v[60:61], v[62:63]
	ds_read_b128 v[60:63], v2 offset:1120
	v_mul_f64 v[6:7], v[54:55], v[58:59]
	v_fma_f64 v[6:7], v[52:53], v[56:57], -v[6:7]
	v_add_f64 v[4:5], v[4:5], v[6:7]
	s_waitcnt lgkmcnt(0)
	v_mul_f64 v[70:71], v[60:61], v[66:67]
	v_fmac_f64_e32 v[70:71], v[62:63], v[64:65]
	v_add_f64 v[76:77], v[68:69], v[70:71]
	ds_read_b128 v[68:71], v2 offset:1136
	v_mul_f64 v[6:7], v[62:63], v[66:67]
	v_fma_f64 v[6:7], v[60:61], v[64:65], -v[6:7]
	v_add_f64 v[4:5], v[4:5], v[6:7]
	s_waitcnt lgkmcnt(0)
	v_mul_f64 v[78:79], v[68:69], v[74:75]
	v_fmac_f64_e32 v[78:79], v[70:71], v[72:73]
	v_add_f64 v[84:85], v[76:77], v[78:79]
	ds_read_b128 v[76:79], v2 offset:1152
	v_mul_f64 v[6:7], v[70:71], v[74:75]
	v_fma_f64 v[6:7], v[68:69], v[72:73], -v[6:7]
	v_add_f64 v[4:5], v[4:5], v[6:7]
	s_waitcnt lgkmcnt(0)
	v_mul_f64 v[86:87], v[76:77], v[82:83]
	v_fmac_f64_e32 v[86:87], v[78:79], v[80:81]
	v_add_f64 v[92:93], v[84:85], v[86:87]
	ds_read_b128 v[84:87], v2 offset:1168
	v_mul_f64 v[6:7], v[78:79], v[82:83]
	v_fma_f64 v[6:7], v[76:77], v[80:81], -v[6:7]
	v_add_f64 v[4:5], v[4:5], v[6:7]
	s_waitcnt lgkmcnt(0)
	v_mul_f64 v[94:95], v[84:85], v[90:91]
	v_fmac_f64_e32 v[94:95], v[86:87], v[88:89]
	v_add_f64 v[100:101], v[92:93], v[94:95]
	ds_read_b128 v[92:95], v2 offset:1184
	v_mul_f64 v[6:7], v[86:87], v[90:91]
	v_fma_f64 v[6:7], v[84:85], v[88:89], -v[6:7]
	v_add_f64 v[4:5], v[4:5], v[6:7]
	s_waitcnt lgkmcnt(0)
	v_mul_f64 v[102:103], v[92:93], v[98:99]
	v_fmac_f64_e32 v[102:103], v[94:95], v[96:97]
	v_add_f64 v[108:109], v[100:101], v[102:103]
	ds_read_b128 v[100:103], v2 offset:1200
	v_mul_f64 v[6:7], v[94:95], v[98:99]
	v_fma_f64 v[6:7], v[92:93], v[96:97], -v[6:7]
	v_add_f64 v[4:5], v[4:5], v[6:7]
	s_waitcnt lgkmcnt(0)
	v_mul_f64 v[110:111], v[100:101], v[106:107]
	v_fmac_f64_e32 v[110:111], v[102:103], v[104:105]
	v_add_f64 v[116:117], v[108:109], v[110:111]
	ds_read_b128 v[108:111], v2 offset:1216
	v_mul_f64 v[6:7], v[102:103], v[106:107]
	v_fma_f64 v[6:7], v[100:101], v[104:105], -v[6:7]
	v_add_f64 v[4:5], v[4:5], v[6:7]
	s_waitcnt lgkmcnt(0)
	v_mul_f64 v[118:119], v[108:109], v[114:115]
	v_fmac_f64_e32 v[118:119], v[110:111], v[112:113]
	v_add_f64 v[124:125], v[116:117], v[118:119]
	ds_read_b128 v[116:119], v2 offset:1232
	v_mul_f64 v[6:7], v[110:111], v[114:115]
	v_fma_f64 v[6:7], v[108:109], v[112:113], -v[6:7]
	v_add_f64 v[4:5], v[4:5], v[6:7]
	s_waitcnt lgkmcnt(0)
	v_mul_f64 v[126:127], v[116:117], v[122:123]
	v_fmac_f64_e32 v[126:127], v[118:119], v[120:121]
	v_add_f64 v[132:133], v[124:125], v[126:127]
	ds_read_b128 v[124:127], v2 offset:1248
	v_mul_f64 v[6:7], v[118:119], v[122:123]
	v_fma_f64 v[6:7], v[116:117], v[120:121], -v[6:7]
	v_add_f64 v[4:5], v[4:5], v[6:7]
	s_waitcnt lgkmcnt(0)
	v_mul_f64 v[134:135], v[124:125], v[130:131]
	v_fmac_f64_e32 v[134:135], v[126:127], v[128:129]
	v_add_f64 v[140:141], v[132:133], v[134:135]
	ds_read_b128 v[132:135], v2 offset:1264
	v_mul_f64 v[6:7], v[126:127], v[130:131]
	v_fma_f64 v[6:7], v[124:125], v[128:129], -v[6:7]
	v_add_f64 v[4:5], v[4:5], v[6:7]
	s_waitcnt lgkmcnt(0)
	v_mul_f64 v[142:143], v[132:133], v[138:139]
	v_fmac_f64_e32 v[142:143], v[134:135], v[136:137]
	v_add_f64 v[148:149], v[140:141], v[142:143]
	ds_read_b128 v[140:143], v2 offset:1280
	v_mul_f64 v[6:7], v[134:135], v[138:139]
	v_fma_f64 v[6:7], v[132:133], v[136:137], -v[6:7]
	v_add_f64 v[4:5], v[4:5], v[6:7]
	s_waitcnt lgkmcnt(0)
	v_mul_f64 v[150:151], v[140:141], v[146:147]
	v_fmac_f64_e32 v[150:151], v[142:143], v[144:145]
	v_add_f64 v[156:157], v[148:149], v[150:151]
	ds_read_b128 v[148:151], v2 offset:1296
	v_mul_f64 v[6:7], v[142:143], v[146:147]
	v_fma_f64 v[6:7], v[140:141], v[144:145], -v[6:7]
	v_add_f64 v[4:5], v[4:5], v[6:7]
	s_waitcnt lgkmcnt(0)
	v_mul_f64 v[158:159], v[148:149], v[154:155]
	v_fmac_f64_e32 v[158:159], v[150:151], v[152:153]
	v_add_f64 v[164:165], v[156:157], v[158:159]
	ds_read_b128 v[156:159], v2 offset:1312
	v_mul_f64 v[6:7], v[150:151], v[154:155]
	v_fma_f64 v[6:7], v[148:149], v[152:153], -v[6:7]
	v_add_f64 v[4:5], v[4:5], v[6:7]
	s_waitcnt lgkmcnt(0)
	v_mul_f64 v[166:167], v[156:157], v[162:163]
	v_fmac_f64_e32 v[166:167], v[158:159], v[160:161]
	v_add_f64 v[172:173], v[164:165], v[166:167]
	ds_read_b128 v[164:167], v2 offset:1328
	v_mul_f64 v[6:7], v[158:159], v[162:163]
	v_fma_f64 v[6:7], v[156:157], v[160:161], -v[6:7]
	v_add_f64 v[4:5], v[4:5], v[6:7]
	s_waitcnt lgkmcnt(0)
	v_mul_f64 v[174:175], v[164:165], v[170:171]
	v_fmac_f64_e32 v[174:175], v[166:167], v[168:169]
	v_add_f64 v[176:177], v[172:173], v[174:175]
	ds_read_b128 v[172:175], v2 offset:1344
	v_mul_f64 v[6:7], v[166:167], v[170:171]
	v_fma_f64 v[6:7], v[164:165], v[168:169], -v[6:7]
	v_add_f64 v[4:5], v[4:5], v[6:7]
	s_waitcnt lgkmcnt(0)
	v_mul_f64 v[182:183], v[172:173], v[180:181]
	v_fmac_f64_e32 v[182:183], v[174:175], v[178:179]
	v_add_f64 v[176:177], v[176:177], v[182:183]
	ds_read_b128 v[182:185], v2 offset:1360
	v_mul_f64 v[6:7], v[174:175], v[180:181]
	v_fma_f64 v[6:7], v[172:173], v[178:179], -v[6:7]
	v_add_f64 v[4:5], v[4:5], v[6:7]
	s_waitcnt lgkmcnt(0)
	v_mul_f64 v[190:191], v[182:183], v[188:189]
	v_fmac_f64_e32 v[190:191], v[184:185], v[186:187]
	v_add_f64 v[176:177], v[176:177], v[190:191]
	ds_read_b128 v[190:193], v2 offset:1376
	v_mul_f64 v[6:7], v[184:185], v[188:189]
	v_fma_f64 v[6:7], v[182:183], v[186:187], -v[6:7]
	v_add_f64 v[4:5], v[4:5], v[6:7]
	s_waitcnt lgkmcnt(0)
	v_mul_f64 v[198:199], v[190:191], v[196:197]
	v_fmac_f64_e32 v[198:199], v[192:193], v[194:195]
	v_add_f64 v[176:177], v[176:177], v[198:199]
	ds_read_b128 v[198:201], v2 offset:1392
	v_mul_f64 v[6:7], v[192:193], v[196:197]
	v_fma_f64 v[6:7], v[190:191], v[194:195], -v[6:7]
	v_add_f64 v[4:5], v[4:5], v[6:7]
	s_waitcnt lgkmcnt(0)
	v_mul_f64 v[206:207], v[198:199], v[204:205]
	v_fmac_f64_e32 v[206:207], v[200:201], v[202:203]
	v_add_f64 v[176:177], v[176:177], v[206:207]
	ds_read_b128 v[206:209], v2 offset:1408
	v_mul_f64 v[6:7], v[200:201], v[204:205]
	v_fma_f64 v[6:7], v[198:199], v[202:203], -v[6:7]
	v_add_f64 v[4:5], v[4:5], v[6:7]
	s_waitcnt lgkmcnt(0)
	v_mul_f64 v[214:215], v[206:207], v[212:213]
	v_fmac_f64_e32 v[214:215], v[208:209], v[210:211]
	v_add_f64 v[176:177], v[176:177], v[214:215]
	ds_read_b128 v[214:217], v2 offset:1424
	v_mul_f64 v[6:7], v[208:209], v[212:213]
	v_fma_f64 v[6:7], v[206:207], v[210:211], -v[6:7]
	v_add_f64 v[4:5], v[4:5], v[6:7]
	s_waitcnt lgkmcnt(0)
	v_mul_f64 v[222:223], v[214:215], v[220:221]
	v_fmac_f64_e32 v[222:223], v[216:217], v[218:219]
	v_add_f64 v[176:177], v[176:177], v[222:223]
	ds_read_b128 v[222:225], v2 offset:1440
	v_mul_f64 v[6:7], v[216:217], v[220:221]
	v_fma_f64 v[6:7], v[214:215], v[218:219], -v[6:7]
	v_add_f64 v[4:5], v[4:5], v[6:7]
	s_waitcnt lgkmcnt(0)
	v_mul_f64 v[230:231], v[222:223], v[228:229]
	v_fmac_f64_e32 v[230:231], v[224:225], v[226:227]
	v_add_f64 v[176:177], v[176:177], v[230:231]
	ds_read_b128 v[230:233], v2 offset:1456
	v_mul_f64 v[6:7], v[224:225], v[228:229]
	v_fma_f64 v[6:7], v[222:223], v[226:227], -v[6:7]
	v_add_f64 v[4:5], v[4:5], v[6:7]
	s_waitcnt lgkmcnt(0)
	v_mul_f64 v[6:7], v[232:233], v[236:237]
	v_fma_f64 v[6:7], v[230:231], v[234:235], -v[6:7]
	v_add_f64 v[8:9], v[4:5], v[6:7]
	scratch_load_dwordx4 v[4:7], off, off offset:272
	v_mul_f64 v[238:239], v[230:231], v[236:237]
	v_fmac_f64_e32 v[238:239], v[232:233], v[234:235]
	v_add_f64 v[176:177], v[176:177], v[238:239]
	s_waitcnt vmcnt(0)
	v_add_f64 v[4:5], v[4:5], -v[8:9]
	v_add_f64 v[6:7], v[6:7], -v[176:177]
	scratch_store_dwordx4 off, v[4:7], off offset:272
	s_and_saveexec_b64 s[0:1], vcc
	s_cbranch_execz .LBB45_259
; %bb.258:
	scratch_load_dwordx4 v[6:9], off, s35
	v_mov_b32_e32 v3, v2
	v_mov_b32_e32 v4, v2
	;; [unrolled: 1-line block ×3, first 2 shown]
	v_accvgpr_read_b32 v0, a93
	scratch_store_dwordx4 off, v[2:5], off offset:256
	s_waitcnt vmcnt(1)
	ds_write_b128 v0, v[6:9]
.LBB45_259:
	s_or_b64 exec, exec, s[0:1]
	s_waitcnt lgkmcnt(0)
	; wave barrier
	ds_read_b128 v[16:19], v2 offset:992
	ds_read_b128 v[12:15], v2 offset:1008
	;; [unrolled: 1-line block ×4, first 2 shown]
	scratch_load_dwordx4 v[20:23], off, off offset:272
	scratch_load_dwordx4 v[40:43], off, off offset:336
	;; [unrolled: 1-line block ×24, first 2 shown]
	v_cmp_lt_u32_e32 vcc, 14, v248
	scratch_load_dwordx4 v[48:51], off, off offset:352
	scratch_load_dwordx4 v[56:59], off, off offset:368
	;; [unrolled: 1-line block ×3, first 2 shown]
	s_waitcnt vmcnt(26) lgkmcnt(3)
	v_mul_f64 v[24:25], v[16:17], v[22:23]
	v_fmac_f64_e32 v[24:25], v[18:19], v[20:21]
	v_add_f64 v[28:29], v[24:25], 0
	scratch_load_dwordx4 v[24:27], off, off offset:288
	s_waitcnt vmcnt(0) lgkmcnt(2)
	v_mul_f64 v[30:31], v[12:13], v[26:27]
	v_fmac_f64_e32 v[30:31], v[14:15], v[24:25]
	v_add_f64 v[32:33], v[28:29], v[30:31]
	scratch_load_dwordx4 v[28:31], off, off offset:304
	v_mul_f64 v[14:15], v[14:15], v[26:27]
	v_fma_f64 v[12:13], v[12:13], v[24:25], -v[14:15]
	s_waitcnt vmcnt(0) lgkmcnt(1)
	v_mul_f64 v[34:35], v[8:9], v[30:31]
	v_fmac_f64_e32 v[34:35], v[10:11], v[28:29]
	v_add_f64 v[36:37], v[32:33], v[34:35]
	scratch_load_dwordx4 v[32:35], off, off offset:320
	v_mul_f64 v[10:11], v[10:11], v[30:31]
	v_fma_f64 v[8:9], v[8:9], v[28:29], -v[10:11]
	s_waitcnt vmcnt(0) lgkmcnt(0)
	v_mul_f64 v[38:39], v[4:5], v[34:35]
	v_fmac_f64_e32 v[38:39], v[6:7], v[32:33]
	v_add_f64 v[44:45], v[36:37], v[38:39]
	ds_read_b128 v[36:39], v2 offset:1056
	v_mul_f64 v[6:7], v[6:7], v[34:35]
	v_fma_f64 v[4:5], v[4:5], v[32:33], -v[6:7]
	s_waitcnt lgkmcnt(0)
	v_mul_f64 v[46:47], v[36:37], v[42:43]
	v_fmac_f64_e32 v[46:47], v[38:39], v[40:41]
	v_add_f64 v[52:53], v[44:45], v[46:47]
	ds_read_b128 v[44:47], v2 offset:1072
	s_waitcnt lgkmcnt(0)
	v_mul_f64 v[54:55], v[44:45], v[50:51]
	v_fmac_f64_e32 v[54:55], v[46:47], v[48:49]
	v_add_f64 v[60:61], v[52:53], v[54:55]
	ds_read_b128 v[52:55], v2 offset:1088
	;; [unrolled: 5-line block ×25, first 2 shown]
	s_waitcnt lgkmcnt(0)
	v_mul_f64 v[2:3], v[238:239], v[254:255]
	v_fmac_f64_e32 v[2:3], v[240:241], v[252:253]
	v_add_f64 v[184:185], v[184:185], v[2:3]
	v_mul_f64 v[2:3], v[18:19], v[22:23]
	v_fma_f64 v[2:3], v[16:17], v[20:21], -v[2:3]
	v_add_f64 v[2:3], v[2:3], 0
	v_add_f64 v[2:3], v[2:3], v[12:13]
	;; [unrolled: 1-line block ×4, first 2 shown]
	v_mul_f64 v[4:5], v[38:39], v[42:43]
	v_fma_f64 v[4:5], v[36:37], v[40:41], -v[4:5]
	v_add_f64 v[2:3], v[2:3], v[4:5]
	v_mul_f64 v[4:5], v[46:47], v[50:51]
	v_fma_f64 v[4:5], v[44:45], v[48:49], -v[4:5]
	v_add_f64 v[2:3], v[2:3], v[4:5]
	;; [unrolled: 3-line block ×26, first 2 shown]
	scratch_load_dwordx4 v[2:5], off, off offset:256
	s_waitcnt vmcnt(0)
	v_add_f64 v[2:3], v[2:3], -v[6:7]
	v_add_f64 v[4:5], v[4:5], -v[184:185]
	scratch_store_dwordx4 off, v[2:5], off offset:256
	s_and_saveexec_b64 s[0:1], vcc
	s_cbranch_execz .LBB45_261
; %bb.260:
	scratch_load_dwordx4 v[2:5], off, s34
	v_mov_b32_e32 v6, 0
	v_mov_b32_e32 v7, v6
	;; [unrolled: 1-line block ×4, first 2 shown]
	v_accvgpr_read_b32 v0, a93
	scratch_store_dwordx4 off, v[6:9], off offset:240
	s_waitcnt vmcnt(1)
	ds_write_b128 v0, v[2:5]
.LBB45_261:
	s_or_b64 exec, exec, s[0:1]
	s_waitcnt lgkmcnt(0)
	; wave barrier
	scratch_load_dwordx4 v[16:19], off, off offset:256
	scratch_load_dwordx4 v[12:15], off, off offset:272
	;; [unrolled: 1-line block ×32, first 2 shown]
	v_mov_b32_e32 v2, 0
	ds_read_b128 v[132:135], v2 offset:976
	ds_read_b128 v[136:139], v2 offset:992
	;; [unrolled: 1-line block ×17, first 2 shown]
	v_cmp_lt_u32_e32 vcc, 13, v248
	s_waitcnt vmcnt(31) lgkmcnt(14)
	v_mul_f64 v[200:201], v[132:133], v[18:19]
	s_waitcnt vmcnt(30)
	v_mul_f64 v[202:203], v[136:137], v[14:15]
	v_fmac_f64_e32 v[200:201], v[134:135], v[16:17]
	s_waitcnt vmcnt(29)
	v_mul_f64 v[204:205], v[140:141], v[10:11]
	v_fmac_f64_e32 v[202:203], v[138:139], v[12:13]
	v_add_f64 v[200:201], v[200:201], 0
	s_waitcnt vmcnt(28) lgkmcnt(13)
	v_mul_f64 v[206:207], v[144:145], v[6:7]
	v_fmac_f64_e32 v[204:205], v[142:143], v[8:9]
	v_add_f64 v[200:201], v[200:201], v[202:203]
	s_waitcnt vmcnt(27) lgkmcnt(12)
	;; [unrolled: 4-line block ×12, first 2 shown]
	v_mul_f64 v[228:229], v[188:189], v[62:63]
	v_fmac_f64_e32 v[226:227], v[186:187], v[56:57]
	v_add_f64 v[200:201], v[200:201], v[224:225]
	v_fmac_f64_e32 v[228:229], v[190:191], v[60:61]
	v_add_f64 v[200:201], v[200:201], v[226:227]
	s_waitcnt vmcnt(16) lgkmcnt(1)
	v_mul_f64 v[202:203], v[192:193], v[66:67]
	v_add_f64 v[200:201], v[200:201], v[228:229]
	v_fmac_f64_e32 v[202:203], v[194:195], v[64:65]
	s_waitcnt vmcnt(15) lgkmcnt(0)
	v_mul_f64 v[206:207], v[196:197], v[70:71]
	v_add_f64 v[204:205], v[200:201], v[202:203]
	ds_read_b128 v[200:203], v2 offset:1248
	v_fmac_f64_e32 v[206:207], v[198:199], v[68:69]
	v_add_f64 v[208:209], v[204:205], v[206:207]
	ds_read_b128 v[204:207], v2 offset:1264
	v_mul_f64 v[18:19], v[134:135], v[18:19]
	s_waitcnt vmcnt(14) lgkmcnt(1)
	v_mul_f64 v[210:211], v[200:201], v[74:75]
	v_fmac_f64_e32 v[210:211], v[202:203], v[72:73]
	v_add_f64 v[212:213], v[208:209], v[210:211]
	s_waitcnt vmcnt(13) lgkmcnt(0)
	v_mul_f64 v[214:215], v[204:205], v[78:79]
	ds_read_b128 v[208:211], v2 offset:1280
	v_fmac_f64_e32 v[214:215], v[206:207], v[76:77]
	v_add_f64 v[216:217], v[212:213], v[214:215]
	ds_read_b128 v[212:215], v2 offset:1296
	v_fma_f64 v[252:253], v[132:133], v[16:17], -v[18:19]
	s_waitcnt vmcnt(12) lgkmcnt(1)
	v_mul_f64 v[218:219], v[208:209], v[82:83]
	v_fmac_f64_e32 v[218:219], v[210:211], v[80:81]
	v_add_f64 v[220:221], v[216:217], v[218:219]
	s_waitcnt vmcnt(11) lgkmcnt(0)
	v_mul_f64 v[222:223], v[212:213], v[86:87]
	ds_read_b128 v[216:219], v2 offset:1312
	v_fmac_f64_e32 v[222:223], v[214:215], v[84:85]
	v_add_f64 v[224:225], v[220:221], v[222:223]
	ds_read_b128 v[220:223], v2 offset:1328
	ds_read_b128 v[16:19], v2 offset:1408
	s_waitcnt vmcnt(10) lgkmcnt(2)
	v_mul_f64 v[226:227], v[216:217], v[90:91]
	v_fmac_f64_e32 v[226:227], v[218:219], v[88:89]
	v_add_f64 v[228:229], v[224:225], v[226:227]
	s_waitcnt vmcnt(9) lgkmcnt(1)
	v_mul_f64 v[230:231], v[220:221], v[94:95]
	ds_read_b128 v[224:227], v2 offset:1344
	v_fmac_f64_e32 v[230:231], v[222:223], v[92:93]
	v_add_f64 v[232:233], v[228:229], v[230:231]
	ds_read_b128 v[228:231], v2 offset:1360
	v_mul_f64 v[14:15], v[138:139], v[14:15]
	s_waitcnt vmcnt(8) lgkmcnt(1)
	v_mul_f64 v[234:235], v[224:225], v[98:99]
	v_fmac_f64_e32 v[234:235], v[226:227], v[96:97]
	v_add_f64 v[236:237], v[232:233], v[234:235]
	s_waitcnt vmcnt(7) lgkmcnt(0)
	v_mul_f64 v[238:239], v[228:229], v[102:103]
	ds_read_b128 v[232:235], v2 offset:1376
	v_fmac_f64_e32 v[238:239], v[230:231], v[100:101]
	v_add_f64 v[240:241], v[236:237], v[238:239]
	ds_read_b128 v[236:239], v2 offset:1392
	v_fma_f64 v[136:137], v[136:137], v[12:13], -v[14:15]
	s_waitcnt vmcnt(6) lgkmcnt(1)
	v_mul_f64 v[132:133], v[232:233], v[106:107]
	v_fmac_f64_e32 v[132:133], v[234:235], v[104:105]
	v_add_f64 v[132:133], v[240:241], v[132:133]
	s_waitcnt vmcnt(5) lgkmcnt(0)
	v_mul_f64 v[134:135], v[236:237], v[110:111]
	v_fmac_f64_e32 v[134:135], v[238:239], v[108:109]
	v_add_f64 v[132:133], v[132:133], v[134:135]
	ds_read_b128 v[12:15], v2 offset:1424
	s_waitcnt vmcnt(4)
	v_mul_f64 v[134:135], v[16:17], v[114:115]
	v_fmac_f64_e32 v[134:135], v[18:19], v[112:113]
	v_add_f64 v[138:139], v[132:133], v[134:135]
	ds_read_b128 v[132:135], v2 offset:1440
	v_mul_f64 v[10:11], v[142:143], v[10:11]
	v_fma_f64 v[140:141], v[140:141], v[8:9], -v[10:11]
	ds_read_b128 v[8:11], v2 offset:1456
	s_waitcnt vmcnt(3) lgkmcnt(2)
	v_mul_f64 v[142:143], v[12:13], v[118:119]
	v_fmac_f64_e32 v[142:143], v[14:15], v[116:117]
	v_add_f64 v[138:139], v[138:139], v[142:143]
	s_waitcnt vmcnt(2) lgkmcnt(1)
	v_mul_f64 v[142:143], v[132:133], v[122:123]
	v_fmac_f64_e32 v[142:143], v[134:135], v[120:121]
	v_add_f64 v[138:139], v[138:139], v[142:143]
	s_waitcnt vmcnt(1) lgkmcnt(0)
	v_mul_f64 v[142:143], v[8:9], v[126:127]
	v_fmac_f64_e32 v[142:143], v[10:11], v[124:125]
	v_add_f64 v[138:139], v[138:139], v[142:143]
	v_add_f64 v[142:143], v[252:253], 0
	v_add_f64 v[136:137], v[142:143], v[136:137]
	v_mul_f64 v[6:7], v[146:147], v[6:7]
	v_add_f64 v[136:137], v[136:137], v[140:141]
	v_fma_f64 v[4:5], v[144:145], v[4:5], -v[6:7]
	v_mul_f64 v[6:7], v[150:151], v[22:23]
	v_add_f64 v[4:5], v[136:137], v[4:5]
	v_fma_f64 v[6:7], v[148:149], v[20:21], -v[6:7]
	v_add_f64 v[4:5], v[4:5], v[6:7]
	v_mul_f64 v[6:7], v[154:155], v[26:27]
	v_fma_f64 v[6:7], v[152:153], v[24:25], -v[6:7]
	v_add_f64 v[4:5], v[4:5], v[6:7]
	v_mul_f64 v[6:7], v[158:159], v[30:31]
	;; [unrolled: 3-line block ×26, first 2 shown]
	v_fma_f64 v[6:7], v[8:9], v[124:125], -v[6:7]
	v_add_f64 v[4:5], v[4:5], v[6:7]
	s_waitcnt vmcnt(0)
	v_add_f64 v[4:5], v[128:129], -v[4:5]
	v_add_f64 v[6:7], v[130:131], -v[138:139]
	scratch_store_dwordx4 off, v[4:7], off offset:240
	s_and_saveexec_b64 s[0:1], vcc
	s_cbranch_execz .LBB45_263
; %bb.262:
	scratch_load_dwordx4 v[6:9], off, s33
	v_mov_b32_e32 v3, v2
	v_mov_b32_e32 v4, v2
	v_mov_b32_e32 v5, v2
	v_accvgpr_read_b32 v0, a93
	scratch_store_dwordx4 off, v[2:5], off offset:224
	s_waitcnt vmcnt(1)
	ds_write_b128 v0, v[6:9]
.LBB45_263:
	s_or_b64 exec, exec, s[0:1]
	s_waitcnt lgkmcnt(0)
	; wave barrier
	scratch_load_dwordx4 v[140:143], off, off offset:240
	scratch_load_dwordx4 v[148:151], off, off offset:256
	;; [unrolled: 1-line block ×16, first 2 shown]
	ds_read_b128 v[188:191], v2 offset:960
	ds_read_b128 v[184:187], v2 offset:976
	scratch_load_dwordx4 v[56:59], off, off offset:496
	ds_read_b128 v[192:195], v2 offset:992
	ds_read_b128 v[68:71], v2 offset:1008
	scratch_load_dwordx4 v[60:63], off, off offset:512
	ds_read_b128 v[88:91], v2 offset:1024
	ds_read_b128 v[84:87], v2 offset:1040
	;; [unrolled: 1-line block ×4, first 2 shown]
	scratch_load_dwordx4 v[64:67], off, off offset:528
	ds_read_b128 v[100:103], v2 offset:1088
	ds_read_b128 v[96:99], v2 offset:1104
	scratch_load_dwordx4 v[72:75], off, off offset:544
	ds_read_b128 v[116:119], v2 offset:1120
	ds_read_b128 v[112:115], v2 offset:1136
	;; [unrolled: 1-line block ×4, first 2 shown]
	scratch_load_dwordx4 v[92:95], off, off offset:560
	ds_read_b128 v[132:135], v2 offset:1184
	ds_read_b128 v[128:131], v2 offset:1200
	;; [unrolled: 1-line block ×3, first 2 shown]
	scratch_load_dwordx4 v[120:123], off, off offset:576
	scratch_load_dwordx4 v[136:139], off, off offset:592
	scratch_load_dwordx4 v[144:147], off, off offset:608
	scratch_load_dwordx4 v[156:159], off, off offset:624
	scratch_load_dwordx4 v[160:163], off, off offset:640
	scratch_load_dwordx4 v[164:167], off, off offset:656
	scratch_load_dwordx4 v[168:171], off, off offset:672
	scratch_load_dwordx4 v[172:175], off, off offset:688
	scratch_load_dwordx4 v[176:179], off, off offset:704
	scratch_load_dwordx4 v[180:183], off, off offset:720
	scratch_load_dwordx4 v[196:199], off, off offset:736
	v_cmp_lt_u32_e32 vcc, 12, v248
	s_waitcnt vmcnt(31) lgkmcnt(14)
	v_mul_f64 v[200:201], v[188:189], v[142:143]
	s_waitcnt vmcnt(30)
	v_mul_f64 v[202:203], v[184:185], v[150:151]
	v_fmac_f64_e32 v[200:201], v[190:191], v[140:141]
	s_waitcnt vmcnt(29)
	v_mul_f64 v[204:205], v[192:193], v[154:155]
	v_fmac_f64_e32 v[202:203], v[186:187], v[148:149]
	v_add_f64 v[200:201], v[200:201], 0
	s_waitcnt vmcnt(28) lgkmcnt(13)
	v_mul_f64 v[206:207], v[68:69], v[6:7]
	v_fmac_f64_e32 v[204:205], v[194:195], v[152:153]
	v_add_f64 v[200:201], v[200:201], v[202:203]
	s_waitcnt vmcnt(27) lgkmcnt(12)
	;; [unrolled: 4-line block ×13, first 2 shown]
	v_mul_f64 v[230:231], v[128:129], v[54:55]
	v_fmac_f64_e32 v[228:229], v[134:135], v[48:49]
	v_add_f64 v[200:201], v[200:201], v[226:227]
	v_add_f64 v[200:201], v[200:201], v[228:229]
	v_fmac_f64_e32 v[230:231], v[130:131], v[52:53]
	v_add_f64 v[204:205], v[200:201], v[230:231]
	ds_read_b128 v[200:203], v2 offset:1232
	s_waitcnt vmcnt(15) lgkmcnt(1)
	v_mul_f64 v[206:207], v[124:125], v[58:59]
	v_fmac_f64_e32 v[206:207], v[126:127], v[56:57]
	v_add_f64 v[208:209], v[204:205], v[206:207]
	ds_read_b128 v[204:207], v2 offset:1248
	s_waitcnt vmcnt(14) lgkmcnt(1)
	v_mul_f64 v[210:211], v[200:201], v[62:63]
	;; [unrolled: 5-line block ×10, first 2 shown]
	v_fmac_f64_e32 v[252:253], v[234:235], v[160:161]
	v_mul_f64 v[142:143], v[190:191], v[142:143]
	v_add_f64 v[252:253], v[240:241], v[252:253]
	v_fma_f64 v[240:241], v[188:189], v[140:141], -v[142:143]
	ds_read_b128 v[140:143], v2 offset:1392
	s_waitcnt vmcnt(5) lgkmcnt(1)
	v_mul_f64 v[188:189], v[236:237], v[166:167]
	v_fmac_f64_e32 v[188:189], v[238:239], v[164:165]
	v_mul_f64 v[150:151], v[186:187], v[150:151]
	v_add_f64 v[188:189], v[252:253], v[188:189]
	v_fma_f64 v[252:253], v[184:185], v[148:149], -v[150:151]
	ds_read_b128 v[148:151], v2 offset:1408
	s_waitcnt vmcnt(4) lgkmcnt(1)
	v_mul_f64 v[184:185], v[140:141], v[170:171]
	v_fmac_f64_e32 v[184:185], v[142:143], v[168:169]
	v_add_f64 v[188:189], v[188:189], v[184:185]
	ds_read_b128 v[184:187], v2 offset:1424
	v_mul_f64 v[154:155], v[194:195], v[154:155]
	s_waitcnt vmcnt(3) lgkmcnt(1)
	v_mul_f64 v[190:191], v[148:149], v[174:175]
	v_fma_f64 v[242:243], v[192:193], v[152:153], -v[154:155]
	ds_read_b128 v[152:155], v2 offset:1440
	v_fmac_f64_e32 v[190:191], v[150:151], v[172:173]
	v_add_f64 v[254:255], v[188:189], v[190:191]
	ds_read_b128 v[188:191], v2 offset:1456
	s_waitcnt vmcnt(2) lgkmcnt(2)
	v_mul_f64 v[192:193], v[184:185], v[178:179]
	v_fmac_f64_e32 v[192:193], v[186:187], v[176:177]
	v_add_f64 v[2:3], v[254:255], v[192:193]
	s_waitcnt vmcnt(1) lgkmcnt(1)
	v_mul_f64 v[192:193], v[152:153], v[182:183]
	v_fmac_f64_e32 v[192:193], v[154:155], v[180:181]
	v_add_f64 v[2:3], v[2:3], v[192:193]
	;; [unrolled: 4-line block ×3, first 2 shown]
	scratch_load_dwordx4 v[192:195], off, off offset:224
	v_add_f64 v[240:241], v[240:241], 0
	v_add_f64 v[240:241], v[240:241], v[252:253]
	v_mul_f64 v[6:7], v[70:71], v[6:7]
	v_add_f64 v[240:241], v[240:241], v[242:243]
	v_fma_f64 v[4:5], v[68:69], v[4:5], -v[6:7]
	v_mul_f64 v[6:7], v[90:91], v[10:11]
	v_add_f64 v[4:5], v[240:241], v[4:5]
	v_fma_f64 v[6:7], v[88:89], v[8:9], -v[6:7]
	v_add_f64 v[4:5], v[4:5], v[6:7]
	v_mul_f64 v[6:7], v[86:87], v[14:15]
	v_fma_f64 v[6:7], v[84:85], v[12:13], -v[6:7]
	v_add_f64 v[4:5], v[4:5], v[6:7]
	v_mul_f64 v[6:7], v[82:83], v[18:19]
	;; [unrolled: 3-line block ×27, first 2 shown]
	v_fma_f64 v[6:7], v[188:189], v[196:197], -v[6:7]
	v_add_f64 v[4:5], v[4:5], v[6:7]
	s_waitcnt vmcnt(0)
	v_add_f64 v[4:5], v[192:193], -v[4:5]
	v_add_f64 v[6:7], v[194:195], -v[2:3]
	scratch_store_dwordx4 off, v[4:7], off offset:224
	s_and_saveexec_b64 s[0:1], vcc
	s_cbranch_execz .LBB45_265
; %bb.264:
	scratch_load_dwordx4 v[2:5], off, s31
	v_mov_b32_e32 v6, 0
	v_mov_b32_e32 v7, v6
	;; [unrolled: 1-line block ×4, first 2 shown]
	v_accvgpr_read_b32 v0, a93
	scratch_store_dwordx4 off, v[6:9], off offset:208
	s_waitcnt vmcnt(1)
	ds_write_b128 v0, v[2:5]
.LBB45_265:
	s_or_b64 exec, exec, s[0:1]
	s_waitcnt lgkmcnt(0)
	; wave barrier
	scratch_load_dwordx4 v[108:111], off, off offset:224
	scratch_load_dwordx4 v[116:119], off, off offset:240
	;; [unrolled: 1-line block ×33, first 2 shown]
	v_mov_b32_e32 v2, 0
	ds_read_b128 v[220:223], v2 offset:944
	ds_read_b128 v[224:227], v2 offset:960
	;; [unrolled: 1-line block ×16, first 2 shown]
	v_cmp_lt_u32_e32 vcc, 11, v248
	s_waitcnt vmcnt(32) lgkmcnt(14)
	v_mul_f64 v[180:181], v[220:221], v[110:111]
	s_waitcnt vmcnt(31)
	v_mul_f64 v[182:183], v[224:225], v[118:119]
	v_fmac_f64_e32 v[180:181], v[222:223], v[108:109]
	s_waitcnt vmcnt(30) lgkmcnt(13)
	v_mul_f64 v[184:185], v[234:235], v[122:123]
	v_fmac_f64_e32 v[182:183], v[226:227], v[116:117]
	v_add_f64 v[180:181], v[180:181], 0
	s_waitcnt vmcnt(29) lgkmcnt(12)
	v_mul_f64 v[186:187], v[238:239], v[126:127]
	v_fmac_f64_e32 v[184:185], v[236:237], v[120:121]
	v_add_f64 v[180:181], v[180:181], v[182:183]
	s_waitcnt vmcnt(28) lgkmcnt(11)
	v_mul_f64 v[188:189], v[252:253], v[130:131]
	v_fmac_f64_e32 v[186:187], v[240:241], v[124:125]
	v_add_f64 v[180:181], v[180:181], v[184:185]
	s_waitcnt vmcnt(27) lgkmcnt(10)
	v_mul_f64 v[190:191], v[176:177], v[6:7]
	v_fmac_f64_e32 v[188:189], v[254:255], v[128:129]
	v_add_f64 v[180:181], v[180:181], v[186:187]
	s_waitcnt vmcnt(26) lgkmcnt(9)
	v_mul_f64 v[192:193], v[172:173], v[10:11]
	v_fmac_f64_e32 v[190:191], v[178:179], v[4:5]
	v_add_f64 v[180:181], v[180:181], v[188:189]
	s_waitcnt vmcnt(25) lgkmcnt(8)
	v_mul_f64 v[194:195], v[168:169], v[14:15]
	v_fmac_f64_e32 v[192:193], v[174:175], v[8:9]
	v_add_f64 v[180:181], v[180:181], v[190:191]
	s_waitcnt vmcnt(24) lgkmcnt(7)
	v_mul_f64 v[196:197], v[164:165], v[18:19]
	v_fmac_f64_e32 v[194:195], v[170:171], v[12:13]
	v_add_f64 v[180:181], v[180:181], v[192:193]
	s_waitcnt vmcnt(23) lgkmcnt(6)
	v_mul_f64 v[198:199], v[160:161], v[22:23]
	v_fmac_f64_e32 v[196:197], v[166:167], v[16:17]
	v_add_f64 v[180:181], v[180:181], v[194:195]
	s_waitcnt vmcnt(22) lgkmcnt(5)
	v_mul_f64 v[200:201], v[156:157], v[26:27]
	v_fmac_f64_e32 v[198:199], v[162:163], v[20:21]
	v_add_f64 v[180:181], v[180:181], v[196:197]
	s_waitcnt vmcnt(21) lgkmcnt(4)
	v_mul_f64 v[202:203], v[152:153], v[30:31]
	v_fmac_f64_e32 v[200:201], v[158:159], v[24:25]
	v_add_f64 v[180:181], v[180:181], v[198:199]
	s_waitcnt vmcnt(20) lgkmcnt(3)
	v_mul_f64 v[204:205], v[148:149], v[34:35]
	v_fmac_f64_e32 v[202:203], v[154:155], v[28:29]
	v_add_f64 v[180:181], v[180:181], v[200:201]
	s_waitcnt vmcnt(19) lgkmcnt(2)
	v_mul_f64 v[206:207], v[144:145], v[38:39]
	v_fmac_f64_e32 v[204:205], v[150:151], v[32:33]
	v_add_f64 v[180:181], v[180:181], v[202:203]
	s_waitcnt vmcnt(18) lgkmcnt(1)
	v_mul_f64 v[208:209], v[140:141], v[42:43]
	v_fmac_f64_e32 v[206:207], v[146:147], v[36:37]
	v_add_f64 v[180:181], v[180:181], v[204:205]
	v_fmac_f64_e32 v[208:209], v[142:143], v[40:41]
	v_add_f64 v[180:181], v[180:181], v[206:207]
	v_add_f64 v[184:185], v[180:181], v[208:209]
	ds_read_b128 v[180:183], v2 offset:1200
	s_waitcnt vmcnt(17) lgkmcnt(1)
	v_mul_f64 v[186:187], v[136:137], v[46:47]
	v_fmac_f64_e32 v[186:187], v[138:139], v[44:45]
	v_add_f64 v[188:189], v[184:185], v[186:187]
	ds_read_b128 v[184:187], v2 offset:1216
	s_waitcnt vmcnt(16) lgkmcnt(1)
	v_mul_f64 v[190:191], v[180:181], v[50:51]
	v_fmac_f64_e32 v[190:191], v[182:183], v[48:49]
	;; [unrolled: 5-line block ×10, first 2 shown]
	v_mul_f64 v[110:111], v[222:223], v[110:111]
	v_add_f64 v[228:229], v[228:229], v[230:231]
	v_fma_f64 v[230:231], v[220:221], v[108:109], -v[110:111]
	ds_read_b128 v[108:111], v2 offset:1360
	s_waitcnt vmcnt(7) lgkmcnt(1)
	v_mul_f64 v[220:221], v[216:217], v[86:87]
	v_mul_f64 v[118:119], v[226:227], v[118:119]
	v_fmac_f64_e32 v[220:221], v[218:219], v[84:85]
	v_fma_f64 v[232:233], v[224:225], v[116:117], -v[118:119]
	ds_read_b128 v[116:119], v2 offset:1376
	s_waitcnt vmcnt(6) lgkmcnt(1)
	v_mul_f64 v[222:223], v[108:109], v[90:91]
	v_add_f64 v[220:221], v[228:229], v[220:221]
	v_fmac_f64_e32 v[222:223], v[110:111], v[88:89]
	v_add_f64 v[224:225], v[220:221], v[222:223]
	ds_read_b128 v[220:223], v2 offset:1392
	v_mul_f64 v[122:123], v[236:237], v[122:123]
	v_fma_f64 v[234:235], v[234:235], v[120:121], -v[122:123]
	ds_read_b128 v[120:123], v2 offset:1408
	s_waitcnt vmcnt(5) lgkmcnt(2)
	v_mul_f64 v[226:227], v[116:117], v[94:95]
	v_fmac_f64_e32 v[226:227], v[118:119], v[92:93]
	v_add_f64 v[224:225], v[224:225], v[226:227]
	s_waitcnt vmcnt(4) lgkmcnt(1)
	v_mul_f64 v[226:227], v[220:221], v[98:99]
	v_mul_f64 v[126:127], v[240:241], v[126:127]
	v_fmac_f64_e32 v[226:227], v[222:223], v[96:97]
	v_fma_f64 v[236:237], v[238:239], v[124:125], -v[126:127]
	s_waitcnt vmcnt(3) lgkmcnt(0)
	v_mul_f64 v[238:239], v[120:121], v[102:103]
	v_add_f64 v[228:229], v[224:225], v[226:227]
	v_fmac_f64_e32 v[238:239], v[122:123], v[100:101]
	v_mul_f64 v[130:131], v[254:255], v[130:131]
	v_add_f64 v[228:229], v[228:229], v[238:239]
	v_fma_f64 v[238:239], v[252:253], v[128:129], -v[130:131]
	scratch_load_dwordx4 v[252:255], off, off offset:208
	v_add_f64 v[230:231], v[230:231], 0
	v_add_f64 v[230:231], v[230:231], v[232:233]
	;; [unrolled: 1-line block ×4, first 2 shown]
	v_mul_f64 v[6:7], v[178:179], v[6:7]
	v_add_f64 v[230:231], v[230:231], v[238:239]
	v_fma_f64 v[4:5], v[176:177], v[4:5], -v[6:7]
	v_mul_f64 v[6:7], v[174:175], v[10:11]
	v_add_f64 v[4:5], v[230:231], v[4:5]
	v_fma_f64 v[6:7], v[172:173], v[8:9], -v[6:7]
	v_add_f64 v[4:5], v[4:5], v[6:7]
	v_mul_f64 v[6:7], v[170:171], v[14:15]
	v_fma_f64 v[6:7], v[168:169], v[12:13], -v[6:7]
	v_add_f64 v[4:5], v[4:5], v[6:7]
	v_mul_f64 v[6:7], v[166:167], v[18:19]
	;; [unrolled: 3-line block ×21, first 2 shown]
	ds_read_b128 v[124:127], v2 offset:1424
	ds_read_b128 v[224:227], v2 offset:1440
	v_fma_f64 v[6:7], v[116:117], v[92:93], -v[6:7]
	v_add_f64 v[4:5], v[4:5], v[6:7]
	v_mul_f64 v[6:7], v[222:223], v[98:99]
	v_fma_f64 v[6:7], v[220:221], v[96:97], -v[6:7]
	v_add_f64 v[4:5], v[4:5], v[6:7]
	v_mul_f64 v[6:7], v[122:123], v[102:103]
	ds_read_b128 v[128:131], v2 offset:1456
	v_fma_f64 v[6:7], v[120:121], v[100:101], -v[6:7]
	s_waitcnt vmcnt(3) lgkmcnt(2)
	v_mul_f64 v[240:241], v[124:125], v[106:107]
	v_add_f64 v[4:5], v[4:5], v[6:7]
	v_mul_f64 v[6:7], v[126:127], v[106:107]
	v_fmac_f64_e32 v[240:241], v[126:127], v[104:105]
	v_fma_f64 v[6:7], v[124:125], v[104:105], -v[6:7]
	v_add_f64 v[228:229], v[228:229], v[240:241]
	s_waitcnt vmcnt(2) lgkmcnt(1)
	v_mul_f64 v[240:241], v[224:225], v[114:115]
	v_add_f64 v[4:5], v[4:5], v[6:7]
	v_mul_f64 v[6:7], v[226:227], v[114:115]
	v_fmac_f64_e32 v[240:241], v[226:227], v[112:113]
	v_fma_f64 v[6:7], v[224:225], v[112:113], -v[6:7]
	v_add_f64 v[228:229], v[228:229], v[240:241]
	;; [unrolled: 7-line block ×3, first 2 shown]
	v_add_f64 v[4:5], v[4:5], v[6:7]
	s_waitcnt vmcnt(0)
	v_add_f64 v[4:5], v[252:253], -v[4:5]
	v_add_f64 v[6:7], v[254:255], -v[228:229]
	scratch_store_dwordx4 off, v[4:7], off offset:208
	s_and_saveexec_b64 s[0:1], vcc
	s_cbranch_execz .LBB45_267
; %bb.266:
	scratch_load_dwordx4 v[6:9], off, s30
	v_mov_b32_e32 v3, v2
	v_mov_b32_e32 v4, v2
	;; [unrolled: 1-line block ×3, first 2 shown]
	v_accvgpr_read_b32 v0, a93
	scratch_store_dwordx4 off, v[2:5], off offset:192
	s_waitcnt vmcnt(1)
	ds_write_b128 v0, v[6:9]
.LBB45_267:
	s_or_b64 exec, exec, s[0:1]
	s_waitcnt lgkmcnt(0)
	; wave barrier
	scratch_load_dwordx4 v[144:147], off, off offset:208
	scratch_load_dwordx4 v[152:155], off, off offset:224
	;; [unrolled: 1-line block ×16, first 2 shown]
	ds_read_b128 v[196:199], v2 offset:928
	ds_read_b128 v[188:191], v2 offset:944
	ds_read_b128 v[180:183], v2 offset:960
	scratch_load_dwordx4 v[48:51], off, off offset:464
	ds_read_b128 v[192:195], v2 offset:976
	ds_read_b128 v[184:187], v2 offset:992
	ds_read_b128 v[64:67], v2 offset:1008
	scratch_load_dwordx4 v[52:55], off, off offset:480
	ds_read_b128 v[76:79], v2 offset:1024
	ds_read_b128 v[72:75], v2 offset:1040
	ds_read_b128 v[68:71], v2 offset:1056
	scratch_load_dwordx4 v[56:59], off, off offset:496
	ds_read_b128 v[88:91], v2 offset:1072
	ds_read_b128 v[84:87], v2 offset:1088
	ds_read_b128 v[80:83], v2 offset:1104
	scratch_load_dwordx4 v[60:63], off, off offset:512
	ds_read_b128 v[104:107], v2 offset:1120
	ds_read_b128 v[100:103], v2 offset:1136
	ds_read_b128 v[96:99], v2 offset:1152
	scratch_load_dwordx4 v[92:95], off, off offset:528
	ds_read_b128 v[116:119], v2 offset:1168
	ds_read_b128 v[112:115], v2 offset:1184
	scratch_load_dwordx4 v[108:111], off, off offset:544
	scratch_load_dwordx4 v[120:123], off, off offset:560
	;; [unrolled: 1-line block ×12, first 2 shown]
	v_cmp_lt_u32_e32 vcc, 10, v248
	s_waitcnt vmcnt(32) lgkmcnt(14)
	v_mul_f64 v[204:205], v[196:197], v[146:147]
	s_waitcnt vmcnt(31)
	v_mul_f64 v[206:207], v[188:189], v[154:155]
	v_fmac_f64_e32 v[204:205], v[198:199], v[144:145]
	s_waitcnt vmcnt(30)
	v_mul_f64 v[208:209], v[180:181], v[158:159]
	v_fmac_f64_e32 v[206:207], v[190:191], v[152:153]
	v_add_f64 v[204:205], v[204:205], 0
	s_waitcnt vmcnt(29) lgkmcnt(13)
	v_mul_f64 v[210:211], v[192:193], v[162:163]
	v_fmac_f64_e32 v[208:209], v[182:183], v[156:157]
	v_add_f64 v[204:205], v[204:205], v[206:207]
	s_waitcnt vmcnt(28) lgkmcnt(12)
	;; [unrolled: 4-line block ×12, first 2 shown]
	v_mul_f64 v[232:233], v[96:97], v[42:43]
	v_fmac_f64_e32 v[230:231], v[102:103], v[36:37]
	v_add_f64 v[204:205], v[204:205], v[228:229]
	v_fmac_f64_e32 v[232:233], v[98:99], v[40:41]
	v_add_f64 v[204:205], v[204:205], v[230:231]
	s_waitcnt vmcnt(17) lgkmcnt(1)
	v_mul_f64 v[206:207], v[116:117], v[46:47]
	v_add_f64 v[204:205], v[204:205], v[232:233]
	v_fmac_f64_e32 v[206:207], v[118:119], v[44:45]
	s_waitcnt vmcnt(16) lgkmcnt(0)
	v_mul_f64 v[210:211], v[112:113], v[50:51]
	v_add_f64 v[208:209], v[204:205], v[206:207]
	ds_read_b128 v[204:207], v2 offset:1200
	v_fmac_f64_e32 v[210:211], v[114:115], v[48:49]
	v_add_f64 v[212:213], v[208:209], v[210:211]
	ds_read_b128 v[208:211], v2 offset:1216
	v_mul_f64 v[146:147], v[198:199], v[146:147]
	s_waitcnt vmcnt(15) lgkmcnt(1)
	v_mul_f64 v[214:215], v[204:205], v[54:55]
	v_fmac_f64_e32 v[214:215], v[206:207], v[52:53]
	v_add_f64 v[216:217], v[212:213], v[214:215]
	s_waitcnt vmcnt(14) lgkmcnt(0)
	v_mul_f64 v[218:219], v[208:209], v[58:59]
	ds_read_b128 v[212:215], v2 offset:1232
	v_fmac_f64_e32 v[218:219], v[210:211], v[56:57]
	v_add_f64 v[220:221], v[216:217], v[218:219]
	ds_read_b128 v[216:219], v2 offset:1248
	v_mul_f64 v[154:155], v[190:191], v[154:155]
	s_waitcnt vmcnt(13) lgkmcnt(1)
	v_mul_f64 v[222:223], v[212:213], v[62:63]
	v_fmac_f64_e32 v[222:223], v[214:215], v[60:61]
	v_add_f64 v[224:225], v[220:221], v[222:223]
	s_waitcnt vmcnt(12) lgkmcnt(0)
	v_mul_f64 v[226:227], v[216:217], v[94:95]
	ds_read_b128 v[220:223], v2 offset:1264
	v_fmac_f64_e32 v[226:227], v[218:219], v[92:93]
	v_add_f64 v[228:229], v[224:225], v[226:227]
	ds_read_b128 v[224:227], v2 offset:1280
	v_fma_f64 v[252:253], v[188:189], v[152:153], -v[154:155]
	s_waitcnt vmcnt(11) lgkmcnt(1)
	v_mul_f64 v[230:231], v[220:221], v[110:111]
	v_fmac_f64_e32 v[230:231], v[222:223], v[108:109]
	v_add_f64 v[232:233], v[228:229], v[230:231]
	s_waitcnt vmcnt(10) lgkmcnt(0)
	v_mul_f64 v[234:235], v[224:225], v[122:123]
	ds_read_b128 v[228:231], v2 offset:1296
	v_fmac_f64_e32 v[234:235], v[226:227], v[120:121]
	v_add_f64 v[236:237], v[232:233], v[234:235]
	ds_read_b128 v[232:235], v2 offset:1312
	ds_read_b128 v[152:155], v2 offset:1360
	s_waitcnt vmcnt(9) lgkmcnt(2)
	v_mul_f64 v[238:239], v[228:229], v[126:127]
	v_fmac_f64_e32 v[238:239], v[230:231], v[124:125]
	v_add_f64 v[240:241], v[236:237], v[238:239]
	s_waitcnt vmcnt(8) lgkmcnt(1)
	v_mul_f64 v[242:243], v[232:233], v[130:131]
	ds_read_b128 v[236:239], v2 offset:1328
	v_fmac_f64_e32 v[242:243], v[234:235], v[128:129]
	v_add_f64 v[240:241], v[240:241], v[242:243]
	v_fma_f64 v[242:243], v[196:197], v[144:145], -v[146:147]
	ds_read_b128 v[144:147], v2 offset:1344
	s_waitcnt vmcnt(7) lgkmcnt(1)
	v_mul_f64 v[196:197], v[236:237], v[134:135]
	v_fmac_f64_e32 v[196:197], v[238:239], v[132:133]
	v_add_f64 v[188:189], v[240:241], v[196:197]
	v_mul_f64 v[158:159], v[182:183], v[158:159]
	s_waitcnt vmcnt(6) lgkmcnt(0)
	v_mul_f64 v[190:191], v[144:145], v[138:139]
	v_fmac_f64_e32 v[190:191], v[146:147], v[136:137]
	v_add_f64 v[196:197], v[188:189], v[190:191]
	ds_read_b128 v[188:191], v2 offset:1376
	v_fma_f64 v[240:241], v[180:181], v[156:157], -v[158:159]
	ds_read_b128 v[156:159], v2 offset:1392
	s_waitcnt vmcnt(5)
	v_mul_f64 v[198:199], v[152:153], v[142:143]
	v_fmac_f64_e32 v[198:199], v[154:155], v[140:141]
	s_waitcnt vmcnt(4) lgkmcnt(1)
	v_mul_f64 v[180:181], v[188:189], v[150:151]
	v_add_f64 v[196:197], v[196:197], v[198:199]
	v_fmac_f64_e32 v[180:181], v[190:191], v[148:149]
	v_mul_f64 v[162:163], v[194:195], v[162:163]
	v_add_f64 v[198:199], v[196:197], v[180:181]
	v_fma_f64 v[196:197], v[192:193], v[160:161], -v[162:163]
	ds_read_b128 v[160:163], v2 offset:1408
	s_waitcnt vmcnt(3) lgkmcnt(1)
	v_mul_f64 v[192:193], v[156:157], v[166:167]
	ds_read_b128 v[180:183], v2 offset:1424
	v_fmac_f64_e32 v[192:193], v[158:159], v[164:165]
	v_mul_f64 v[170:171], v[186:187], v[170:171]
	v_add_f64 v[192:193], v[198:199], v[192:193]
	v_fma_f64 v[198:199], v[184:185], v[168:169], -v[170:171]
	ds_read_b128 v[168:171], v2 offset:1440
	s_waitcnt vmcnt(2) lgkmcnt(2)
	v_mul_f64 v[184:185], v[160:161], v[174:175]
	v_fmac_f64_e32 v[184:185], v[162:163], v[172:173]
	s_waitcnt vmcnt(1) lgkmcnt(1)
	v_mul_f64 v[186:187], v[180:181], v[178:179]
	v_add_f64 v[184:185], v[192:193], v[184:185]
	v_fmac_f64_e32 v[186:187], v[182:183], v[176:177]
	v_add_f64 v[184:185], v[184:185], v[186:187]
	s_waitcnt vmcnt(0) lgkmcnt(0)
	v_mul_f64 v[186:187], v[168:169], v[202:203]
	v_fmac_f64_e32 v[186:187], v[170:171], v[200:201]
	v_add_f64 v[254:255], v[184:185], v[186:187]
	scratch_load_dwordx4 v[184:187], off, off offset:736
	ds_read_b128 v[192:195], v2 offset:1456
	v_add_f64 v[242:243], v[242:243], 0
	v_add_f64 v[242:243], v[242:243], v[252:253]
	;; [unrolled: 1-line block ×4, first 2 shown]
	v_mul_f64 v[6:7], v[66:67], v[6:7]
	v_add_f64 v[196:197], v[196:197], v[198:199]
	v_fma_f64 v[4:5], v[64:65], v[4:5], -v[6:7]
	v_mul_f64 v[6:7], v[78:79], v[10:11]
	v_add_f64 v[4:5], v[196:197], v[4:5]
	v_fma_f64 v[6:7], v[76:77], v[8:9], -v[6:7]
	v_add_f64 v[4:5], v[4:5], v[6:7]
	v_mul_f64 v[6:7], v[74:75], v[14:15]
	v_fma_f64 v[6:7], v[72:73], v[12:13], -v[6:7]
	v_add_f64 v[4:5], v[4:5], v[6:7]
	v_mul_f64 v[6:7], v[70:71], v[18:19]
	;; [unrolled: 3-line block ×23, first 2 shown]
	s_waitcnt vmcnt(0) lgkmcnt(0)
	v_mul_f64 v[2:3], v[192:193], v[186:187]
	v_fmac_f64_e32 v[2:3], v[194:195], v[184:185]
	v_add_f64 v[2:3], v[254:255], v[2:3]
	scratch_load_dwordx4 v[252:255], off, off offset:192
	v_fma_f64 v[6:7], v[156:157], v[164:165], -v[6:7]
	v_add_f64 v[4:5], v[4:5], v[6:7]
	v_mul_f64 v[6:7], v[162:163], v[174:175]
	v_fma_f64 v[6:7], v[160:161], v[172:173], -v[6:7]
	v_add_f64 v[4:5], v[4:5], v[6:7]
	v_mul_f64 v[6:7], v[182:183], v[178:179]
	;; [unrolled: 3-line block ×4, first 2 shown]
	v_fma_f64 v[6:7], v[192:193], v[184:185], -v[6:7]
	v_add_f64 v[4:5], v[4:5], v[6:7]
	s_waitcnt vmcnt(0)
	v_add_f64 v[4:5], v[252:253], -v[4:5]
	v_add_f64 v[6:7], v[254:255], -v[2:3]
	scratch_store_dwordx4 off, v[4:7], off offset:192
	s_and_saveexec_b64 s[0:1], vcc
	s_cbranch_execz .LBB45_269
; %bb.268:
	scratch_load_dwordx4 v[2:5], off, s29
	v_mov_b32_e32 v6, 0
	v_mov_b32_e32 v7, v6
	;; [unrolled: 1-line block ×4, first 2 shown]
	v_accvgpr_read_b32 v0, a93
	scratch_store_dwordx4 off, v[6:9], off offset:176
	s_waitcnt vmcnt(1)
	ds_write_b128 v0, v[2:5]
.LBB45_269:
	s_or_b64 exec, exec, s[0:1]
	s_waitcnt lgkmcnt(0)
	; wave barrier
	scratch_load_dwordx4 v[184:187], off, off offset:192
	scratch_load_dwordx4 v[188:191], off, off offset:208
	;; [unrolled: 1-line block ×32, first 2 shown]
	v_mov_b32_e32 v2, 0
	ds_read_b128 v[192:195], v2 offset:912
	ds_read_b128 v[204:207], v2 offset:928
	;; [unrolled: 1-line block ×16, first 2 shown]
	v_cmp_lt_u32_e32 vcc, 9, v248
	s_waitcnt vmcnt(31) lgkmcnt(14)
	v_mul_f64 v[104:105], v[192:193], v[186:187]
	s_waitcnt vmcnt(30)
	v_mul_f64 v[106:107], v[204:205], v[190:191]
	v_fmac_f64_e32 v[104:105], v[194:195], v[184:185]
	s_waitcnt vmcnt(29) lgkmcnt(13)
	v_mul_f64 v[112:113], v[216:217], v[198:199]
	v_fmac_f64_e32 v[106:107], v[206:207], v[188:189]
	v_add_f64 v[104:105], v[104:105], 0
	s_waitcnt vmcnt(28) lgkmcnt(12)
	v_mul_f64 v[114:115], v[224:225], v[202:203]
	v_fmac_f64_e32 v[112:113], v[218:219], v[196:197]
	v_add_f64 v[104:105], v[104:105], v[106:107]
	;; [unrolled: 4-line block ×10, first 2 shown]
	ds_read_b128 v[152:155], v2 offset:1168
	ds_read_b128 v[156:159], v2 offset:1184
	s_waitcnt vmcnt(19) lgkmcnt(5)
	v_mul_f64 v[164:165], v[124:125], v[26:27]
	v_fmac_f64_e32 v[162:163], v[134:135], v[20:21]
	v_add_f64 v[104:105], v[104:105], v[160:161]
	s_waitcnt vmcnt(18) lgkmcnt(4)
	v_mul_f64 v[166:167], v[120:121], v[30:31]
	v_fmac_f64_e32 v[164:165], v[126:127], v[24:25]
	v_add_f64 v[104:105], v[104:105], v[162:163]
	s_waitcnt vmcnt(17) lgkmcnt(3)
	v_mul_f64 v[168:169], v[116:117], v[34:35]
	v_fmac_f64_e32 v[166:167], v[122:123], v[28:29]
	v_add_f64 v[104:105], v[104:105], v[164:165]
	s_waitcnt vmcnt(16) lgkmcnt(2)
	v_mul_f64 v[170:171], v[108:109], v[38:39]
	v_fmac_f64_e32 v[168:169], v[118:119], v[32:33]
	v_add_f64 v[104:105], v[104:105], v[166:167]
	v_add_f64 v[112:113], v[104:105], v[168:169]
	v_fmac_f64_e32 v[170:171], v[110:111], v[36:37]
	scratch_load_dwordx4 v[104:107], off, off offset:704
	s_waitcnt vmcnt(16) lgkmcnt(1)
	v_mul_f64 v[114:115], v[152:153], v[42:43]
	v_add_f64 v[112:113], v[112:113], v[170:171]
	v_fmac_f64_e32 v[114:115], v[154:155], v[40:41]
	v_add_f64 v[128:129], v[112:113], v[114:115]
	scratch_load_dwordx4 v[112:115], off, off offset:720
	s_waitcnt vmcnt(16) lgkmcnt(0)
	v_mul_f64 v[130:131], v[156:157], v[46:47]
	v_fmac_f64_e32 v[130:131], v[158:159], v[44:45]
	v_add_f64 v[168:169], v[128:129], v[130:131]
	scratch_load_dwordx4 v[128:131], off, off offset:736
	ds_read_b128 v[160:163], v2 offset:1200
	ds_read_b128 v[164:167], v2 offset:1216
	v_mul_f64 v[186:187], v[194:195], v[186:187]
	v_fma_f64 v[242:243], v[192:193], v[184:185], -v[186:187]
	ds_read_b128 v[184:187], v2 offset:1296
	s_waitcnt vmcnt(16) lgkmcnt(2)
	v_mul_f64 v[170:171], v[160:161], v[50:51]
	v_fmac_f64_e32 v[170:171], v[162:163], v[48:49]
	s_waitcnt vmcnt(15) lgkmcnt(1)
	v_mul_f64 v[174:175], v[164:165], v[54:55]
	v_add_f64 v[172:173], v[168:169], v[170:171]
	ds_read_b128 v[168:171], v2 offset:1232
	v_fmac_f64_e32 v[174:175], v[166:167], v[52:53]
	v_add_f64 v[176:177], v[172:173], v[174:175]
	ds_read_b128 v[172:175], v2 offset:1248
	v_mul_f64 v[190:191], v[206:207], v[190:191]
	s_waitcnt vmcnt(14) lgkmcnt(1)
	v_mul_f64 v[178:179], v[168:169], v[58:59]
	v_fmac_f64_e32 v[178:179], v[170:171], v[56:57]
	v_add_f64 v[180:181], v[176:177], v[178:179]
	s_waitcnt vmcnt(13) lgkmcnt(0)
	v_mul_f64 v[182:183], v[172:173], v[62:63]
	ds_read_b128 v[176:179], v2 offset:1264
	v_fmac_f64_e32 v[182:183], v[174:175], v[60:61]
	v_add_f64 v[232:233], v[180:181], v[182:183]
	ds_read_b128 v[180:183], v2 offset:1280
	v_fma_f64 v[244:245], v[204:205], v[188:189], -v[190:191]
	s_waitcnt vmcnt(12) lgkmcnt(1)
	v_mul_f64 v[234:235], v[176:177], v[66:67]
	v_fmac_f64_e32 v[234:235], v[178:179], v[64:65]
	v_add_f64 v[232:233], v[232:233], v[234:235]
	s_waitcnt vmcnt(11) lgkmcnt(0)
	v_mul_f64 v[192:193], v[180:181], v[70:71]
	v_fmac_f64_e32 v[192:193], v[182:183], v[68:69]
	ds_read_b128 v[188:191], v2 offset:1312
	s_waitcnt vmcnt(10)
	v_mul_f64 v[194:195], v[184:185], v[74:75]
	v_add_f64 v[192:193], v[232:233], v[192:193]
	v_fmac_f64_e32 v[194:195], v[186:187], v[72:73]
	v_add_f64 v[204:205], v[192:193], v[194:195]
	ds_read_b128 v[192:195], v2 offset:1328
	v_mul_f64 v[198:199], v[218:219], v[198:199]
	v_fma_f64 v[246:247], v[216:217], v[196:197], -v[198:199]
	ds_read_b128 v[196:199], v2 offset:1344
	s_waitcnt vmcnt(9) lgkmcnt(2)
	v_mul_f64 v[206:207], v[188:189], v[78:79]
	v_fmac_f64_e32 v[206:207], v[190:191], v[76:77]
	v_add_f64 v[204:205], v[204:205], v[206:207]
	s_waitcnt vmcnt(8) lgkmcnt(1)
	v_mul_f64 v[206:207], v[192:193], v[82:83]
	v_fmac_f64_e32 v[206:207], v[194:195], v[80:81]
	v_mul_f64 v[202:203], v[226:227], v[202:203]
	v_add_f64 v[204:205], v[204:205], v[206:207]
	v_fma_f64 v[234:235], v[224:225], v[200:201], -v[202:203]
	ds_read_b128 v[200:203], v2 offset:1360
	s_waitcnt vmcnt(7) lgkmcnt(1)
	v_mul_f64 v[206:207], v[196:197], v[86:87]
	v_fmac_f64_e32 v[206:207], v[198:199], v[84:85]
	v_add_f64 v[216:217], v[204:205], v[206:207]
	ds_read_b128 v[204:207], v2 offset:1376
	v_mul_f64 v[210:211], v[230:231], v[210:211]
	v_fma_f64 v[236:237], v[228:229], v[208:209], -v[210:211]
	ds_read_b128 v[208:211], v2 offset:1392
	s_waitcnt vmcnt(6) lgkmcnt(2)
	v_mul_f64 v[218:219], v[200:201], v[90:91]
	v_fmac_f64_e32 v[218:219], v[202:203], v[88:89]
	v_add_f64 v[216:217], v[216:217], v[218:219]
	s_waitcnt vmcnt(5) lgkmcnt(1)
	v_mul_f64 v[218:219], v[204:205], v[94:95]
	v_fmac_f64_e32 v[218:219], v[206:207], v[92:93]
	v_mul_f64 v[214:215], v[240:241], v[214:215]
	v_fma_f64 v[238:239], v[238:239], v[212:213], -v[214:215]
	ds_read_b128 v[212:215], v2 offset:1408
	v_add_f64 v[216:217], v[216:217], v[218:219]
	s_waitcnt vmcnt(4) lgkmcnt(1)
	v_mul_f64 v[218:219], v[208:209], v[102:103]
	v_fmac_f64_e32 v[218:219], v[210:211], v[100:101]
	v_add_f64 v[224:225], v[216:217], v[218:219]
	ds_read_b128 v[216:219], v2 offset:1424
	v_mul_f64 v[222:223], v[254:255], v[222:223]
	v_fma_f64 v[240:241], v[252:253], v[220:221], -v[222:223]
	ds_read_b128 v[220:223], v2 offset:1440
	s_waitcnt vmcnt(3) lgkmcnt(2)
	v_mul_f64 v[226:227], v[212:213], v[98:99]
	v_fmac_f64_e32 v[226:227], v[214:215], v[96:97]
	v_add_f64 v[224:225], v[224:225], v[226:227]
	s_waitcnt vmcnt(2) lgkmcnt(1)
	v_mul_f64 v[226:227], v[216:217], v[106:107]
	v_fmac_f64_e32 v[226:227], v[218:219], v[104:105]
	v_add_f64 v[224:225], v[224:225], v[226:227]
	;; [unrolled: 4-line block ×3, first 2 shown]
	ds_read_b128 v[224:227], v2 offset:1456
	v_mul_f64 v[6:7], v[150:151], v[6:7]
	v_fma_f64 v[4:5], v[148:149], v[4:5], -v[6:7]
	v_mul_f64 v[6:7], v[146:147], v[10:11]
	v_fma_f64 v[6:7], v[144:145], v[8:9], -v[6:7]
	s_waitcnt vmcnt(0) lgkmcnt(0)
	v_mul_f64 v[230:231], v[224:225], v[130:131]
	v_fmac_f64_e32 v[230:231], v[226:227], v[128:129]
	v_add_f64 v[232:233], v[228:229], v[230:231]
	v_add_f64 v[228:229], v[242:243], 0
	;; [unrolled: 1-line block ×4, first 2 shown]
	scratch_load_dwordx4 v[228:231], off, off offset:176
	v_add_f64 v[234:235], v[252:253], v[234:235]
	v_add_f64 v[234:235], v[234:235], v[236:237]
	;; [unrolled: 1-line block ×6, first 2 shown]
	v_mul_f64 v[6:7], v[142:143], v[14:15]
	v_fma_f64 v[6:7], v[140:141], v[12:13], -v[6:7]
	v_add_f64 v[4:5], v[4:5], v[6:7]
	v_mul_f64 v[6:7], v[138:139], v[18:19]
	v_fma_f64 v[6:7], v[136:137], v[16:17], -v[6:7]
	v_add_f64 v[4:5], v[4:5], v[6:7]
	;; [unrolled: 3-line block ×26, first 2 shown]
	s_waitcnt vmcnt(0)
	v_add_f64 v[4:5], v[228:229], -v[4:5]
	v_add_f64 v[6:7], v[230:231], -v[232:233]
	scratch_store_dwordx4 off, v[4:7], off offset:176
	s_and_saveexec_b64 s[0:1], vcc
	s_cbranch_execz .LBB45_271
; %bb.270:
	scratch_load_dwordx4 v[6:9], off, s28
	v_mov_b32_e32 v3, v2
	v_mov_b32_e32 v4, v2
	;; [unrolled: 1-line block ×3, first 2 shown]
	v_accvgpr_read_b32 v0, a93
	scratch_store_dwordx4 off, v[2:5], off offset:160
	s_waitcnt vmcnt(1)
	ds_write_b128 v0, v[6:9]
.LBB45_271:
	s_or_b64 exec, exec, s[0:1]
	s_waitcnt lgkmcnt(0)
	; wave barrier
	scratch_load_dwordx4 v[140:143], off, off offset:176
	scratch_load_dwordx4 v[144:147], off, off offset:192
	;; [unrolled: 1-line block ×16, first 2 shown]
	ds_read_b128 v[208:211], v2 offset:896
	ds_read_b128 v[200:203], v2 offset:912
	ds_read_b128 v[188:191], v2 offset:928
	scratch_load_dwordx4 v[40:43], off, off offset:432
	ds_read_b128 v[204:207], v2 offset:944
	ds_read_b128 v[192:195], v2 offset:960
	;; [unrolled: 1-line block ×3, first 2 shown]
	scratch_load_dwordx4 v[44:47], off, off offset:448
	ds_read_b128 v[196:199], v2 offset:992
	ds_read_b128 v[64:67], v2 offset:1008
	;; [unrolled: 1-line block ×4, first 2 shown]
	scratch_load_dwordx4 v[48:51], off, off offset:464
	ds_read_b128 v[72:75], v2 offset:1056
	ds_read_b128 v[68:71], v2 offset:1072
	scratch_load_dwordx4 v[56:59], off, off offset:480
	ds_read_b128 v[92:95], v2 offset:1088
	ds_read_b128 v[88:91], v2 offset:1104
	;; [unrolled: 1-line block ×4, first 2 shown]
	scratch_load_dwordx4 v[76:79], off, off offset:496
	scratch_load_dwordx4 v[96:99], off, off offset:512
	;; [unrolled: 1-line block ×12, first 2 shown]
	ds_read_b128 v[168:171], v2 offset:1152
	v_accvgpr_write_b32 a92, v248
	v_cmp_lt_u32_e32 vcc, 8, v248
	s_waitcnt vmcnt(31) lgkmcnt(14)
	v_mul_f64 v[172:173], v[208:209], v[142:143]
	s_waitcnt vmcnt(30)
	v_mul_f64 v[174:175], v[200:201], v[146:147]
	v_fmac_f64_e32 v[172:173], v[210:211], v[140:141]
	s_waitcnt vmcnt(29)
	v_mul_f64 v[176:177], v[188:189], v[150:151]
	v_fmac_f64_e32 v[174:175], v[202:203], v[144:145]
	v_add_f64 v[172:173], v[172:173], 0
	s_waitcnt vmcnt(28) lgkmcnt(13)
	v_mul_f64 v[178:179], v[204:205], v[154:155]
	v_fmac_f64_e32 v[176:177], v[190:191], v[148:149]
	v_add_f64 v[172:173], v[172:173], v[174:175]
	s_waitcnt vmcnt(27) lgkmcnt(12)
	;; [unrolled: 4-line block ×10, first 2 shown]
	v_mul_f64 v[224:225], v[92:93], v[26:27]
	v_fmac_f64_e32 v[222:223], v[70:71], v[20:21]
	v_add_f64 v[172:173], v[172:173], v[220:221]
	ds_read_b128 v[212:215], v2 offset:1168
	s_waitcnt vmcnt(18) lgkmcnt(4)
	v_mul_f64 v[226:227], v[88:89], v[30:31]
	v_fmac_f64_e32 v[224:225], v[94:95], v[24:25]
	v_add_f64 v[172:173], v[172:173], v[222:223]
	ds_read_b128 v[216:219], v2 offset:1184
	ds_read_b128 v[220:223], v2 offset:1200
	s_waitcnt vmcnt(17) lgkmcnt(5)
	v_mul_f64 v[228:229], v[84:85], v[34:35]
	v_fmac_f64_e32 v[226:227], v[90:91], v[28:29]
	v_add_f64 v[172:173], v[172:173], v[224:225]
	s_waitcnt vmcnt(16) lgkmcnt(4)
	v_mul_f64 v[230:231], v[80:81], v[38:39]
	v_fmac_f64_e32 v[228:229], v[86:87], v[32:33]
	v_add_f64 v[172:173], v[172:173], v[226:227]
	v_add_f64 v[176:177], v[172:173], v[228:229]
	v_fmac_f64_e32 v[230:231], v[82:83], v[36:37]
	s_waitcnt vmcnt(15) lgkmcnt(3)
	v_mul_f64 v[178:179], v[168:169], v[42:43]
	v_add_f64 v[176:177], v[176:177], v[230:231]
	v_fmac_f64_e32 v[178:179], v[170:171], v[40:41]
	s_waitcnt vmcnt(14) lgkmcnt(2)
	v_mul_f64 v[182:183], v[212:213], v[46:47]
	;; [unrolled: 4-line block ×3, first 2 shown]
	v_add_f64 v[224:225], v[180:181], v[182:183]
	v_fmac_f64_e32 v[226:227], v[218:219], v[48:49]
	v_add_f64 v[228:229], v[224:225], v[226:227]
	ds_read_b128 v[224:227], v2 offset:1216
	s_waitcnt vmcnt(12) lgkmcnt(1)
	v_mul_f64 v[230:231], v[220:221], v[58:59]
	v_fmac_f64_e32 v[230:231], v[222:223], v[56:57]
	v_add_f64 v[232:233], v[228:229], v[230:231]
	ds_read_b128 v[228:231], v2 offset:1232
	s_waitcnt vmcnt(11) lgkmcnt(1)
	v_mul_f64 v[234:235], v[224:225], v[78:79]
	;; [unrolled: 5-line block ×4, first 2 shown]
	v_fmac_f64_e32 v[242:243], v[234:235], v[100:101]
	v_mul_f64 v[142:143], v[210:211], v[142:143]
	v_add_f64 v[240:241], v[240:241], v[242:243]
	v_fma_f64 v[242:243], v[208:209], v[140:141], -v[142:143]
	ds_read_b128 v[140:143], v2 offset:1280
	s_waitcnt vmcnt(8) lgkmcnt(1)
	v_mul_f64 v[208:209], v[236:237], v[106:107]
	v_fmac_f64_e32 v[208:209], v[238:239], v[104:105]
	v_mul_f64 v[146:147], v[202:203], v[146:147]
	v_add_f64 v[208:209], v[240:241], v[208:209]
	v_fma_f64 v[240:241], v[200:201], v[144:145], -v[146:147]
	ds_read_b128 v[144:147], v2 offset:1296
	s_waitcnt vmcnt(7) lgkmcnt(1)
	v_mul_f64 v[200:201], v[140:141], v[110:111]
	scratch_load_dwordx4 v[172:175], off, off offset:688
	scratch_load_dwordx4 v[176:179], off, off offset:704
	v_fmac_f64_e32 v[200:201], v[142:143], v[108:109]
	v_add_f64 v[208:209], v[208:209], v[200:201]
	ds_read_b128 v[200:203], v2 offset:1312
	v_mul_f64 v[150:151], v[190:191], v[150:151]
	v_fma_f64 v[244:245], v[188:189], v[148:149], -v[150:151]
	ds_read_b128 v[148:151], v2 offset:1328
	s_waitcnt vmcnt(8) lgkmcnt(2)
	v_mul_f64 v[210:211], v[144:145], v[114:115]
	v_fmac_f64_e32 v[210:211], v[146:147], v[112:113]
	s_waitcnt vmcnt(7) lgkmcnt(1)
	v_mul_f64 v[188:189], v[200:201], v[118:119]
	v_add_f64 v[208:209], v[208:209], v[210:211]
	v_fmac_f64_e32 v[188:189], v[202:203], v[116:117]
	v_mul_f64 v[154:155], v[206:207], v[154:155]
	s_waitcnt vmcnt(6) lgkmcnt(0)
	v_mul_f64 v[190:191], v[148:149], v[122:123]
	v_add_f64 v[188:189], v[208:209], v[188:189]
	v_fma_f64 v[246:247], v[204:205], v[152:153], -v[154:155]
	ds_read_b128 v[152:155], v2 offset:1344
	v_fmac_f64_e32 v[190:191], v[150:151], v[120:121]
	scratch_load_dwordx4 v[180:183], off, off offset:720
	v_add_f64 v[204:205], v[188:189], v[190:191]
	ds_read_b128 v[188:191], v2 offset:1360
	s_waitcnt vmcnt(6) lgkmcnt(1)
	v_mul_f64 v[206:207], v[152:153], v[126:127]
	v_mul_f64 v[158:159], v[194:195], v[158:159]
	v_fmac_f64_e32 v[206:207], v[154:155], v[124:125]
	v_fma_f64 v[252:253], v[192:193], v[156:157], -v[158:159]
	s_waitcnt vmcnt(5) lgkmcnt(0)
	v_mul_f64 v[192:193], v[188:189], v[130:131]
	v_add_f64 v[204:205], v[204:205], v[206:207]
	v_fmac_f64_e32 v[192:193], v[190:191], v[128:129]
	v_mul_f64 v[162:163], v[186:187], v[162:163]
	v_fma_f64 v[208:209], v[184:185], v[160:161], -v[162:163]
	v_add_f64 v[184:185], v[204:205], v[192:193]
	scratch_load_dwordx4 v[204:207], off, off offset:736
	ds_read_b128 v[156:159], v2 offset:1376
	ds_read_b128 v[160:163], v2 offset:1392
	v_mul_f64 v[166:167], v[198:199], v[166:167]
	v_fma_f64 v[210:211], v[196:197], v[164:165], -v[166:167]
	ds_read_b128 v[164:167], v2 offset:1424
	s_waitcnt vmcnt(5) lgkmcnt(2)
	v_mul_f64 v[186:187], v[156:157], v[138:139]
	v_fmac_f64_e32 v[186:187], v[158:159], v[136:137]
	v_add_f64 v[192:193], v[184:185], v[186:187]
	ds_read_b128 v[184:187], v2 offset:1408
	s_waitcnt vmcnt(4) lgkmcnt(2)
	v_mul_f64 v[194:195], v[160:161], v[134:135]
	v_fmac_f64_e32 v[194:195], v[162:163], v[132:133]
	v_add_f64 v[192:193], v[192:193], v[194:195]
	v_add_f64 v[242:243], v[242:243], 0
	v_add_f64 v[240:241], v[242:243], v[240:241]
	v_add_f64 v[240:241], v[240:241], v[244:245]
	v_add_f64 v[240:241], v[240:241], v[246:247]
	v_add_f64 v[240:241], v[240:241], v[252:253]
	v_add_f64 v[208:209], v[240:241], v[208:209]
	v_mul_f64 v[6:7], v[66:67], v[6:7]
	v_add_f64 v[208:209], v[208:209], v[210:211]
	v_fma_f64 v[4:5], v[64:65], v[4:5], -v[6:7]
	v_mul_f64 v[6:7], v[62:63], v[10:11]
	v_add_f64 v[4:5], v[208:209], v[4:5]
	v_fma_f64 v[6:7], v[60:61], v[8:9], -v[6:7]
	v_add_f64 v[4:5], v[4:5], v[6:7]
	v_mul_f64 v[6:7], v[54:55], v[14:15]
	v_fma_f64 v[6:7], v[52:53], v[12:13], -v[6:7]
	v_add_f64 v[4:5], v[4:5], v[6:7]
	v_mul_f64 v[6:7], v[74:75], v[18:19]
	;; [unrolled: 3-line block ×8, first 2 shown]
	s_waitcnt vmcnt(3) lgkmcnt(0)
	v_mul_f64 v[194:195], v[184:185], v[174:175]
	v_fmac_f64_e32 v[194:195], v[186:187], v[172:173]
	v_add_f64 v[192:193], v[192:193], v[194:195]
	s_waitcnt vmcnt(2)
	v_mul_f64 v[194:195], v[164:165], v[178:179]
	v_fmac_f64_e32 v[194:195], v[166:167], v[176:177]
	v_add_f64 v[196:197], v[192:193], v[194:195]
	ds_read_b128 v[192:195], v2 offset:1440
	v_fma_f64 v[6:7], v[168:169], v[40:41], -v[6:7]
	v_add_f64 v[4:5], v[4:5], v[6:7]
	v_mul_f64 v[6:7], v[214:215], v[46:47]
	v_fma_f64 v[6:7], v[212:213], v[44:45], -v[6:7]
	v_add_f64 v[4:5], v[4:5], v[6:7]
	v_mul_f64 v[6:7], v[218:219], v[50:51]
	v_fma_f64 v[6:7], v[216:217], v[48:49], -v[6:7]
	v_add_f64 v[4:5], v[4:5], v[6:7]
	v_mul_f64 v[6:7], v[222:223], v[58:59]
	v_fma_f64 v[6:7], v[220:221], v[56:57], -v[6:7]
	v_add_f64 v[4:5], v[4:5], v[6:7]
	v_mul_f64 v[6:7], v[226:227], v[78:79]
	s_waitcnt vmcnt(1) lgkmcnt(0)
	v_mul_f64 v[198:199], v[192:193], v[182:183]
	v_fmac_f64_e32 v[198:199], v[194:195], v[180:181]
	v_add_f64 v[254:255], v[196:197], v[198:199]
	ds_read_b128 v[196:199], v2 offset:1456
	v_fma_f64 v[6:7], v[224:225], v[76:77], -v[6:7]
	v_add_f64 v[4:5], v[4:5], v[6:7]
	v_mul_f64 v[6:7], v[230:231], v[98:99]
	v_fma_f64 v[6:7], v[228:229], v[96:97], -v[6:7]
	v_add_f64 v[4:5], v[4:5], v[6:7]
	v_mul_f64 v[6:7], v[234:235], v[102:103]
	;; [unrolled: 3-line block ×3, first 2 shown]
	s_waitcnt vmcnt(0) lgkmcnt(0)
	v_mul_f64 v[2:3], v[196:197], v[206:207]
	v_fmac_f64_e32 v[2:3], v[198:199], v[204:205]
	v_add_f64 v[2:3], v[254:255], v[2:3]
	scratch_load_dwordx4 v[252:255], off, off offset:160
	v_fma_f64 v[6:7], v[236:237], v[104:105], -v[6:7]
	v_add_f64 v[4:5], v[4:5], v[6:7]
	v_mul_f64 v[6:7], v[142:143], v[110:111]
	v_fma_f64 v[6:7], v[140:141], v[108:109], -v[6:7]
	v_add_f64 v[4:5], v[4:5], v[6:7]
	v_mul_f64 v[6:7], v[146:147], v[114:115]
	;; [unrolled: 3-line block ×12, first 2 shown]
	v_fma_f64 v[6:7], v[196:197], v[204:205], -v[6:7]
	v_add_f64 v[4:5], v[4:5], v[6:7]
	s_waitcnt vmcnt(0)
	v_add_f64 v[4:5], v[252:253], -v[4:5]
	v_add_f64 v[6:7], v[254:255], -v[2:3]
	scratch_store_dwordx4 off, v[4:7], off offset:160
	s_and_saveexec_b64 s[0:1], vcc
	s_cbranch_execz .LBB45_273
; %bb.272:
	scratch_load_dwordx4 v[2:5], off, s27
	v_mov_b32_e32 v6, 0
	v_mov_b32_e32 v7, v6
	;; [unrolled: 1-line block ×4, first 2 shown]
	v_accvgpr_read_b32 v0, a93
	scratch_store_dwordx4 off, v[6:9], off offset:144
	s_waitcnt vmcnt(1)
	ds_write_b128 v0, v[2:5]
.LBB45_273:
	s_or_b64 exec, exec, s[0:1]
	s_waitcnt lgkmcnt(0)
	; wave barrier
	scratch_load_dwordx4 v[168:171], off, off offset:160
	scratch_load_dwordx4 v[172:175], off, off offset:176
	;; [unrolled: 1-line block ×32, first 2 shown]
	v_mov_b32_e32 v2, 0
	ds_read_b128 v[176:179], v2 offset:880
	ds_read_b128 v[188:191], v2 offset:896
	;; [unrolled: 1-line block ×17, first 2 shown]
	v_accvgpr_read_b32 v0, a92
	v_cmp_lt_u32_e32 vcc, 7, v0
	s_waitcnt vmcnt(31) lgkmcnt(14)
	v_mul_f64 v[104:105], v[176:177], v[170:171]
	s_waitcnt vmcnt(30)
	v_mul_f64 v[106:107], v[188:189], v[174:175]
	v_fmac_f64_e32 v[104:105], v[178:179], v[168:169]
	s_waitcnt vmcnt(29)
	v_mul_f64 v[108:109], v[200:201], v[182:183]
	v_fmac_f64_e32 v[106:107], v[190:191], v[172:173]
	v_add_f64 v[104:105], v[104:105], 0
	s_waitcnt vmcnt(28) lgkmcnt(13)
	v_mul_f64 v[110:111], v[212:213], v[186:187]
	v_fmac_f64_e32 v[108:109], v[202:203], v[180:181]
	v_add_f64 v[104:105], v[104:105], v[106:107]
	s_waitcnt vmcnt(27) lgkmcnt(12)
	;; [unrolled: 4-line block ×12, first 2 shown]
	v_mul_f64 v[156:157], v[112:113], v[26:27]
	v_fmac_f64_e32 v[154:155], v[118:119], v[20:21]
	v_add_f64 v[104:105], v[104:105], v[152:153]
	v_fmac_f64_e32 v[156:157], v[114:115], v[24:25]
	v_add_f64 v[104:105], v[104:105], v[154:155]
	s_waitcnt vmcnt(16) lgkmcnt(1)
	v_mul_f64 v[106:107], v[100:101], v[30:31]
	v_add_f64 v[104:105], v[104:105], v[156:157]
	v_fmac_f64_e32 v[106:107], v[102:103], v[28:29]
	v_add_f64 v[108:109], v[104:105], v[106:107]
	ds_read_b128 v[144:147], v2 offset:1152
	ds_read_b128 v[148:151], v2 offset:1168
	scratch_load_dwordx4 v[104:107], off, off offset:672
	s_waitcnt vmcnt(16) lgkmcnt(2)
	v_mul_f64 v[110:111], v[96:97], v[34:35]
	v_fmac_f64_e32 v[110:111], v[98:99], v[32:33]
	v_add_f64 v[120:121], v[108:109], v[110:111]
	scratch_load_dwordx4 v[108:111], off, off offset:688
	s_waitcnt vmcnt(16) lgkmcnt(1)
	v_mul_f64 v[122:123], v[144:145], v[38:39]
	v_fmac_f64_e32 v[122:123], v[146:147], v[36:37]
	v_add_f64 v[132:133], v[120:121], v[122:123]
	s_waitcnt vmcnt(15) lgkmcnt(0)
	v_mul_f64 v[134:135], v[148:149], v[42:43]
	scratch_load_dwordx4 v[120:123], off, off offset:704
	v_fmac_f64_e32 v[134:135], v[150:151], v[40:41]
	v_add_f64 v[160:161], v[132:133], v[134:135]
	scratch_load_dwordx4 v[132:135], off, off offset:720
	ds_read_b128 v[152:155], v2 offset:1184
	ds_read_b128 v[156:159], v2 offset:1200
	v_mul_f64 v[170:171], v[178:179], v[170:171]
	v_fma_f64 v[242:243], v[176:177], v[168:169], -v[170:171]
	ds_read_b128 v[168:171], v2 offset:1248
	s_waitcnt vmcnt(16) lgkmcnt(2)
	v_mul_f64 v[162:163], v[152:153], v[46:47]
	v_fmac_f64_e32 v[162:163], v[154:155], v[44:45]
	s_waitcnt vmcnt(15) lgkmcnt(1)
	v_mul_f64 v[166:167], v[156:157], v[50:51]
	v_add_f64 v[164:165], v[160:161], v[162:163]
	ds_read_b128 v[160:163], v2 offset:1216
	v_fmac_f64_e32 v[166:167], v[158:159], v[48:49]
	v_add_f64 v[232:233], v[164:165], v[166:167]
	ds_read_b128 v[164:167], v2 offset:1232
	v_mul_f64 v[174:175], v[190:191], v[174:175]
	s_waitcnt vmcnt(14) lgkmcnt(1)
	v_mul_f64 v[234:235], v[160:161], v[54:55]
	v_fmac_f64_e32 v[234:235], v[162:163], v[52:53]
	v_add_f64 v[232:233], v[232:233], v[234:235]
	s_waitcnt vmcnt(13) lgkmcnt(0)
	v_mul_f64 v[176:177], v[164:165], v[58:59]
	v_fmac_f64_e32 v[176:177], v[166:167], v[56:57]
	v_fma_f64 v[244:245], v[188:189], v[172:173], -v[174:175]
	ds_read_b128 v[172:175], v2 offset:1264
	s_waitcnt vmcnt(12)
	v_mul_f64 v[178:179], v[168:169], v[62:63]
	v_add_f64 v[176:177], v[232:233], v[176:177]
	v_fmac_f64_e32 v[178:179], v[170:171], v[60:61]
	v_add_f64 v[188:189], v[176:177], v[178:179]
	ds_read_b128 v[176:179], v2 offset:1280
	v_mul_f64 v[182:183], v[202:203], v[182:183]
	v_fma_f64 v[246:247], v[200:201], v[180:181], -v[182:183]
	ds_read_b128 v[180:183], v2 offset:1296
	s_waitcnt vmcnt(11) lgkmcnt(2)
	v_mul_f64 v[190:191], v[172:173], v[66:67]
	v_fmac_f64_e32 v[190:191], v[174:175], v[64:65]
	v_add_f64 v[188:189], v[188:189], v[190:191]
	s_waitcnt vmcnt(10) lgkmcnt(1)
	v_mul_f64 v[190:191], v[176:177], v[70:71]
	v_fmac_f64_e32 v[190:191], v[178:179], v[68:69]
	v_mul_f64 v[186:187], v[214:215], v[186:187]
	v_fma_f64 v[248:249], v[212:213], v[184:185], -v[186:187]
	ds_read_b128 v[184:187], v2 offset:1312
	v_add_f64 v[188:189], v[188:189], v[190:191]
	s_waitcnt vmcnt(9) lgkmcnt(1)
	v_mul_f64 v[190:191], v[180:181], v[74:75]
	v_fmac_f64_e32 v[190:191], v[182:183], v[72:73]
	v_add_f64 v[200:201], v[188:189], v[190:191]
	ds_read_b128 v[188:191], v2 offset:1328
	v_mul_f64 v[194:195], v[222:223], v[194:195]
	v_fma_f64 v[250:251], v[220:221], v[192:193], -v[194:195]
	ds_read_b128 v[192:195], v2 offset:1344
	s_waitcnt vmcnt(8) lgkmcnt(2)
	v_mul_f64 v[202:203], v[184:185], v[78:79]
	v_fmac_f64_e32 v[202:203], v[186:187], v[76:77]
	v_add_f64 v[200:201], v[200:201], v[202:203]
	s_waitcnt vmcnt(7) lgkmcnt(1)
	v_mul_f64 v[202:203], v[188:189], v[82:83]
	v_fmac_f64_e32 v[202:203], v[190:191], v[80:81]
	v_mul_f64 v[198:199], v[226:227], v[198:199]
	v_add_f64 v[200:201], v[200:201], v[202:203]
	v_fma_f64 v[234:235], v[224:225], v[196:197], -v[198:199]
	ds_read_b128 v[196:199], v2 offset:1360
	s_waitcnt vmcnt(6) lgkmcnt(1)
	v_mul_f64 v[202:203], v[192:193], v[86:87]
	v_fmac_f64_e32 v[202:203], v[194:195], v[84:85]
	v_add_f64 v[212:213], v[200:201], v[202:203]
	ds_read_b128 v[200:203], v2 offset:1376
	v_mul_f64 v[206:207], v[230:231], v[206:207]
	v_fma_f64 v[236:237], v[228:229], v[204:205], -v[206:207]
	ds_read_b128 v[204:207], v2 offset:1392
	s_waitcnt vmcnt(5) lgkmcnt(2)
	v_mul_f64 v[214:215], v[196:197], v[94:95]
	v_fmac_f64_e32 v[214:215], v[198:199], v[92:93]
	v_add_f64 v[212:213], v[212:213], v[214:215]
	s_waitcnt vmcnt(4) lgkmcnt(1)
	v_mul_f64 v[214:215], v[200:201], v[90:91]
	v_fmac_f64_e32 v[214:215], v[202:203], v[88:89]
	v_mul_f64 v[210:211], v[240:241], v[210:211]
	v_fma_f64 v[238:239], v[238:239], v[208:209], -v[210:211]
	ds_read_b128 v[208:211], v2 offset:1408
	v_add_f64 v[212:213], v[212:213], v[214:215]
	s_waitcnt vmcnt(3) lgkmcnt(1)
	v_mul_f64 v[214:215], v[204:205], v[106:107]
	v_fmac_f64_e32 v[214:215], v[206:207], v[104:105]
	v_add_f64 v[220:221], v[212:213], v[214:215]
	ds_read_b128 v[212:215], v2 offset:1424
	v_mul_f64 v[218:219], v[254:255], v[218:219]
	v_fma_f64 v[240:241], v[252:253], v[216:217], -v[218:219]
	ds_read_b128 v[216:219], v2 offset:1440
	ds_read_b128 v[224:227], v2 offset:1456
	s_waitcnt vmcnt(2) lgkmcnt(3)
	v_mul_f64 v[222:223], v[208:209], v[110:111]
	v_fmac_f64_e32 v[222:223], v[210:211], v[108:109]
	v_add_f64 v[220:221], v[220:221], v[222:223]
	s_waitcnt vmcnt(1) lgkmcnt(2)
	v_mul_f64 v[222:223], v[212:213], v[122:123]
	v_fmac_f64_e32 v[222:223], v[214:215], v[120:121]
	v_add_f64 v[220:221], v[220:221], v[222:223]
	s_waitcnt vmcnt(0) lgkmcnt(1)
	v_mul_f64 v[222:223], v[216:217], v[134:135]
	v_fmac_f64_e32 v[222:223], v[218:219], v[132:133]
	v_add_f64 v[228:229], v[220:221], v[222:223]
	scratch_load_dwordx4 v[220:223], off, off offset:736
	v_mul_f64 v[6:7], v[142:143], v[6:7]
	v_fma_f64 v[4:5], v[140:141], v[4:5], -v[6:7]
	v_mul_f64 v[6:7], v[138:139], v[10:11]
	v_fma_f64 v[6:7], v[136:137], v[8:9], -v[6:7]
	s_waitcnt vmcnt(0) lgkmcnt(0)
	v_mul_f64 v[230:231], v[224:225], v[222:223]
	v_fmac_f64_e32 v[230:231], v[226:227], v[220:221]
	v_add_f64 v[232:233], v[228:229], v[230:231]
	v_add_f64 v[228:229], v[242:243], 0
	;; [unrolled: 1-line block ×6, first 2 shown]
	scratch_load_dwordx4 v[228:231], off, off offset:144
	v_add_f64 v[234:235], v[252:253], v[234:235]
	v_add_f64 v[234:235], v[234:235], v[236:237]
	;; [unrolled: 1-line block ×6, first 2 shown]
	v_mul_f64 v[6:7], v[130:131], v[14:15]
	v_fma_f64 v[6:7], v[128:129], v[12:13], -v[6:7]
	v_add_f64 v[4:5], v[4:5], v[6:7]
	v_mul_f64 v[6:7], v[126:127], v[18:19]
	v_fma_f64 v[6:7], v[124:125], v[16:17], -v[6:7]
	v_add_f64 v[4:5], v[4:5], v[6:7]
	;; [unrolled: 3-line block ×26, first 2 shown]
	s_waitcnt vmcnt(0)
	v_add_f64 v[4:5], v[228:229], -v[4:5]
	v_add_f64 v[6:7], v[230:231], -v[232:233]
	scratch_store_dwordx4 off, v[4:7], off offset:144
	s_and_saveexec_b64 s[0:1], vcc
	s_cbranch_execz .LBB45_275
; %bb.274:
	scratch_load_dwordx4 v[6:9], off, s61
	v_mov_b32_e32 v3, v2
	v_mov_b32_e32 v4, v2
	;; [unrolled: 1-line block ×3, first 2 shown]
	v_accvgpr_read_b32 v0, a93
	scratch_store_dwordx4 off, v[2:5], off offset:128
	s_waitcnt vmcnt(1)
	ds_write_b128 v0, v[6:9]
.LBB45_275:
	s_or_b64 exec, exec, s[0:1]
	s_waitcnt lgkmcnt(0)
	; wave barrier
	scratch_load_dwordx4 v[168:171], off, off offset:144
	scratch_load_dwordx4 v[172:175], off, off offset:160
	;; [unrolled: 1-line block ×16, first 2 shown]
	ds_read_b128 v[232:235], v2 offset:864
	ds_read_b128 v[176:179], v2 offset:880
	scratch_load_dwordx4 v[32:35], off, off offset:400
	ds_read_b128 v[236:239], v2 offset:896
	ds_read_b128 v[188:191], v2 offset:912
	;; [unrolled: 1-line block ×5, first 2 shown]
	scratch_load_dwordx4 v[36:39], off, off offset:416
	ds_read_b128 v[224:227], v2 offset:976
	ds_read_b128 v[220:223], v2 offset:992
	;; [unrolled: 1-line block ×3, first 2 shown]
	scratch_load_dwordx4 v[40:43], off, off offset:432
	ds_read_b128 v[64:67], v2 offset:1024
	ds_read_b128 v[60:63], v2 offset:1040
	;; [unrolled: 1-line block ×4, first 2 shown]
	scratch_load_dwordx4 v[48:51], off, off offset:448
	ds_read_b128 v[80:83], v2 offset:1088
	ds_read_b128 v[72:75], v2 offset:1104
	;; [unrolled: 1-line block ×3, first 2 shown]
	scratch_load_dwordx4 v[76:79], off, off offset:464
	scratch_load_dwordx4 v[84:87], off, off offset:480
	;; [unrolled: 1-line block ×12, first 2 shown]
	v_accvgpr_read_b32 v0, a92
	v_cmp_lt_u32_e32 vcc, 6, v0
	s_waitcnt vmcnt(31) lgkmcnt(14)
	v_mul_f64 v[128:129], v[232:233], v[170:171]
	s_waitcnt vmcnt(30)
	v_mul_f64 v[130:131], v[176:177], v[174:175]
	v_fmac_f64_e32 v[128:129], v[234:235], v[168:169]
	s_waitcnt vmcnt(29)
	v_mul_f64 v[132:133], v[236:237], v[182:183]
	v_fmac_f64_e32 v[130:131], v[178:179], v[172:173]
	v_add_f64 v[128:129], v[128:129], 0
	s_waitcnt vmcnt(28) lgkmcnt(13)
	v_mul_f64 v[134:135], v[188:189], v[186:187]
	v_fmac_f64_e32 v[132:133], v[238:239], v[180:181]
	v_add_f64 v[128:129], v[128:129], v[130:131]
	s_waitcnt vmcnt(27) lgkmcnt(12)
	;; [unrolled: 4-line block ×13, first 2 shown]
	v_mul_f64 v[158:159], v[72:73], v[30:31]
	v_fmac_f64_e32 v[156:157], v[82:83], v[24:25]
	v_add_f64 v[128:129], v[128:129], v[154:155]
	v_add_f64 v[128:129], v[128:129], v[156:157]
	v_fmac_f64_e32 v[158:159], v[74:75], v[28:29]
	v_add_f64 v[132:133], v[128:129], v[158:159]
	ds_read_b128 v[144:147], v2 offset:1136
	ds_read_b128 v[148:151], v2 offset:1152
	scratch_load_dwordx4 v[128:131], off, off offset:656
	s_waitcnt vmcnt(16) lgkmcnt(2)
	v_mul_f64 v[134:135], v[68:69], v[34:35]
	v_fmac_f64_e32 v[134:135], v[70:71], v[32:33]
	s_waitcnt vmcnt(15) lgkmcnt(1)
	v_mul_f64 v[138:139], v[144:145], v[38:39]
	v_add_f64 v[136:137], v[132:133], v[134:135]
	scratch_load_dwordx4 v[132:135], off, off offset:672
	v_fmac_f64_e32 v[138:139], v[146:147], v[36:37]
	v_add_f64 v[140:141], v[136:137], v[138:139]
	s_waitcnt vmcnt(15) lgkmcnt(0)
	v_mul_f64 v[142:143], v[148:149], v[42:43]
	scratch_load_dwordx4 v[136:139], off, off offset:688
	v_fmac_f64_e32 v[142:143], v[150:151], v[40:41]
	v_add_f64 v[160:161], v[140:141], v[142:143]
	scratch_load_dwordx4 v[140:143], off, off offset:704
	ds_read_b128 v[152:155], v2 offset:1168
	ds_read_b128 v[156:159], v2 offset:1184
	v_mul_f64 v[170:171], v[234:235], v[170:171]
	v_mul_f64 v[174:175], v[178:179], v[174:175]
	v_fma_f64 v[244:245], v[176:177], v[172:173], -v[174:175]
	s_waitcnt vmcnt(16) lgkmcnt(1)
	v_mul_f64 v[162:163], v[152:153], v[50:51]
	v_fmac_f64_e32 v[162:163], v[154:155], v[48:49]
	v_add_f64 v[164:165], v[160:161], v[162:163]
	ds_read_b128 v[160:163], v2 offset:1200
	s_waitcnt vmcnt(15) lgkmcnt(1)
	v_mul_f64 v[166:167], v[156:157], v[78:79]
	v_fmac_f64_e32 v[166:167], v[158:159], v[76:77]
	v_add_f64 v[240:241], v[164:165], v[166:167]
	ds_read_b128 v[164:167], v2 offset:1216
	s_waitcnt vmcnt(14) lgkmcnt(1)
	v_mul_f64 v[242:243], v[160:161], v[86:87]
	v_fmac_f64_e32 v[242:243], v[162:163], v[84:85]
	v_add_f64 v[240:241], v[240:241], v[242:243]
	v_fma_f64 v[242:243], v[232:233], v[168:169], -v[170:171]
	ds_read_b128 v[168:171], v2 offset:1232
	ds_read_b128 v[172:175], v2 offset:1248
	s_waitcnt vmcnt(13) lgkmcnt(2)
	v_mul_f64 v[232:233], v[164:165], v[90:91]
	v_fmac_f64_e32 v[232:233], v[166:167], v[88:89]
	v_add_f64 v[232:233], v[240:241], v[232:233]
	s_waitcnt vmcnt(12) lgkmcnt(1)
	v_mul_f64 v[176:177], v[168:169], v[94:95]
	v_fmac_f64_e32 v[176:177], v[170:171], v[92:93]
	v_add_f64 v[232:233], v[232:233], v[176:177]
	ds_read_b128 v[176:179], v2 offset:1264
	v_mul_f64 v[182:183], v[238:239], v[182:183]
	v_fma_f64 v[236:237], v[236:237], v[180:181], -v[182:183]
	ds_read_b128 v[180:183], v2 offset:1280
	s_waitcnt vmcnt(11) lgkmcnt(2)
	v_mul_f64 v[234:235], v[172:173], v[98:99]
	v_fmac_f64_e32 v[234:235], v[174:175], v[96:97]
	v_add_f64 v[232:233], v[232:233], v[234:235]
	s_waitcnt vmcnt(10) lgkmcnt(1)
	v_mul_f64 v[234:235], v[176:177], v[102:103]
	v_fmac_f64_e32 v[234:235], v[178:179], v[100:101]
	v_mul_f64 v[186:187], v[190:191], v[186:187]
	s_waitcnt vmcnt(9) lgkmcnt(0)
	v_mul_f64 v[190:191], v[180:181], v[106:107]
	v_fma_f64 v[238:239], v[188:189], v[184:185], -v[186:187]
	ds_read_b128 v[184:187], v2 offset:1296
	v_add_f64 v[188:189], v[232:233], v[234:235]
	v_fmac_f64_e32 v[190:191], v[182:183], v[104:105]
	v_add_f64 v[232:233], v[188:189], v[190:191]
	ds_read_b128 v[188:191], v2 offset:1312
	v_mul_f64 v[194:195], v[230:231], v[194:195]
	v_fma_f64 v[246:247], v[228:229], v[192:193], -v[194:195]
	ds_read_b128 v[192:195], v2 offset:1328
	s_waitcnt vmcnt(8) lgkmcnt(2)
	v_mul_f64 v[234:235], v[184:185], v[110:111]
	v_fmac_f64_e32 v[234:235], v[186:187], v[108:109]
	s_waitcnt vmcnt(7) lgkmcnt(1)
	v_mul_f64 v[228:229], v[188:189], v[114:115]
	v_mul_f64 v[198:199], v[202:203], v[198:199]
	v_add_f64 v[232:233], v[232:233], v[234:235]
	v_fmac_f64_e32 v[228:229], v[190:191], v[112:113]
	v_fma_f64 v[248:249], v[200:201], v[196:197], -v[198:199]
	ds_read_b128 v[196:199], v2 offset:1344
	s_waitcnt vmcnt(6) lgkmcnt(1)
	v_mul_f64 v[200:201], v[192:193], v[118:119]
	v_add_f64 v[228:229], v[232:233], v[228:229]
	v_fmac_f64_e32 v[200:201], v[194:195], v[116:117]
	v_add_f64 v[228:229], v[228:229], v[200:201]
	ds_read_b128 v[200:203], v2 offset:1360
	v_mul_f64 v[206:207], v[214:215], v[206:207]
	v_fma_f64 v[250:251], v[212:213], v[204:205], -v[206:207]
	ds_read_b128 v[204:207], v2 offset:1376
	s_waitcnt vmcnt(5) lgkmcnt(2)
	v_mul_f64 v[230:231], v[196:197], v[126:127]
	v_fmac_f64_e32 v[230:231], v[198:199], v[124:125]
	s_waitcnt vmcnt(4) lgkmcnt(1)
	v_mul_f64 v[212:213], v[200:201], v[122:123]
	v_add_f64 v[228:229], v[228:229], v[230:231]
	v_fmac_f64_e32 v[212:213], v[202:203], v[120:121]
	v_mul_f64 v[210:211], v[226:227], v[210:211]
	s_waitcnt vmcnt(3) lgkmcnt(0)
	v_mul_f64 v[214:215], v[204:205], v[130:131]
	v_fma_f64 v[240:241], v[224:225], v[208:209], -v[210:211]
	ds_read_b128 v[208:211], v2 offset:1392
	v_add_f64 v[212:213], v[228:229], v[212:213]
	v_fmac_f64_e32 v[214:215], v[206:207], v[128:129]
	v_add_f64 v[224:225], v[212:213], v[214:215]
	ds_read_b128 v[212:215], v2 offset:1408
	v_mul_f64 v[218:219], v[222:223], v[218:219]
	v_fma_f64 v[252:253], v[220:221], v[216:217], -v[218:219]
	ds_read_b128 v[216:219], v2 offset:1424
	s_waitcnt vmcnt(2) lgkmcnt(2)
	v_mul_f64 v[220:221], v[208:209], v[134:135]
	v_fmac_f64_e32 v[220:221], v[210:211], v[132:133]
	s_waitcnt vmcnt(1) lgkmcnt(1)
	v_mul_f64 v[222:223], v[212:213], v[138:139]
	v_add_f64 v[220:221], v[224:225], v[220:221]
	v_fmac_f64_e32 v[222:223], v[214:215], v[136:137]
	v_add_f64 v[220:221], v[220:221], v[222:223]
	ds_read_b128 v[224:227], v2 offset:1440
	s_waitcnt vmcnt(0) lgkmcnt(1)
	v_mul_f64 v[222:223], v[216:217], v[142:143]
	v_fmac_f64_e32 v[222:223], v[218:219], v[140:141]
	v_add_f64 v[228:229], v[220:221], v[222:223]
	scratch_load_dwordx4 v[220:223], off, off offset:720
	scratch_load_dwordx4 v[232:235], off, off offset:736
	v_add_f64 v[242:243], v[242:243], 0
	v_add_f64 v[242:243], v[242:243], v[244:245]
	;; [unrolled: 1-line block ×6, first 2 shown]
	v_mul_f64 v[6:7], v[46:47], v[6:7]
	v_fma_f64 v[4:5], v[44:45], v[4:5], -v[6:7]
	v_mul_f64 v[6:7], v[66:67], v[10:11]
	v_fma_f64 v[6:7], v[64:65], v[8:9], -v[6:7]
	s_waitcnt vmcnt(1) lgkmcnt(0)
	v_mul_f64 v[230:231], v[224:225], v[222:223]
	v_fmac_f64_e32 v[230:231], v[226:227], v[220:221]
	v_add_f64 v[254:255], v[228:229], v[230:231]
	ds_read_b128 v[228:231], v2 offset:1456
	s_waitcnt vmcnt(0) lgkmcnt(0)
	v_mul_f64 v[2:3], v[228:229], v[234:235]
	v_fmac_f64_e32 v[2:3], v[230:231], v[232:233]
	v_add_f64 v[2:3], v[254:255], v[2:3]
	v_add_f64 v[254:255], v[236:237], v[250:251]
	scratch_load_dwordx4 v[236:239], off, off offset:128
	v_add_f64 v[240:241], v[254:255], v[240:241]
	v_add_f64 v[240:241], v[240:241], v[252:253]
	;; [unrolled: 1-line block ×4, first 2 shown]
	v_mul_f64 v[6:7], v[62:63], v[14:15]
	v_fma_f64 v[6:7], v[60:61], v[12:13], -v[6:7]
	v_add_f64 v[4:5], v[4:5], v[6:7]
	v_mul_f64 v[6:7], v[58:59], v[18:19]
	v_fma_f64 v[6:7], v[56:57], v[16:17], -v[6:7]
	v_add_f64 v[4:5], v[4:5], v[6:7]
	;; [unrolled: 3-line block ×27, first 2 shown]
	s_waitcnt vmcnt(0)
	v_add_f64 v[4:5], v[236:237], -v[4:5]
	v_add_f64 v[6:7], v[238:239], -v[2:3]
	scratch_store_dwordx4 off, v[4:7], off offset:128
	s_and_saveexec_b64 s[0:1], vcc
	s_cbranch_execz .LBB45_277
; %bb.276:
	scratch_load_dwordx4 v[2:5], off, s60
	v_mov_b32_e32 v6, 0
	v_mov_b32_e32 v7, v6
	;; [unrolled: 1-line block ×4, first 2 shown]
	v_accvgpr_read_b32 v0, a93
	scratch_store_dwordx4 off, v[6:9], off offset:112
	s_waitcnt vmcnt(1)
	ds_write_b128 v0, v[2:5]
.LBB45_277:
	s_or_b64 exec, exec, s[0:1]
	s_waitcnt lgkmcnt(0)
	; wave barrier
	scratch_load_dwordx4 v[80:83], off, off offset:128
	scratch_load_dwordx4 v[84:87], off, off offset:144
	;; [unrolled: 1-line block ×31, first 2 shown]
	v_mov_b32_e32 v2, 0
	ds_read_b128 v[196:199], v2 offset:848
	ds_read_b128 v[200:203], v2 offset:864
	ds_read_b128 v[204:207], v2 offset:880
	ds_read_b128 v[208:211], v2 offset:896
	ds_read_b128 v[212:215], v2 offset:912
	ds_read_b128 v[216:219], v2 offset:928
	ds_read_b128 v[220:223], v2 offset:944
	ds_read_b128 v[224:227], v2 offset:960
	ds_read_b128 v[228:231], v2 offset:976
	ds_read_b128 v[238:241], v2 offset:992
	ds_read_b128 v[252:255], v2 offset:1008
	ds_read_b128 v[156:159], v2 offset:1024
	ds_read_b128 v[148:151], v2 offset:1040
	ds_read_b128 v[144:147], v2 offset:1056
	ds_read_b128 v[136:139], v2 offset:1072
	ds_read_b128 v[132:135], v2 offset:1088
	ds_read_b128 v[128:131], v2 offset:1104
	ds_read_b128 v[184:187], v2 offset:1152
	ds_read_b128 v[188:191], v2 offset:1168
	ds_read_b128 v[192:195], v2 offset:1184
	s_waitcnt vmcnt(30) lgkmcnt(14)
	v_mul_f64 v[140:141], v[196:197], v[82:83]
	s_waitcnt vmcnt(29)
	v_mul_f64 v[142:143], v[200:201], v[86:87]
	v_fmac_f64_e32 v[140:141], v[198:199], v[80:81]
	s_waitcnt vmcnt(28)
	v_mul_f64 v[152:153], v[204:205], v[90:91]
	v_fmac_f64_e32 v[142:143], v[202:203], v[84:85]
	v_add_f64 v[140:141], v[140:141], 0
	s_waitcnt vmcnt(27)
	v_mul_f64 v[154:155], v[208:209], v[94:95]
	v_fmac_f64_e32 v[152:153], v[206:207], v[88:89]
	v_add_f64 v[140:141], v[140:141], v[142:143]
	;; [unrolled: 4-line block ×4, first 2 shown]
	s_waitcnt vmcnt(24) lgkmcnt(13)
	v_mul_f64 v[164:165], v[220:221], v[106:107]
	v_fmac_f64_e32 v[162:163], v[218:219], v[100:101]
	v_add_f64 v[140:141], v[140:141], v[160:161]
	s_waitcnt vmcnt(23) lgkmcnt(12)
	v_mul_f64 v[166:167], v[224:225], v[110:111]
	v_fmac_f64_e32 v[164:165], v[222:223], v[104:105]
	v_add_f64 v[140:141], v[140:141], v[162:163]
	;; [unrolled: 4-line block ×8, first 2 shown]
	v_fmac_f64_e32 v[178:179], v[146:147], v[12:13]
	v_add_f64 v[140:141], v[140:141], v[176:177]
	v_add_f64 v[140:141], v[140:141], v[178:179]
	ds_read_b128 v[176:179], v2 offset:1120
	s_waitcnt vmcnt(16) lgkmcnt(6)
	v_mul_f64 v[180:181], v[136:137], v[18:19]
	s_waitcnt vmcnt(15) lgkmcnt(5)
	v_mul_f64 v[182:183], v[132:133], v[22:23]
	v_fmac_f64_e32 v[180:181], v[138:139], v[16:17]
	v_add_f64 v[152:153], v[140:141], v[180:181]
	v_fmac_f64_e32 v[182:183], v[134:135], v[20:21]
	scratch_load_dwordx4 v[140:143], off, off offset:624
	s_waitcnt vmcnt(15) lgkmcnt(4)
	v_mul_f64 v[154:155], v[128:129], v[26:27]
	v_add_f64 v[152:153], v[152:153], v[182:183]
	v_fmac_f64_e32 v[154:155], v[130:131], v[24:25]
	v_add_f64 v[160:161], v[152:153], v[154:155]
	ds_read_b128 v[180:183], v2 offset:1136
	s_waitcnt vmcnt(14) lgkmcnt(1)
	v_mul_f64 v[162:163], v[176:177], v[30:31]
	scratch_load_dwordx4 v[152:155], off, off offset:640
	v_fmac_f64_e32 v[162:163], v[178:179], v[28:29]
	v_add_f64 v[164:165], v[160:161], v[162:163]
	scratch_load_dwordx4 v[160:163], off, off offset:656
	s_waitcnt vmcnt(15) lgkmcnt(0)
	v_mul_f64 v[166:167], v[180:181], v[34:35]
	v_fmac_f64_e32 v[166:167], v[182:183], v[32:33]
	v_add_f64 v[168:169], v[164:165], v[166:167]
	s_waitcnt vmcnt(14)
	v_mul_f64 v[170:171], v[184:185], v[38:39]
	scratch_load_dwordx4 v[164:167], off, off offset:672
	v_fmac_f64_e32 v[170:171], v[186:187], v[36:37]
	v_add_f64 v[168:169], v[168:169], v[170:171]
	s_waitcnt vmcnt(14)
	v_mul_f64 v[170:171], v[188:189], v[42:43]
	scratch_load_dwordx4 v[172:175], off, off offset:688
	v_fmac_f64_e32 v[170:171], v[190:191], v[40:41]
	v_add_f64 v[232:233], v[168:169], v[170:171]
	scratch_load_dwordx4 v[168:171], off, off offset:704
	v_mul_f64 v[82:83], v[198:199], v[82:83]
	v_fma_f64 v[242:243], v[196:197], v[80:81], -v[82:83]
	ds_read_b128 v[196:199], v2 offset:1200
	s_waitcnt vmcnt(15)
	v_mul_f64 v[80:81], v[192:193], v[46:47]
	v_fmac_f64_e32 v[80:81], v[194:195], v[44:45]
	v_add_f64 v[232:233], v[232:233], v[80:81]
	v_mul_f64 v[80:81], v[202:203], v[86:87]
	v_fma_f64 v[244:245], v[200:201], v[84:85], -v[80:81]
	scratch_load_dwordx4 v[80:83], off, off offset:720
	ds_read_b128 v[84:87], v2 offset:1216
	v_mul_f64 v[90:91], v[206:207], v[90:91]
	v_fma_f64 v[246:247], v[204:205], v[88:89], -v[90:91]
	ds_read_b128 v[88:91], v2 offset:1232
	s_waitcnt vmcnt(15) lgkmcnt(2)
	v_mul_f64 v[200:201], v[196:197], v[50:51]
	v_fmac_f64_e32 v[200:201], v[198:199], v[48:49]
	s_waitcnt vmcnt(14) lgkmcnt(1)
	v_mul_f64 v[202:203], v[84:85], v[54:55]
	v_add_f64 v[200:201], v[232:233], v[200:201]
	v_fmac_f64_e32 v[202:203], v[86:87], v[52:53]
	v_mul_f64 v[94:95], v[210:211], v[94:95]
	v_fma_f64 v[248:249], v[208:209], v[92:93], -v[94:95]
	ds_read_b128 v[92:95], v2 offset:1248
	v_add_f64 v[200:201], v[200:201], v[202:203]
	s_waitcnt vmcnt(13) lgkmcnt(1)
	v_mul_f64 v[202:203], v[88:89], v[58:59]
	v_fmac_f64_e32 v[202:203], v[90:91], v[56:57]
	v_add_f64 v[204:205], v[200:201], v[202:203]
	ds_read_b128 v[200:203], v2 offset:1264
	v_mul_f64 v[98:99], v[214:215], v[98:99]
	v_fma_f64 v[250:251], v[212:213], v[96:97], -v[98:99]
	ds_read_b128 v[96:99], v2 offset:1280
	s_waitcnt vmcnt(12) lgkmcnt(2)
	v_mul_f64 v[206:207], v[92:93], v[62:63]
	v_fmac_f64_e32 v[206:207], v[94:95], v[60:61]
	v_add_f64 v[204:205], v[204:205], v[206:207]
	s_waitcnt vmcnt(11) lgkmcnt(1)
	v_mul_f64 v[206:207], v[200:201], v[66:67]
	v_fmac_f64_e32 v[206:207], v[202:203], v[64:65]
	v_mul_f64 v[102:103], v[218:219], v[102:103]
	v_add_f64 v[204:205], v[204:205], v[206:207]
	v_fma_f64 v[232:233], v[216:217], v[100:101], -v[102:103]
	ds_read_b128 v[100:103], v2 offset:1296
	s_waitcnt vmcnt(10) lgkmcnt(1)
	v_mul_f64 v[206:207], v[96:97], v[70:71]
	v_fmac_f64_e32 v[206:207], v[98:99], v[68:69]
	v_add_f64 v[208:209], v[204:205], v[206:207]
	ds_read_b128 v[204:207], v2 offset:1312
	v_mul_f64 v[106:107], v[222:223], v[106:107]
	v_fma_f64 v[0:1], v[220:221], v[104:105], -v[106:107]
	ds_read_b128 v[104:107], v2 offset:1328
	s_waitcnt vmcnt(9) lgkmcnt(2)
	v_mul_f64 v[210:211], v[100:101], v[74:75]
	v_fmac_f64_e32 v[210:211], v[102:103], v[72:73]
	v_add_f64 v[208:209], v[208:209], v[210:211]
	s_waitcnt vmcnt(8) lgkmcnt(1)
	v_mul_f64 v[210:211], v[204:205], v[78:79]
	v_fmac_f64_e32 v[210:211], v[206:207], v[76:77]
	v_mul_f64 v[110:111], v[226:227], v[110:111]
	v_fma_f64 v[234:235], v[224:225], v[108:109], -v[110:111]
	ds_read_b128 v[108:111], v2 offset:1344
	v_add_f64 v[208:209], v[208:209], v[210:211]
	s_waitcnt vmcnt(7) lgkmcnt(1)
	v_mul_f64 v[210:211], v[104:105], v[126:127]
	v_fmac_f64_e32 v[210:211], v[106:107], v[124:125]
	v_add_f64 v[212:213], v[208:209], v[210:211]
	ds_read_b128 v[208:211], v2 offset:1360
	v_mul_f64 v[114:115], v[230:231], v[114:115]
	v_fma_f64 v[236:237], v[228:229], v[112:113], -v[114:115]
	ds_read_b128 v[112:115], v2 offset:1376
	s_waitcnt vmcnt(6) lgkmcnt(2)
	v_mul_f64 v[214:215], v[108:109], v[142:143]
	v_fmac_f64_e32 v[214:215], v[110:111], v[140:141]
	v_add_f64 v[212:213], v[212:213], v[214:215]
	s_waitcnt vmcnt(5) lgkmcnt(1)
	v_mul_f64 v[214:215], v[208:209], v[154:155]
	v_fmac_f64_e32 v[214:215], v[210:211], v[152:153]
	v_mul_f64 v[118:119], v[240:241], v[118:119]
	v_add_f64 v[212:213], v[212:213], v[214:215]
	v_fma_f64 v[238:239], v[238:239], v[116:117], -v[118:119]
	ds_read_b128 v[116:119], v2 offset:1392
	s_waitcnt vmcnt(4) lgkmcnt(1)
	v_mul_f64 v[214:215], v[112:113], v[162:163]
	v_fmac_f64_e32 v[214:215], v[114:115], v[160:161]
	v_add_f64 v[216:217], v[212:213], v[214:215]
	ds_read_b128 v[212:215], v2 offset:1408
	v_mul_f64 v[122:123], v[254:255], v[122:123]
	v_fma_f64 v[240:241], v[252:253], v[120:121], -v[122:123]
	ds_read_b128 v[120:123], v2 offset:1424
	s_waitcnt vmcnt(3) lgkmcnt(2)
	v_mul_f64 v[218:219], v[116:117], v[166:167]
	v_fmac_f64_e32 v[218:219], v[118:119], v[164:165]
	v_add_f64 v[216:217], v[216:217], v[218:219]
	s_waitcnt vmcnt(2) lgkmcnt(1)
	v_mul_f64 v[218:219], v[212:213], v[174:175]
	v_fmac_f64_e32 v[218:219], v[214:215], v[172:173]
	v_add_f64 v[216:217], v[216:217], v[218:219]
	;; [unrolled: 4-line block ×3, first 2 shown]
	ds_read_b128 v[216:219], v2 offset:1440
	ds_read_b128 v[224:227], v2 offset:1456
	v_mul_f64 v[6:7], v[158:159], v[6:7]
	v_fma_f64 v[4:5], v[156:157], v[4:5], -v[6:7]
	s_waitcnt vmcnt(0) lgkmcnt(1)
	v_mul_f64 v[222:223], v[216:217], v[82:83]
	v_fmac_f64_e32 v[222:223], v[218:219], v[80:81]
	v_add_f64 v[228:229], v[220:221], v[222:223]
	scratch_load_dwordx4 v[220:223], off, off offset:736
	s_waitcnt vmcnt(0) lgkmcnt(0)
	v_mul_f64 v[230:231], v[224:225], v[222:223]
	v_fmac_f64_e32 v[230:231], v[226:227], v[220:221]
	v_add_f64 v[254:255], v[228:229], v[230:231]
	v_add_f64 v[228:229], v[242:243], 0
	;; [unrolled: 1-line block ×8, first 2 shown]
	scratch_load_dwordx4 v[228:231], off, off offset:112
	v_add_f64 v[0:1], v[252:253], v[234:235]
	v_add_f64 v[0:1], v[0:1], v[236:237]
	;; [unrolled: 1-line block ×5, first 2 shown]
	v_mul_f64 v[4:5], v[150:151], v[10:11]
	v_fma_f64 v[4:5], v[148:149], v[8:9], -v[4:5]
	v_add_f64 v[0:1], v[0:1], v[4:5]
	v_mul_f64 v[4:5], v[146:147], v[14:15]
	v_fma_f64 v[4:5], v[144:145], v[12:13], -v[4:5]
	v_add_f64 v[0:1], v[0:1], v[4:5]
	;; [unrolled: 3-line block ×27, first 2 shown]
	s_waitcnt vmcnt(0)
	v_add_f64 v[4:5], v[228:229], -v[0:1]
	v_accvgpr_read_b32 v0, a92
	v_add_f64 v[6:7], v[230:231], -v[254:255]
	v_cmp_lt_u32_e32 vcc, 5, v0
	scratch_store_dwordx4 off, v[4:7], off offset:112
	s_and_saveexec_b64 s[0:1], vcc
	s_cbranch_execz .LBB45_279
; %bb.278:
	scratch_load_dwordx4 v[6:9], off, s26
	v_mov_b32_e32 v3, v2
	v_mov_b32_e32 v4, v2
	;; [unrolled: 1-line block ×3, first 2 shown]
	v_accvgpr_read_b32 v0, a93
	scratch_store_dwordx4 off, v[2:5], off offset:96
	s_waitcnt vmcnt(1)
	ds_write_b128 v0, v[6:9]
.LBB45_279:
	s_or_b64 exec, exec, s[0:1]
	s_waitcnt lgkmcnt(0)
	; wave barrier
	scratch_load_dwordx4 v[132:135], off, off offset:112
	scratch_load_dwordx4 v[160:163], off, off offset:128
	;; [unrolled: 1-line block ×16, first 2 shown]
	ds_read_b128 v[156:159], v2 offset:832
	ds_read_b128 v[172:175], v2 offset:848
	scratch_load_dwordx4 v[24:27], off, off offset:368
	ds_read_b128 v[232:235], v2 offset:864
	ds_read_b128 v[228:231], v2 offset:880
	scratch_load_dwordx4 v[28:31], off, off offset:384
	ds_read_b128 v[236:239], v2 offset:896
	ds_read_b128 v[184:187], v2 offset:912
	;; [unrolled: 1-line block ×5, first 2 shown]
	scratch_load_dwordx4 v[32:35], off, off offset:400
	ds_read_b128 v[220:223], v2 offset:976
	ds_read_b128 v[216:219], v2 offset:992
	;; [unrolled: 1-line block ×3, first 2 shown]
	scratch_load_dwordx4 v[36:39], off, off offset:416
	ds_read_b128 v[64:67], v2 offset:1024
	ds_read_b128 v[60:63], v2 offset:1040
	;; [unrolled: 1-line block ×5, first 2 shown]
	scratch_load_dwordx4 v[52:55], off, off offset:432
	scratch_load_dwordx4 v[68:71], off, off offset:448
	;; [unrolled: 1-line block ×11, first 2 shown]
	ds_read_b128 v[144:147], v2 offset:1136
	ds_read_b128 v[148:151], v2 offset:1152
	;; [unrolled: 1-line block ×3, first 2 shown]
	s_waitcnt vmcnt(30) lgkmcnt(14)
	v_mul_f64 v[0:1], v[156:157], v[134:135]
	s_waitcnt vmcnt(29)
	v_mul_f64 v[108:109], v[172:173], v[162:163]
	v_fmac_f64_e32 v[0:1], v[158:159], v[132:133]
	s_waitcnt vmcnt(28)
	v_mul_f64 v[110:111], v[232:233], v[166:167]
	v_fmac_f64_e32 v[108:109], v[174:175], v[160:161]
	v_add_f64 v[0:1], v[0:1], 0
	s_waitcnt vmcnt(27)
	v_mul_f64 v[112:113], v[228:229], v[170:171]
	v_fmac_f64_e32 v[110:111], v[234:235], v[164:165]
	v_add_f64 v[0:1], v[0:1], v[108:109]
	;; [unrolled: 4-line block ×4, first 2 shown]
	s_waitcnt vmcnt(24) lgkmcnt(13)
	v_mul_f64 v[118:119], v[224:225], v[190:191]
	v_fmac_f64_e32 v[116:117], v[186:187], v[180:181]
	v_add_f64 v[0:1], v[0:1], v[114:115]
	s_waitcnt vmcnt(23) lgkmcnt(12)
	v_mul_f64 v[120:121], v[196:197], v[194:195]
	v_fmac_f64_e32 v[118:119], v[226:227], v[188:189]
	v_add_f64 v[0:1], v[0:1], v[116:117]
	;; [unrolled: 4-line block ×9, first 2 shown]
	v_fmac_f64_e32 v[138:139], v[58:59], v[16:17]
	v_add_f64 v[0:1], v[0:1], v[136:137]
	v_add_f64 v[0:1], v[0:1], v[138:139]
	ds_read_b128 v[136:139], v2 offset:1104
	s_waitcnt vmcnt(15) lgkmcnt(5)
	v_mul_f64 v[140:141], v[48:49], v[22:23]
	v_fmac_f64_e32 v[140:141], v[50:51], v[20:21]
	s_waitcnt vmcnt(14) lgkmcnt(4)
	v_mul_f64 v[112:113], v[44:45], v[26:27]
	scratch_load_dwordx4 v[108:111], off, off offset:608
	v_add_f64 v[0:1], v[0:1], v[140:141]
	v_fmac_f64_e32 v[112:113], v[46:47], v[24:25]
	v_add_f64 v[0:1], v[0:1], v[112:113]
	scratch_load_dwordx4 v[112:115], off, off offset:624
	ds_read_b128 v[140:143], v2 offset:1120
	s_waitcnt vmcnt(15) lgkmcnt(1)
	v_mul_f64 v[116:117], v[136:137], v[30:31]
	v_fmac_f64_e32 v[116:117], v[138:139], v[28:29]
	v_add_f64 v[0:1], v[0:1], v[116:117]
	scratch_load_dwordx4 v[116:119], off, off offset:640
	s_waitcnt vmcnt(15) lgkmcnt(0)
	v_mul_f64 v[120:121], v[140:141], v[34:35]
	v_fmac_f64_e32 v[120:121], v[142:143], v[32:33]
	s_waitcnt vmcnt(14)
	v_mul_f64 v[124:125], v[144:145], v[38:39]
	v_add_f64 v[0:1], v[0:1], v[120:121]
	scratch_load_dwordx4 v[120:123], off, off offset:656
	v_fmac_f64_e32 v[124:125], v[146:147], v[36:37]
	v_add_f64 v[0:1], v[0:1], v[124:125]
	s_waitcnt vmcnt(14)
	v_mul_f64 v[124:125], v[148:149], v[54:55]
	scratch_load_dwordx4 v[128:131], off, off offset:672
	v_fmac_f64_e32 v[124:125], v[150:151], v[52:53]
	v_add_f64 v[0:1], v[0:1], v[124:125]
	scratch_load_dwordx4 v[124:127], off, off offset:688
	v_mul_f64 v[134:135], v[158:159], v[134:135]
	v_fma_f64 v[240:241], v[156:157], v[132:133], -v[134:135]
	ds_read_b128 v[156:159], v2 offset:1184
	s_waitcnt vmcnt(15)
	v_mul_f64 v[132:133], v[152:153], v[70:71]
	v_fmac_f64_e32 v[132:133], v[154:155], v[68:69]
	v_add_f64 v[0:1], v[0:1], v[132:133]
	v_mul_f64 v[132:133], v[174:175], v[162:163]
	v_fma_f64 v[242:243], v[172:173], v[160:161], -v[132:133]
	scratch_load_dwordx4 v[132:135], off, off offset:704
	ds_read_b128 v[160:163], v2 offset:1200
	v_mul_f64 v[166:167], v[234:235], v[166:167]
	v_fma_f64 v[244:245], v[232:233], v[164:165], -v[166:167]
	ds_read_b128 v[164:167], v2 offset:1216
	s_waitcnt vmcnt(15) lgkmcnt(2)
	v_mul_f64 v[172:173], v[156:157], v[74:75]
	v_fmac_f64_e32 v[172:173], v[158:159], v[72:73]
	v_add_f64 v[0:1], v[0:1], v[172:173]
	s_waitcnt vmcnt(14) lgkmcnt(1)
	v_mul_f64 v[172:173], v[160:161], v[78:79]
	v_fmac_f64_e32 v[172:173], v[162:163], v[76:77]
	v_mul_f64 v[170:171], v[230:231], v[170:171]
	v_fma_f64 v[246:247], v[228:229], v[168:169], -v[170:171]
	ds_read_b128 v[168:171], v2 offset:1232
	v_add_f64 v[0:1], v[0:1], v[172:173]
	s_waitcnt vmcnt(13) lgkmcnt(1)
	v_mul_f64 v[172:173], v[164:165], v[82:83]
	v_fmac_f64_e32 v[172:173], v[166:167], v[80:81]
	v_add_f64 v[0:1], v[0:1], v[172:173]
	ds_read_b128 v[172:175], v2 offset:1248
	v_mul_f64 v[178:179], v[238:239], v[178:179]
	v_fma_f64 v[236:237], v[236:237], v[176:177], -v[178:179]
	ds_read_b128 v[176:179], v2 offset:1264
	s_waitcnt vmcnt(12) lgkmcnt(2)
	v_mul_f64 v[228:229], v[168:169], v[86:87]
	v_fmac_f64_e32 v[228:229], v[170:171], v[84:85]
	v_add_f64 v[0:1], v[0:1], v[228:229]
	s_waitcnt vmcnt(11) lgkmcnt(1)
	v_mul_f64 v[228:229], v[172:173], v[90:91]
	v_mul_f64 v[182:183], v[186:187], v[182:183]
	v_fmac_f64_e32 v[228:229], v[174:175], v[88:89]
	v_fma_f64 v[238:239], v[184:185], v[180:181], -v[182:183]
	ds_read_b128 v[180:183], v2 offset:1280
	s_waitcnt vmcnt(10) lgkmcnt(1)
	v_mul_f64 v[184:185], v[176:177], v[94:95]
	v_add_f64 v[0:1], v[0:1], v[228:229]
	v_fmac_f64_e32 v[184:185], v[178:179], v[92:93]
	v_add_f64 v[0:1], v[0:1], v[184:185]
	ds_read_b128 v[184:187], v2 offset:1296
	v_mul_f64 v[190:191], v[226:227], v[190:191]
	v_fma_f64 v[248:249], v[224:225], v[188:189], -v[190:191]
	ds_read_b128 v[188:191], v2 offset:1312
	s_waitcnt vmcnt(9) lgkmcnt(2)
	v_mul_f64 v[228:229], v[180:181], v[98:99]
	v_fmac_f64_e32 v[228:229], v[182:183], v[96:97]
	s_waitcnt vmcnt(8) lgkmcnt(1)
	v_mul_f64 v[224:225], v[184:185], v[102:103]
	v_mul_f64 v[194:195], v[198:199], v[194:195]
	v_add_f64 v[0:1], v[0:1], v[228:229]
	v_fmac_f64_e32 v[224:225], v[186:187], v[100:101]
	v_fma_f64 v[250:251], v[196:197], v[192:193], -v[194:195]
	s_waitcnt vmcnt(7) lgkmcnt(0)
	v_mul_f64 v[196:197], v[188:189], v[106:107]
	ds_read_b128 v[192:195], v2 offset:1328
	v_add_f64 v[0:1], v[0:1], v[224:225]
	v_fmac_f64_e32 v[196:197], v[190:191], v[104:105]
	v_add_f64 v[0:1], v[0:1], v[196:197]
	ds_read_b128 v[196:199], v2 offset:1344
	v_mul_f64 v[202:203], v[210:211], v[202:203]
	v_fma_f64 v[252:253], v[208:209], v[200:201], -v[202:203]
	ds_read_b128 v[200:203], v2 offset:1360
	s_waitcnt vmcnt(6) lgkmcnt(2)
	v_mul_f64 v[224:225], v[192:193], v[110:111]
	v_fmac_f64_e32 v[224:225], v[194:195], v[108:109]
	s_waitcnt vmcnt(5) lgkmcnt(1)
	v_mul_f64 v[208:209], v[196:197], v[114:115]
	v_add_f64 v[0:1], v[0:1], v[224:225]
	v_fmac_f64_e32 v[208:209], v[198:199], v[112:113]
	v_add_f64 v[208:209], v[0:1], v[208:209]
	v_mul_f64 v[0:1], v[222:223], v[206:207]
	v_fma_f64 v[0:1], v[220:221], v[204:205], -v[0:1]
	ds_read_b128 v[204:207], v2 offset:1376
	s_waitcnt vmcnt(4) lgkmcnt(1)
	v_mul_f64 v[210:211], v[200:201], v[118:119]
	v_fmac_f64_e32 v[210:211], v[202:203], v[116:117]
	v_add_f64 v[220:221], v[208:209], v[210:211]
	ds_read_b128 v[208:211], v2 offset:1392
	v_mul_f64 v[214:215], v[218:219], v[214:215]
	v_fma_f64 v[254:255], v[216:217], v[212:213], -v[214:215]
	ds_read_b128 v[212:215], v2 offset:1408
	s_waitcnt vmcnt(3) lgkmcnt(2)
	v_mul_f64 v[216:217], v[204:205], v[122:123]
	v_fmac_f64_e32 v[216:217], v[206:207], v[120:121]
	s_waitcnt vmcnt(2) lgkmcnt(1)
	v_mul_f64 v[218:219], v[208:209], v[130:131]
	v_add_f64 v[216:217], v[220:221], v[216:217]
	v_fmac_f64_e32 v[218:219], v[210:211], v[128:129]
	v_add_f64 v[216:217], v[216:217], v[218:219]
	s_waitcnt vmcnt(1) lgkmcnt(0)
	v_mul_f64 v[218:219], v[212:213], v[126:127]
	v_fmac_f64_e32 v[218:219], v[214:215], v[124:125]
	v_add_f64 v[220:221], v[216:217], v[218:219]
	ds_read_b128 v[216:219], v2 offset:1424
	ds_read_b128 v[224:227], v2 offset:1440
	scratch_load_dwordx4 v[232:235], off, off offset:736
	v_accvgpr_write_b32 a95, v1
	v_accvgpr_write_b32 a94, v0
	s_waitcnt vmcnt(1) lgkmcnt(1)
	v_mul_f64 v[222:223], v[216:217], v[134:135]
	v_fmac_f64_e32 v[222:223], v[218:219], v[132:133]
	v_add_f64 v[228:229], v[220:221], v[222:223]
	scratch_load_dwordx4 v[220:223], off, off offset:720
	v_mul_f64 v[6:7], v[42:43], v[6:7]
	v_fma_f64 v[4:5], v[40:41], v[4:5], -v[6:7]
	s_waitcnt vmcnt(0) lgkmcnt(0)
	v_mul_f64 v[230:231], v[224:225], v[222:223]
	v_fmac_f64_e32 v[230:231], v[226:227], v[220:221]
	v_add_f64 v[0:1], v[228:229], v[230:231]
	ds_read_b128 v[228:231], v2 offset:1456
	s_waitcnt lgkmcnt(0)
	v_mul_f64 v[2:3], v[228:229], v[234:235]
	v_fmac_f64_e32 v[2:3], v[230:231], v[232:233]
	v_add_f64 v[2:3], v[0:1], v[2:3]
	v_add_f64 v[0:1], v[240:241], 0
	;; [unrolled: 1-line block ×7, first 2 shown]
	scratch_load_dwordx4 v[236:239], off, off offset:96
	v_add_f64 v[0:1], v[0:1], v[248:249]
	v_add_f64 v[0:1], v[0:1], v[250:251]
	v_add_f64 v[240:241], v[0:1], v[252:253]
	v_accvgpr_read_b32 v0, a94
	v_accvgpr_read_b32 v1, a95
	v_add_f64 v[0:1], v[240:241], v[0:1]
	v_add_f64 v[0:1], v[0:1], v[254:255]
	;; [unrolled: 1-line block ×3, first 2 shown]
	v_mul_f64 v[4:5], v[66:67], v[10:11]
	v_fma_f64 v[4:5], v[64:65], v[8:9], -v[4:5]
	v_add_f64 v[0:1], v[0:1], v[4:5]
	v_mul_f64 v[4:5], v[62:63], v[14:15]
	v_fma_f64 v[4:5], v[60:61], v[12:13], -v[4:5]
	v_add_f64 v[0:1], v[0:1], v[4:5]
	;; [unrolled: 3-line block ×28, first 2 shown]
	s_waitcnt vmcnt(0)
	v_add_f64 v[4:5], v[236:237], -v[0:1]
	v_accvgpr_read_b32 v0, a92
	v_add_f64 v[6:7], v[238:239], -v[2:3]
	v_cmp_lt_u32_e32 vcc, 4, v0
	scratch_store_dwordx4 off, v[4:7], off offset:96
	s_and_saveexec_b64 s[0:1], vcc
	s_cbranch_execz .LBB45_281
; %bb.280:
	scratch_load_dwordx4 v[2:5], off, s24
	v_mov_b32_e32 v6, 0
	v_mov_b32_e32 v7, v6
	;; [unrolled: 1-line block ×4, first 2 shown]
	v_accvgpr_read_b32 v0, a93
	scratch_store_dwordx4 off, v[6:9], off offset:80
	s_waitcnt vmcnt(1)
	ds_write_b128 v0, v[2:5]
.LBB45_281:
	s_or_b64 exec, exec, s[0:1]
	s_waitcnt lgkmcnt(0)
	; wave barrier
	scratch_load_dwordx4 v[112:115], off, off offset:96
	scratch_load_dwordx4 v[116:119], off, off offset:112
	;; [unrolled: 1-line block ×30, first 2 shown]
	v_mov_b32_e32 v2, 0
	ds_read_b128 v[144:147], v2 offset:816
	ds_read_b128 v[156:159], v2 offset:832
	;; [unrolled: 1-line block ×20, first 2 shown]
	s_waitcnt vmcnt(29) lgkmcnt(14)
	v_mul_f64 v[0:1], v[144:145], v[114:115]
	s_waitcnt vmcnt(28)
	v_mul_f64 v[88:89], v[156:157], v[118:119]
	v_fmac_f64_e32 v[0:1], v[146:147], v[112:113]
	s_waitcnt vmcnt(27)
	v_mul_f64 v[90:91], v[168:169], v[122:123]
	v_fmac_f64_e32 v[88:89], v[158:159], v[116:117]
	v_add_f64 v[0:1], v[0:1], 0
	s_waitcnt vmcnt(26)
	v_mul_f64 v[92:93], v[180:181], v[154:155]
	v_fmac_f64_e32 v[90:91], v[170:171], v[120:121]
	v_add_f64 v[0:1], v[0:1], v[88:89]
	;; [unrolled: 4-line block ×4, first 2 shown]
	s_waitcnt vmcnt(23) lgkmcnt(13)
	v_mul_f64 v[98:99], v[212:213], v[174:175]
	v_fmac_f64_e32 v[96:97], v[206:207], v[164:165]
	v_add_f64 v[0:1], v[0:1], v[94:95]
	s_waitcnt vmcnt(22) lgkmcnt(12)
	v_mul_f64 v[100:101], v[216:217], v[178:179]
	v_fmac_f64_e32 v[98:99], v[214:215], v[172:173]
	v_add_f64 v[0:1], v[0:1], v[96:97]
	;; [unrolled: 4-line block ×9, first 2 shown]
	v_fmac_f64_e32 v[126:127], v[82:83], v[234:235]
	v_add_f64 v[0:1], v[0:1], v[124:125]
	scratch_load_dwordx4 v[88:91], off, off offset:576
	s_waitcnt vmcnt(15) lgkmcnt(4)
	v_mul_f64 v[128:129], v[76:77], v[14:15]
	v_add_f64 v[0:1], v[0:1], v[126:127]
	ds_read_b128 v[124:127], v2 offset:1088
	v_fmac_f64_e32 v[128:129], v[78:79], v[12:13]
	v_add_f64 v[0:1], v[0:1], v[128:129]
	ds_read_b128 v[128:131], v2 offset:1104
	s_waitcnt vmcnt(14) lgkmcnt(5)
	v_mul_f64 v[92:93], v[72:73], v[18:19]
	v_fmac_f64_e32 v[92:93], v[74:75], v[16:17]
	v_add_f64 v[0:1], v[0:1], v[92:93]
	s_waitcnt vmcnt(13) lgkmcnt(1)
	v_mul_f64 v[96:97], v[124:125], v[22:23]
	scratch_load_dwordx4 v[92:95], off, off offset:592
	v_fmac_f64_e32 v[96:97], v[126:127], v[20:21]
	v_add_f64 v[0:1], v[0:1], v[96:97]
	s_waitcnt vmcnt(13) lgkmcnt(0)
	v_mul_f64 v[100:101], v[128:129], v[26:27]
	scratch_load_dwordx4 v[96:99], off, off offset:608
	v_fmac_f64_e32 v[100:101], v[130:131], v[24:25]
	v_add_f64 v[0:1], v[0:1], v[100:101]
	scratch_load_dwordx4 v[100:103], off, off offset:624
	s_waitcnt vmcnt(14)
	v_mul_f64 v[104:105], v[132:133], v[30:31]
	v_fmac_f64_e32 v[104:105], v[134:135], v[28:29]
	v_add_f64 v[0:1], v[0:1], v[104:105]
	s_waitcnt vmcnt(13)
	v_mul_f64 v[104:105], v[136:137], v[34:35]
	v_fmac_f64_e32 v[104:105], v[138:139], v[32:33]
	v_add_f64 v[0:1], v[0:1], v[104:105]
	scratch_load_dwordx4 v[104:107], off, off offset:640
	s_waitcnt vmcnt(13)
	v_mul_f64 v[108:109], v[140:141], v[38:39]
	v_fmac_f64_e32 v[108:109], v[142:143], v[36:37]
	v_add_f64 v[0:1], v[0:1], v[108:109]
	scratch_load_dwordx4 v[108:111], off, off offset:656
	v_mul_f64 v[114:115], v[146:147], v[114:115]
	v_fma_f64 v[242:243], v[144:145], v[112:113], -v[114:115]
	v_mul_f64 v[112:113], v[158:159], v[118:119]
	ds_read_b128 v[148:151], v2 offset:1168
	ds_read_b128 v[144:147], v2 offset:1184
	v_fma_f64 v[244:245], v[156:157], v[116:117], -v[112:113]
	scratch_load_dwordx4 v[116:119], off, off offset:672
	scratch_load_dwordx4 v[112:115], off, off offset:688
	v_mul_f64 v[122:123], v[170:171], v[122:123]
	v_fma_f64 v[246:247], v[168:169], v[120:121], -v[122:123]
	scratch_load_dwordx4 v[120:123], off, off offset:704
	s_waitcnt vmcnt(16) lgkmcnt(1)
	v_mul_f64 v[156:157], v[148:149], v[42:43]
	v_fmac_f64_e32 v[156:157], v[150:151], v[40:41]
	v_mul_f64 v[154:155], v[182:183], v[154:155]
	v_add_f64 v[0:1], v[0:1], v[156:157]
	v_fma_f64 v[248:249], v[180:181], v[152:153], -v[154:155]
	ds_read_b128 v[152:155], v2 offset:1200
	s_waitcnt vmcnt(15) lgkmcnt(1)
	v_mul_f64 v[156:157], v[144:145], v[46:47]
	v_fmac_f64_e32 v[156:157], v[146:147], v[44:45]
	v_add_f64 v[0:1], v[0:1], v[156:157]
	ds_read_b128 v[156:159], v2 offset:1216
	v_mul_f64 v[162:163], v[194:195], v[162:163]
	v_fma_f64 v[250:251], v[192:193], v[160:161], -v[162:163]
	ds_read_b128 v[160:163], v2 offset:1232
	s_waitcnt vmcnt(14) lgkmcnt(2)
	v_mul_f64 v[168:169], v[152:153], v[50:51]
	v_fmac_f64_e32 v[168:169], v[154:155], v[48:49]
	v_add_f64 v[0:1], v[0:1], v[168:169]
	s_waitcnt vmcnt(13) lgkmcnt(1)
	v_mul_f64 v[168:169], v[156:157], v[54:55]
	v_fmac_f64_e32 v[168:169], v[158:159], v[52:53]
	v_mul_f64 v[166:167], v[206:207], v[166:167]
	v_add_f64 v[0:1], v[0:1], v[168:169]
	v_fma_f64 v[232:233], v[204:205], v[164:165], -v[166:167]
	ds_read_b128 v[164:167], v2 offset:1248
	s_waitcnt vmcnt(12) lgkmcnt(1)
	v_mul_f64 v[168:169], v[160:161], v[58:59]
	v_fmac_f64_e32 v[168:169], v[162:163], v[56:57]
	v_add_f64 v[0:1], v[0:1], v[168:169]
	ds_read_b128 v[168:171], v2 offset:1264
	v_accvgpr_write_b32 a97, v7
	v_accvgpr_write_b32 a96, v6
	;; [unrolled: 1-line block ×4, first 2 shown]
	s_waitcnt vmcnt(11) lgkmcnt(1)
	v_mul_f64 v[6:7], v[164:165], v[62:63]
	v_mul_f64 v[174:175], v[214:215], v[174:175]
	v_fmac_f64_e32 v[6:7], v[166:167], v[60:61]
	v_fma_f64 v[8:9], v[212:213], v[172:173], -v[174:175]
	ds_read_b128 v[172:175], v2 offset:1280
	v_add_f64 v[0:1], v[0:1], v[6:7]
	s_waitcnt vmcnt(10) lgkmcnt(1)
	v_mul_f64 v[6:7], v[168:169], v[66:67]
	v_fmac_f64_e32 v[6:7], v[170:171], v[64:65]
	v_add_f64 v[0:1], v[0:1], v[6:7]
	v_mul_f64 v[6:7], v[218:219], v[178:179]
	v_fma_f64 v[4:5], v[216:217], v[176:177], -v[6:7]
	ds_read_b128 v[176:179], v2 offset:1296
	ds_read_b128 v[180:183], v2 offset:1312
	s_waitcnt vmcnt(9) lgkmcnt(2)
	v_mul_f64 v[6:7], v[172:173], v[70:71]
	v_fmac_f64_e32 v[6:7], v[174:175], v[68:69]
	v_add_f64 v[0:1], v[0:1], v[6:7]
	s_waitcnt vmcnt(8) lgkmcnt(1)
	v_mul_f64 v[6:7], v[176:177], v[90:91]
	v_fmac_f64_e32 v[6:7], v[178:179], v[88:89]
	v_add_f64 v[0:1], v[0:1], v[6:7]
	v_mul_f64 v[6:7], v[222:223], v[186:187]
	v_fma_f64 v[10:11], v[220:221], v[184:185], -v[6:7]
	ds_read_b128 v[184:187], v2 offset:1328
	v_mul_f64 v[6:7], v[226:227], v[190:191]
	v_fma_f64 v[6:7], v[224:225], v[188:189], -v[6:7]
	ds_read_b128 v[188:191], v2 offset:1344
	s_waitcnt vmcnt(7) lgkmcnt(2)
	v_mul_f64 v[192:193], v[180:181], v[94:95]
	v_fmac_f64_e32 v[192:193], v[182:183], v[92:93]
	v_add_f64 v[0:1], v[0:1], v[192:193]
	s_waitcnt vmcnt(6) lgkmcnt(1)
	v_mul_f64 v[192:193], v[184:185], v[98:99]
	v_fmac_f64_e32 v[192:193], v[186:187], v[96:97]
	v_add_f64 v[0:1], v[0:1], v[192:193]
	s_waitcnt vmcnt(5) lgkmcnt(0)
	v_mul_f64 v[204:205], v[188:189], v[102:103]
	ds_read_b128 v[192:195], v2 offset:1360
	v_fmac_f64_e32 v[204:205], v[190:191], v[100:101]
	v_add_f64 v[204:205], v[0:1], v[204:205]
	v_mul_f64 v[0:1], v[230:231], v[198:199]
	v_fma_f64 v[0:1], v[228:229], v[196:197], -v[0:1]
	ds_read_b128 v[196:199], v2 offset:1376
	v_mul_f64 v[202:203], v[240:241], v[202:203]
	s_waitcnt vmcnt(4) lgkmcnt(1)
	v_mul_f64 v[206:207], v[192:193], v[106:107]
	v_fma_f64 v[238:239], v[238:239], v[200:201], -v[202:203]
	ds_read_b128 v[200:203], v2 offset:1392
	v_fmac_f64_e32 v[206:207], v[194:195], v[104:105]
	v_add_f64 v[212:213], v[204:205], v[206:207]
	ds_read_b128 v[204:207], v2 offset:1408
	s_waitcnt vmcnt(3) lgkmcnt(2)
	v_mul_f64 v[214:215], v[196:197], v[110:111]
	v_mul_f64 v[210:211], v[254:255], v[210:211]
	v_fmac_f64_e32 v[214:215], v[198:199], v[108:109]
	v_fma_f64 v[252:253], v[252:253], v[208:209], -v[210:211]
	ds_read_b128 v[208:211], v2 offset:1424
	ds_read_b128 v[216:219], v2 offset:1440
	v_add_f64 v[212:213], v[212:213], v[214:215]
	s_waitcnt vmcnt(2) lgkmcnt(3)
	v_mul_f64 v[214:215], v[200:201], v[118:119]
	v_fmac_f64_e32 v[214:215], v[202:203], v[116:117]
	v_add_f64 v[212:213], v[212:213], v[214:215]
	s_waitcnt vmcnt(1) lgkmcnt(2)
	v_mul_f64 v[214:215], v[204:205], v[114:115]
	v_fmac_f64_e32 v[214:215], v[206:207], v[112:113]
	;; [unrolled: 4-line block ×3, first 2 shown]
	v_add_f64 v[220:221], v[212:213], v[214:215]
	scratch_load_dwordx4 v[212:215], off, off offset:720
	ds_read_b128 v[224:227], v2 offset:1456
	s_waitcnt vmcnt(0) lgkmcnt(1)
	v_mul_f64 v[222:223], v[216:217], v[214:215]
	v_fmac_f64_e32 v[222:223], v[218:219], v[212:213]
	v_add_f64 v[228:229], v[220:221], v[222:223]
	scratch_load_dwordx4 v[220:223], off, off offset:736
	s_waitcnt vmcnt(0) lgkmcnt(0)
	v_mul_f64 v[230:231], v[224:225], v[222:223]
	v_fmac_f64_e32 v[230:231], v[226:227], v[220:221]
	v_add_f64 v[240:241], v[228:229], v[230:231]
	v_add_f64 v[228:229], v[242:243], 0
	;; [unrolled: 1-line block ×8, first 2 shown]
	scratch_load_dwordx4 v[228:231], off, off offset:80
	v_add_f64 v[4:5], v[8:9], v[4:5]
	v_add_f64 v[254:255], v[4:5], v[10:11]
	;; [unrolled: 1-line block ×3, first 2 shown]
	v_accvgpr_read_b32 v6, a94
	v_add_f64 v[0:1], v[4:5], v[0:1]
	v_accvgpr_read_b32 v8, a96
	v_accvgpr_read_b32 v9, a97
	v_add_f64 v[0:1], v[0:1], v[238:239]
	v_accvgpr_read_b32 v7, a95
	v_mul_f64 v[4:5], v[86:87], v[8:9]
	v_add_f64 v[0:1], v[0:1], v[252:253]
	v_fma_f64 v[4:5], v[84:85], v[6:7], -v[4:5]
	v_add_f64 v[0:1], v[0:1], v[4:5]
	v_mul_f64 v[4:5], v[82:83], v[236:237]
	v_fma_f64 v[4:5], v[80:81], v[234:235], -v[4:5]
	v_add_f64 v[0:1], v[0:1], v[4:5]
	v_mul_f64 v[4:5], v[78:79], v[14:15]
	;; [unrolled: 3-line block ×27, first 2 shown]
	v_fma_f64 v[4:5], v[224:225], v[220:221], -v[4:5]
	v_add_f64 v[0:1], v[0:1], v[4:5]
	s_waitcnt vmcnt(0)
	v_add_f64 v[4:5], v[228:229], -v[0:1]
	v_accvgpr_read_b32 v0, a92
	v_add_f64 v[6:7], v[230:231], -v[240:241]
	v_cmp_lt_u32_e32 vcc, 3, v0
	scratch_store_dwordx4 off, v[4:7], off offset:80
	s_and_saveexec_b64 s[0:1], vcc
	s_cbranch_execz .LBB45_283
; %bb.282:
	scratch_load_dwordx4 v[6:9], off, s23
	v_mov_b32_e32 v3, v2
	v_mov_b32_e32 v4, v2
	;; [unrolled: 1-line block ×3, first 2 shown]
	v_accvgpr_read_b32 v0, a93
	scratch_store_dwordx4 off, v[2:5], off offset:64
	s_waitcnt vmcnt(1)
	ds_write_b128 v0, v[6:9]
.LBB45_283:
	s_or_b64 exec, exec, s[0:1]
	s_waitcnt lgkmcnt(0)
	; wave barrier
	scratch_load_dwordx4 v[88:91], off, off offset:80
	scratch_load_dwordx4 v[92:95], off, off offset:96
	;; [unrolled: 1-line block ×17, first 2 shown]
	ds_read_b128 v[212:215], v2 offset:800
	ds_read_b128 v[204:207], v2 offset:816
	;; [unrolled: 1-line block ×3, first 2 shown]
	scratch_load_dwordx4 v[20:23], off, off offset:352
	ds_read_b128 v[216:219], v2 offset:848
	ds_read_b128 v[208:211], v2 offset:864
	;; [unrolled: 1-line block ×5, first 2 shown]
	scratch_load_dwordx4 v[24:27], off, off offset:368
	ds_read_b128 v[180:183], v2 offset:928
	ds_read_b128 v[160:163], v2 offset:944
	;; [unrolled: 1-line block ×3, first 2 shown]
	scratch_load_dwordx4 v[28:31], off, off offset:384
	ds_read_b128 v[172:175], v2 offset:976
	ds_read_b128 v[148:151], v2 offset:992
	;; [unrolled: 1-line block ×5, first 2 shown]
	scratch_load_dwordx4 v[36:39], off, off offset:400
	ds_read_b128 v[48:51], v2 offset:1056
	scratch_load_dwordx4 v[52:55], off, off offset:416
	scratch_load_dwordx4 v[56:59], off, off offset:432
	;; [unrolled: 1-line block ×9, first 2 shown]
	ds_read_b128 v[140:143], v2 offset:1072
	ds_read_b128 v[232:235], v2 offset:1136
	;; [unrolled: 1-line block ×3, first 2 shown]
	s_waitcnt vmcnt(29) lgkmcnt(14)
	v_mul_f64 v[0:1], v[212:213], v[90:91]
	s_waitcnt vmcnt(28)
	v_mul_f64 v[152:153], v[204:205], v[94:95]
	v_fmac_f64_e32 v[0:1], v[214:215], v[88:89]
	s_waitcnt vmcnt(27)
	v_mul_f64 v[154:155], v[196:197], v[98:99]
	v_fmac_f64_e32 v[152:153], v[206:207], v[92:93]
	v_add_f64 v[0:1], v[0:1], 0
	s_waitcnt vmcnt(26)
	v_mul_f64 v[164:165], v[216:217], v[102:103]
	v_fmac_f64_e32 v[154:155], v[198:199], v[96:97]
	v_add_f64 v[0:1], v[0:1], v[152:153]
	;; [unrolled: 4-line block ×4, first 2 shown]
	s_waitcnt vmcnt(23) lgkmcnt(13)
	v_mul_f64 v[170:171], v[184:185], v[114:115]
	v_fmac_f64_e32 v[168:169], v[202:203], v[108:109]
	v_add_f64 v[0:1], v[0:1], v[166:167]
	s_waitcnt vmcnt(22) lgkmcnt(12)
	v_mul_f64 v[176:177], v[156:157], v[118:119]
	v_fmac_f64_e32 v[170:171], v[186:187], v[112:113]
	v_add_f64 v[0:1], v[0:1], v[168:169]
	;; [unrolled: 4-line block ×10, first 2 shown]
	v_fmac_f64_e32 v[224:225], v[34:35], v[12:13]
	v_add_f64 v[0:1], v[0:1], v[222:223]
	ds_read_b128 v[220:223], v2 offset:1088
	v_add_f64 v[0:1], v[0:1], v[224:225]
	ds_read_b128 v[224:227], v2 offset:1104
	s_waitcnt vmcnt(13) lgkmcnt(5)
	v_mul_f64 v[164:165], v[48:49], v[18:19]
	scratch_load_dwordx4 v[152:155], off, off offset:560
	v_fmac_f64_e32 v[164:165], v[50:51], v[16:17]
	s_waitcnt vmcnt(13) lgkmcnt(4)
	v_mul_f64 v[168:169], v[140:141], v[22:23]
	v_add_f64 v[0:1], v[0:1], v[164:165]
	v_fmac_f64_e32 v[168:169], v[142:143], v[20:21]
	scratch_load_dwordx4 v[164:167], off, off offset:576
	v_add_f64 v[0:1], v[0:1], v[168:169]
	s_waitcnt vmcnt(13) lgkmcnt(1)
	v_mul_f64 v[176:177], v[220:221], v[26:27]
	scratch_load_dwordx4 v[168:171], off, off offset:592
	v_fmac_f64_e32 v[176:177], v[222:223], v[24:25]
	s_waitcnt vmcnt(13) lgkmcnt(0)
	v_mul_f64 v[188:189], v[224:225], v[30:31]
	v_add_f64 v[0:1], v[0:1], v[176:177]
	scratch_load_dwordx4 v[176:179], off, off offset:608
	v_fmac_f64_e32 v[188:189], v[226:227], v[28:29]
	v_add_f64 v[0:1], v[0:1], v[188:189]
	s_waitcnt vmcnt(13)
	v_mul_f64 v[188:189], v[228:229], v[38:39]
	v_fmac_f64_e32 v[188:189], v[230:231], v[36:37]
	v_add_f64 v[0:1], v[0:1], v[188:189]
	scratch_load_dwordx4 v[188:191], off, off offset:624
	s_waitcnt vmcnt(13)
	v_mul_f64 v[192:193], v[232:233], v[54:55]
	v_fmac_f64_e32 v[192:193], v[234:235], v[52:53]
	v_mul_f64 v[90:91], v[214:215], v[90:91]
	v_add_f64 v[0:1], v[0:1], v[192:193]
	scratch_load_dwordx4 v[192:195], off, off offset:640
	v_fma_f64 v[242:243], v[212:213], v[88:89], -v[90:91]
	v_mul_f64 v[88:89], v[206:207], v[94:95]
	ds_read_b128 v[236:239], v2 offset:1152
	ds_read_b128 v[212:215], v2 offset:1168
	v_fma_f64 v[244:245], v[204:205], v[92:93], -v[88:89]
	scratch_load_dwordx4 v[92:95], off, off offset:656
	scratch_load_dwordx4 v[88:91], off, off offset:672
	v_mul_f64 v[98:99], v[198:199], v[98:99]
	v_fma_f64 v[246:247], v[196:197], v[96:97], -v[98:99]
	scratch_load_dwordx4 v[96:99], off, off offset:688
	s_waitcnt vmcnt(16) lgkmcnt(1)
	v_mul_f64 v[204:205], v[236:237], v[58:59]
	v_mul_f64 v[102:103], v[218:219], v[102:103]
	v_fmac_f64_e32 v[204:205], v[238:239], v[56:57]
	v_fma_f64 v[216:217], v[216:217], v[100:101], -v[102:103]
	ds_read_b128 v[100:103], v2 offset:1184
	s_waitcnt vmcnt(15) lgkmcnt(1)
	v_mul_f64 v[196:197], v[212:213], v[62:63]
	v_add_f64 v[0:1], v[0:1], v[204:205]
	v_fmac_f64_e32 v[196:197], v[214:215], v[60:61]
	v_add_f64 v[0:1], v[0:1], v[196:197]
	ds_read_b128 v[196:199], v2 offset:1200
	v_mul_f64 v[106:107], v[210:211], v[106:107]
	v_fma_f64 v[218:219], v[208:209], v[104:105], -v[106:107]
	ds_read_b128 v[104:107], v2 offset:1216
	s_waitcnt vmcnt(14) lgkmcnt(2)
	v_mul_f64 v[204:205], v[100:101], v[66:67]
	v_fmac_f64_e32 v[204:205], v[102:103], v[64:65]
	v_add_f64 v[0:1], v[0:1], v[204:205]
	s_waitcnt vmcnt(13) lgkmcnt(1)
	v_mul_f64 v[204:205], v[196:197], v[70:71]
	v_mul_f64 v[110:111], v[202:203], v[110:111]
	v_fmac_f64_e32 v[204:205], v[198:199], v[68:69]
	v_fma_f64 v[248:249], v[200:201], v[108:109], -v[110:111]
	ds_read_b128 v[108:111], v2 offset:1232
	s_waitcnt vmcnt(12) lgkmcnt(1)
	v_mul_f64 v[200:201], v[104:105], v[74:75]
	v_add_f64 v[0:1], v[0:1], v[204:205]
	v_fmac_f64_e32 v[200:201], v[106:107], v[72:73]
	v_add_f64 v[0:1], v[0:1], v[200:201]
	ds_read_b128 v[200:203], v2 offset:1248
	v_mul_f64 v[114:115], v[186:187], v[114:115]
	v_fma_f64 v[250:251], v[184:185], v[112:113], -v[114:115]
	ds_read_b128 v[112:115], v2 offset:1264
	s_waitcnt vmcnt(11) lgkmcnt(2)
	v_mul_f64 v[184:185], v[108:109], v[78:79]
	v_fmac_f64_e32 v[184:185], v[110:111], v[76:77]
	v_add_f64 v[0:1], v[0:1], v[184:185]
	s_waitcnt vmcnt(10) lgkmcnt(1)
	v_mul_f64 v[184:185], v[200:201], v[82:83]
	v_mul_f64 v[118:119], v[158:159], v[118:119]
	v_fmac_f64_e32 v[184:185], v[202:203], v[80:81]
	v_fma_f64 v[254:255], v[156:157], v[116:117], -v[118:119]
	s_waitcnt vmcnt(9) lgkmcnt(0)
	v_mul_f64 v[156:157], v[112:113], v[86:87]
	v_add_f64 v[0:1], v[0:1], v[184:185]
	ds_read_b128 v[116:119], v2 offset:1280
	v_fmac_f64_e32 v[156:157], v[114:115], v[84:85]
	v_add_f64 v[0:1], v[0:1], v[156:157]
	ds_read_b128 v[156:159], v2 offset:1296
	v_mul_f64 v[122:123], v[182:183], v[122:123]
	v_fma_f64 v[240:241], v[180:181], v[120:121], -v[122:123]
	ds_read_b128 v[120:123], v2 offset:1312
	v_accvgpr_write_b32 a97, v7
	v_mul_f64 v[126:127], v[162:163], v[126:127]
	v_accvgpr_write_b32 a96, v6
	v_accvgpr_write_b32 a95, v5
	;; [unrolled: 1-line block ×3, first 2 shown]
	v_fma_f64 v[4:5], v[160:161], v[124:125], -v[126:127]
	ds_read_b128 v[124:127], v2 offset:1328
	s_waitcnt vmcnt(8) lgkmcnt(3)
	v_mul_f64 v[184:185], v[116:117], v[154:155]
	v_fmac_f64_e32 v[184:185], v[118:119], v[152:153]
	s_waitcnt vmcnt(7) lgkmcnt(2)
	v_mul_f64 v[180:181], v[156:157], v[166:167]
	v_add_f64 v[0:1], v[0:1], v[184:185]
	v_fmac_f64_e32 v[180:181], v[158:159], v[164:165]
	s_waitcnt vmcnt(6) lgkmcnt(1)
	v_mul_f64 v[6:7], v[120:121], v[170:171]
	ds_read_b128 v[160:163], v2 offset:1344
	v_add_f64 v[0:1], v[0:1], v[180:181]
	v_fmac_f64_e32 v[6:7], v[122:123], v[168:169]
	v_add_f64 v[0:1], v[0:1], v[6:7]
	s_waitcnt vmcnt(5) lgkmcnt(1)
	v_mul_f64 v[6:7], v[124:125], v[178:179]
	v_fmac_f64_e32 v[6:7], v[126:127], v[176:177]
	v_add_f64 v[0:1], v[0:1], v[6:7]
	v_mul_f64 v[6:7], v[146:147], v[130:131]
	v_fma_f64 v[6:7], v[144:145], v[128:129], -v[6:7]
	ds_read_b128 v[128:131], v2 offset:1360
	s_waitcnt vmcnt(4) lgkmcnt(1)
	v_mul_f64 v[144:145], v[160:161], v[190:191]
	v_fmac_f64_e32 v[144:145], v[162:163], v[188:189]
	v_add_f64 v[180:181], v[0:1], v[144:145]
	v_mul_f64 v[0:1], v[174:175], v[134:135]
	v_fma_f64 v[0:1], v[172:173], v[132:133], -v[0:1]
	ds_read_b128 v[132:135], v2 offset:1376
	ds_read_b128 v[144:147], v2 offset:1392
	v_mul_f64 v[138:139], v[150:151], v[138:139]
	v_fma_f64 v[252:253], v[148:149], v[136:137], -v[138:139]
	ds_read_b128 v[136:139], v2 offset:1408
	s_waitcnt vmcnt(3) lgkmcnt(3)
	v_mul_f64 v[172:173], v[128:129], v[194:195]
	v_fmac_f64_e32 v[172:173], v[130:131], v[192:193]
	s_waitcnt vmcnt(2) lgkmcnt(2)
	v_mul_f64 v[148:149], v[132:133], v[94:95]
	v_add_f64 v[172:173], v[180:181], v[172:173]
	v_fmac_f64_e32 v[148:149], v[134:135], v[92:93]
	s_waitcnt vmcnt(1) lgkmcnt(1)
	v_mul_f64 v[150:151], v[144:145], v[90:91]
	v_add_f64 v[148:149], v[172:173], v[148:149]
	v_fmac_f64_e32 v[150:151], v[146:147], v[88:89]
	v_add_f64 v[148:149], v[148:149], v[150:151]
	ds_read_b128 v[172:175], v2 offset:1424
	scratch_load_dwordx4 v[208:211], off, off offset:736
	s_waitcnt vmcnt(1) lgkmcnt(1)
	v_mul_f64 v[150:151], v[136:137], v[98:99]
	v_fmac_f64_e32 v[150:151], v[138:139], v[96:97]
	v_add_f64 v[180:181], v[148:149], v[150:151]
	scratch_load_dwordx4 v[148:151], off, off offset:704
	ds_read_b128 v[184:187], v2 offset:1440
	v_accvgpr_write_b32 a99, v1
	v_accvgpr_write_b32 a98, v0
	s_waitcnt vmcnt(0) lgkmcnt(1)
	v_mul_f64 v[182:183], v[172:173], v[150:151]
	v_fmac_f64_e32 v[182:183], v[174:175], v[148:149]
	v_add_f64 v[204:205], v[180:181], v[182:183]
	scratch_load_dwordx4 v[180:183], off, off offset:720
	s_waitcnt vmcnt(0) lgkmcnt(0)
	v_mul_f64 v[206:207], v[184:185], v[182:183]
	v_fmac_f64_e32 v[206:207], v[186:187], v[180:181]
	v_add_f64 v[0:1], v[204:205], v[206:207]
	ds_read_b128 v[204:207], v2 offset:1456
	s_waitcnt lgkmcnt(0)
	v_mul_f64 v[2:3], v[204:205], v[210:211]
	v_fmac_f64_e32 v[2:3], v[206:207], v[208:209]
	v_add_f64 v[2:3], v[0:1], v[2:3]
	v_add_f64 v[0:1], v[242:243], 0
	;; [unrolled: 1-line block ×6, first 2 shown]
	scratch_load_dwordx4 v[216:219], off, off offset:64
	v_add_f64 v[0:1], v[0:1], v[248:249]
	v_add_f64 v[0:1], v[0:1], v[250:251]
	;; [unrolled: 1-line block ×6, first 2 shown]
	v_accvgpr_read_b32 v0, a98
	v_accvgpr_read_b32 v243, a97
	v_accvgpr_read_b32 v1, a99
	v_accvgpr_read_b32 v242, a96
	v_add_f64 v[0:1], v[254:255], v[0:1]
	v_accvgpr_read_b32 v241, a95
	v_accvgpr_read_b32 v240, a94
	v_mul_f64 v[4:5], v[46:47], v[242:243]
	v_add_f64 v[0:1], v[0:1], v[252:253]
	v_fma_f64 v[4:5], v[44:45], v[240:241], -v[4:5]
	v_add_f64 v[0:1], v[0:1], v[4:5]
	v_mul_f64 v[4:5], v[42:43], v[10:11]
	v_fma_f64 v[4:5], v[40:41], v[8:9], -v[4:5]
	v_add_f64 v[0:1], v[0:1], v[4:5]
	v_mul_f64 v[4:5], v[34:35], v[14:15]
	;; [unrolled: 3-line block ×28, first 2 shown]
	v_fma_f64 v[4:5], v[204:205], v[208:209], -v[4:5]
	v_add_f64 v[0:1], v[0:1], v[4:5]
	s_waitcnt vmcnt(0)
	v_add_f64 v[4:5], v[216:217], -v[0:1]
	v_accvgpr_read_b32 v0, a92
	v_add_f64 v[6:7], v[218:219], -v[2:3]
	v_cmp_lt_u32_e32 vcc, 2, v0
	scratch_store_dwordx4 off, v[4:7], off offset:64
	s_and_saveexec_b64 s[0:1], vcc
	s_cbranch_execz .LBB45_285
; %bb.284:
	scratch_load_dwordx4 v[2:5], off, s22
	v_mov_b32_e32 v6, 0
	v_mov_b32_e32 v7, v6
	;; [unrolled: 1-line block ×4, first 2 shown]
	v_accvgpr_read_b32 v0, a93
	scratch_store_dwordx4 off, v[6:9], off offset:48
	s_waitcnt vmcnt(1)
	ds_write_b128 v0, v[2:5]
.LBB45_285:
	s_or_b64 exec, exec, s[0:1]
	s_waitcnt lgkmcnt(0)
	; wave barrier
	scratch_load_dwordx4 v[96:99], off, off offset:64
	scratch_load_dwordx4 v[100:103], off, off offset:80
	;; [unrolled: 1-line block ×30, first 2 shown]
	v_mov_b32_e32 v2, 0
	ds_read_b128 v[136:139], v2 offset:784
	ds_read_b128 v[144:147], v2 offset:800
	;; [unrolled: 1-line block ×20, first 2 shown]
	s_waitcnt vmcnt(29) lgkmcnt(14)
	v_mul_f64 v[0:1], v[136:137], v[98:99]
	s_waitcnt vmcnt(28)
	v_mul_f64 v[72:73], v[144:145], v[102:103]
	v_fmac_f64_e32 v[0:1], v[138:139], v[96:97]
	s_waitcnt vmcnt(27)
	v_mul_f64 v[74:75], v[148:149], v[106:107]
	v_fmac_f64_e32 v[72:73], v[146:147], v[100:101]
	v_add_f64 v[0:1], v[0:1], 0
	s_waitcnt vmcnt(26)
	v_mul_f64 v[76:77], v[164:165], v[110:111]
	v_fmac_f64_e32 v[74:75], v[150:151], v[104:105]
	v_add_f64 v[0:1], v[0:1], v[72:73]
	;; [unrolled: 4-line block ×4, first 2 shown]
	s_waitcnt vmcnt(23) lgkmcnt(13)
	v_mul_f64 v[82:83], v[200:201], v[158:159]
	v_fmac_f64_e32 v[80:81], v[190:191], v[152:153]
	v_add_f64 v[0:1], v[0:1], v[78:79]
	s_waitcnt vmcnt(22) lgkmcnt(12)
	v_mul_f64 v[84:85], v[208:209], v[162:163]
	v_fmac_f64_e32 v[82:83], v[202:203], v[156:157]
	v_add_f64 v[0:1], v[0:1], v[80:81]
	;; [unrolled: 4-line block ×9, first 2 shown]
	s_waitcnt vmcnt(14) lgkmcnt(4)
	v_mul_f64 v[120:121], v[68:69], v[6:7]
	v_fmac_f64_e32 v[118:119], v[254:255], v[204:205]
	v_accvgpr_write_b32 a97, v7
	v_add_f64 v[0:1], v[0:1], v[116:117]
	v_fmac_f64_e32 v[120:121], v[70:71], v[4:5]
	v_accvgpr_write_b32 a96, v6
	v_accvgpr_write_b32 a95, v5
	;; [unrolled: 1-line block ×3, first 2 shown]
	v_add_f64 v[0:1], v[0:1], v[118:119]
	ds_read_b128 v[116:119], v2 offset:1056
	s_waitcnt vmcnt(13)
	v_mov_b64_e32 v[4:5], v[8:9]
	v_mov_b64_e32 v[6:7], v[10:11]
	s_waitcnt lgkmcnt(4)
	v_mul_f64 v[76:77], v[64:65], v[6:7]
	scratch_load_dwordx4 v[72:75], off, off offset:544
	v_add_f64 v[0:1], v[0:1], v[120:121]
	v_fmac_f64_e32 v[76:77], v[66:67], v[4:5]
	v_add_f64 v[0:1], v[0:1], v[76:77]
	scratch_load_dwordx4 v[76:79], off, off offset:560
	ds_read_b128 v[120:123], v2 offset:1072
	s_waitcnt vmcnt(14) lgkmcnt(1)
	v_mul_f64 v[80:81], v[116:117], v[236:237]
	v_fmac_f64_e32 v[80:81], v[118:119], v[234:235]
	v_add_f64 v[0:1], v[0:1], v[80:81]
	scratch_load_dwordx4 v[80:83], off, off offset:576
	s_waitcnt vmcnt(14) lgkmcnt(0)
	v_mul_f64 v[84:85], v[120:121], v[18:19]
	v_fmac_f64_e32 v[84:85], v[122:123], v[16:17]
	s_waitcnt vmcnt(13)
	v_mul_f64 v[88:89], v[124:125], v[22:23]
	v_add_f64 v[0:1], v[0:1], v[84:85]
	v_fmac_f64_e32 v[88:89], v[126:127], v[20:21]
	scratch_load_dwordx4 v[84:87], off, off offset:592
	v_add_f64 v[0:1], v[0:1], v[88:89]
	s_waitcnt vmcnt(13)
	v_mul_f64 v[88:89], v[128:129], v[26:27]
	v_fmac_f64_e32 v[88:89], v[130:131], v[24:25]
	v_add_f64 v[0:1], v[0:1], v[88:89]
	scratch_load_dwordx4 v[88:91], off, off offset:608
	s_waitcnt vmcnt(13)
	v_mul_f64 v[92:93], v[132:133], v[30:31]
	v_fmac_f64_e32 v[92:93], v[134:135], v[28:29]
	v_add_f64 v[0:1], v[0:1], v[92:93]
	scratch_load_dwordx4 v[92:95], off, off offset:624
	v_mul_f64 v[98:99], v[138:139], v[98:99]
	v_fma_f64 v[242:243], v[136:137], v[96:97], -v[98:99]
	v_mul_f64 v[96:97], v[146:147], v[102:103]
	ds_read_b128 v[140:143], v2 offset:1136
	ds_read_b128 v[136:139], v2 offset:1152
	v_fma_f64 v[244:245], v[144:145], v[100:101], -v[96:97]
	scratch_load_dwordx4 v[100:103], off, off offset:640
	scratch_load_dwordx4 v[96:99], off, off offset:656
	s_waitcnt vmcnt(15) lgkmcnt(1)
	v_mul_f64 v[144:145], v[140:141], v[34:35]
	v_fmac_f64_e32 v[144:145], v[142:143], v[32:33]
	v_mul_f64 v[106:107], v[150:151], v[106:107]
	v_add_f64 v[0:1], v[0:1], v[144:145]
	s_waitcnt vmcnt(14) lgkmcnt(0)
	v_mul_f64 v[144:145], v[136:137], v[38:39]
	v_fma_f64 v[246:247], v[148:149], v[104:105], -v[106:107]
	v_mul_f64 v[104:105], v[166:167], v[110:111]
	v_fmac_f64_e32 v[144:145], v[138:139], v[36:37]
	v_fma_f64 v[248:249], v[164:165], v[108:109], -v[104:105]
	scratch_load_dwordx4 v[104:107], off, off offset:672
	v_add_f64 v[0:1], v[0:1], v[144:145]
	ds_read_b128 v[144:147], v2 offset:1168
	ds_read_b128 v[148:151], v2 offset:1184
	v_mul_f64 v[108:109], v[178:179], v[114:115]
	v_fma_f64 v[250:251], v[176:177], v[112:113], -v[108:109]
	scratch_load_dwordx4 v[108:111], off, off offset:688
	s_waitcnt vmcnt(15) lgkmcnt(1)
	v_mul_f64 v[112:113], v[144:145], v[42:43]
	v_fmac_f64_e32 v[112:113], v[146:147], v[40:41]
	v_add_f64 v[0:1], v[0:1], v[112:113]
	v_mul_f64 v[112:113], v[190:191], v[154:155]
	v_fma_f64 v[232:233], v[188:189], v[152:153], -v[112:113]
	scratch_load_dwordx4 v[112:115], off, off offset:704
	ds_read_b128 v[152:155], v2 offset:1200
	s_waitcnt vmcnt(15) lgkmcnt(1)
	v_mul_f64 v[164:165], v[148:149], v[46:47]
	v_mul_f64 v[158:159], v[202:203], v[158:159]
	v_fmac_f64_e32 v[164:165], v[150:151], v[44:45]
	v_fma_f64 v[12:13], v[200:201], v[156:157], -v[158:159]
	ds_read_b128 v[156:159], v2 offset:1216
	s_waitcnt vmcnt(14) lgkmcnt(1)
	v_mul_f64 v[6:7], v[152:153], v[50:51]
	v_add_f64 v[0:1], v[0:1], v[164:165]
	v_fmac_f64_e32 v[6:7], v[154:155], v[48:49]
	v_accvgpr_write_b32 a101, v11
	v_add_f64 v[0:1], v[0:1], v[6:7]
	v_mul_f64 v[6:7], v[210:211], v[162:163]
	v_accvgpr_write_b32 a100, v10
	v_accvgpr_write_b32 a99, v9
	;; [unrolled: 1-line block ×3, first 2 shown]
	v_fma_f64 v[8:9], v[208:209], v[160:161], -v[6:7]
	ds_read_b128 v[160:163], v2 offset:1232
	ds_read_b128 v[164:167], v2 offset:1248
	s_waitcnt vmcnt(13) lgkmcnt(2)
	v_mul_f64 v[6:7], v[156:157], v[54:55]
	v_fmac_f64_e32 v[6:7], v[158:159], v[52:53]
	v_add_f64 v[0:1], v[0:1], v[6:7]
	s_waitcnt vmcnt(12) lgkmcnt(1)
	v_mul_f64 v[6:7], v[160:161], v[62:63]
	v_fmac_f64_e32 v[6:7], v[162:163], v[60:61]
	v_add_f64 v[0:1], v[0:1], v[6:7]
	v_mul_f64 v[6:7], v[214:215], v[170:171]
	v_fma_f64 v[10:11], v[212:213], v[168:169], -v[6:7]
	s_waitcnt vmcnt(11) lgkmcnt(0)
	v_mul_f64 v[6:7], v[164:165], v[58:59]
	v_fmac_f64_e32 v[6:7], v[166:167], v[56:57]
	ds_read_b128 v[168:171], v2 offset:1264
	v_add_f64 v[0:1], v[0:1], v[6:7]
	v_mul_f64 v[6:7], v[218:219], v[174:175]
	v_fma_f64 v[4:5], v[216:217], v[172:173], -v[6:7]
	ds_read_b128 v[172:175], v2 offset:1280
	s_waitcnt vmcnt(10) lgkmcnt(1)
	v_mul_f64 v[6:7], v[168:169], v[74:75]
	ds_read_b128 v[176:179], v2 offset:1296
	v_fmac_f64_e32 v[6:7], v[170:171], v[72:73]
	v_add_f64 v[0:1], v[0:1], v[6:7]
	s_waitcnt vmcnt(9) lgkmcnt(1)
	v_mul_f64 v[6:7], v[172:173], v[78:79]
	v_fmac_f64_e32 v[6:7], v[174:175], v[76:77]
	v_add_f64 v[0:1], v[0:1], v[6:7]
	v_mul_f64 v[6:7], v[222:223], v[182:183]
	v_fma_f64 v[14:15], v[220:221], v[180:181], -v[6:7]
	ds_read_b128 v[180:183], v2 offset:1312
	s_waitcnt vmcnt(8) lgkmcnt(1)
	v_mul_f64 v[6:7], v[176:177], v[82:83]
	v_fmac_f64_e32 v[6:7], v[178:179], v[80:81]
	v_add_f64 v[0:1], v[0:1], v[6:7]
	v_mul_f64 v[6:7], v[226:227], v[186:187]
	v_fma_f64 v[6:7], v[224:225], v[184:185], -v[6:7]
	ds_read_b128 v[184:187], v2 offset:1328
	s_waitcnt vmcnt(7) lgkmcnt(1)
	v_mul_f64 v[188:189], v[180:181], v[86:87]
	v_fmac_f64_e32 v[188:189], v[182:183], v[84:85]
	v_add_f64 v[0:1], v[0:1], v[188:189]
	ds_read_b128 v[188:191], v2 offset:1344
	s_waitcnt vmcnt(6) lgkmcnt(1)
	v_mul_f64 v[200:201], v[184:185], v[90:91]
	v_fmac_f64_e32 v[200:201], v[186:187], v[88:89]
	v_add_f64 v[200:201], v[0:1], v[200:201]
	v_mul_f64 v[0:1], v[230:231], v[194:195]
	v_fma_f64 v[0:1], v[228:229], v[192:193], -v[0:1]
	ds_read_b128 v[192:195], v2 offset:1360
	s_waitcnt vmcnt(5) lgkmcnt(1)
	v_mul_f64 v[202:203], v[188:189], v[94:95]
	v_fmac_f64_e32 v[202:203], v[190:191], v[92:93]
	v_mul_f64 v[198:199], v[240:241], v[198:199]
	v_fma_f64 v[238:239], v[238:239], v[196:197], -v[198:199]
	ds_read_b128 v[196:199], v2 offset:1376
	v_add_f64 v[200:201], v[200:201], v[202:203]
	s_waitcnt vmcnt(4) lgkmcnt(1)
	v_mul_f64 v[202:203], v[192:193], v[102:103]
	v_fmac_f64_e32 v[202:203], v[194:195], v[100:101]
	v_add_f64 v[208:209], v[200:201], v[202:203]
	ds_read_b128 v[200:203], v2 offset:1392
	v_mul_f64 v[206:207], v[254:255], v[206:207]
	v_fma_f64 v[252:253], v[252:253], v[204:205], -v[206:207]
	ds_read_b128 v[204:207], v2 offset:1408
	s_waitcnt vmcnt(3) lgkmcnt(2)
	v_mul_f64 v[210:211], v[196:197], v[98:99]
	v_fmac_f64_e32 v[210:211], v[198:199], v[96:97]
	v_add_f64 v[208:209], v[208:209], v[210:211]
	s_waitcnt vmcnt(2) lgkmcnt(1)
	v_mul_f64 v[210:211], v[200:201], v[106:107]
	v_fmac_f64_e32 v[210:211], v[202:203], v[104:105]
	v_add_f64 v[208:209], v[208:209], v[210:211]
	;; [unrolled: 4-line block ×3, first 2 shown]
	ds_read_b128 v[208:211], v2 offset:1424
	ds_read_b128 v[216:219], v2 offset:1440
	;; [unrolled: 1-line block ×3, first 2 shown]
	s_waitcnt vmcnt(0) lgkmcnt(2)
	v_mul_f64 v[214:215], v[208:209], v[114:115]
	v_fmac_f64_e32 v[214:215], v[210:211], v[112:113]
	v_add_f64 v[220:221], v[212:213], v[214:215]
	scratch_load_dwordx4 v[212:215], off, off offset:720
	s_waitcnt vmcnt(0) lgkmcnt(1)
	v_mul_f64 v[222:223], v[216:217], v[214:215]
	v_fmac_f64_e32 v[222:223], v[218:219], v[212:213]
	v_add_f64 v[228:229], v[220:221], v[222:223]
	scratch_load_dwordx4 v[220:223], off, off offset:736
	s_waitcnt vmcnt(0) lgkmcnt(0)
	v_mul_f64 v[230:231], v[224:225], v[222:223]
	v_fmac_f64_e32 v[230:231], v[226:227], v[220:221]
	v_add_f64 v[240:241], v[228:229], v[230:231]
	v_add_f64 v[228:229], v[242:243], 0
	;; [unrolled: 1-line block ×8, first 2 shown]
	scratch_load_dwordx4 v[228:231], off, off offset:48
	v_add_f64 v[8:9], v[12:13], v[8:9]
	v_add_f64 v[8:9], v[8:9], v[10:11]
	;; [unrolled: 1-line block ×5, first 2 shown]
	v_accvgpr_read_b32 v6, a94
	v_accvgpr_read_b32 v8, a96
	;; [unrolled: 1-line block ×3, first 2 shown]
	v_add_f64 v[0:1], v[4:5], v[0:1]
	v_accvgpr_read_b32 v7, a95
	v_mul_f64 v[4:5], v[70:71], v[8:9]
	v_add_f64 v[0:1], v[0:1], v[238:239]
	v_fma_f64 v[4:5], v[68:69], v[6:7], -v[4:5]
	v_accvgpr_read_b32 v6, a98
	v_add_f64 v[0:1], v[0:1], v[252:253]
	v_accvgpr_read_b32 v8, a100
	v_accvgpr_read_b32 v9, a101
	v_add_f64 v[0:1], v[0:1], v[4:5]
	v_accvgpr_read_b32 v7, a99
	v_mul_f64 v[4:5], v[66:67], v[8:9]
	v_fma_f64 v[4:5], v[64:65], v[6:7], -v[4:5]
	v_add_f64 v[0:1], v[0:1], v[4:5]
	v_mul_f64 v[4:5], v[118:119], v[236:237]
	v_fma_f64 v[4:5], v[116:117], v[234:235], -v[4:5]
	v_add_f64 v[0:1], v[0:1], v[4:5]
	;; [unrolled: 3-line block ×27, first 2 shown]
	s_waitcnt vmcnt(0)
	v_add_f64 v[4:5], v[228:229], -v[0:1]
	v_accvgpr_read_b32 v0, a92
	v_add_f64 v[6:7], v[230:231], -v[240:241]
	v_cmp_lt_u32_e32 vcc, 1, v0
	scratch_store_dwordx4 off, v[4:7], off offset:48
	s_and_saveexec_b64 s[0:1], vcc
	s_cbranch_execz .LBB45_287
; %bb.286:
	scratch_load_dwordx4 v[6:9], off, s25
	v_mov_b32_e32 v3, v2
	v_mov_b32_e32 v4, v2
	;; [unrolled: 1-line block ×3, first 2 shown]
	v_accvgpr_read_b32 v0, a93
	scratch_store_dwordx4 off, v[2:5], off offset:32
	s_waitcnt vmcnt(1)
	ds_write_b128 v0, v[6:9]
.LBB45_287:
	s_or_b64 exec, exec, s[0:1]
	s_waitcnt lgkmcnt(0)
	; wave barrier
	scratch_load_dwordx4 v[72:75], off, off offset:48
	scratch_load_dwordx4 v[76:79], off, off offset:64
	;; [unrolled: 1-line block ×17, first 2 shown]
	ds_read_b128 v[176:179], v2 offset:768
	ds_read_b128 v[192:195], v2 offset:784
	;; [unrolled: 1-line block ×3, first 2 shown]
	scratch_load_dwordx4 v[20:23], off, off offset:320
	ds_read_b128 v[236:239], v2 offset:816
	ds_read_b128 v[232:235], v2 offset:832
	;; [unrolled: 1-line block ×5, first 2 shown]
	scratch_load_dwordx4 v[168:171], off, off offset:336
	ds_read_b128 v[224:227], v2 offset:896
	ds_read_b128 v[212:215], v2 offset:912
	;; [unrolled: 1-line block ×3, first 2 shown]
	scratch_load_dwordx4 v[12:15], off, off offset:352
	ds_read_b128 v[216:219], v2 offset:944
	ds_read_b128 v[204:207], v2 offset:960
	;; [unrolled: 1-line block ×5, first 2 shown]
	scratch_load_dwordx4 v[28:31], off, off offset:368
	ds_read_b128 v[32:35], v2 offset:1024
	scratch_load_dwordx4 v[36:39], off, off offset:384
	scratch_load_dwordx4 v[40:43], off, off offset:400
	;; [unrolled: 1-line block ×9, first 2 shown]
	ds_read_b128 v[132:135], v2 offset:1040
	s_waitcnt lgkmcnt(2)
	v_accvgpr_write_b32 a101, v19
	v_accvgpr_write_b32 a100, v18
	;; [unrolled: 1-line block ×4, first 2 shown]
	ds_read_b128 v[172:175], v2 offset:1104
	s_waitcnt vmcnt(29)
	v_mul_f64 v[0:1], v[176:177], v[74:75]
	s_waitcnt vmcnt(28)
	v_mul_f64 v[136:137], v[192:193], v[78:79]
	v_fmac_f64_e32 v[0:1], v[178:179], v[72:73]
	s_waitcnt vmcnt(27)
	v_mul_f64 v[138:139], v[188:189], v[82:83]
	v_fmac_f64_e32 v[136:137], v[194:195], v[76:77]
	v_add_f64 v[0:1], v[0:1], 0
	s_waitcnt vmcnt(26)
	v_mul_f64 v[140:141], v[236:237], v[86:87]
	v_fmac_f64_e32 v[138:139], v[190:191], v[80:81]
	v_add_f64 v[0:1], v[0:1], v[136:137]
	;; [unrolled: 4-line block ×14, first 2 shown]
	v_fmac_f64_e32 v[164:165], v[18:19], v[4:5]
	v_add_f64 v[0:1], v[0:1], v[162:163]
	s_waitcnt vmcnt(13) lgkmcnt(2)
	v_mul_f64 v[140:141], v[32:33], v[26:27]
	scratch_load_dwordx4 v[136:139], off, off offset:528
	v_add_f64 v[0:1], v[0:1], v[164:165]
	v_fmac_f64_e32 v[140:141], v[34:35], v[24:25]
	v_add_f64 v[0:1], v[0:1], v[140:141]
	ds_read_b128 v[160:163], v2 offset:1056
	scratch_load_dwordx4 v[140:143], off, off offset:544
	ds_read_b128 v[164:167], v2 offset:1072
	s_waitcnt vmcnt(13)
	v_mov_b64_e32 v[16:17], v[168:169]
	v_mov_b64_e32 v[18:19], v[170:171]
	ds_read_b128 v[168:171], v2 offset:1088
	s_waitcnt lgkmcnt(4)
	v_mul_f64 v[144:145], v[132:133], v[22:23]
	v_fmac_f64_e32 v[144:145], v[134:135], v[20:21]
	s_waitcnt lgkmcnt(2)
	v_mul_f64 v[148:149], v[160:161], v[18:19]
	v_add_f64 v[0:1], v[0:1], v[144:145]
	v_fmac_f64_e32 v[148:149], v[162:163], v[16:17]
	s_waitcnt vmcnt(12) lgkmcnt(1)
	v_mul_f64 v[152:153], v[164:165], v[14:15]
	scratch_load_dwordx4 v[144:147], off, off offset:560
	v_add_f64 v[0:1], v[0:1], v[148:149]
	v_fmac_f64_e32 v[152:153], v[166:167], v[12:13]
	scratch_load_dwordx4 v[148:151], off, off offset:576
	v_add_f64 v[0:1], v[0:1], v[152:153]
	s_waitcnt vmcnt(13) lgkmcnt(0)
	v_mul_f64 v[152:153], v[168:169], v[30:31]
	v_fmac_f64_e32 v[152:153], v[170:171], v[28:29]
	v_add_f64 v[0:1], v[0:1], v[152:153]
	scratch_load_dwordx4 v[152:155], off, off offset:592
	s_waitcnt vmcnt(13)
	v_mul_f64 v[156:157], v[172:173], v[38:39]
	v_fmac_f64_e32 v[156:157], v[174:175], v[36:37]
	v_mul_f64 v[74:75], v[178:179], v[74:75]
	v_add_f64 v[0:1], v[0:1], v[156:157]
	scratch_load_dwordx4 v[156:159], off, off offset:608
	v_fma_f64 v[242:243], v[176:177], v[72:73], -v[74:75]
	v_mul_f64 v[72:73], v[194:195], v[78:79]
	ds_read_b128 v[180:183], v2 offset:1120
	ds_read_b128 v[176:179], v2 offset:1136
	v_fma_f64 v[244:245], v[192:193], v[76:77], -v[72:73]
	scratch_load_dwordx4 v[76:79], off, off offset:624
	scratch_load_dwordx4 v[72:75], off, off offset:640
	v_mul_f64 v[82:83], v[190:191], v[82:83]
	v_fma_f64 v[246:247], v[188:189], v[80:81], -v[82:83]
	v_mul_f64 v[80:81], v[238:239], v[86:87]
	v_fma_f64 v[236:237], v[236:237], v[84:85], -v[80:81]
	scratch_load_dwordx4 v[80:83], off, off offset:656
	ds_read_b128 v[188:191], v2 offset:1152
	v_mul_f64 v[84:85], v[234:235], v[90:91]
	s_waitcnt vmcnt(16) lgkmcnt(2)
	v_mul_f64 v[192:193], v[180:181], v[42:43]
	v_fma_f64 v[238:239], v[232:233], v[88:89], -v[84:85]
	scratch_load_dwordx4 v[84:87], off, off offset:672
	v_fmac_f64_e32 v[192:193], v[182:183], v[40:41]
	v_add_f64 v[0:1], v[0:1], v[192:193]
	s_waitcnt vmcnt(16) lgkmcnt(1)
	v_mul_f64 v[192:193], v[176:177], v[46:47]
	v_fmac_f64_e32 v[192:193], v[178:179], v[44:45]
	v_add_f64 v[0:1], v[0:1], v[192:193]
	ds_read_b128 v[192:195], v2 offset:1168
	s_waitcnt vmcnt(15) lgkmcnt(1)
	v_mul_f64 v[88:89], v[188:189], v[50:51]
	v_fmac_f64_e32 v[88:89], v[190:191], v[48:49]
	v_add_f64 v[0:1], v[0:1], v[88:89]
	v_mul_f64 v[88:89], v[230:231], v[94:95]
	v_fma_f64 v[248:249], v[228:229], v[92:93], -v[88:89]
	scratch_load_dwordx4 v[88:91], off, off offset:688
	scratch_load_dwordx4 v[232:235], off, off offset:736
	ds_read_b128 v[92:95], v2 offset:1184
	v_mul_f64 v[98:99], v[222:223], v[98:99]
	v_fma_f64 v[250:251], v[220:221], v[96:97], -v[98:99]
	ds_read_b128 v[96:99], v2 offset:1200
	v_mul_f64 v[102:103], v[210:211], v[102:103]
	s_waitcnt vmcnt(16) lgkmcnt(2)
	v_mul_f64 v[228:229], v[192:193], v[54:55]
	v_fma_f64 v[254:255], v[208:209], v[100:101], -v[102:103]
	ds_read_b128 v[100:103], v2 offset:1216
	ds_read_b128 v[208:211], v2 offset:1232
	v_fmac_f64_e32 v[228:229], v[194:195], v[52:53]
	s_waitcnt vmcnt(15) lgkmcnt(3)
	v_mul_f64 v[220:221], v[92:93], v[58:59]
	v_add_f64 v[0:1], v[0:1], v[228:229]
	v_fmac_f64_e32 v[220:221], v[94:95], v[56:57]
	v_mul_f64 v[106:107], v[226:227], v[106:107]
	v_add_f64 v[0:1], v[0:1], v[220:221]
	s_waitcnt vmcnt(14) lgkmcnt(2)
	v_mul_f64 v[220:221], v[96:97], v[62:63]
	v_fma_f64 v[240:241], v[224:225], v[104:105], -v[106:107]
	ds_read_b128 v[104:107], v2 offset:1248
	v_fmac_f64_e32 v[220:221], v[98:99], v[60:61]
	v_mul_f64 v[110:111], v[214:215], v[110:111]
	v_add_f64 v[0:1], v[0:1], v[220:221]
	s_waitcnt vmcnt(13) lgkmcnt(2)
	v_mul_f64 v[220:221], v[100:101], v[70:71]
	v_fma_f64 v[8:9], v[212:213], v[108:109], -v[110:111]
	ds_read_b128 v[108:111], v2 offset:1264
	v_fmac_f64_e32 v[220:221], v[102:103], v[68:69]
	v_accvgpr_write_b32 a97, v7
	v_add_f64 v[0:1], v[0:1], v[220:221]
	s_waitcnt vmcnt(12) lgkmcnt(2)
	v_mul_f64 v[220:221], v[208:209], v[66:67]
	v_accvgpr_write_b32 a96, v6
	v_accvgpr_write_b32 a95, v5
	;; [unrolled: 1-line block ×3, first 2 shown]
	v_fmac_f64_e32 v[220:221], v[210:211], v[64:65]
	s_waitcnt vmcnt(11) lgkmcnt(1)
	v_mul_f64 v[6:7], v[104:105], v[138:139]
	v_add_f64 v[0:1], v[0:1], v[220:221]
	v_fmac_f64_e32 v[6:7], v[106:107], v[136:137]
	v_add_f64 v[0:1], v[0:1], v[6:7]
	s_waitcnt vmcnt(10) lgkmcnt(0)
	v_mul_f64 v[6:7], v[108:109], v[142:143]
	v_fmac_f64_e32 v[6:7], v[110:111], v[140:141]
	ds_read_b128 v[212:215], v2 offset:1280
	v_add_f64 v[0:1], v[0:1], v[6:7]
	v_mul_f64 v[6:7], v[202:203], v[114:115]
	v_fma_f64 v[6:7], v[200:201], v[112:113], -v[6:7]
	ds_read_b128 v[112:115], v2 offset:1296
	v_mul_f64 v[118:119], v[218:219], v[118:119]
	v_fma_f64 v[4:5], v[216:217], v[116:117], -v[118:119]
	ds_read_b128 v[116:119], v2 offset:1312
	s_waitcnt vmcnt(9) lgkmcnt(2)
	v_mul_f64 v[200:201], v[212:213], v[146:147]
	v_fmac_f64_e32 v[200:201], v[214:215], v[144:145]
	s_waitcnt vmcnt(8) lgkmcnt(1)
	v_mul_f64 v[10:11], v[112:113], v[150:151]
	v_add_f64 v[0:1], v[0:1], v[200:201]
	v_fmac_f64_e32 v[10:11], v[114:115], v[148:149]
	v_add_f64 v[0:1], v[0:1], v[10:11]
	ds_read_b128 v[200:203], v2 offset:1328
	s_waitcnt vmcnt(7) lgkmcnt(1)
	v_mul_f64 v[10:11], v[116:117], v[154:155]
	v_fmac_f64_e32 v[10:11], v[118:119], v[152:153]
	v_add_f64 v[10:11], v[0:1], v[10:11]
	v_mul_f64 v[0:1], v[206:207], v[122:123]
	v_fma_f64 v[0:1], v[204:205], v[120:121], -v[0:1]
	ds_read_b128 v[120:123], v2 offset:1344
	v_mul_f64 v[126:127], v[198:199], v[126:127]
	v_fma_f64 v[124:125], v[196:197], v[124:125], -v[126:127]
	s_waitcnt vmcnt(6) lgkmcnt(1)
	v_mul_f64 v[204:205], v[200:201], v[158:159]
	v_accvgpr_write_b32 a102, v124
	v_fmac_f64_e32 v[204:205], v[202:203], v[156:157]
	v_accvgpr_write_b32 a103, v125
	ds_read_b128 v[124:127], v2 offset:1360
	s_waitcnt vmcnt(5) lgkmcnt(1)
	v_mul_f64 v[196:197], v[120:121], v[78:79]
	v_add_f64 v[10:11], v[10:11], v[204:205]
	v_fmac_f64_e32 v[196:197], v[122:123], v[76:77]
	v_add_f64 v[10:11], v[10:11], v[196:197]
	ds_read_b128 v[196:199], v2 offset:1376
	v_mul_f64 v[130:131], v[186:187], v[130:131]
	v_fma_f64 v[252:253], v[184:185], v[128:129], -v[130:131]
	ds_read_b128 v[128:131], v2 offset:1392
	s_waitcnt vmcnt(4) lgkmcnt(2)
	v_mul_f64 v[184:185], v[124:125], v[74:75]
	v_fmac_f64_e32 v[184:185], v[126:127], v[72:73]
	v_add_f64 v[10:11], v[10:11], v[184:185]
	s_waitcnt vmcnt(3) lgkmcnt(1)
	v_mul_f64 v[184:185], v[196:197], v[82:83]
	v_fmac_f64_e32 v[184:185], v[198:199], v[80:81]
	v_add_f64 v[10:11], v[10:11], v[184:185]
	;; [unrolled: 4-line block ×3, first 2 shown]
	ds_read_b128 v[184:187], v2 offset:1408
	ds_read_b128 v[216:219], v2 offset:1424
	;; [unrolled: 1-line block ×3, first 2 shown]
	s_waitcnt vmcnt(1) lgkmcnt(2)
	v_mul_f64 v[204:205], v[184:185], v[90:91]
	v_fmac_f64_e32 v[204:205], v[186:187], v[88:89]
	v_add_f64 v[10:11], v[10:11], v[204:205]
	scratch_load_dwordx4 v[204:207], off, off offset:704
	s_waitcnt vmcnt(0) lgkmcnt(1)
	v_mul_f64 v[220:221], v[216:217], v[206:207]
	v_fmac_f64_e32 v[220:221], v[218:219], v[204:205]
	v_add_f64 v[10:11], v[10:11], v[220:221]
	scratch_load_dwordx4 v[220:223], off, off offset:720
	s_waitcnt vmcnt(0) lgkmcnt(0)
	v_mul_f64 v[228:229], v[224:225], v[222:223]
	v_fmac_f64_e32 v[228:229], v[226:227], v[220:221]
	v_add_f64 v[10:11], v[10:11], v[228:229]
	ds_read_b128 v[228:231], v2 offset:1456
	s_waitcnt lgkmcnt(0)
	v_mul_f64 v[2:3], v[228:229], v[234:235]
	v_fmac_f64_e32 v[2:3], v[230:231], v[232:233]
	v_add_f64 v[2:3], v[10:11], v[2:3]
	v_add_f64 v[10:11], v[242:243], 0
	;; [unrolled: 1-line block ×6, first 2 shown]
	scratch_load_dwordx4 v[236:239], off, off offset:32
	v_add_f64 v[10:11], v[10:11], v[248:249]
	v_add_f64 v[10:11], v[10:11], v[250:251]
	;; [unrolled: 1-line block ×8, first 2 shown]
	v_accvgpr_read_b32 v0, a102
	v_accvgpr_read_b32 v6, a94
	;; [unrolled: 1-line block ×7, first 2 shown]
	v_add_f64 v[0:1], v[254:255], v[0:1]
	v_accvgpr_read_b32 v7, a95
	v_accvgpr_read_b32 v241, a99
	;; [unrolled: 1-line block ×3, first 2 shown]
	v_mul_f64 v[4:5], v[242:243], v[8:9]
	v_add_f64 v[0:1], v[0:1], v[252:253]
	v_fma_f64 v[4:5], v[240:241], v[6:7], -v[4:5]
	v_add_f64 v[0:1], v[0:1], v[4:5]
	v_mul_f64 v[4:5], v[34:35], v[26:27]
	v_fma_f64 v[4:5], v[32:33], v[24:25], -v[4:5]
	v_add_f64 v[0:1], v[0:1], v[4:5]
	v_mul_f64 v[4:5], v[134:135], v[22:23]
	v_fma_f64 v[4:5], v[132:133], v[20:21], -v[4:5]
	v_add_f64 v[0:1], v[0:1], v[4:5]
	v_mul_f64 v[4:5], v[162:163], v[18:19]
	v_fma_f64 v[4:5], v[160:161], v[16:17], -v[4:5]
	v_add_f64 v[0:1], v[0:1], v[4:5]
	v_mul_f64 v[4:5], v[166:167], v[14:15]
	v_fma_f64 v[4:5], v[164:165], v[12:13], -v[4:5]
	v_add_f64 v[0:1], v[0:1], v[4:5]
	v_mul_f64 v[4:5], v[170:171], v[30:31]
	v_fma_f64 v[4:5], v[168:169], v[28:29], -v[4:5]
	v_add_f64 v[0:1], v[0:1], v[4:5]
	v_mul_f64 v[4:5], v[174:175], v[38:39]
	v_fma_f64 v[4:5], v[172:173], v[36:37], -v[4:5]
	v_add_f64 v[0:1], v[0:1], v[4:5]
	v_mul_f64 v[4:5], v[182:183], v[42:43]
	v_fma_f64 v[4:5], v[180:181], v[40:41], -v[4:5]
	v_add_f64 v[0:1], v[0:1], v[4:5]
	v_mul_f64 v[4:5], v[178:179], v[46:47]
	v_fma_f64 v[4:5], v[176:177], v[44:45], -v[4:5]
	v_add_f64 v[0:1], v[0:1], v[4:5]
	v_mul_f64 v[4:5], v[190:191], v[50:51]
	v_fma_f64 v[4:5], v[188:189], v[48:49], -v[4:5]
	v_add_f64 v[0:1], v[0:1], v[4:5]
	v_mul_f64 v[4:5], v[194:195], v[54:55]
	v_fma_f64 v[4:5], v[192:193], v[52:53], -v[4:5]
	v_add_f64 v[0:1], v[0:1], v[4:5]
	v_mul_f64 v[4:5], v[94:95], v[58:59]
	v_fma_f64 v[4:5], v[92:93], v[56:57], -v[4:5]
	v_add_f64 v[0:1], v[0:1], v[4:5]
	v_mul_f64 v[4:5], v[98:99], v[62:63]
	v_fma_f64 v[4:5], v[96:97], v[60:61], -v[4:5]
	v_add_f64 v[0:1], v[0:1], v[4:5]
	v_mul_f64 v[4:5], v[102:103], v[70:71]
	v_fma_f64 v[4:5], v[100:101], v[68:69], -v[4:5]
	v_add_f64 v[0:1], v[0:1], v[4:5]
	v_mul_f64 v[4:5], v[210:211], v[66:67]
	v_fma_f64 v[4:5], v[208:209], v[64:65], -v[4:5]
	v_add_f64 v[0:1], v[0:1], v[4:5]
	v_mul_f64 v[4:5], v[106:107], v[138:139]
	v_fma_f64 v[4:5], v[104:105], v[136:137], -v[4:5]
	v_add_f64 v[0:1], v[0:1], v[4:5]
	v_mul_f64 v[4:5], v[110:111], v[142:143]
	v_fma_f64 v[4:5], v[108:109], v[140:141], -v[4:5]
	v_add_f64 v[0:1], v[0:1], v[4:5]
	v_mul_f64 v[4:5], v[214:215], v[146:147]
	v_fma_f64 v[4:5], v[212:213], v[144:145], -v[4:5]
	v_add_f64 v[0:1], v[0:1], v[4:5]
	v_mul_f64 v[4:5], v[114:115], v[150:151]
	v_fma_f64 v[4:5], v[112:113], v[148:149], -v[4:5]
	v_add_f64 v[0:1], v[0:1], v[4:5]
	v_mul_f64 v[4:5], v[118:119], v[154:155]
	v_fma_f64 v[4:5], v[116:117], v[152:153], -v[4:5]
	v_add_f64 v[0:1], v[0:1], v[4:5]
	v_mul_f64 v[4:5], v[202:203], v[158:159]
	v_fma_f64 v[4:5], v[200:201], v[156:157], -v[4:5]
	v_add_f64 v[0:1], v[0:1], v[4:5]
	v_mul_f64 v[4:5], v[122:123], v[78:79]
	v_fma_f64 v[4:5], v[120:121], v[76:77], -v[4:5]
	v_add_f64 v[0:1], v[0:1], v[4:5]
	v_mul_f64 v[4:5], v[126:127], v[74:75]
	v_fma_f64 v[4:5], v[124:125], v[72:73], -v[4:5]
	v_add_f64 v[0:1], v[0:1], v[4:5]
	v_mul_f64 v[4:5], v[198:199], v[82:83]
	v_fma_f64 v[4:5], v[196:197], v[80:81], -v[4:5]
	v_add_f64 v[0:1], v[0:1], v[4:5]
	v_mul_f64 v[4:5], v[130:131], v[86:87]
	v_fma_f64 v[4:5], v[128:129], v[84:85], -v[4:5]
	v_add_f64 v[0:1], v[0:1], v[4:5]
	v_mul_f64 v[4:5], v[186:187], v[90:91]
	v_fma_f64 v[4:5], v[184:185], v[88:89], -v[4:5]
	v_add_f64 v[0:1], v[0:1], v[4:5]
	v_mul_f64 v[4:5], v[218:219], v[206:207]
	v_fma_f64 v[4:5], v[216:217], v[204:205], -v[4:5]
	v_add_f64 v[0:1], v[0:1], v[4:5]
	v_mul_f64 v[4:5], v[226:227], v[222:223]
	v_fma_f64 v[4:5], v[224:225], v[220:221], -v[4:5]
	v_add_f64 v[0:1], v[0:1], v[4:5]
	v_mul_f64 v[4:5], v[230:231], v[234:235]
	v_fma_f64 v[4:5], v[228:229], v[232:233], -v[4:5]
	v_add_f64 v[0:1], v[0:1], v[4:5]
	s_waitcnt vmcnt(0)
	v_add_f64 v[4:5], v[236:237], -v[0:1]
	v_accvgpr_read_b32 v0, a92
	v_add_f64 v[6:7], v[238:239], -v[2:3]
	v_cmp_ne_u32_e32 vcc, 0, v0
	scratch_store_dwordx4 off, v[4:7], off offset:32
	s_and_saveexec_b64 s[0:1], vcc
	s_cbranch_execz .LBB45_289
; %bb.288:
	scratch_load_dwordx4 v[2:5], off, off offset:16
	v_mov_b32_e32 v6, 0
	v_mov_b32_e32 v7, v6
	;; [unrolled: 1-line block ×4, first 2 shown]
	v_accvgpr_read_b32 v0, a93
	scratch_store_dwordx4 off, v[6:9], off offset:16
	s_waitcnt vmcnt(1)
	ds_write_b128 v0, v[2:5]
.LBB45_289:
	s_or_b64 exec, exec, s[0:1]
	s_waitcnt lgkmcnt(0)
	; wave barrier
	scratch_load_dwordx4 v[88:91], off, off offset:32
	scratch_load_dwordx4 v[92:95], off, off offset:48
	;; [unrolled: 1-line block ×29, first 2 shown]
	v_mov_b32_e32 v16, 0
	ds_read_b128 v[136:139], v16 offset:752
	ds_read_b128 v[140:143], v16 offset:768
	ds_read_b128 v[144:147], v16 offset:784
	ds_read_b128 v[156:159], v16 offset:800
	ds_read_b128 v[168:171], v16 offset:816
	ds_read_b128 v[180:183], v16 offset:832
	ds_read_b128 v[192:195], v16 offset:848
	ds_read_b128 v[204:207], v16 offset:864
	ds_read_b128 v[208:211], v16 offset:880
	ds_read_b128 v[212:215], v16 offset:896
	ds_read_b128 v[216:219], v16 offset:912
	ds_read_b128 v[220:223], v16 offset:928
	ds_read_b128 v[224:227], v16 offset:944
	ds_read_b128 v[228:231], v16 offset:960
	ds_read_b128 v[232:235], v16 offset:976
	ds_read_b128 v[252:255], v16 offset:992
	ds_read_b128 v[56:59], v16 offset:1008
	ds_read_b128 v[52:55], v16 offset:1024
	ds_read_b128 v[120:123], v16 offset:1072
	ds_read_b128 v[124:127], v16 offset:1088
	s_and_b64 vcc, exec, s[18:19]
	ds_read_b128 v[116:119], v16 offset:1056
	ds_read_b128 v[132:135], v16 offset:1120
	s_waitcnt vmcnt(28) lgkmcnt(14)
	v_mul_f64 v[60:61], v[136:137], v[90:91]
	s_waitcnt vmcnt(27)
	v_mul_f64 v[62:63], v[140:141], v[94:95]
	v_fmac_f64_e32 v[60:61], v[138:139], v[88:89]
	s_waitcnt vmcnt(26)
	v_mul_f64 v[64:65], v[144:145], v[98:99]
	v_fmac_f64_e32 v[62:63], v[142:143], v[92:93]
	v_add_f64 v[60:61], v[60:61], 0
	s_waitcnt vmcnt(25)
	v_mul_f64 v[66:67], v[156:157], v[102:103]
	v_fmac_f64_e32 v[64:65], v[146:147], v[96:97]
	v_add_f64 v[60:61], v[60:61], v[62:63]
	;; [unrolled: 4-line block ×6, first 2 shown]
	s_waitcnt vmcnt(20) lgkmcnt(13)
	v_mul_f64 v[76:77], v[208:209], v[162:163]
	v_fmac_f64_e32 v[74:75], v[206:207], v[152:153]
	v_add_f64 v[60:61], v[60:61], v[72:73]
	s_waitcnt vmcnt(19) lgkmcnt(12)
	v_mul_f64 v[78:79], v[212:213], v[166:167]
	v_fmac_f64_e32 v[76:77], v[210:211], v[160:161]
	v_add_f64 v[60:61], v[60:61], v[74:75]
	;; [unrolled: 4-line block ×8, first 2 shown]
	v_fmac_f64_e32 v[114:115], v[254:255], v[200:201]
	v_add_f64 v[64:65], v[60:61], v[112:113]
	s_waitcnt vmcnt(12) lgkmcnt(5)
	v_mul_f64 v[66:67], v[56:57], v[2:3]
	v_accvgpr_write_b32 a95, v3
	scratch_load_dwordx4 v[60:63], off, off offset:496
	v_add_f64 v[64:65], v[64:65], v[114:115]
	v_fmac_f64_e32 v[66:67], v[58:59], v[0:1]
	v_accvgpr_write_b32 a94, v2
	v_accvgpr_write_b32 a93, v1
	;; [unrolled: 1-line block ×3, first 2 shown]
	s_waitcnt vmcnt(12)
	v_mov_b64_e32 v[0:1], v[4:5]
	ds_read_b128 v[112:115], v16 offset:1040
	v_add_f64 v[72:73], v[64:65], v[66:67]
	v_mov_b64_e32 v[2:3], v[6:7]
	scratch_load_dwordx4 v[64:67], off, off offset:512
	s_waitcnt lgkmcnt(5)
	v_mul_f64 v[74:75], v[52:53], v[2:3]
	v_fmac_f64_e32 v[74:75], v[54:55], v[0:1]
	scratch_load_dwordx4 v[68:71], off, off offset:528
	s_waitcnt vmcnt(13)
	v_mov_b64_e32 v[0:1], v[8:9]
	v_mov_b64_e32 v[2:3], v[10:11]
	v_add_f64 v[72:73], v[72:73], v[74:75]
	s_waitcnt lgkmcnt(0)
	v_mul_f64 v[74:75], v[112:113], v[2:3]
	v_fmac_f64_e32 v[74:75], v[114:115], v[0:1]
	s_waitcnt vmcnt(12)
	v_mov_b64_e32 v[0:1], v[12:13]
	v_mov_b64_e32 v[2:3], v[14:15]
	v_mul_f64 v[78:79], v[116:117], v[2:3]
	v_fmac_f64_e32 v[78:79], v[118:119], v[0:1]
	s_waitcnt vmcnt(11)
	v_mov_b64_e32 v[0:1], v[128:129]
	v_add_f64 v[76:77], v[72:73], v[74:75]
	scratch_load_dwordx4 v[72:75], off, off offset:544
	v_mov_b64_e32 v[2:3], v[130:131]
	v_add_f64 v[80:81], v[76:77], v[78:79]
	v_mul_f64 v[82:83], v[120:121], v[2:3]
	scratch_load_dwordx4 v[76:79], off, off offset:560
	v_fmac_f64_e32 v[82:83], v[122:123], v[0:1]
	v_add_f64 v[84:85], v[80:81], v[82:83]
	scratch_load_dwordx4 v[80:83], off, off offset:576
	v_accvgpr_write_b32 a108, v128
	v_accvgpr_write_b32 a109, v129
	;; [unrolled: 1-line block ×4, first 2 shown]
	ds_read_b128 v[128:131], v16 offset:1104
	v_mul_f64 v[90:91], v[138:139], v[90:91]
	v_fma_f64 v[242:243], v[136:137], v[88:89], -v[90:91]
	ds_read_b128 v[136:139], v16 offset:1136
	s_waitcnt vmcnt(13)
	v_mul_f64 v[86:87], v[124:125], v[22:23]
	v_fmac_f64_e32 v[86:87], v[126:127], v[20:21]
	s_waitcnt vmcnt(12) lgkmcnt(1)
	v_mul_f64 v[238:239], v[128:129], v[26:27]
	v_add_f64 v[236:237], v[84:85], v[86:87]
	v_fmac_f64_e32 v[238:239], v[130:131], v[24:25]
	v_add_f64 v[236:237], v[236:237], v[238:239]
	s_waitcnt vmcnt(11)
	v_mul_f64 v[238:239], v[132:133], v[30:31]
	v_mul_f64 v[94:95], v[142:143], v[94:95]
	;; [unrolled: 1-line block ×3, first 2 shown]
	v_fmac_f64_e32 v[238:239], v[134:135], v[28:29]
	v_fma_f64 v[244:245], v[140:141], v[92:93], -v[94:95]
	v_fma_f64 v[246:247], v[144:145], v[96:97], -v[98:99]
	ds_read_b128 v[140:143], v16 offset:1152
	s_waitcnt vmcnt(10) lgkmcnt(1)
	v_mul_f64 v[144:145], v[136:137], v[34:35]
	v_add_f64 v[236:237], v[236:237], v[238:239]
	v_mul_f64 v[96:97], v[158:159], v[102:103]
	v_fmac_f64_e32 v[144:145], v[138:139], v[32:33]
	v_fma_f64 v[248:249], v[156:157], v[100:101], -v[96:97]
	v_add_f64 v[156:157], v[236:237], v[144:145]
	ds_read_b128 v[144:147], v16 offset:1168
	v_mul_f64 v[150:151], v[194:195], v[150:151]
	v_fma_f64 v[236:237], v[192:193], v[148:149], -v[150:151]
	ds_read_b128 v[148:151], v16 offset:1184
	v_mul_f64 v[154:155], v[206:207], v[154:155]
	s_waitcnt vmcnt(9) lgkmcnt(2)
	v_mul_f64 v[158:159], v[140:141], v[38:39]
	v_fma_f64 v[240:241], v[204:205], v[152:153], -v[154:155]
	ds_read_b128 v[152:155], v16 offset:1200
	v_fmac_f64_e32 v[158:159], v[142:143], v[36:37]
	v_accvgpr_write_b32 a99, v7
	v_add_f64 v[2:3], v[156:157], v[158:159]
	s_waitcnt vmcnt(8) lgkmcnt(2)
	v_mul_f64 v[156:157], v[144:145], v[42:43]
	v_accvgpr_write_b32 a98, v6
	v_accvgpr_write_b32 a97, v5
	;; [unrolled: 1-line block ×3, first 2 shown]
	v_fmac_f64_e32 v[156:157], v[146:147], v[40:41]
	s_waitcnt vmcnt(7) lgkmcnt(1)
	v_mul_f64 v[6:7], v[148:149], v[46:47]
	v_add_f64 v[2:3], v[2:3], v[156:157]
	v_fmac_f64_e32 v[6:7], v[150:151], v[44:45]
	scratch_load_dwordx4 v[84:87], off, off offset:592
	scratch_load_dwordx4 v[88:91], off, off offset:608
	v_add_f64 v[2:3], v[2:3], v[6:7]
	ds_read_b128 v[156:159], v16 offset:1216
	s_waitcnt vmcnt(8) lgkmcnt(1)
	v_mul_f64 v[6:7], v[152:153], v[50:51]
	v_fmac_f64_e32 v[6:7], v[154:155], v[48:49]
	v_add_f64 v[2:3], v[2:3], v[6:7]
	v_mul_f64 v[6:7], v[210:211], v[162:163]
	v_fma_f64 v[6:7], v[208:209], v[160:161], -v[6:7]
	ds_read_b128 v[160:163], v16 offset:1232
	scratch_load_dwordx4 v[92:95], off, off offset:624
	v_mul_f64 v[166:167], v[214:215], v[166:167]
	v_fma_f64 v[4:5], v[212:213], v[164:165], -v[166:167]
	ds_read_b128 v[164:167], v16 offset:1248
	v_mul_f64 v[100:101], v[170:171], v[106:107]
	v_accvgpr_write_b32 a103, v11
	scratch_load_dwordx4 v[96:99], off, off offset:640
	v_fma_f64 v[250:251], v[168:169], v[104:105], -v[100:101]
	s_waitcnt vmcnt(9) lgkmcnt(2)
	v_mul_f64 v[168:169], v[156:157], v[62:63]
	v_accvgpr_write_b32 a102, v10
	v_accvgpr_write_b32 a101, v9
	;; [unrolled: 1-line block ×3, first 2 shown]
	v_fmac_f64_e32 v[168:169], v[158:159], v[60:61]
	s_waitcnt vmcnt(8) lgkmcnt(1)
	v_mul_f64 v[10:11], v[160:161], v[66:67]
	v_add_f64 v[2:3], v[2:3], v[168:169]
	v_fmac_f64_e32 v[10:11], v[162:163], v[64:65]
	v_add_f64 v[2:3], v[2:3], v[10:11]
	s_waitcnt vmcnt(7) lgkmcnt(0)
	v_mul_f64 v[10:11], v[164:165], v[70:71]
	v_fmac_f64_e32 v[10:11], v[166:167], v[68:69]
	ds_read_b128 v[168:171], v16 offset:1264
	v_add_f64 v[2:3], v[2:3], v[10:11]
	v_mul_f64 v[10:11], v[218:219], v[174:175]
	scratch_load_dwordx4 v[104:107], off, off offset:656
	v_fma_f64 v[10:11], v[216:217], v[172:173], -v[10:11]
	ds_read_b128 v[172:175], v16 offset:1280
	v_mul_f64 v[178:179], v[222:223], v[178:179]
	scratch_load_dwordx4 v[100:103], off, off offset:672
	v_fma_f64 v[8:9], v[220:221], v[176:177], -v[178:179]
	ds_read_b128 v[176:179], v16 offset:1296
	v_mul_f64 v[110:111], v[182:183], v[110:111]
	v_accvgpr_write_b32 a107, v15
	v_fma_f64 v[0:1], v[180:181], v[108:109], -v[110:111]
	scratch_load_dwordx4 v[108:111], off, off offset:688
	s_waitcnt vmcnt(9) lgkmcnt(2)
	v_mul_f64 v[180:181], v[168:169], v[74:75]
	v_accvgpr_write_b32 a106, v14
	v_accvgpr_write_b32 a105, v13
	v_accvgpr_write_b32 a104, v12
	v_fmac_f64_e32 v[180:181], v[170:171], v[72:73]
	s_waitcnt vmcnt(8) lgkmcnt(1)
	v_mul_f64 v[14:15], v[172:173], v[78:79]
	v_add_f64 v[2:3], v[2:3], v[180:181]
	v_fmac_f64_e32 v[14:15], v[174:175], v[76:77]
	scratch_load_dwordx4 v[208:211], off, off offset:704
	scratch_load_dwordx4 v[216:219], off, off offset:720
	v_add_f64 v[2:3], v[2:3], v[14:15]
	ds_read_b128 v[180:183], v16 offset:1312
	s_waitcnt vmcnt(9) lgkmcnt(1)
	v_mul_f64 v[14:15], v[176:177], v[82:83]
	v_fmac_f64_e32 v[14:15], v[178:179], v[80:81]
	v_add_f64 v[2:3], v[2:3], v[14:15]
	v_mul_f64 v[14:15], v[226:227], v[186:187]
	v_fma_f64 v[14:15], v[224:225], v[184:185], -v[14:15]
	scratch_load_dwordx4 v[224:227], off, off offset:736
	ds_read_b128 v[184:187], v16 offset:1328
	v_mul_f64 v[190:191], v[230:231], v[190:191]
	v_fma_f64 v[12:13], v[228:229], v[188:189], -v[190:191]
	ds_read_b128 v[188:191], v16 offset:1344
	ds_read_b128 v[204:207], v16 offset:1408
	;; [unrolled: 1-line block ×5, first 2 shown]
	s_waitcnt vmcnt(9) lgkmcnt(6)
	v_mul_f64 v[192:193], v[180:181], v[86:87]
	v_fmac_f64_e32 v[192:193], v[182:183], v[84:85]
	v_add_f64 v[2:3], v[2:3], v[192:193]
	s_waitcnt vmcnt(8) lgkmcnt(5)
	v_mul_f64 v[18:19], v[184:185], v[90:91]
	ds_read_b128 v[192:195], v16 offset:1360
	v_fmac_f64_e32 v[18:19], v[186:187], v[88:89]
	v_add_f64 v[2:3], v[2:3], v[18:19]
	s_waitcnt vmcnt(7) lgkmcnt(5)
	v_mul_f64 v[18:19], v[188:189], v[94:95]
	v_fmac_f64_e32 v[18:19], v[190:191], v[92:93]
	v_add_f64 v[2:3], v[2:3], v[18:19]
	v_mul_f64 v[18:19], v[234:235], v[198:199]
	v_fma_f64 v[238:239], v[232:233], v[196:197], -v[18:19]
	ds_read_b128 v[196:199], v16 offset:1376
	scratch_load_dwordx4 v[232:235], off, off offset:16
	s_waitcnt vmcnt(7) lgkmcnt(1)
	v_mul_f64 v[18:19], v[192:193], v[98:99]
	v_fmac_f64_e32 v[18:19], v[194:195], v[96:97]
	v_add_f64 v[2:3], v[2:3], v[18:19]
	v_mul_f64 v[18:19], v[254:255], v[202:203]
	v_fma_f64 v[252:253], v[252:253], v[200:201], -v[18:19]
	ds_read_b128 v[200:203], v16 offset:1392
	s_waitcnt vmcnt(6) lgkmcnt(1)
	v_mul_f64 v[18:19], v[196:197], v[106:107]
	v_fmac_f64_e32 v[18:19], v[198:199], v[104:105]
	v_add_f64 v[2:3], v[2:3], v[18:19]
	s_waitcnt vmcnt(5) lgkmcnt(0)
	v_mul_f64 v[18:19], v[200:201], v[102:103]
	v_fmac_f64_e32 v[18:19], v[202:203], v[100:101]
	v_add_f64 v[2:3], v[2:3], v[18:19]
	s_waitcnt vmcnt(4)
	v_mul_f64 v[18:19], v[204:205], v[110:111]
	v_fmac_f64_e32 v[18:19], v[206:207], v[108:109]
	v_add_f64 v[2:3], v[2:3], v[18:19]
	s_waitcnt vmcnt(3)
	;; [unrolled: 4-line block ×4, first 2 shown]
	v_mul_f64 v[18:19], v[228:229], v[226:227]
	v_fmac_f64_e32 v[18:19], v[230:231], v[224:225]
	v_add_f64 v[2:3], v[2:3], v[18:19]
	v_add_f64 v[18:19], v[242:243], 0
	;; [unrolled: 1-line block ×13, first 2 shown]
	v_accvgpr_read_b32 v6, a92
	v_add_f64 v[0:1], v[0:1], v[14:15]
	v_accvgpr_read_b32 v8, a94
	v_accvgpr_read_b32 v9, a95
	v_add_f64 v[254:255], v[0:1], v[12:13]
	v_accvgpr_read_b32 v7, a93
	v_mul_f64 v[4:5], v[58:59], v[8:9]
	v_add_f64 v[0:1], v[254:255], v[238:239]
	v_fma_f64 v[4:5], v[56:57], v[6:7], -v[4:5]
	v_accvgpr_read_b32 v6, a96
	v_add_f64 v[0:1], v[0:1], v[252:253]
	v_accvgpr_read_b32 v8, a98
	v_accvgpr_read_b32 v9, a99
	v_add_f64 v[0:1], v[0:1], v[4:5]
	v_accvgpr_read_b32 v7, a97
	v_mul_f64 v[4:5], v[54:55], v[8:9]
	v_fma_f64 v[4:5], v[52:53], v[6:7], -v[4:5]
	v_accvgpr_read_b32 v6, a100
	v_accvgpr_read_b32 v8, a102
	v_accvgpr_read_b32 v9, a103
	v_add_f64 v[0:1], v[0:1], v[4:5]
	v_accvgpr_read_b32 v7, a101
	v_mul_f64 v[4:5], v[114:115], v[8:9]
	v_fma_f64 v[4:5], v[112:113], v[6:7], -v[4:5]
	v_accvgpr_read_b32 v6, a104
	;; [unrolled: 7-line block ×3, first 2 shown]
	v_accvgpr_read_b32 v8, a110
	v_accvgpr_read_b32 v9, a111
	v_add_f64 v[0:1], v[0:1], v[4:5]
	v_accvgpr_read_b32 v7, a109
	v_mul_f64 v[4:5], v[122:123], v[8:9]
	v_fma_f64 v[4:5], v[120:121], v[6:7], -v[4:5]
	v_add_f64 v[0:1], v[0:1], v[4:5]
	v_mul_f64 v[4:5], v[126:127], v[22:23]
	v_fma_f64 v[4:5], v[124:125], v[20:21], -v[4:5]
	v_add_f64 v[0:1], v[0:1], v[4:5]
	;; [unrolled: 3-line block ×25, first 2 shown]
	s_waitcnt vmcnt(0)
	v_add_f64 v[0:1], v[232:233], -v[0:1]
	v_add_f64 v[2:3], v[234:235], -v[2:3]
	scratch_store_dwordx4 off, v[0:3], off offset:16
	s_cbranch_vccz .LBB45_380
; %bb.290:
	global_load_dword v0, v16, s[16:17] offset:176
	s_waitcnt vmcnt(0)
	v_readfirstlane_b32 s0, v0
	s_add_i32 s0, s0, -1
	s_cmp_lg_u32 s0, 44
	s_cbranch_scc0 .LBB45_292
; %bb.291:
	s_lshl_b32 s0, s0, 4
	s_add_i32 s0, s0, 16
	scratch_load_dwordx4 v[0:3], off, s0
	scratch_load_dwordx4 v[4:7], off, s21
	s_waitcnt vmcnt(1)
	scratch_store_dwordx4 off, v[0:3], s21
	s_waitcnt vmcnt(1)
	scratch_store_dwordx4 off, v[4:7], s0
.LBB45_292:
	v_mov_b32_e32 v0, 0
	global_load_dword v1, v0, s[16:17] offset:172
	s_waitcnt vmcnt(0)
	v_readfirstlane_b32 s0, v1
	s_add_i32 s0, s0, -1
	s_cmp_eq_u32 s0, 43
	s_cbranch_scc1 .LBB45_294
; %bb.293:
	s_lshl_b32 s0, s0, 4
	s_add_i32 s0, s0, 16
	scratch_load_dwordx4 v[2:5], off, s0
	scratch_load_dwordx4 v[6:9], off, s20
	s_waitcnt vmcnt(1)
	scratch_store_dwordx4 off, v[2:5], s20
	s_waitcnt vmcnt(1)
	scratch_store_dwordx4 off, v[6:9], s0
.LBB45_294:
	global_load_dword v0, v0, s[16:17] offset:168
	s_waitcnt vmcnt(0)
	v_readfirstlane_b32 s0, v0
	s_add_i32 s0, s0, -1
	s_cmp_eq_u32 s0, 42
	s_cbranch_scc1 .LBB45_296
; %bb.295:
	s_lshl_b32 s0, s0, 4
	s_add_i32 s0, s0, 16
	scratch_load_dwordx4 v[0:3], off, s0
	scratch_load_dwordx4 v[4:7], off, s15
	s_waitcnt vmcnt(1)
	scratch_store_dwordx4 off, v[0:3], s15
	s_waitcnt vmcnt(1)
	scratch_store_dwordx4 off, v[4:7], s0
.LBB45_296:
	v_mov_b32_e32 v0, 0
	global_load_dword v1, v0, s[16:17] offset:164
	s_waitcnt vmcnt(0)
	v_readfirstlane_b32 s0, v1
	s_add_i32 s0, s0, -1
	s_cmp_eq_u32 s0, 41
	s_cbranch_scc1 .LBB45_298
; %bb.297:
	s_lshl_b32 s0, s0, 4
	s_add_i32 s0, s0, 16
	scratch_load_dwordx4 v[2:5], off, s0
	scratch_load_dwordx4 v[6:9], off, s14
	s_waitcnt vmcnt(1)
	scratch_store_dwordx4 off, v[2:5], s14
	s_waitcnt vmcnt(1)
	scratch_store_dwordx4 off, v[6:9], s0
.LBB45_298:
	global_load_dword v0, v0, s[16:17] offset:160
	s_waitcnt vmcnt(0)
	v_readfirstlane_b32 s0, v0
	s_add_i32 s0, s0, -1
	s_cmp_eq_u32 s0, 40
	s_cbranch_scc1 .LBB45_300
; %bb.299:
	s_lshl_b32 s0, s0, 4
	s_add_i32 s0, s0, 16
	scratch_load_dwordx4 v[0:3], off, s0
	scratch_load_dwordx4 v[4:7], off, s13
	s_waitcnt vmcnt(1)
	scratch_store_dwordx4 off, v[0:3], s13
	s_waitcnt vmcnt(1)
	scratch_store_dwordx4 off, v[4:7], s0
.LBB45_300:
	;; [unrolled: 33-line block ×21, first 2 shown]
	v_mov_b32_e32 v0, 0
	global_load_dword v1, v0, s[16:17] offset:4
	s_waitcnt vmcnt(0)
	v_readfirstlane_b32 s0, v1
	s_add_i32 s0, s0, -1
	s_cmp_eq_u32 s0, 1
	s_cbranch_scc1 .LBB45_378
; %bb.377:
	s_lshl_b32 s0, s0, 4
	s_add_i32 s0, s0, 16
	scratch_load_dwordx4 v[2:5], off, s0
	scratch_load_dwordx4 v[6:9], off, s25
	s_waitcnt vmcnt(1)
	scratch_store_dwordx4 off, v[2:5], s25
	s_waitcnt vmcnt(1)
	scratch_store_dwordx4 off, v[6:9], s0
.LBB45_378:
	global_load_dword v0, v0, s[16:17]
	s_waitcnt vmcnt(0)
	v_readfirstlane_b32 s0, v0
	s_add_i32 s0, s0, -1
	s_cmp_eq_u32 s0, 0
	s_cbranch_scc1 .LBB45_380
; %bb.379:
	s_lshl_b32 s0, s0, 4
	s_add_i32 s0, s0, 16
	scratch_load_dwordx4 v[0:3], off, s0
	scratch_load_dwordx4 v[4:7], off, off offset:16
	s_waitcnt vmcnt(1)
	scratch_store_dwordx4 off, v[0:3], off offset:16
	s_waitcnt vmcnt(1)
	scratch_store_dwordx4 off, v[4:7], s0
.LBB45_380:
	scratch_load_dwordx4 v[0:3], off, off offset:16
	s_nop 0
	scratch_load_dwordx4 v[4:7], off, s25
	scratch_load_dwordx4 v[8:11], off, s22
	scratch_load_dwordx4 v[12:15], off, s23
	scratch_load_dwordx4 v[16:19], off, s24
	scratch_load_dwordx4 v[20:23], off, s26
	scratch_load_dwordx4 v[24:27], off, s60
	scratch_load_dwordx4 v[28:31], off, s61
	scratch_load_dwordx4 v[32:35], off, s27
                                        ; kill: killed $sgpr25
                                        ; kill: killed $sgpr61
                                        ; kill: killed $sgpr60
                                        ; kill: killed $sgpr26
                                        ; kill: killed $sgpr24
                                        ; kill: killed $sgpr23
                                        ; kill: killed $sgpr22
                                        ; kill: killed $sgpr27
	scratch_load_dwordx4 v[36:39], off, s28
	scratch_load_dwordx4 v[40:43], off, s29
	;; [unrolled: 1-line block ×31, first 2 shown]
	v_accvgpr_read_b32 v161, a1
	v_accvgpr_read_b32 v160, a0
	;; [unrolled: 1-line block ×6, first 2 shown]
	s_waitcnt vmcnt(39)
	global_store_dwordx4 v[160:161], v[0:3], off
	s_nop 1
	v_accvgpr_read_b32 v0, a2
	v_accvgpr_read_b32 v1, a3
	s_waitcnt vmcnt(39)
	global_store_dwordx4 v[0:1], v[4:7], off
	scratch_load_dwordx4 v[0:3], off, s12
	s_nop 0
	scratch_load_dwordx4 v[4:7], off, s13
	v_accvgpr_read_b32 v161, a5
	v_accvgpr_read_b32 v160, a4
	s_waitcnt vmcnt(41)
	global_store_dwordx4 v[160:161], v[8:11], off
	scratch_load_dwordx4 v[8:11], off, s14
	s_nop 0
	scratch_load_dwordx4 v[160:163], off, s15
	s_waitcnt vmcnt(43)
	global_store_dwordx4 v[164:165], v[12:15], off
	scratch_load_dwordx4 v[12:15], off, s20
	s_nop 0
	scratch_load_dwordx4 v[164:167], off, s21
	s_waitcnt vmcnt(45)
	global_store_dwordx4 v[168:169], v[16:19], off
	s_nop 1
	v_accvgpr_read_b32 v17, a11
	v_accvgpr_read_b32 v16, a10
	s_waitcnt vmcnt(45)
	global_store_dwordx4 v[16:17], v[20:23], off
	v_accvgpr_read_b32 v17, a13
	v_accvgpr_read_b32 v16, a12
	s_waitcnt vmcnt(45)
	global_store_dwordx4 v[16:17], v[24:27], off
	;; [unrolled: 4-line block ×35, first 2 shown]
	s_nop 1
	v_accvgpr_read_b32 v0, a80
	v_accvgpr_read_b32 v1, a81
	s_waitcnt vmcnt(42)
	global_store_dwordx4 v[0:1], v[4:7], off
	v_accvgpr_read_b32 v0, a82
	v_accvgpr_read_b32 v1, a83
	s_waitcnt vmcnt(41)
	global_store_dwordx4 v[0:1], v[8:11], off
	;; [unrolled: 4-line block ×5, first 2 shown]
	v_accvgpr_read_b32 v0, a90
	v_accvgpr_read_b32 v1, a91
	global_store_dwordx4 v[0:1], v[156:159], off
	s_endpgm
	.section	.rodata,"a",@progbits
	.p2align	6, 0x0
	.amdhsa_kernel _ZN9rocsolver6v33100L18getri_kernel_smallILi46E19rocblas_complex_numIdEPS3_EEvT1_iilPiilS6_bb
		.amdhsa_group_segment_fixed_size 1480
		.amdhsa_private_segment_fixed_size 768
		.amdhsa_kernarg_size 60
		.amdhsa_user_sgpr_count 2
		.amdhsa_user_sgpr_dispatch_ptr 0
		.amdhsa_user_sgpr_queue_ptr 0
		.amdhsa_user_sgpr_kernarg_segment_ptr 1
		.amdhsa_user_sgpr_dispatch_id 0
		.amdhsa_user_sgpr_kernarg_preload_length 0
		.amdhsa_user_sgpr_kernarg_preload_offset 0
		.amdhsa_user_sgpr_private_segment_size 0
		.amdhsa_uses_dynamic_stack 0
		.amdhsa_enable_private_segment 1
		.amdhsa_system_sgpr_workgroup_id_x 1
		.amdhsa_system_sgpr_workgroup_id_y 0
		.amdhsa_system_sgpr_workgroup_id_z 0
		.amdhsa_system_sgpr_workgroup_info 0
		.amdhsa_system_vgpr_workitem_id 0
		.amdhsa_next_free_vgpr 368
		.amdhsa_next_free_sgpr 62
		.amdhsa_accum_offset 256
		.amdhsa_reserve_vcc 1
		.amdhsa_float_round_mode_32 0
		.amdhsa_float_round_mode_16_64 0
		.amdhsa_float_denorm_mode_32 3
		.amdhsa_float_denorm_mode_16_64 3
		.amdhsa_dx10_clamp 1
		.amdhsa_ieee_mode 1
		.amdhsa_fp16_overflow 0
		.amdhsa_tg_split 0
		.amdhsa_exception_fp_ieee_invalid_op 0
		.amdhsa_exception_fp_denorm_src 0
		.amdhsa_exception_fp_ieee_div_zero 0
		.amdhsa_exception_fp_ieee_overflow 0
		.amdhsa_exception_fp_ieee_underflow 0
		.amdhsa_exception_fp_ieee_inexact 0
		.amdhsa_exception_int_div_zero 0
	.end_amdhsa_kernel
	.section	.text._ZN9rocsolver6v33100L18getri_kernel_smallILi46E19rocblas_complex_numIdEPS3_EEvT1_iilPiilS6_bb,"axG",@progbits,_ZN9rocsolver6v33100L18getri_kernel_smallILi46E19rocblas_complex_numIdEPS3_EEvT1_iilPiilS6_bb,comdat
.Lfunc_end45:
	.size	_ZN9rocsolver6v33100L18getri_kernel_smallILi46E19rocblas_complex_numIdEPS3_EEvT1_iilPiilS6_bb, .Lfunc_end45-_ZN9rocsolver6v33100L18getri_kernel_smallILi46E19rocblas_complex_numIdEPS3_EEvT1_iilPiilS6_bb
                                        ; -- End function
	.set _ZN9rocsolver6v33100L18getri_kernel_smallILi46E19rocblas_complex_numIdEPS3_EEvT1_iilPiilS6_bb.num_vgpr, 256
	.set _ZN9rocsolver6v33100L18getri_kernel_smallILi46E19rocblas_complex_numIdEPS3_EEvT1_iilPiilS6_bb.num_agpr, 112
	.set _ZN9rocsolver6v33100L18getri_kernel_smallILi46E19rocblas_complex_numIdEPS3_EEvT1_iilPiilS6_bb.numbered_sgpr, 62
	.set _ZN9rocsolver6v33100L18getri_kernel_smallILi46E19rocblas_complex_numIdEPS3_EEvT1_iilPiilS6_bb.num_named_barrier, 0
	.set _ZN9rocsolver6v33100L18getri_kernel_smallILi46E19rocblas_complex_numIdEPS3_EEvT1_iilPiilS6_bb.private_seg_size, 768
	.set _ZN9rocsolver6v33100L18getri_kernel_smallILi46E19rocblas_complex_numIdEPS3_EEvT1_iilPiilS6_bb.uses_vcc, 1
	.set _ZN9rocsolver6v33100L18getri_kernel_smallILi46E19rocblas_complex_numIdEPS3_EEvT1_iilPiilS6_bb.uses_flat_scratch, 0
	.set _ZN9rocsolver6v33100L18getri_kernel_smallILi46E19rocblas_complex_numIdEPS3_EEvT1_iilPiilS6_bb.has_dyn_sized_stack, 0
	.set _ZN9rocsolver6v33100L18getri_kernel_smallILi46E19rocblas_complex_numIdEPS3_EEvT1_iilPiilS6_bb.has_recursion, 0
	.set _ZN9rocsolver6v33100L18getri_kernel_smallILi46E19rocblas_complex_numIdEPS3_EEvT1_iilPiilS6_bb.has_indirect_call, 0
	.section	.AMDGPU.csdata,"",@progbits
; Kernel info:
; codeLenInByte = 90632
; TotalNumSgprs: 68
; NumVgprs: 256
; NumAgprs: 112
; TotalNumVgprs: 368
; ScratchSize: 768
; MemoryBound: 0
; FloatMode: 240
; IeeeMode: 1
; LDSByteSize: 1480 bytes/workgroup (compile time only)
; SGPRBlocks: 8
; VGPRBlocks: 45
; NumSGPRsForWavesPerEU: 68
; NumVGPRsForWavesPerEU: 368
; AccumOffset: 256
; Occupancy: 1
; WaveLimiterHint : 1
; COMPUTE_PGM_RSRC2:SCRATCH_EN: 1
; COMPUTE_PGM_RSRC2:USER_SGPR: 2
; COMPUTE_PGM_RSRC2:TRAP_HANDLER: 0
; COMPUTE_PGM_RSRC2:TGID_X_EN: 1
; COMPUTE_PGM_RSRC2:TGID_Y_EN: 0
; COMPUTE_PGM_RSRC2:TGID_Z_EN: 0
; COMPUTE_PGM_RSRC2:TIDIG_COMP_CNT: 0
; COMPUTE_PGM_RSRC3_GFX90A:ACCUM_OFFSET: 63
; COMPUTE_PGM_RSRC3_GFX90A:TG_SPLIT: 0
	.section	.text._ZN9rocsolver6v33100L18getri_kernel_smallILi47E19rocblas_complex_numIdEPS3_EEvT1_iilPiilS6_bb,"axG",@progbits,_ZN9rocsolver6v33100L18getri_kernel_smallILi47E19rocblas_complex_numIdEPS3_EEvT1_iilPiilS6_bb,comdat
	.globl	_ZN9rocsolver6v33100L18getri_kernel_smallILi47E19rocblas_complex_numIdEPS3_EEvT1_iilPiilS6_bb ; -- Begin function _ZN9rocsolver6v33100L18getri_kernel_smallILi47E19rocblas_complex_numIdEPS3_EEvT1_iilPiilS6_bb
	.p2align	8
	.type	_ZN9rocsolver6v33100L18getri_kernel_smallILi47E19rocblas_complex_numIdEPS3_EEvT1_iilPiilS6_bb,@function
_ZN9rocsolver6v33100L18getri_kernel_smallILi47E19rocblas_complex_numIdEPS3_EEvT1_iilPiilS6_bb: ; @_ZN9rocsolver6v33100L18getri_kernel_smallILi47E19rocblas_complex_numIdEPS3_EEvT1_iilPiilS6_bb
; %bb.0:
	v_mov_b32_e32 v250, v0
	v_cmp_gt_u32_e32 vcc, 47, v250
	s_and_saveexec_b64 s[4:5], vcc
	s_cbranch_execz .LBB46_202
; %bb.1:
	s_load_dword s8, s[0:1], 0x38
	s_load_dwordx4 s[12:15], s[0:1], 0x10
	s_load_dwordx4 s[4:7], s[0:1], 0x28
                                        ; implicit-def: $sgpr16_sgpr17
	s_waitcnt lgkmcnt(0)
	s_bitcmp1_b32 s8, 8
	s_cselect_b64 s[18:19], -1, 0
	s_ashr_i32 s3, s2, 31
	s_bfe_u32 s8, s8, 0x10008
	s_cmp_eq_u32 s8, 0
	s_cbranch_scc1 .LBB46_3
; %bb.2:
	s_load_dword s8, s[0:1], 0x20
	s_mul_i32 s9, s4, s3
	s_mul_hi_u32 s10, s4, s2
	s_mul_i32 s5, s5, s2
	s_add_i32 s10, s10, s9
	s_add_i32 s5, s10, s5
	s_mul_i32 s4, s4, s2
	s_waitcnt lgkmcnt(0)
	s_ashr_i32 s9, s8, 31
	s_lshl_b64 s[4:5], s[4:5], 2
	s_add_u32 s10, s14, s4
	s_addc_u32 s11, s15, s5
	s_lshl_b64 s[4:5], s[8:9], 2
	s_add_u32 s16, s10, s4
	s_addc_u32 s17, s11, s5
.LBB46_3:
	s_load_dwordx4 s[8:11], s[0:1], 0x0
	s_load_dword s4, s[0:1], 0x38
	s_mul_i32 s5, s12, s3
	s_mul_hi_u32 s14, s12, s2
	s_add_i32 s5, s14, s5
	s_waitcnt lgkmcnt(0)
	s_ashr_i32 s1, s10, 31
	s_mov_b32 s0, s10
	s_mul_i32 s10, s13, s2
	s_add_i32 s13, s5, s10
	s_mul_i32 s12, s12, s2
	s_lshl_b64 s[12:13], s[12:13], 4
	s_add_u32 s5, s8, s12
	s_addc_u32 s8, s9, s13
	s_lshl_b64 s[0:1], s[0:1], 4
	s_add_u32 s0, s5, s0
	s_addc_u32 s1, s8, s1
	v_lshlrev_b32_e32 v54, 4, v250
	v_mov_b32_e32 v55, 0
	s_add_i32 s5, s11, s11
	v_lshl_add_u64 v[0:1], s[0:1], 0, v[54:55]
	v_add_u32_e32 v2, s5, v250
	s_ashr_i32 s9, s11, 31
	s_mov_b32 s8, s11
	v_accvgpr_write_b32 a0, v0
	v_ashrrev_i32_e32 v3, 31, v2
	v_accvgpr_write_b32 a1, v1
	v_lshl_add_u64 v[0:1], s[8:9], 4, v[0:1]
	v_lshl_add_u64 v[4:5], v[2:3], 4, s[0:1]
	v_add_u32_e32 v2, s11, v2
	v_accvgpr_write_b32 a3, v1
	v_ashrrev_i32_e32 v3, 31, v2
	global_load_dwordx4 v[34:37], v54, s[0:1]
	global_load_dwordx4 v[38:41], v[0:1], off
	v_accvgpr_write_b32 a2, v0
	v_lshl_add_u64 v[0:1], v[2:3], 4, s[0:1]
	v_add_u32_e32 v2, s11, v2
	v_accvgpr_write_b32 a4, v4
	v_ashrrev_i32_e32 v3, 31, v2
	v_accvgpr_write_b32 a5, v5
	global_load_dwordx4 v[42:45], v[4:5], off
	global_load_dwordx4 v[46:49], v[0:1], off
	v_lshl_add_u64 v[4:5], v[2:3], 4, s[0:1]
	v_add_u32_e32 v2, s11, v2
	v_accvgpr_write_b32 a7, v1
	v_ashrrev_i32_e32 v3, 31, v2
	v_accvgpr_write_b32 a6, v0
	v_lshl_add_u64 v[0:1], v[2:3], 4, s[0:1]
	v_add_u32_e32 v2, s11, v2
	v_accvgpr_write_b32 a9, v5
	v_ashrrev_i32_e32 v3, 31, v2
	v_accvgpr_write_b32 a8, v4
	global_load_dwordx4 v[50:53], v[4:5], off
	global_load_dwordx4 v[56:59], v[0:1], off
	v_lshl_add_u64 v[4:5], v[2:3], 4, s[0:1]
	v_add_u32_e32 v2, s11, v2
	v_accvgpr_write_b32 a11, v1
	v_ashrrev_i32_e32 v3, 31, v2
	v_accvgpr_write_b32 a10, v0
	v_lshl_add_u64 v[0:1], v[2:3], 4, s[0:1]
	v_add_u32_e32 v2, s11, v2
	v_accvgpr_write_b32 a13, v5
	global_load_dwordx4 v[60:63], v[4:5], off
	global_load_dwordx4 v[64:67], v[0:1], off
	v_ashrrev_i32_e32 v3, 31, v2
	v_accvgpr_write_b32 a12, v4
	v_lshl_add_u64 v[4:5], v[2:3], 4, s[0:1]
	global_load_dwordx4 v[68:71], v[4:5], off
	v_accvgpr_write_b32 a17, v5
	v_add_u32_e32 v2, s11, v2
	v_accvgpr_write_b32 a16, v4
	v_add_u32_e32 v4, s11, v2
	v_add_u32_e32 v10, s11, v4
	v_accvgpr_write_b32 a15, v1
	v_ashrrev_i32_e32 v3, 31, v2
	v_ashrrev_i32_e32 v5, 31, v4
	v_add_u32_e32 v12, s11, v10
	v_accvgpr_write_b32 a14, v0
	v_lshl_add_u64 v[0:1], v[2:3], 4, s[0:1]
	v_lshl_add_u64 v[6:7], v[4:5], 4, s[0:1]
	v_add_u32_e32 v18, s11, v12
	v_ashrrev_i32_e32 v11, 31, v10
	v_accvgpr_write_b32 a19, v1
	v_accvgpr_write_b32 a21, v7
	v_ashrrev_i32_e32 v13, 31, v12
	v_add_u32_e32 v20, s11, v18
	v_accvgpr_write_b32 a18, v0
	global_load_dwordx4 v[2:5], v[0:1], off
	v_accvgpr_write_b32 a20, v6
	global_load_dwordx4 v[6:9], v[6:7], off
	v_lshl_add_u64 v[0:1], v[10:11], 4, s[0:1]
	v_lshl_add_u64 v[14:15], v[12:13], 4, s[0:1]
	v_add_u32_e32 v26, s11, v20
	v_ashrrev_i32_e32 v19, 31, v18
	v_accvgpr_write_b32 a23, v1
	v_accvgpr_write_b32 a25, v15
	v_ashrrev_i32_e32 v21, 31, v20
	v_add_u32_e32 v28, s11, v26
	v_accvgpr_write_b32 a22, v0
	global_load_dwordx4 v[10:13], v[0:1], off
	v_accvgpr_write_b32 a24, v14
	global_load_dwordx4 v[14:17], v[14:15], off
	v_lshl_add_u64 v[0:1], v[18:19], 4, s[0:1]
	v_lshl_add_u64 v[22:23], v[20:21], 4, s[0:1]
	v_ashrrev_i32_e32 v29, 31, v28
	v_ashrrev_i32_e32 v27, 31, v26
	v_accvgpr_write_b32 a27, v1
	v_accvgpr_write_b32 a29, v23
	v_add_u32_e32 v72, s11, v28
	v_lshl_add_u64 v[30:31], v[28:29], 4, s[0:1]
	v_accvgpr_write_b32 a26, v0
	global_load_dwordx4 v[18:21], v[0:1], off
	v_accvgpr_write_b32 a28, v22
	global_load_dwordx4 v[22:25], v[22:23], off
	v_lshl_add_u64 v[0:1], v[26:27], 4, s[0:1]
	v_add_u32_e32 v74, s11, v72
	v_accvgpr_write_b32 a33, v31
	global_load_dwordx4 v[26:29], v[0:1], off
	v_accvgpr_write_b32 a32, v30
	global_load_dwordx4 v[30:33], v[30:31], off
	s_waitcnt vmcnt(16)
	scratch_store_dwordx4 off, v[34:37], off offset:16
	s_waitcnt vmcnt(16)
	scratch_store_dwordx4 off, v[38:41], off offset:32
	;; [unrolled: 2-line block ×9, first 2 shown]
	v_add_u32_e32 v42, s11, v74
	v_add_u32_e32 v50, s11, v42
	v_ashrrev_i32_e32 v51, 31, v50
	v_lshl_add_u64 v[46:47], v[50:51], 4, s[0:1]
	v_add_u32_e32 v50, s11, v50
	v_ashrrev_i32_e32 v73, 31, v72
	v_accvgpr_write_b32 a31, v1
	v_add_u32_e32 v60, s11, v50
	v_accvgpr_write_b32 a30, v0
	v_lshl_add_u64 v[0:1], v[72:73], 4, s[0:1]
	v_ashrrev_i32_e32 v61, 31, v60
	v_accvgpr_write_b32 a35, v1
	v_ashrrev_i32_e32 v43, 31, v42
	v_accvgpr_write_b32 a40, v46
	v_lshl_add_u64 v[56:57], v[60:61], 4, s[0:1]
	v_add_u32_e32 v60, s11, v60
	v_accvgpr_write_b32 a34, v0
	global_load_dwordx4 v[34:37], v[0:1], off
	v_accvgpr_write_b32 a41, v47
	global_load_dwordx4 v[46:49], v[46:47], off
	v_lshl_add_u64 v[0:1], v[42:43], 4, s[0:1]
	v_add_u32_e32 v68, s11, v60
	v_accvgpr_write_b32 a39, v1
	v_ashrrev_i32_e32 v51, 31, v50
	v_accvgpr_write_b32 a44, v56
	v_ashrrev_i32_e32 v69, 31, v68
	v_ashrrev_i32_e32 v75, 31, v74
	v_accvgpr_write_b32 a38, v0
	global_load_dwordx4 v[42:45], v[0:1], off
	v_accvgpr_write_b32 a45, v57
	global_load_dwordx4 v[56:59], v[56:57], off
	v_lshl_add_u64 v[0:1], v[50:51], 4, s[0:1]
	v_lshl_add_u64 v[64:65], v[68:69], 4, s[0:1]
	v_add_u32_e32 v68, s11, v68
	v_lshl_add_u64 v[72:73], v[74:75], 4, s[0:1]
	v_accvgpr_write_b32 a43, v1
	v_ashrrev_i32_e32 v61, 31, v60
	v_accvgpr_write_b32 a48, v64
	v_add_u32_e32 v76, s11, v68
	v_accvgpr_write_b32 a36, v72
	v_accvgpr_write_b32 a42, v0
	global_load_dwordx4 v[50:53], v[0:1], off
	v_accvgpr_write_b32 a49, v65
	global_load_dwordx4 v[64:67], v[64:65], off
	v_lshl_add_u64 v[0:1], v[60:61], 4, s[0:1]
	v_ashrrev_i32_e32 v77, 31, v76
	v_accvgpr_write_b32 a37, v73
	global_load_dwordx4 v[38:41], v[72:73], off
	global_load_dwordx4 v[60:63], v[0:1], off
	v_lshl_add_u64 v[72:73], v[76:77], 4, s[0:1]
	v_add_u32_e32 v76, s11, v76
	v_add_u32_e32 v84, s11, v76
	v_ashrrev_i32_e32 v85, 31, v84
	v_lshl_add_u64 v[80:81], v[84:85], 4, s[0:1]
	v_add_u32_e32 v84, s11, v84
	v_add_u32_e32 v92, s11, v84
	v_ashrrev_i32_e32 v93, 31, v92
	v_lshl_add_u64 v[88:89], v[92:93], 4, s[0:1]
	v_add_u32_e32 v92, s11, v92
	v_add_u32_e32 v100, s11, v92
	v_accvgpr_write_b32 a47, v1
	v_ashrrev_i32_e32 v69, 31, v68
	v_ashrrev_i32_e32 v101, 31, v100
	v_accvgpr_write_b32 a46, v0
	v_lshl_add_u64 v[0:1], v[68:69], 4, s[0:1]
	v_lshl_add_u64 v[96:97], v[100:101], 4, s[0:1]
	v_add_u32_e32 v100, s11, v100
	v_accvgpr_write_b32 a51, v1
	v_accvgpr_write_b32 a52, v72
	v_ashrrev_i32_e32 v77, 31, v76
	v_add_u32_e32 v108, s11, v100
	v_accvgpr_write_b32 a50, v0
	global_load_dwordx4 v[68:71], v[0:1], off
	v_accvgpr_write_b32 a53, v73
	global_load_dwordx4 v[72:75], v[72:73], off
	v_lshl_add_u64 v[0:1], v[76:77], 4, s[0:1]
	v_ashrrev_i32_e32 v109, 31, v108
	v_accvgpr_write_b32 a55, v1
	v_accvgpr_write_b32 a56, v80
	v_ashrrev_i32_e32 v85, 31, v84
	v_lshl_add_u64 v[104:105], v[108:109], 4, s[0:1]
	v_add_u32_e32 v108, s11, v108
	v_accvgpr_write_b32 a54, v0
	global_load_dwordx4 v[76:79], v[0:1], off
	v_accvgpr_write_b32 a57, v81
	global_load_dwordx4 v[80:83], v[80:81], off
	v_lshl_add_u64 v[0:1], v[84:85], 4, s[0:1]
	v_add_u32_e32 v116, s11, v108
	v_accvgpr_write_b32 a59, v1
	v_accvgpr_write_b32 a60, v88
	v_ashrrev_i32_e32 v93, 31, v92
	v_ashrrev_i32_e32 v117, 31, v116
	v_accvgpr_write_b32 a58, v0
	global_load_dwordx4 v[84:87], v[0:1], off
	v_accvgpr_write_b32 a61, v89
	global_load_dwordx4 v[88:91], v[88:89], off
	v_lshl_add_u64 v[0:1], v[92:93], 4, s[0:1]
	v_lshl_add_u64 v[112:113], v[116:117], 4, s[0:1]
	v_add_u32_e32 v116, s11, v116
	v_accvgpr_write_b32 a63, v1
	v_accvgpr_write_b32 a64, v96
	v_ashrrev_i32_e32 v101, 31, v100
	v_add_u32_e32 v124, s11, v116
	v_accvgpr_write_b32 a62, v0
	global_load_dwordx4 v[92:95], v[0:1], off
	v_accvgpr_write_b32 a65, v97
	global_load_dwordx4 v[96:99], v[96:97], off
	v_lshl_add_u64 v[0:1], v[100:101], 4, s[0:1]
	v_ashrrev_i32_e32 v125, 31, v124
	v_accvgpr_write_b32 a67, v1
	v_accvgpr_write_b32 a68, v104
	v_ashrrev_i32_e32 v109, 31, v108
	v_lshl_add_u64 v[120:121], v[124:125], 4, s[0:1]
	v_add_u32_e32 v124, s11, v124
	v_accvgpr_write_b32 a66, v0
	global_load_dwordx4 v[100:103], v[0:1], off
	v_accvgpr_write_b32 a69, v105
	global_load_dwordx4 v[104:107], v[104:105], off
	v_lshl_add_u64 v[0:1], v[108:109], 4, s[0:1]
	v_add_u32_e32 v132, s11, v124
	v_accvgpr_write_b32 a71, v1
	v_accvgpr_write_b32 a72, v112
	v_ashrrev_i32_e32 v117, 31, v116
	v_ashrrev_i32_e32 v133, 31, v132
	v_accvgpr_write_b32 a70, v0
	global_load_dwordx4 v[108:111], v[0:1], off
	v_accvgpr_write_b32 a73, v113
	global_load_dwordx4 v[112:115], v[112:113], off
	;; [unrolled: 32-line block ×3, first 2 shown]
	v_lshl_add_u64 v[0:1], v[140:141], 4, s[0:1]
	v_lshl_add_u64 v[144:145], v[148:149], 4, s[0:1]
	v_add_u32_e32 v148, s11, v148
	v_accvgpr_write_b32 a87, v1
	v_accvgpr_write_b32 a88, v144
	v_ashrrev_i32_e32 v149, 31, v148
	v_accvgpr_write_b32 a86, v0
	global_load_dwordx4 v[140:143], v[0:1], off
	v_accvgpr_write_b32 a89, v145
	global_load_dwordx4 v[144:147], v[144:145], off
	v_lshl_add_u64 v[0:1], v[148:149], 4, s[0:1]
	v_add_u32_e32 v148, s11, v148
	v_ashrrev_i32_e32 v149, 31, v148
	v_lshl_add_u64 v[152:153], v[148:149], 4, s[0:1]
	global_load_dwordx4 v[148:151], v[0:1], off
	v_accvgpr_write_b32 a92, v152
	s_movk_i32 s0, 0x50
	v_accvgpr_write_b32 a93, v153
	global_load_dwordx4 v[152:155], v[152:153], off
	s_add_i32 s26, s0, 16
	s_movk_i32 s0, 0x60
	s_add_i32 s61, s0, 16
	s_movk_i32 s0, 0x70
	;; [unrolled: 2-line block ×41, first 2 shown]
	v_accvgpr_write_b32 a91, v1
	s_add_i32 s15, s0, 16
	v_accvgpr_write_b32 a90, v0
	s_mov_b32 s23, 32
	s_mov_b32 s12, 48
	;; [unrolled: 1-line block ×3, first 2 shown]
	s_movk_i32 s20, 0x50
	s_bitcmp0_b32 s4, 0
	s_mov_b64 s[4:5], -1
	s_waitcnt vmcnt(46)
	scratch_store_dwordx4 off, v[2:5], off offset:160
	s_waitcnt vmcnt(46)
	scratch_store_dwordx4 off, v[6:9], off offset:176
	;; [unrolled: 2-line block ×10, first 2 shown]
	scratch_store_dwordx4 off, v[42:45], off offset:320
	scratch_store_dwordx4 off, v[46:49], off offset:336
	;; [unrolled: 1-line block ×4, first 2 shown]
	s_waitcnt vmcnt(36)
	scratch_store_dwordx4 off, v[60:63], off offset:384
	scratch_store_dwordx4 off, v[64:67], off offset:400
	s_waitcnt vmcnt(37)
	scratch_store_dwordx4 off, v[68:71], off offset:416
	s_waitcnt vmcnt(37)
	scratch_store_dwordx4 off, v[72:75], off offset:432
	s_waitcnt vmcnt(37)
	scratch_store_dwordx4 off, v[76:79], off offset:448
	s_waitcnt vmcnt(37)
	scratch_store_dwordx4 off, v[80:83], off offset:464
	s_waitcnt vmcnt(37)
	scratch_store_dwordx4 off, v[84:87], off offset:480
	s_waitcnt vmcnt(37)
	scratch_store_dwordx4 off, v[88:91], off offset:496
	s_waitcnt vmcnt(37)
	scratch_store_dwordx4 off, v[92:95], off offset:512
	s_waitcnt vmcnt(37)
	scratch_store_dwordx4 off, v[96:99], off offset:528
	s_waitcnt vmcnt(37)
	scratch_store_dwordx4 off, v[100:103], off offset:544
	s_waitcnt vmcnt(37)
	scratch_store_dwordx4 off, v[104:107], off offset:560
	s_waitcnt vmcnt(37)
	scratch_store_dwordx4 off, v[108:111], off offset:576
	s_waitcnt vmcnt(37)
	scratch_store_dwordx4 off, v[112:115], off offset:592
	s_waitcnt vmcnt(37)
	scratch_store_dwordx4 off, v[116:119], off offset:608
	s_waitcnt vmcnt(37)
	scratch_store_dwordx4 off, v[120:123], off offset:624
	s_waitcnt vmcnt(37)
	scratch_store_dwordx4 off, v[124:127], off offset:640
	s_waitcnt vmcnt(37)
	scratch_store_dwordx4 off, v[128:131], off offset:656
	s_waitcnt vmcnt(37)
	scratch_store_dwordx4 off, v[132:135], off offset:672
	s_waitcnt vmcnt(37)
	scratch_store_dwordx4 off, v[136:139], off offset:688
	s_waitcnt vmcnt(37)
	scratch_store_dwordx4 off, v[140:143], off offset:704
	s_waitcnt vmcnt(37)
	scratch_store_dwordx4 off, v[144:147], off offset:720
	s_waitcnt vmcnt(37)
	scratch_store_dwordx4 off, v[148:151], off offset:736
	s_waitcnt vmcnt(37)
	scratch_store_dwordx4 off, v[152:155], off offset:752
	s_cbranch_scc1 .LBB46_200
; %bb.4:
	v_cmp_eq_u32_e64 s[0:1], 0, v250
	s_and_saveexec_b64 s[4:5], s[0:1]
; %bb.5:
	v_mov_b32_e32 v0, 0
	ds_write_b32 v0, v0 offset:1504
; %bb.6:
	s_or_b64 exec, exec, s[4:5]
	s_waitcnt lgkmcnt(0)
	; wave barrier
	scratch_load_dwordx4 v[2:5], v54, off offset:16
	s_waitcnt vmcnt(0)
	v_cmp_eq_f64_e32 vcc, 0, v[2:3]
	v_cmp_eq_f64_e64 s[4:5], 0, v[4:5]
	s_and_b64 s[4:5], vcc, s[4:5]
	s_and_saveexec_b64 s[8:9], s[4:5]
	s_cbranch_execz .LBB46_10
; %bb.7:
	v_mov_b32_e32 v1, 0
	ds_read_b32 v0, v1 offset:1504
	v_add_u32_e32 v2, 1, v250
	s_waitcnt lgkmcnt(0)
	v_readfirstlane_b32 s4, v0
	s_cmp_eq_u32 s4, 0
	s_cselect_b64 s[10:11], -1, 0
	v_cmp_gt_i32_e32 vcc, s4, v2
	s_or_b64 s[10:11], s[10:11], vcc
	s_and_b64 exec, exec, s[10:11]
	s_cbranch_execz .LBB46_10
; %bb.8:
	s_mov_b64 s[10:11], 0
	v_mov_b32_e32 v3, s4
.LBB46_9:                               ; =>This Inner Loop Header: Depth=1
	ds_cmpst_rtn_b32 v3, v1, v3, v2 offset:1504
	s_waitcnt lgkmcnt(0)
	v_cmp_ne_u32_e32 vcc, 0, v3
	v_cmp_le_i32_e64 s[4:5], v3, v2
	s_and_b64 s[4:5], vcc, s[4:5]
	s_and_b64 s[4:5], exec, s[4:5]
	s_or_b64 s[10:11], s[4:5], s[10:11]
	s_andn2_b64 exec, exec, s[10:11]
	s_cbranch_execnz .LBB46_9
.LBB46_10:
	s_or_b64 exec, exec, s[8:9]
	v_mov_b32_e32 v2, 0
	; wave barrier
	ds_read_b32 v1, v2 offset:1504
	s_and_saveexec_b64 s[4:5], s[0:1]
	s_cbranch_execz .LBB46_12
; %bb.11:
	s_lshl_b64 s[8:9], s[2:3], 2
	s_add_u32 s8, s6, s8
	s_addc_u32 s9, s7, s9
	s_waitcnt lgkmcnt(0)
	global_store_dword v2, v1, s[8:9]
.LBB46_12:
	s_or_b64 exec, exec, s[4:5]
	s_waitcnt lgkmcnt(0)
	v_cmp_ne_u32_e32 vcc, 0, v1
	s_mov_b64 s[4:5], 0
	s_cbranch_vccnz .LBB46_200
; %bb.13:
	v_add_u32_e32 v14, 16, v54
	scratch_load_dwordx4 v[2:5], v14, off
                                        ; implicit-def: $vgpr6_vgpr7
                                        ; implicit-def: $vgpr10_vgpr11
	s_waitcnt vmcnt(0)
	v_cmp_ngt_f64_e64 s[4:5], |v[2:3]|, |v[4:5]|
	s_and_saveexec_b64 s[8:9], s[4:5]
	s_xor_b64 s[4:5], exec, s[8:9]
	s_cbranch_execz .LBB46_15
; %bb.14:
	v_div_scale_f64 v[6:7], s[8:9], v[4:5], v[4:5], v[2:3]
	v_rcp_f64_e32 v[8:9], v[6:7]
	v_div_scale_f64 v[10:11], vcc, v[2:3], v[4:5], v[2:3]
	v_fma_f64 v[12:13], -v[6:7], v[8:9], 1.0
	v_fmac_f64_e32 v[8:9], v[8:9], v[12:13]
	v_fma_f64 v[12:13], -v[6:7], v[8:9], 1.0
	v_fmac_f64_e32 v[8:9], v[8:9], v[12:13]
	v_mul_f64 v[12:13], v[10:11], v[8:9]
	v_fma_f64 v[6:7], -v[6:7], v[12:13], v[10:11]
	v_div_fmas_f64 v[6:7], v[6:7], v[8:9], v[12:13]
	v_div_fixup_f64 v[6:7], v[6:7], v[4:5], v[2:3]
	v_fmac_f64_e32 v[4:5], v[2:3], v[6:7]
	v_div_scale_f64 v[2:3], s[8:9], v[4:5], v[4:5], 1.0
	v_rcp_f64_e32 v[8:9], v[2:3]
	s_nop 0
	v_fma_f64 v[10:11], -v[2:3], v[8:9], 1.0
	v_fmac_f64_e32 v[8:9], v[8:9], v[10:11]
	v_fma_f64 v[10:11], -v[2:3], v[8:9], 1.0
	v_fmac_f64_e32 v[8:9], v[8:9], v[10:11]
	v_div_scale_f64 v[10:11], vcc, 1.0, v[4:5], 1.0
	v_mul_f64 v[12:13], v[10:11], v[8:9]
	v_fma_f64 v[2:3], -v[2:3], v[12:13], v[10:11]
	s_nop 1
	v_div_fmas_f64 v[2:3], v[2:3], v[8:9], v[12:13]
	v_div_fixup_f64 v[8:9], v[2:3], v[4:5], 1.0
	v_mul_f64 v[6:7], v[6:7], v[8:9]
	v_xor_b32_e32 v9, 0x80000000, v9
	v_xor_b32_e32 v11, 0x80000000, v7
	v_mov_b32_e32 v10, v6
                                        ; implicit-def: $vgpr2_vgpr3
.LBB46_15:
	s_andn2_saveexec_b64 s[4:5], s[4:5]
	s_cbranch_execz .LBB46_17
; %bb.16:
	v_div_scale_f64 v[6:7], s[8:9], v[2:3], v[2:3], v[4:5]
	v_rcp_f64_e32 v[8:9], v[6:7]
	v_div_scale_f64 v[10:11], vcc, v[4:5], v[2:3], v[4:5]
	v_fma_f64 v[12:13], -v[6:7], v[8:9], 1.0
	v_fmac_f64_e32 v[8:9], v[8:9], v[12:13]
	v_fma_f64 v[12:13], -v[6:7], v[8:9], 1.0
	v_fmac_f64_e32 v[8:9], v[8:9], v[12:13]
	v_mul_f64 v[12:13], v[10:11], v[8:9]
	v_fma_f64 v[6:7], -v[6:7], v[12:13], v[10:11]
	v_div_fmas_f64 v[6:7], v[6:7], v[8:9], v[12:13]
	v_div_fixup_f64 v[8:9], v[6:7], v[2:3], v[4:5]
	v_fmac_f64_e32 v[2:3], v[4:5], v[8:9]
	v_div_scale_f64 v[4:5], s[8:9], v[2:3], v[2:3], 1.0
	v_rcp_f64_e32 v[6:7], v[4:5]
	s_nop 0
	v_fma_f64 v[10:11], -v[4:5], v[6:7], 1.0
	v_fmac_f64_e32 v[6:7], v[6:7], v[10:11]
	v_fma_f64 v[10:11], -v[4:5], v[6:7], 1.0
	v_fmac_f64_e32 v[6:7], v[6:7], v[10:11]
	v_div_scale_f64 v[10:11], vcc, 1.0, v[2:3], 1.0
	v_mul_f64 v[12:13], v[10:11], v[6:7]
	v_fma_f64 v[4:5], -v[4:5], v[12:13], v[10:11]
	s_nop 1
	v_div_fmas_f64 v[4:5], v[4:5], v[6:7], v[12:13]
	v_div_fixup_f64 v[6:7], v[4:5], v[2:3], 1.0
	v_xor_b32_e32 v11, 0x80000000, v7
	v_mov_b32_e32 v10, v6
	v_mul_f64 v[8:9], v[8:9], -v[6:7]
.LBB46_17:
	s_or_b64 exec, exec, s[4:5]
	scratch_store_dwordx4 v14, v[6:9], off
	scratch_load_dwordx4 v[2:5], off, s23
	v_xor_b32_e32 v13, 0x80000000, v9
	v_mov_b32_e32 v12, v8
	v_add_u32_e32 v1, 0x2f0, v54
	ds_write_b128 v54, v[10:13]
	s_waitcnt vmcnt(0)
	ds_write_b128 v54, v[2:5] offset:752
	s_waitcnt lgkmcnt(0)
	; wave barrier
	s_and_saveexec_b64 s[4:5], s[0:1]
	s_cbranch_execz .LBB46_19
; %bb.18:
	scratch_load_dwordx4 v[2:5], v14, off
	ds_read_b128 v[6:9], v1
	v_mov_b32_e32 v0, 0
	ds_read_b128 v[10:13], v0 offset:16
	s_waitcnt vmcnt(0) lgkmcnt(1)
	v_mul_f64 v[16:17], v[8:9], v[4:5]
	v_mul_f64 v[4:5], v[6:7], v[4:5]
	v_fma_f64 v[6:7], v[6:7], v[2:3], -v[16:17]
	v_fmac_f64_e32 v[4:5], v[8:9], v[2:3]
	v_add_f64 v[2:3], v[6:7], 0
	v_add_f64 v[6:7], v[4:5], 0
	s_waitcnt lgkmcnt(0)
	v_mul_f64 v[8:9], v[6:7], v[12:13]
	v_mul_f64 v[4:5], v[2:3], v[12:13]
	v_fma_f64 v[2:3], v[2:3], v[10:11], -v[8:9]
	v_fmac_f64_e32 v[4:5], v[6:7], v[10:11]
	scratch_store_dwordx4 off, v[2:5], off offset:32
.LBB46_19:
	s_or_b64 exec, exec, s[4:5]
	; wave barrier
	scratch_load_dwordx4 v[2:5], off, s12
	v_cmp_gt_u32_e32 vcc, 2, v250
	s_waitcnt vmcnt(0)
	ds_write_b128 v1, v[2:5]
	s_waitcnt lgkmcnt(0)
	; wave barrier
	s_and_saveexec_b64 s[4:5], vcc
	s_cbranch_execz .LBB46_23
; %bb.20:
	scratch_load_dwordx4 v[2:5], v14, off
	ds_read_b128 v[6:9], v1
	s_waitcnt vmcnt(0) lgkmcnt(0)
	v_mul_f64 v[10:11], v[8:9], v[4:5]
	v_mul_f64 v[12:13], v[6:7], v[4:5]
	v_fma_f64 v[4:5], v[6:7], v[2:3], -v[10:11]
	v_fmac_f64_e32 v[12:13], v[8:9], v[2:3]
	v_add_f64 v[4:5], v[4:5], 0
	v_add_f64 v[2:3], v[12:13], 0
	s_and_saveexec_b64 s[8:9], s[0:1]
	s_cbranch_execz .LBB46_22
; %bb.21:
	scratch_load_dwordx4 v[6:9], off, off offset:32
	v_mov_b32_e32 v0, 0
	ds_read_b128 v[10:13], v0 offset:768
	s_waitcnt vmcnt(0) lgkmcnt(0)
	v_mul_f64 v[14:15], v[10:11], v[8:9]
	v_mul_f64 v[8:9], v[12:13], v[8:9]
	v_fmac_f64_e32 v[14:15], v[12:13], v[6:7]
	v_fma_f64 v[6:7], v[10:11], v[6:7], -v[8:9]
	v_add_f64 v[2:3], v[2:3], v[14:15]
	v_add_f64 v[4:5], v[4:5], v[6:7]
.LBB46_22:
	s_or_b64 exec, exec, s[8:9]
	v_mov_b32_e32 v0, 0
	ds_read_b128 v[6:9], v0 offset:32
	s_waitcnt lgkmcnt(0)
	v_mul_f64 v[12:13], v[2:3], v[8:9]
	v_mul_f64 v[10:11], v[4:5], v[8:9]
	v_fma_f64 v[8:9], v[4:5], v[6:7], -v[12:13]
	v_fmac_f64_e32 v[10:11], v[2:3], v[6:7]
	scratch_store_dwordx4 off, v[8:11], off offset:48
.LBB46_23:
	s_or_b64 exec, exec, s[4:5]
	; wave barrier
	scratch_load_dwordx4 v[2:5], off, s13
	v_cmp_gt_u32_e32 vcc, 3, v250
	v_add_u32_e32 v6, -1, v250
	s_waitcnt vmcnt(0)
	ds_write_b128 v1, v[2:5]
	s_waitcnt lgkmcnt(0)
	; wave barrier
	s_and_saveexec_b64 s[0:1], vcc
	s_cbranch_execz .LBB46_27
; %bb.24:
	v_add_u32_e32 v7, -1, v250
	v_add_u32_e32 v8, 0x2f0, v54
	v_add_u32_e32 v9, 16, v54
	v_mov_b64_e32 v[2:3], 0
	s_mov_b64 s[4:5], 0
	v_mov_b64_e32 v[4:5], 0
.LBB46_25:                              ; =>This Inner Loop Header: Depth=1
	scratch_load_dwordx4 v[10:13], v9, off
	ds_read_b128 v[14:17], v8
	v_add_u32_e32 v7, 1, v7
	v_cmp_lt_u32_e32 vcc, 1, v7
	v_add_u32_e32 v8, 16, v8
	v_add_u32_e32 v9, 16, v9
	s_or_b64 s[4:5], vcc, s[4:5]
	s_waitcnt vmcnt(0) lgkmcnt(0)
	v_mul_f64 v[18:19], v[16:17], v[12:13]
	v_mul_f64 v[12:13], v[14:15], v[12:13]
	v_fma_f64 v[14:15], v[14:15], v[10:11], -v[18:19]
	v_fmac_f64_e32 v[12:13], v[16:17], v[10:11]
	v_add_f64 v[4:5], v[4:5], v[14:15]
	v_add_f64 v[2:3], v[2:3], v[12:13]
	s_andn2_b64 exec, exec, s[4:5]
	s_cbranch_execnz .LBB46_25
; %bb.26:
	s_or_b64 exec, exec, s[4:5]
	v_mov_b32_e32 v0, 0
	ds_read_b128 v[8:11], v0 offset:48
	s_waitcnt lgkmcnt(0)
	v_mul_f64 v[14:15], v[2:3], v[10:11]
	v_mul_f64 v[12:13], v[4:5], v[10:11]
	v_fma_f64 v[10:11], v[4:5], v[8:9], -v[14:15]
	v_fmac_f64_e32 v[12:13], v[2:3], v[8:9]
	scratch_store_dwordx4 off, v[10:13], off offset:64
.LBB46_27:
	s_or_b64 exec, exec, s[0:1]
	; wave barrier
	scratch_load_dwordx4 v[2:5], off, s20
	v_cmp_gt_u32_e32 vcc, 4, v250
	s_waitcnt vmcnt(0)
	ds_write_b128 v1, v[2:5]
	s_waitcnt lgkmcnt(0)
	; wave barrier
	s_and_saveexec_b64 s[0:1], vcc
	s_cbranch_execz .LBB46_31
; %bb.28:
	v_add_u32_e32 v7, -1, v250
	v_add_u32_e32 v8, 0x2f0, v54
	v_add_u32_e32 v9, 16, v54
	v_mov_b64_e32 v[2:3], 0
	s_mov_b64 s[4:5], 0
	v_mov_b64_e32 v[4:5], 0
.LBB46_29:                              ; =>This Inner Loop Header: Depth=1
	scratch_load_dwordx4 v[10:13], v9, off
	ds_read_b128 v[14:17], v8
	v_add_u32_e32 v7, 1, v7
	v_cmp_lt_u32_e32 vcc, 2, v7
	v_add_u32_e32 v8, 16, v8
	v_add_u32_e32 v9, 16, v9
	s_or_b64 s[4:5], vcc, s[4:5]
	s_waitcnt vmcnt(0) lgkmcnt(0)
	v_mul_f64 v[18:19], v[16:17], v[12:13]
	v_mul_f64 v[12:13], v[14:15], v[12:13]
	v_fma_f64 v[14:15], v[14:15], v[10:11], -v[18:19]
	v_fmac_f64_e32 v[12:13], v[16:17], v[10:11]
	v_add_f64 v[4:5], v[4:5], v[14:15]
	v_add_f64 v[2:3], v[2:3], v[12:13]
	s_andn2_b64 exec, exec, s[4:5]
	s_cbranch_execnz .LBB46_29
; %bb.30:
	s_or_b64 exec, exec, s[4:5]
	v_mov_b32_e32 v0, 0
	ds_read_b128 v[8:11], v0 offset:64
	s_waitcnt lgkmcnt(0)
	v_mul_f64 v[14:15], v[2:3], v[10:11]
	v_mul_f64 v[12:13], v[4:5], v[10:11]
	v_fma_f64 v[10:11], v[4:5], v[8:9], -v[14:15]
	v_fmac_f64_e32 v[12:13], v[2:3], v[8:9]
	scratch_store_dwordx4 off, v[10:13], off offset:80
.LBB46_31:
	s_or_b64 exec, exec, s[0:1]
	; wave barrier
	scratch_load_dwordx4 v[2:5], off, s26
	v_cmp_gt_u32_e32 vcc, 5, v250
	s_waitcnt vmcnt(0)
	ds_write_b128 v1, v[2:5]
	s_waitcnt lgkmcnt(0)
	; wave barrier
	s_and_saveexec_b64 s[0:1], vcc
	s_cbranch_execz .LBB46_35
; %bb.32:
	v_add_u32_e32 v7, -1, v250
	v_add_u32_e32 v8, 0x2f0, v54
	v_add_u32_e32 v9, 16, v54
	v_mov_b64_e32 v[2:3], 0
	s_mov_b64 s[4:5], 0
	v_mov_b64_e32 v[4:5], 0
.LBB46_33:                              ; =>This Inner Loop Header: Depth=1
	scratch_load_dwordx4 v[10:13], v9, off
	ds_read_b128 v[14:17], v8
	v_add_u32_e32 v7, 1, v7
	v_cmp_lt_u32_e32 vcc, 3, v7
	v_add_u32_e32 v8, 16, v8
	v_add_u32_e32 v9, 16, v9
	s_or_b64 s[4:5], vcc, s[4:5]
	s_waitcnt vmcnt(0) lgkmcnt(0)
	v_mul_f64 v[18:19], v[16:17], v[12:13]
	v_mul_f64 v[12:13], v[14:15], v[12:13]
	v_fma_f64 v[14:15], v[14:15], v[10:11], -v[18:19]
	v_fmac_f64_e32 v[12:13], v[16:17], v[10:11]
	v_add_f64 v[4:5], v[4:5], v[14:15]
	v_add_f64 v[2:3], v[2:3], v[12:13]
	s_andn2_b64 exec, exec, s[4:5]
	s_cbranch_execnz .LBB46_33
; %bb.34:
	s_or_b64 exec, exec, s[4:5]
	v_mov_b32_e32 v0, 0
	ds_read_b128 v[8:11], v0 offset:80
	s_waitcnt lgkmcnt(0)
	v_mul_f64 v[14:15], v[2:3], v[10:11]
	v_mul_f64 v[12:13], v[4:5], v[10:11]
	v_fma_f64 v[10:11], v[4:5], v[8:9], -v[14:15]
	v_fmac_f64_e32 v[12:13], v[2:3], v[8:9]
	scratch_store_dwordx4 off, v[10:13], off offset:96
.LBB46_35:
	s_or_b64 exec, exec, s[0:1]
	; wave barrier
	scratch_load_dwordx4 v[2:5], off, s61
	v_cmp_gt_u32_e32 vcc, 6, v250
	s_waitcnt vmcnt(0)
	ds_write_b128 v1, v[2:5]
	s_waitcnt lgkmcnt(0)
	; wave barrier
	s_and_saveexec_b64 s[0:1], vcc
	s_cbranch_execz .LBB46_39
; %bb.36:
	v_add_u32_e32 v7, -1, v250
	v_add_u32_e32 v8, 0x2f0, v54
	v_add_u32_e32 v9, 16, v54
	v_mov_b64_e32 v[2:3], 0
	s_mov_b64 s[4:5], 0
	v_mov_b64_e32 v[4:5], 0
.LBB46_37:                              ; =>This Inner Loop Header: Depth=1
	scratch_load_dwordx4 v[10:13], v9, off
	ds_read_b128 v[14:17], v8
	v_add_u32_e32 v7, 1, v7
	v_cmp_lt_u32_e32 vcc, 4, v7
	v_add_u32_e32 v8, 16, v8
	v_add_u32_e32 v9, 16, v9
	s_or_b64 s[4:5], vcc, s[4:5]
	s_waitcnt vmcnt(0) lgkmcnt(0)
	v_mul_f64 v[18:19], v[16:17], v[12:13]
	v_mul_f64 v[12:13], v[14:15], v[12:13]
	v_fma_f64 v[14:15], v[14:15], v[10:11], -v[18:19]
	v_fmac_f64_e32 v[12:13], v[16:17], v[10:11]
	v_add_f64 v[4:5], v[4:5], v[14:15]
	v_add_f64 v[2:3], v[2:3], v[12:13]
	s_andn2_b64 exec, exec, s[4:5]
	s_cbranch_execnz .LBB46_37
; %bb.38:
	s_or_b64 exec, exec, s[4:5]
	v_mov_b32_e32 v0, 0
	ds_read_b128 v[8:11], v0 offset:96
	s_waitcnt lgkmcnt(0)
	v_mul_f64 v[14:15], v[2:3], v[10:11]
	v_mul_f64 v[12:13], v[4:5], v[10:11]
	v_fma_f64 v[10:11], v[4:5], v[8:9], -v[14:15]
	v_fmac_f64_e32 v[12:13], v[2:3], v[8:9]
	scratch_store_dwordx4 off, v[10:13], off offset:112
.LBB46_39:
	s_or_b64 exec, exec, s[0:1]
	; wave barrier
	scratch_load_dwordx4 v[2:5], off, s62
	v_cmp_gt_u32_e32 vcc, 7, v250
	s_waitcnt vmcnt(0)
	ds_write_b128 v1, v[2:5]
	s_waitcnt lgkmcnt(0)
	; wave barrier
	s_and_saveexec_b64 s[0:1], vcc
	s_cbranch_execz .LBB46_43
; %bb.40:
	v_add_u32_e32 v7, -1, v250
	v_add_u32_e32 v8, 0x2f0, v54
	v_add_u32_e32 v9, 16, v54
	v_mov_b64_e32 v[2:3], 0
	s_mov_b64 s[4:5], 0
	v_mov_b64_e32 v[4:5], 0
.LBB46_41:                              ; =>This Inner Loop Header: Depth=1
	scratch_load_dwordx4 v[10:13], v9, off
	ds_read_b128 v[14:17], v8
	v_add_u32_e32 v7, 1, v7
	v_cmp_lt_u32_e32 vcc, 5, v7
	v_add_u32_e32 v8, 16, v8
	v_add_u32_e32 v9, 16, v9
	s_or_b64 s[4:5], vcc, s[4:5]
	s_waitcnt vmcnt(0) lgkmcnt(0)
	v_mul_f64 v[18:19], v[16:17], v[12:13]
	v_mul_f64 v[12:13], v[14:15], v[12:13]
	v_fma_f64 v[14:15], v[14:15], v[10:11], -v[18:19]
	v_fmac_f64_e32 v[12:13], v[16:17], v[10:11]
	v_add_f64 v[4:5], v[4:5], v[14:15]
	v_add_f64 v[2:3], v[2:3], v[12:13]
	s_andn2_b64 exec, exec, s[4:5]
	s_cbranch_execnz .LBB46_41
; %bb.42:
	s_or_b64 exec, exec, s[4:5]
	v_mov_b32_e32 v0, 0
	ds_read_b128 v[8:11], v0 offset:112
	s_waitcnt lgkmcnt(0)
	v_mul_f64 v[14:15], v[2:3], v[10:11]
	v_mul_f64 v[12:13], v[4:5], v[10:11]
	v_fma_f64 v[10:11], v[4:5], v[8:9], -v[14:15]
	v_fmac_f64_e32 v[12:13], v[2:3], v[8:9]
	scratch_store_dwordx4 off, v[10:13], off offset:128
.LBB46_43:
	s_or_b64 exec, exec, s[0:1]
	; wave barrier
	scratch_load_dwordx4 v[2:5], off, s29
	v_cmp_gt_u32_e32 vcc, 8, v250
	s_waitcnt vmcnt(0)
	ds_write_b128 v1, v[2:5]
	s_waitcnt lgkmcnt(0)
	; wave barrier
	s_and_saveexec_b64 s[0:1], vcc
	s_cbranch_execz .LBB46_47
; %bb.44:
	v_add_u32_e32 v7, -1, v250
	v_add_u32_e32 v8, 0x2f0, v54
	v_add_u32_e32 v9, 16, v54
	v_mov_b64_e32 v[2:3], 0
	s_mov_b64 s[4:5], 0
	v_mov_b64_e32 v[4:5], 0
.LBB46_45:                              ; =>This Inner Loop Header: Depth=1
	scratch_load_dwordx4 v[10:13], v9, off
	ds_read_b128 v[14:17], v8
	v_add_u32_e32 v7, 1, v7
	v_cmp_lt_u32_e32 vcc, 6, v7
	v_add_u32_e32 v8, 16, v8
	v_add_u32_e32 v9, 16, v9
	s_or_b64 s[4:5], vcc, s[4:5]
	s_waitcnt vmcnt(0) lgkmcnt(0)
	v_mul_f64 v[18:19], v[16:17], v[12:13]
	v_mul_f64 v[12:13], v[14:15], v[12:13]
	v_fma_f64 v[14:15], v[14:15], v[10:11], -v[18:19]
	v_fmac_f64_e32 v[12:13], v[16:17], v[10:11]
	v_add_f64 v[4:5], v[4:5], v[14:15]
	v_add_f64 v[2:3], v[2:3], v[12:13]
	s_andn2_b64 exec, exec, s[4:5]
	s_cbranch_execnz .LBB46_45
; %bb.46:
	s_or_b64 exec, exec, s[4:5]
	v_mov_b32_e32 v0, 0
	ds_read_b128 v[8:11], v0 offset:128
	s_waitcnt lgkmcnt(0)
	v_mul_f64 v[14:15], v[2:3], v[10:11]
	v_mul_f64 v[12:13], v[4:5], v[10:11]
	v_fma_f64 v[10:11], v[4:5], v[8:9], -v[14:15]
	v_fmac_f64_e32 v[12:13], v[2:3], v[8:9]
	scratch_store_dwordx4 off, v[10:13], off offset:144
.LBB46_47:
	s_or_b64 exec, exec, s[0:1]
	; wave barrier
	scratch_load_dwordx4 v[2:5], off, s30
	v_cmp_gt_u32_e32 vcc, 9, v250
	s_waitcnt vmcnt(0)
	ds_write_b128 v1, v[2:5]
	s_waitcnt lgkmcnt(0)
	; wave barrier
	s_and_saveexec_b64 s[0:1], vcc
	s_cbranch_execz .LBB46_51
; %bb.48:
	v_add_u32_e32 v7, -1, v250
	v_add_u32_e32 v8, 0x2f0, v54
	v_add_u32_e32 v9, 16, v54
	v_mov_b64_e32 v[2:3], 0
	s_mov_b64 s[4:5], 0
	v_mov_b64_e32 v[4:5], 0
.LBB46_49:                              ; =>This Inner Loop Header: Depth=1
	scratch_load_dwordx4 v[10:13], v9, off
	ds_read_b128 v[14:17], v8
	v_add_u32_e32 v7, 1, v7
	v_cmp_lt_u32_e32 vcc, 7, v7
	v_add_u32_e32 v8, 16, v8
	v_add_u32_e32 v9, 16, v9
	s_or_b64 s[4:5], vcc, s[4:5]
	s_waitcnt vmcnt(0) lgkmcnt(0)
	v_mul_f64 v[18:19], v[16:17], v[12:13]
	v_mul_f64 v[12:13], v[14:15], v[12:13]
	v_fma_f64 v[14:15], v[14:15], v[10:11], -v[18:19]
	v_fmac_f64_e32 v[12:13], v[16:17], v[10:11]
	v_add_f64 v[4:5], v[4:5], v[14:15]
	v_add_f64 v[2:3], v[2:3], v[12:13]
	s_andn2_b64 exec, exec, s[4:5]
	s_cbranch_execnz .LBB46_49
; %bb.50:
	s_or_b64 exec, exec, s[4:5]
	v_mov_b32_e32 v0, 0
	ds_read_b128 v[8:11], v0 offset:144
	s_waitcnt lgkmcnt(0)
	v_mul_f64 v[14:15], v[2:3], v[10:11]
	v_mul_f64 v[12:13], v[4:5], v[10:11]
	v_fma_f64 v[10:11], v[4:5], v[8:9], -v[14:15]
	v_fmac_f64_e32 v[12:13], v[2:3], v[8:9]
	scratch_store_dwordx4 off, v[10:13], off offset:160
.LBB46_51:
	s_or_b64 exec, exec, s[0:1]
	; wave barrier
	scratch_load_dwordx4 v[2:5], off, s31
	v_cmp_gt_u32_e32 vcc, 10, v250
	s_waitcnt vmcnt(0)
	ds_write_b128 v1, v[2:5]
	s_waitcnt lgkmcnt(0)
	; wave barrier
	s_and_saveexec_b64 s[0:1], vcc
	s_cbranch_execz .LBB46_55
; %bb.52:
	v_add_u32_e32 v7, -1, v250
	v_add_u32_e32 v8, 0x2f0, v54
	v_add_u32_e32 v9, 16, v54
	v_mov_b64_e32 v[2:3], 0
	s_mov_b64 s[4:5], 0
	v_mov_b64_e32 v[4:5], 0
.LBB46_53:                              ; =>This Inner Loop Header: Depth=1
	scratch_load_dwordx4 v[10:13], v9, off
	ds_read_b128 v[14:17], v8
	v_add_u32_e32 v7, 1, v7
	v_cmp_lt_u32_e32 vcc, 8, v7
	v_add_u32_e32 v8, 16, v8
	v_add_u32_e32 v9, 16, v9
	s_or_b64 s[4:5], vcc, s[4:5]
	s_waitcnt vmcnt(0) lgkmcnt(0)
	v_mul_f64 v[18:19], v[16:17], v[12:13]
	v_mul_f64 v[12:13], v[14:15], v[12:13]
	v_fma_f64 v[14:15], v[14:15], v[10:11], -v[18:19]
	v_fmac_f64_e32 v[12:13], v[16:17], v[10:11]
	v_add_f64 v[4:5], v[4:5], v[14:15]
	v_add_f64 v[2:3], v[2:3], v[12:13]
	s_andn2_b64 exec, exec, s[4:5]
	s_cbranch_execnz .LBB46_53
; %bb.54:
	s_or_b64 exec, exec, s[4:5]
	v_mov_b32_e32 v0, 0
	ds_read_b128 v[8:11], v0 offset:160
	s_waitcnt lgkmcnt(0)
	v_mul_f64 v[14:15], v[2:3], v[10:11]
	v_mul_f64 v[12:13], v[4:5], v[10:11]
	v_fma_f64 v[10:11], v[4:5], v[8:9], -v[14:15]
	v_fmac_f64_e32 v[12:13], v[2:3], v[8:9]
	scratch_store_dwordx4 off, v[10:13], off offset:176
.LBB46_55:
	s_or_b64 exec, exec, s[0:1]
	; wave barrier
	scratch_load_dwordx4 v[2:5], off, s33
	v_cmp_gt_u32_e32 vcc, 11, v250
	s_waitcnt vmcnt(0)
	ds_write_b128 v1, v[2:5]
	s_waitcnt lgkmcnt(0)
	; wave barrier
	s_and_saveexec_b64 s[0:1], vcc
	s_cbranch_execz .LBB46_59
; %bb.56:
	v_add_u32_e32 v7, -1, v250
	v_add_u32_e32 v8, 0x2f0, v54
	v_add_u32_e32 v9, 16, v54
	v_mov_b64_e32 v[2:3], 0
	s_mov_b64 s[4:5], 0
	v_mov_b64_e32 v[4:5], 0
.LBB46_57:                              ; =>This Inner Loop Header: Depth=1
	scratch_load_dwordx4 v[10:13], v9, off
	ds_read_b128 v[14:17], v8
	v_add_u32_e32 v7, 1, v7
	v_cmp_lt_u32_e32 vcc, 9, v7
	v_add_u32_e32 v8, 16, v8
	v_add_u32_e32 v9, 16, v9
	s_or_b64 s[4:5], vcc, s[4:5]
	s_waitcnt vmcnt(0) lgkmcnt(0)
	v_mul_f64 v[18:19], v[16:17], v[12:13]
	v_mul_f64 v[12:13], v[14:15], v[12:13]
	v_fma_f64 v[14:15], v[14:15], v[10:11], -v[18:19]
	v_fmac_f64_e32 v[12:13], v[16:17], v[10:11]
	v_add_f64 v[4:5], v[4:5], v[14:15]
	v_add_f64 v[2:3], v[2:3], v[12:13]
	s_andn2_b64 exec, exec, s[4:5]
	s_cbranch_execnz .LBB46_57
; %bb.58:
	s_or_b64 exec, exec, s[4:5]
	v_mov_b32_e32 v0, 0
	ds_read_b128 v[8:11], v0 offset:176
	s_waitcnt lgkmcnt(0)
	v_mul_f64 v[14:15], v[2:3], v[10:11]
	v_mul_f64 v[12:13], v[4:5], v[10:11]
	v_fma_f64 v[10:11], v[4:5], v[8:9], -v[14:15]
	v_fmac_f64_e32 v[12:13], v[2:3], v[8:9]
	scratch_store_dwordx4 off, v[10:13], off offset:192
.LBB46_59:
	s_or_b64 exec, exec, s[0:1]
	; wave barrier
	scratch_load_dwordx4 v[2:5], off, s34
	v_cmp_gt_u32_e32 vcc, 12, v250
	s_waitcnt vmcnt(0)
	ds_write_b128 v1, v[2:5]
	s_waitcnt lgkmcnt(0)
	; wave barrier
	s_and_saveexec_b64 s[0:1], vcc
	s_cbranch_execz .LBB46_63
; %bb.60:
	v_add_u32_e32 v7, -1, v250
	v_add_u32_e32 v8, 0x2f0, v54
	v_add_u32_e32 v9, 16, v54
	v_mov_b64_e32 v[2:3], 0
	s_mov_b64 s[4:5], 0
	v_mov_b64_e32 v[4:5], 0
.LBB46_61:                              ; =>This Inner Loop Header: Depth=1
	scratch_load_dwordx4 v[10:13], v9, off
	ds_read_b128 v[14:17], v8
	v_add_u32_e32 v7, 1, v7
	v_cmp_lt_u32_e32 vcc, 10, v7
	v_add_u32_e32 v8, 16, v8
	v_add_u32_e32 v9, 16, v9
	s_or_b64 s[4:5], vcc, s[4:5]
	s_waitcnt vmcnt(0) lgkmcnt(0)
	v_mul_f64 v[18:19], v[16:17], v[12:13]
	v_mul_f64 v[12:13], v[14:15], v[12:13]
	v_fma_f64 v[14:15], v[14:15], v[10:11], -v[18:19]
	v_fmac_f64_e32 v[12:13], v[16:17], v[10:11]
	v_add_f64 v[4:5], v[4:5], v[14:15]
	v_add_f64 v[2:3], v[2:3], v[12:13]
	s_andn2_b64 exec, exec, s[4:5]
	s_cbranch_execnz .LBB46_61
; %bb.62:
	s_or_b64 exec, exec, s[4:5]
	v_mov_b32_e32 v0, 0
	ds_read_b128 v[8:11], v0 offset:192
	s_waitcnt lgkmcnt(0)
	v_mul_f64 v[14:15], v[2:3], v[10:11]
	v_mul_f64 v[12:13], v[4:5], v[10:11]
	v_fma_f64 v[10:11], v[4:5], v[8:9], -v[14:15]
	v_fmac_f64_e32 v[12:13], v[2:3], v[8:9]
	scratch_store_dwordx4 off, v[10:13], off offset:208
.LBB46_63:
	s_or_b64 exec, exec, s[0:1]
	; wave barrier
	scratch_load_dwordx4 v[2:5], off, s35
	v_cmp_gt_u32_e32 vcc, 13, v250
	s_waitcnt vmcnt(0)
	ds_write_b128 v1, v[2:5]
	s_waitcnt lgkmcnt(0)
	; wave barrier
	s_and_saveexec_b64 s[0:1], vcc
	s_cbranch_execz .LBB46_67
; %bb.64:
	v_add_u32_e32 v7, -1, v250
	v_add_u32_e32 v8, 0x2f0, v54
	v_add_u32_e32 v9, 16, v54
	v_mov_b64_e32 v[2:3], 0
	s_mov_b64 s[4:5], 0
	v_mov_b64_e32 v[4:5], 0
.LBB46_65:                              ; =>This Inner Loop Header: Depth=1
	scratch_load_dwordx4 v[10:13], v9, off
	ds_read_b128 v[14:17], v8
	v_add_u32_e32 v7, 1, v7
	v_cmp_lt_u32_e32 vcc, 11, v7
	v_add_u32_e32 v8, 16, v8
	v_add_u32_e32 v9, 16, v9
	s_or_b64 s[4:5], vcc, s[4:5]
	s_waitcnt vmcnt(0) lgkmcnt(0)
	v_mul_f64 v[18:19], v[16:17], v[12:13]
	v_mul_f64 v[12:13], v[14:15], v[12:13]
	v_fma_f64 v[14:15], v[14:15], v[10:11], -v[18:19]
	v_fmac_f64_e32 v[12:13], v[16:17], v[10:11]
	v_add_f64 v[4:5], v[4:5], v[14:15]
	v_add_f64 v[2:3], v[2:3], v[12:13]
	s_andn2_b64 exec, exec, s[4:5]
	s_cbranch_execnz .LBB46_65
; %bb.66:
	s_or_b64 exec, exec, s[4:5]
	v_mov_b32_e32 v0, 0
	ds_read_b128 v[8:11], v0 offset:208
	s_waitcnt lgkmcnt(0)
	v_mul_f64 v[14:15], v[2:3], v[10:11]
	v_mul_f64 v[12:13], v[4:5], v[10:11]
	v_fma_f64 v[10:11], v[4:5], v[8:9], -v[14:15]
	v_fmac_f64_e32 v[12:13], v[2:3], v[8:9]
	scratch_store_dwordx4 off, v[10:13], off offset:224
.LBB46_67:
	s_or_b64 exec, exec, s[0:1]
	; wave barrier
	scratch_load_dwordx4 v[2:5], off, s36
	v_cmp_gt_u32_e32 vcc, 14, v250
	s_waitcnt vmcnt(0)
	ds_write_b128 v1, v[2:5]
	s_waitcnt lgkmcnt(0)
	; wave barrier
	s_and_saveexec_b64 s[0:1], vcc
	s_cbranch_execz .LBB46_71
; %bb.68:
	v_add_u32_e32 v7, -1, v250
	v_add_u32_e32 v8, 0x2f0, v54
	v_add_u32_e32 v9, 16, v54
	v_mov_b64_e32 v[2:3], 0
	s_mov_b64 s[4:5], 0
	v_mov_b64_e32 v[4:5], 0
.LBB46_69:                              ; =>This Inner Loop Header: Depth=1
	scratch_load_dwordx4 v[10:13], v9, off
	ds_read_b128 v[14:17], v8
	v_add_u32_e32 v7, 1, v7
	v_cmp_lt_u32_e32 vcc, 12, v7
	v_add_u32_e32 v8, 16, v8
	v_add_u32_e32 v9, 16, v9
	s_or_b64 s[4:5], vcc, s[4:5]
	s_waitcnt vmcnt(0) lgkmcnt(0)
	v_mul_f64 v[18:19], v[16:17], v[12:13]
	v_mul_f64 v[12:13], v[14:15], v[12:13]
	v_fma_f64 v[14:15], v[14:15], v[10:11], -v[18:19]
	v_fmac_f64_e32 v[12:13], v[16:17], v[10:11]
	v_add_f64 v[4:5], v[4:5], v[14:15]
	v_add_f64 v[2:3], v[2:3], v[12:13]
	s_andn2_b64 exec, exec, s[4:5]
	s_cbranch_execnz .LBB46_69
; %bb.70:
	s_or_b64 exec, exec, s[4:5]
	v_mov_b32_e32 v0, 0
	ds_read_b128 v[8:11], v0 offset:224
	s_waitcnt lgkmcnt(0)
	v_mul_f64 v[14:15], v[2:3], v[10:11]
	v_mul_f64 v[12:13], v[4:5], v[10:11]
	v_fma_f64 v[10:11], v[4:5], v[8:9], -v[14:15]
	v_fmac_f64_e32 v[12:13], v[2:3], v[8:9]
	scratch_store_dwordx4 off, v[10:13], off offset:240
.LBB46_71:
	s_or_b64 exec, exec, s[0:1]
	; wave barrier
	scratch_load_dwordx4 v[2:5], off, s37
	v_cmp_gt_u32_e32 vcc, 15, v250
	s_waitcnt vmcnt(0)
	ds_write_b128 v1, v[2:5]
	s_waitcnt lgkmcnt(0)
	; wave barrier
	s_and_saveexec_b64 s[0:1], vcc
	s_cbranch_execz .LBB46_75
; %bb.72:
	v_add_u32_e32 v7, -1, v250
	v_add_u32_e32 v8, 0x2f0, v54
	v_add_u32_e32 v9, 16, v54
	v_mov_b64_e32 v[2:3], 0
	s_mov_b64 s[4:5], 0
	v_mov_b64_e32 v[4:5], 0
.LBB46_73:                              ; =>This Inner Loop Header: Depth=1
	scratch_load_dwordx4 v[10:13], v9, off
	ds_read_b128 v[14:17], v8
	v_add_u32_e32 v7, 1, v7
	v_cmp_lt_u32_e32 vcc, 13, v7
	v_add_u32_e32 v8, 16, v8
	v_add_u32_e32 v9, 16, v9
	s_or_b64 s[4:5], vcc, s[4:5]
	s_waitcnt vmcnt(0) lgkmcnt(0)
	v_mul_f64 v[18:19], v[16:17], v[12:13]
	v_mul_f64 v[12:13], v[14:15], v[12:13]
	v_fma_f64 v[14:15], v[14:15], v[10:11], -v[18:19]
	v_fmac_f64_e32 v[12:13], v[16:17], v[10:11]
	v_add_f64 v[4:5], v[4:5], v[14:15]
	v_add_f64 v[2:3], v[2:3], v[12:13]
	s_andn2_b64 exec, exec, s[4:5]
	s_cbranch_execnz .LBB46_73
; %bb.74:
	s_or_b64 exec, exec, s[4:5]
	v_mov_b32_e32 v0, 0
	ds_read_b128 v[8:11], v0 offset:240
	s_waitcnt lgkmcnt(0)
	v_mul_f64 v[14:15], v[2:3], v[10:11]
	v_mul_f64 v[12:13], v[4:5], v[10:11]
	v_fma_f64 v[10:11], v[4:5], v[8:9], -v[14:15]
	v_fmac_f64_e32 v[12:13], v[2:3], v[8:9]
	scratch_store_dwordx4 off, v[10:13], off offset:256
.LBB46_75:
	s_or_b64 exec, exec, s[0:1]
	; wave barrier
	scratch_load_dwordx4 v[2:5], off, s38
	v_cmp_gt_u32_e32 vcc, 16, v250
	s_waitcnt vmcnt(0)
	ds_write_b128 v1, v[2:5]
	s_waitcnt lgkmcnt(0)
	; wave barrier
	s_and_saveexec_b64 s[0:1], vcc
	s_cbranch_execz .LBB46_79
; %bb.76:
	v_add_u32_e32 v7, -1, v250
	v_add_u32_e32 v8, 0x2f0, v54
	v_add_u32_e32 v9, 16, v54
	v_mov_b64_e32 v[2:3], 0
	s_mov_b64 s[4:5], 0
	v_mov_b64_e32 v[4:5], 0
.LBB46_77:                              ; =>This Inner Loop Header: Depth=1
	scratch_load_dwordx4 v[10:13], v9, off
	ds_read_b128 v[14:17], v8
	v_add_u32_e32 v7, 1, v7
	v_cmp_lt_u32_e32 vcc, 14, v7
	v_add_u32_e32 v8, 16, v8
	v_add_u32_e32 v9, 16, v9
	s_or_b64 s[4:5], vcc, s[4:5]
	s_waitcnt vmcnt(0) lgkmcnt(0)
	v_mul_f64 v[18:19], v[16:17], v[12:13]
	v_mul_f64 v[12:13], v[14:15], v[12:13]
	v_fma_f64 v[14:15], v[14:15], v[10:11], -v[18:19]
	v_fmac_f64_e32 v[12:13], v[16:17], v[10:11]
	v_add_f64 v[4:5], v[4:5], v[14:15]
	v_add_f64 v[2:3], v[2:3], v[12:13]
	s_andn2_b64 exec, exec, s[4:5]
	s_cbranch_execnz .LBB46_77
; %bb.78:
	s_or_b64 exec, exec, s[4:5]
	v_mov_b32_e32 v0, 0
	ds_read_b128 v[8:11], v0 offset:256
	s_waitcnt lgkmcnt(0)
	v_mul_f64 v[14:15], v[2:3], v[10:11]
	v_mul_f64 v[12:13], v[4:5], v[10:11]
	v_fma_f64 v[10:11], v[4:5], v[8:9], -v[14:15]
	v_fmac_f64_e32 v[12:13], v[2:3], v[8:9]
	scratch_store_dwordx4 off, v[10:13], off offset:272
.LBB46_79:
	s_or_b64 exec, exec, s[0:1]
	; wave barrier
	scratch_load_dwordx4 v[2:5], off, s39
	v_cmp_gt_u32_e32 vcc, 17, v250
	s_waitcnt vmcnt(0)
	ds_write_b128 v1, v[2:5]
	s_waitcnt lgkmcnt(0)
	; wave barrier
	s_and_saveexec_b64 s[0:1], vcc
	s_cbranch_execz .LBB46_83
; %bb.80:
	v_add_u32_e32 v7, -1, v250
	v_add_u32_e32 v8, 0x2f0, v54
	v_add_u32_e32 v9, 16, v54
	v_mov_b64_e32 v[2:3], 0
	s_mov_b64 s[4:5], 0
	v_mov_b64_e32 v[4:5], 0
.LBB46_81:                              ; =>This Inner Loop Header: Depth=1
	scratch_load_dwordx4 v[10:13], v9, off
	ds_read_b128 v[14:17], v8
	v_add_u32_e32 v7, 1, v7
	v_cmp_lt_u32_e32 vcc, 15, v7
	v_add_u32_e32 v8, 16, v8
	v_add_u32_e32 v9, 16, v9
	s_or_b64 s[4:5], vcc, s[4:5]
	s_waitcnt vmcnt(0) lgkmcnt(0)
	v_mul_f64 v[18:19], v[16:17], v[12:13]
	v_mul_f64 v[12:13], v[14:15], v[12:13]
	v_fma_f64 v[14:15], v[14:15], v[10:11], -v[18:19]
	v_fmac_f64_e32 v[12:13], v[16:17], v[10:11]
	v_add_f64 v[4:5], v[4:5], v[14:15]
	v_add_f64 v[2:3], v[2:3], v[12:13]
	s_andn2_b64 exec, exec, s[4:5]
	s_cbranch_execnz .LBB46_81
; %bb.82:
	s_or_b64 exec, exec, s[4:5]
	v_mov_b32_e32 v0, 0
	ds_read_b128 v[8:11], v0 offset:272
	s_waitcnt lgkmcnt(0)
	v_mul_f64 v[14:15], v[2:3], v[10:11]
	v_mul_f64 v[12:13], v[4:5], v[10:11]
	v_fma_f64 v[10:11], v[4:5], v[8:9], -v[14:15]
	v_fmac_f64_e32 v[12:13], v[2:3], v[8:9]
	scratch_store_dwordx4 off, v[10:13], off offset:288
.LBB46_83:
	s_or_b64 exec, exec, s[0:1]
	; wave barrier
	scratch_load_dwordx4 v[2:5], off, s40
	v_cmp_gt_u32_e32 vcc, 18, v250
	s_waitcnt vmcnt(0)
	ds_write_b128 v1, v[2:5]
	s_waitcnt lgkmcnt(0)
	; wave barrier
	s_and_saveexec_b64 s[0:1], vcc
	s_cbranch_execz .LBB46_87
; %bb.84:
	v_add_u32_e32 v7, -1, v250
	v_add_u32_e32 v8, 0x2f0, v54
	v_add_u32_e32 v9, 16, v54
	v_mov_b64_e32 v[2:3], 0
	s_mov_b64 s[4:5], 0
	v_mov_b64_e32 v[4:5], 0
.LBB46_85:                              ; =>This Inner Loop Header: Depth=1
	scratch_load_dwordx4 v[10:13], v9, off
	ds_read_b128 v[14:17], v8
	v_add_u32_e32 v7, 1, v7
	v_cmp_lt_u32_e32 vcc, 16, v7
	v_add_u32_e32 v8, 16, v8
	v_add_u32_e32 v9, 16, v9
	s_or_b64 s[4:5], vcc, s[4:5]
	s_waitcnt vmcnt(0) lgkmcnt(0)
	v_mul_f64 v[18:19], v[16:17], v[12:13]
	v_mul_f64 v[12:13], v[14:15], v[12:13]
	v_fma_f64 v[14:15], v[14:15], v[10:11], -v[18:19]
	v_fmac_f64_e32 v[12:13], v[16:17], v[10:11]
	v_add_f64 v[4:5], v[4:5], v[14:15]
	v_add_f64 v[2:3], v[2:3], v[12:13]
	s_andn2_b64 exec, exec, s[4:5]
	s_cbranch_execnz .LBB46_85
; %bb.86:
	s_or_b64 exec, exec, s[4:5]
	v_mov_b32_e32 v0, 0
	ds_read_b128 v[8:11], v0 offset:288
	s_waitcnt lgkmcnt(0)
	v_mul_f64 v[14:15], v[2:3], v[10:11]
	v_mul_f64 v[12:13], v[4:5], v[10:11]
	v_fma_f64 v[10:11], v[4:5], v[8:9], -v[14:15]
	v_fmac_f64_e32 v[12:13], v[2:3], v[8:9]
	scratch_store_dwordx4 off, v[10:13], off offset:304
.LBB46_87:
	s_or_b64 exec, exec, s[0:1]
	; wave barrier
	scratch_load_dwordx4 v[2:5], off, s41
	v_cmp_gt_u32_e32 vcc, 19, v250
	s_waitcnt vmcnt(0)
	ds_write_b128 v1, v[2:5]
	s_waitcnt lgkmcnt(0)
	; wave barrier
	s_and_saveexec_b64 s[0:1], vcc
	s_cbranch_execz .LBB46_91
; %bb.88:
	v_add_u32_e32 v7, -1, v250
	v_add_u32_e32 v8, 0x2f0, v54
	v_add_u32_e32 v9, 16, v54
	v_mov_b64_e32 v[2:3], 0
	s_mov_b64 s[4:5], 0
	v_mov_b64_e32 v[4:5], 0
.LBB46_89:                              ; =>This Inner Loop Header: Depth=1
	scratch_load_dwordx4 v[10:13], v9, off
	ds_read_b128 v[14:17], v8
	v_add_u32_e32 v7, 1, v7
	v_cmp_lt_u32_e32 vcc, 17, v7
	v_add_u32_e32 v8, 16, v8
	v_add_u32_e32 v9, 16, v9
	s_or_b64 s[4:5], vcc, s[4:5]
	s_waitcnt vmcnt(0) lgkmcnt(0)
	v_mul_f64 v[18:19], v[16:17], v[12:13]
	v_mul_f64 v[12:13], v[14:15], v[12:13]
	v_fma_f64 v[14:15], v[14:15], v[10:11], -v[18:19]
	v_fmac_f64_e32 v[12:13], v[16:17], v[10:11]
	v_add_f64 v[4:5], v[4:5], v[14:15]
	v_add_f64 v[2:3], v[2:3], v[12:13]
	s_andn2_b64 exec, exec, s[4:5]
	s_cbranch_execnz .LBB46_89
; %bb.90:
	s_or_b64 exec, exec, s[4:5]
	v_mov_b32_e32 v0, 0
	ds_read_b128 v[8:11], v0 offset:304
	s_waitcnt lgkmcnt(0)
	v_mul_f64 v[14:15], v[2:3], v[10:11]
	v_mul_f64 v[12:13], v[4:5], v[10:11]
	v_fma_f64 v[10:11], v[4:5], v[8:9], -v[14:15]
	v_fmac_f64_e32 v[12:13], v[2:3], v[8:9]
	scratch_store_dwordx4 off, v[10:13], off offset:320
.LBB46_91:
	s_or_b64 exec, exec, s[0:1]
	; wave barrier
	scratch_load_dwordx4 v[2:5], off, s42
	v_cmp_gt_u32_e32 vcc, 20, v250
	s_waitcnt vmcnt(0)
	ds_write_b128 v1, v[2:5]
	s_waitcnt lgkmcnt(0)
	; wave barrier
	s_and_saveexec_b64 s[0:1], vcc
	s_cbranch_execz .LBB46_95
; %bb.92:
	v_add_u32_e32 v7, -1, v250
	v_add_u32_e32 v8, 0x2f0, v54
	v_add_u32_e32 v9, 16, v54
	v_mov_b64_e32 v[2:3], 0
	s_mov_b64 s[4:5], 0
	v_mov_b64_e32 v[4:5], 0
.LBB46_93:                              ; =>This Inner Loop Header: Depth=1
	scratch_load_dwordx4 v[10:13], v9, off
	ds_read_b128 v[14:17], v8
	v_add_u32_e32 v7, 1, v7
	v_cmp_lt_u32_e32 vcc, 18, v7
	v_add_u32_e32 v8, 16, v8
	v_add_u32_e32 v9, 16, v9
	s_or_b64 s[4:5], vcc, s[4:5]
	s_waitcnt vmcnt(0) lgkmcnt(0)
	v_mul_f64 v[18:19], v[16:17], v[12:13]
	v_mul_f64 v[12:13], v[14:15], v[12:13]
	v_fma_f64 v[14:15], v[14:15], v[10:11], -v[18:19]
	v_fmac_f64_e32 v[12:13], v[16:17], v[10:11]
	v_add_f64 v[4:5], v[4:5], v[14:15]
	v_add_f64 v[2:3], v[2:3], v[12:13]
	s_andn2_b64 exec, exec, s[4:5]
	s_cbranch_execnz .LBB46_93
; %bb.94:
	s_or_b64 exec, exec, s[4:5]
	v_mov_b32_e32 v0, 0
	ds_read_b128 v[8:11], v0 offset:320
	s_waitcnt lgkmcnt(0)
	v_mul_f64 v[14:15], v[2:3], v[10:11]
	v_mul_f64 v[12:13], v[4:5], v[10:11]
	v_fma_f64 v[10:11], v[4:5], v[8:9], -v[14:15]
	v_fmac_f64_e32 v[12:13], v[2:3], v[8:9]
	scratch_store_dwordx4 off, v[10:13], off offset:336
.LBB46_95:
	s_or_b64 exec, exec, s[0:1]
	; wave barrier
	scratch_load_dwordx4 v[2:5], off, s43
	v_cmp_gt_u32_e32 vcc, 21, v250
	s_waitcnt vmcnt(0)
	ds_write_b128 v1, v[2:5]
	s_waitcnt lgkmcnt(0)
	; wave barrier
	s_and_saveexec_b64 s[0:1], vcc
	s_cbranch_execz .LBB46_99
; %bb.96:
	v_add_u32_e32 v7, -1, v250
	v_add_u32_e32 v8, 0x2f0, v54
	v_add_u32_e32 v9, 16, v54
	v_mov_b64_e32 v[2:3], 0
	s_mov_b64 s[4:5], 0
	v_mov_b64_e32 v[4:5], 0
.LBB46_97:                              ; =>This Inner Loop Header: Depth=1
	scratch_load_dwordx4 v[10:13], v9, off
	ds_read_b128 v[14:17], v8
	v_add_u32_e32 v7, 1, v7
	v_cmp_lt_u32_e32 vcc, 19, v7
	v_add_u32_e32 v8, 16, v8
	v_add_u32_e32 v9, 16, v9
	s_or_b64 s[4:5], vcc, s[4:5]
	s_waitcnt vmcnt(0) lgkmcnt(0)
	v_mul_f64 v[18:19], v[16:17], v[12:13]
	v_mul_f64 v[12:13], v[14:15], v[12:13]
	v_fma_f64 v[14:15], v[14:15], v[10:11], -v[18:19]
	v_fmac_f64_e32 v[12:13], v[16:17], v[10:11]
	v_add_f64 v[4:5], v[4:5], v[14:15]
	v_add_f64 v[2:3], v[2:3], v[12:13]
	s_andn2_b64 exec, exec, s[4:5]
	s_cbranch_execnz .LBB46_97
; %bb.98:
	s_or_b64 exec, exec, s[4:5]
	v_mov_b32_e32 v0, 0
	ds_read_b128 v[8:11], v0 offset:336
	s_waitcnt lgkmcnt(0)
	v_mul_f64 v[14:15], v[2:3], v[10:11]
	v_mul_f64 v[12:13], v[4:5], v[10:11]
	v_fma_f64 v[10:11], v[4:5], v[8:9], -v[14:15]
	v_fmac_f64_e32 v[12:13], v[2:3], v[8:9]
	scratch_store_dwordx4 off, v[10:13], off offset:352
.LBB46_99:
	s_or_b64 exec, exec, s[0:1]
	; wave barrier
	scratch_load_dwordx4 v[2:5], off, s44
	v_cmp_gt_u32_e32 vcc, 22, v250
	s_waitcnt vmcnt(0)
	ds_write_b128 v1, v[2:5]
	s_waitcnt lgkmcnt(0)
	; wave barrier
	s_and_saveexec_b64 s[0:1], vcc
	s_cbranch_execz .LBB46_103
; %bb.100:
	v_add_u32_e32 v7, -1, v250
	v_add_u32_e32 v8, 0x2f0, v54
	v_add_u32_e32 v9, 16, v54
	v_mov_b64_e32 v[2:3], 0
	s_mov_b64 s[4:5], 0
	v_mov_b64_e32 v[4:5], 0
.LBB46_101:                             ; =>This Inner Loop Header: Depth=1
	scratch_load_dwordx4 v[10:13], v9, off
	ds_read_b128 v[14:17], v8
	v_add_u32_e32 v7, 1, v7
	v_cmp_lt_u32_e32 vcc, 20, v7
	v_add_u32_e32 v8, 16, v8
	v_add_u32_e32 v9, 16, v9
	s_or_b64 s[4:5], vcc, s[4:5]
	s_waitcnt vmcnt(0) lgkmcnt(0)
	v_mul_f64 v[18:19], v[16:17], v[12:13]
	v_mul_f64 v[12:13], v[14:15], v[12:13]
	v_fma_f64 v[14:15], v[14:15], v[10:11], -v[18:19]
	v_fmac_f64_e32 v[12:13], v[16:17], v[10:11]
	v_add_f64 v[4:5], v[4:5], v[14:15]
	v_add_f64 v[2:3], v[2:3], v[12:13]
	s_andn2_b64 exec, exec, s[4:5]
	s_cbranch_execnz .LBB46_101
; %bb.102:
	s_or_b64 exec, exec, s[4:5]
	v_mov_b32_e32 v0, 0
	ds_read_b128 v[8:11], v0 offset:352
	s_waitcnt lgkmcnt(0)
	v_mul_f64 v[14:15], v[2:3], v[10:11]
	v_mul_f64 v[12:13], v[4:5], v[10:11]
	v_fma_f64 v[10:11], v[4:5], v[8:9], -v[14:15]
	v_fmac_f64_e32 v[12:13], v[2:3], v[8:9]
	scratch_store_dwordx4 off, v[10:13], off offset:368
.LBB46_103:
	s_or_b64 exec, exec, s[0:1]
	; wave barrier
	scratch_load_dwordx4 v[2:5], off, s45
	v_cmp_gt_u32_e32 vcc, 23, v250
	s_waitcnt vmcnt(0)
	ds_write_b128 v1, v[2:5]
	s_waitcnt lgkmcnt(0)
	; wave barrier
	s_and_saveexec_b64 s[0:1], vcc
	s_cbranch_execz .LBB46_107
; %bb.104:
	v_add_u32_e32 v7, -1, v250
	v_add_u32_e32 v8, 0x2f0, v54
	v_add_u32_e32 v9, 16, v54
	v_mov_b64_e32 v[2:3], 0
	s_mov_b64 s[4:5], 0
	v_mov_b64_e32 v[4:5], 0
.LBB46_105:                             ; =>This Inner Loop Header: Depth=1
	scratch_load_dwordx4 v[10:13], v9, off
	ds_read_b128 v[14:17], v8
	v_add_u32_e32 v7, 1, v7
	v_cmp_lt_u32_e32 vcc, 21, v7
	v_add_u32_e32 v8, 16, v8
	v_add_u32_e32 v9, 16, v9
	s_or_b64 s[4:5], vcc, s[4:5]
	s_waitcnt vmcnt(0) lgkmcnt(0)
	v_mul_f64 v[18:19], v[16:17], v[12:13]
	v_mul_f64 v[12:13], v[14:15], v[12:13]
	v_fma_f64 v[14:15], v[14:15], v[10:11], -v[18:19]
	v_fmac_f64_e32 v[12:13], v[16:17], v[10:11]
	v_add_f64 v[4:5], v[4:5], v[14:15]
	v_add_f64 v[2:3], v[2:3], v[12:13]
	s_andn2_b64 exec, exec, s[4:5]
	s_cbranch_execnz .LBB46_105
; %bb.106:
	s_or_b64 exec, exec, s[4:5]
	v_mov_b32_e32 v0, 0
	ds_read_b128 v[8:11], v0 offset:368
	s_waitcnt lgkmcnt(0)
	v_mul_f64 v[14:15], v[2:3], v[10:11]
	v_mul_f64 v[12:13], v[4:5], v[10:11]
	v_fma_f64 v[10:11], v[4:5], v[8:9], -v[14:15]
	v_fmac_f64_e32 v[12:13], v[2:3], v[8:9]
	scratch_store_dwordx4 off, v[10:13], off offset:384
.LBB46_107:
	s_or_b64 exec, exec, s[0:1]
	; wave barrier
	scratch_load_dwordx4 v[2:5], off, s46
	v_cmp_gt_u32_e32 vcc, 24, v250
	;; [unrolled: 45-line block ×23, first 2 shown]
	s_waitcnt vmcnt(0)
	ds_write_b128 v1, v[2:5]
	s_waitcnt lgkmcnt(0)
	; wave barrier
	s_and_saveexec_b64 s[0:1], vcc
	s_cbranch_execz .LBB46_195
; %bb.192:
	v_add_u32_e32 v7, -1, v250
	v_add_u32_e32 v8, 0x2f0, v54
	v_add_u32_e32 v9, 16, v54
	v_mov_b64_e32 v[2:3], 0
	s_mov_b64 s[4:5], 0
	v_mov_b64_e32 v[4:5], 0
.LBB46_193:                             ; =>This Inner Loop Header: Depth=1
	scratch_load_dwordx4 v[10:13], v9, off
	ds_read_b128 v[14:17], v8
	v_add_u32_e32 v7, 1, v7
	v_cmp_lt_u32_e32 vcc, 43, v7
	v_add_u32_e32 v8, 16, v8
	v_add_u32_e32 v9, 16, v9
	s_or_b64 s[4:5], vcc, s[4:5]
	s_waitcnt vmcnt(0) lgkmcnt(0)
	v_mul_f64 v[18:19], v[16:17], v[12:13]
	v_mul_f64 v[12:13], v[14:15], v[12:13]
	v_fma_f64 v[14:15], v[14:15], v[10:11], -v[18:19]
	v_fmac_f64_e32 v[12:13], v[16:17], v[10:11]
	v_add_f64 v[4:5], v[4:5], v[14:15]
	v_add_f64 v[2:3], v[2:3], v[12:13]
	s_andn2_b64 exec, exec, s[4:5]
	s_cbranch_execnz .LBB46_193
; %bb.194:
	s_or_b64 exec, exec, s[4:5]
	v_mov_b32_e32 v0, 0
	ds_read_b128 v[8:11], v0 offset:720
	s_waitcnt lgkmcnt(0)
	v_mul_f64 v[14:15], v[2:3], v[10:11]
	v_mul_f64 v[12:13], v[4:5], v[10:11]
	v_fma_f64 v[10:11], v[4:5], v[8:9], -v[14:15]
	v_fmac_f64_e32 v[12:13], v[2:3], v[8:9]
	scratch_store_dwordx4 off, v[10:13], off offset:736
.LBB46_195:
	s_or_b64 exec, exec, s[0:1]
	; wave barrier
	scratch_load_dwordx4 v[2:5], off, s15
	v_cmp_ne_u32_e32 vcc, 46, v250
	s_waitcnt vmcnt(0)
	ds_write_b128 v1, v[2:5]
	s_waitcnt lgkmcnt(0)
	; wave barrier
	s_and_saveexec_b64 s[0:1], vcc
	s_cbranch_execz .LBB46_199
; %bb.196:
	v_add_u32_e32 v1, 0x2f0, v54
	v_add_u32_e32 v7, 16, v54
	v_mov_b64_e32 v[2:3], 0
	s_mov_b64 s[4:5], 0
	v_mov_b64_e32 v[4:5], 0
.LBB46_197:                             ; =>This Inner Loop Header: Depth=1
	scratch_load_dwordx4 v[8:11], v7, off
	ds_read_b128 v[12:15], v1
	v_add_u32_e32 v6, 1, v6
	v_cmp_lt_u32_e32 vcc, 44, v6
	v_add_u32_e32 v1, 16, v1
	v_add_u32_e32 v7, 16, v7
	s_or_b64 s[4:5], vcc, s[4:5]
	s_waitcnt vmcnt(0) lgkmcnt(0)
	v_mul_f64 v[16:17], v[14:15], v[10:11]
	v_mul_f64 v[10:11], v[12:13], v[10:11]
	v_fma_f64 v[12:13], v[12:13], v[8:9], -v[16:17]
	v_fmac_f64_e32 v[10:11], v[14:15], v[8:9]
	v_add_f64 v[4:5], v[4:5], v[12:13]
	v_add_f64 v[2:3], v[2:3], v[10:11]
	s_andn2_b64 exec, exec, s[4:5]
	s_cbranch_execnz .LBB46_197
; %bb.198:
	s_or_b64 exec, exec, s[4:5]
	v_mov_b32_e32 v0, 0
	ds_read_b128 v[6:9], v0 offset:736
	s_waitcnt lgkmcnt(0)
	v_mul_f64 v[12:13], v[2:3], v[8:9]
	v_mul_f64 v[10:11], v[4:5], v[8:9]
	v_fma_f64 v[8:9], v[4:5], v[6:7], -v[12:13]
	v_fmac_f64_e32 v[10:11], v[2:3], v[6:7]
	scratch_store_dwordx4 off, v[8:11], off offset:752
.LBB46_199:
	s_or_b64 exec, exec, s[0:1]
	s_mov_b64 s[4:5], -1
	; wave barrier
.LBB46_200:
	s_and_b64 vcc, exec, s[4:5]
	s_cbranch_vccz .LBB46_202
; %bb.201:
	s_lshl_b64 s[0:1], s[2:3], 2
	s_add_u32 s0, s6, s0
	s_addc_u32 s1, s7, s1
	v_mov_b32_e32 v0, 0
	global_load_dword v0, v0, s[0:1]
	s_waitcnt vmcnt(0)
	v_cmp_ne_u32_e32 vcc, 0, v0
	s_cbranch_vccz .LBB46_203
.LBB46_202:
	s_endpgm
.LBB46_203:
	v_mov_b32_e32 v0, 0x2f0
	v_lshl_add_u32 v0, v250, 4, v0
	v_accvgpr_write_b32 a95, v0
	v_cmp_eq_u32_e32 vcc, 46, v250
	s_and_saveexec_b64 s[0:1], vcc
	s_cbranch_execz .LBB46_205
; %bb.204:
	scratch_load_dwordx4 v[2:5], off, s14
	v_mov_b32_e32 v6, 0
	v_mov_b32_e32 v7, v6
	;; [unrolled: 1-line block ×4, first 2 shown]
	v_accvgpr_read_b32 v0, a95
	scratch_store_dwordx4 off, v[6:9], off offset:736
	s_waitcnt vmcnt(1)
	ds_write_b128 v0, v[2:5]
.LBB46_205:
	s_or_b64 exec, exec, s[0:1]
	s_waitcnt lgkmcnt(0)
	; wave barrier
	scratch_load_dwordx4 v[4:7], off, off offset:752
	scratch_load_dwordx4 v[8:11], off, off offset:736
	v_mov_b32_e32 v2, 0
	ds_read_b128 v[12:15], v2 offset:1488
	v_cmp_lt_u32_e32 vcc, 44, v250
	s_waitcnt vmcnt(1) lgkmcnt(0)
	v_mul_f64 v[16:17], v[12:13], v[6:7]
	v_mul_f64 v[6:7], v[14:15], v[6:7]
	v_fmac_f64_e32 v[16:17], v[14:15], v[4:5]
	v_fma_f64 v[4:5], v[12:13], v[4:5], -v[6:7]
	v_add_f64 v[6:7], v[16:17], 0
	v_add_f64 v[4:5], v[4:5], 0
	s_waitcnt vmcnt(0)
	v_add_f64 v[4:5], v[8:9], -v[4:5]
	v_add_f64 v[6:7], v[10:11], -v[6:7]
	scratch_store_dwordx4 off, v[4:7], off offset:736
	s_and_saveexec_b64 s[0:1], vcc
	s_cbranch_execz .LBB46_207
; %bb.206:
	scratch_load_dwordx4 v[6:9], off, s22
	v_mov_b32_e32 v3, v2
	v_mov_b32_e32 v4, v2
	;; [unrolled: 1-line block ×3, first 2 shown]
	v_accvgpr_read_b32 v0, a95
	scratch_store_dwordx4 off, v[2:5], off offset:720
	s_waitcnt vmcnt(1)
	ds_write_b128 v0, v[6:9]
.LBB46_207:
	s_or_b64 exec, exec, s[0:1]
	s_waitcnt lgkmcnt(0)
	; wave barrier
	scratch_load_dwordx4 v[4:7], off, off offset:736
	scratch_load_dwordx4 v[8:11], off, off offset:752
	;; [unrolled: 1-line block ×3, first 2 shown]
	ds_read_b128 v[16:19], v2 offset:1472
	ds_read_b128 v[20:23], v2 offset:1488
	v_cmp_lt_u32_e32 vcc, 43, v250
	s_waitcnt vmcnt(2) lgkmcnt(1)
	v_mul_f64 v[2:3], v[16:17], v[6:7]
	v_mul_f64 v[6:7], v[18:19], v[6:7]
	s_waitcnt vmcnt(1) lgkmcnt(0)
	v_mul_f64 v[24:25], v[20:21], v[10:11]
	v_mul_f64 v[10:11], v[22:23], v[10:11]
	v_fmac_f64_e32 v[2:3], v[18:19], v[4:5]
	v_fma_f64 v[4:5], v[16:17], v[4:5], -v[6:7]
	v_fmac_f64_e32 v[24:25], v[22:23], v[8:9]
	v_fma_f64 v[6:7], v[20:21], v[8:9], -v[10:11]
	v_add_f64 v[2:3], v[2:3], 0
	v_add_f64 v[4:5], v[4:5], 0
	;; [unrolled: 1-line block ×4, first 2 shown]
	s_waitcnt vmcnt(0)
	v_add_f64 v[2:3], v[12:13], -v[2:3]
	v_add_f64 v[4:5], v[14:15], -v[8:9]
	scratch_store_dwordx4 off, v[2:5], off offset:720
	s_and_saveexec_b64 s[0:1], vcc
	s_cbranch_execz .LBB46_209
; %bb.208:
	scratch_load_dwordx4 v[2:5], off, s21
	v_mov_b32_e32 v6, 0
	v_mov_b32_e32 v7, v6
	;; [unrolled: 1-line block ×4, first 2 shown]
	v_accvgpr_read_b32 v0, a95
	scratch_store_dwordx4 off, v[6:9], off offset:704
	s_waitcnt vmcnt(1)
	ds_write_b128 v0, v[2:5]
.LBB46_209:
	s_or_b64 exec, exec, s[0:1]
	v_mov_b32_e32 v2, 0
	s_waitcnt lgkmcnt(0)
	; wave barrier
	ds_read_b128 v[4:7], v2 offset:1456
	ds_read_b128 v[8:11], v2 offset:1472
	;; [unrolled: 1-line block ×3, first 2 shown]
	scratch_load_dwordx4 v[16:19], off, off offset:720
	v_cmp_lt_u32_e32 vcc, 42, v250
	s_waitcnt vmcnt(0) lgkmcnt(2)
	v_mul_f64 v[20:21], v[4:5], v[18:19]
	v_fmac_f64_e32 v[20:21], v[6:7], v[16:17]
	v_add_f64 v[24:25], v[20:21], 0
	scratch_load_dwordx4 v[20:23], off, off offset:736
	v_mul_f64 v[6:7], v[6:7], v[18:19]
	v_fma_f64 v[4:5], v[4:5], v[16:17], -v[6:7]
	v_add_f64 v[4:5], v[4:5], 0
	s_waitcnt vmcnt(0) lgkmcnt(1)
	v_mul_f64 v[26:27], v[8:9], v[22:23]
	v_fmac_f64_e32 v[26:27], v[10:11], v[20:21]
	v_add_f64 v[28:29], v[24:25], v[26:27]
	scratch_load_dwordx4 v[24:27], off, off offset:752
	v_mul_f64 v[6:7], v[10:11], v[22:23]
	v_fma_f64 v[6:7], v[8:9], v[20:21], -v[6:7]
	v_add_f64 v[4:5], v[4:5], v[6:7]
	s_waitcnt vmcnt(0) lgkmcnt(0)
	v_mul_f64 v[6:7], v[14:15], v[26:27]
	v_fma_f64 v[6:7], v[12:13], v[24:25], -v[6:7]
	v_add_f64 v[8:9], v[4:5], v[6:7]
	scratch_load_dwordx4 v[4:7], off, off offset:704
	v_mul_f64 v[30:31], v[12:13], v[26:27]
	v_fmac_f64_e32 v[30:31], v[14:15], v[24:25]
	v_add_f64 v[28:29], v[28:29], v[30:31]
	s_waitcnt vmcnt(0)
	v_add_f64 v[4:5], v[4:5], -v[8:9]
	v_add_f64 v[6:7], v[6:7], -v[28:29]
	scratch_store_dwordx4 off, v[4:7], off offset:704
	s_and_saveexec_b64 s[0:1], vcc
	s_cbranch_execz .LBB46_211
; %bb.210:
	scratch_load_dwordx4 v[6:9], off, s25
	v_mov_b32_e32 v3, v2
	v_mov_b32_e32 v4, v2
	;; [unrolled: 1-line block ×3, first 2 shown]
	v_accvgpr_read_b32 v0, a95
	scratch_store_dwordx4 off, v[2:5], off offset:688
	s_waitcnt vmcnt(1)
	ds_write_b128 v0, v[6:9]
.LBB46_211:
	s_or_b64 exec, exec, s[0:1]
	s_waitcnt lgkmcnt(0)
	; wave barrier
	scratch_load_dwordx4 v[4:7], off, off offset:704
	scratch_load_dwordx4 v[8:11], off, off offset:720
	;; [unrolled: 1-line block ×5, first 2 shown]
	ds_read_b128 v[24:27], v2 offset:1440
	ds_read_b128 v[28:31], v2 offset:1456
	;; [unrolled: 1-line block ×4, first 2 shown]
	v_cmp_lt_u32_e32 vcc, 41, v250
	s_waitcnt vmcnt(4) lgkmcnt(3)
	v_mul_f64 v[2:3], v[24:25], v[6:7]
	v_mul_f64 v[6:7], v[26:27], v[6:7]
	s_waitcnt vmcnt(3) lgkmcnt(2)
	v_mul_f64 v[40:41], v[28:29], v[10:11]
	v_mul_f64 v[10:11], v[30:31], v[10:11]
	v_fmac_f64_e32 v[2:3], v[26:27], v[4:5]
	v_fma_f64 v[4:5], v[24:25], v[4:5], -v[6:7]
	s_waitcnt vmcnt(2) lgkmcnt(1)
	v_mul_f64 v[42:43], v[32:33], v[14:15]
	v_mul_f64 v[14:15], v[34:35], v[14:15]
	v_fmac_f64_e32 v[40:41], v[30:31], v[8:9]
	v_fma_f64 v[6:7], v[28:29], v[8:9], -v[10:11]
	v_add_f64 v[2:3], v[2:3], 0
	v_add_f64 v[4:5], v[4:5], 0
	s_waitcnt vmcnt(1) lgkmcnt(0)
	v_mul_f64 v[44:45], v[36:37], v[18:19]
	v_mul_f64 v[18:19], v[38:39], v[18:19]
	v_fmac_f64_e32 v[42:43], v[34:35], v[12:13]
	v_fma_f64 v[8:9], v[32:33], v[12:13], -v[14:15]
	v_add_f64 v[2:3], v[2:3], v[40:41]
	v_add_f64 v[4:5], v[4:5], v[6:7]
	v_fmac_f64_e32 v[44:45], v[38:39], v[16:17]
	v_fma_f64 v[10:11], v[36:37], v[16:17], -v[18:19]
	v_add_f64 v[2:3], v[2:3], v[42:43]
	v_add_f64 v[4:5], v[4:5], v[8:9]
	;; [unrolled: 1-line block ×4, first 2 shown]
	s_waitcnt vmcnt(0)
	v_add_f64 v[2:3], v[20:21], -v[2:3]
	v_add_f64 v[4:5], v[22:23], -v[6:7]
	scratch_store_dwordx4 off, v[2:5], off offset:688
	s_and_saveexec_b64 s[0:1], vcc
	s_cbranch_execz .LBB46_213
; %bb.212:
	scratch_load_dwordx4 v[2:5], off, s24
	v_mov_b32_e32 v6, 0
	v_mov_b32_e32 v7, v6
	;; [unrolled: 1-line block ×4, first 2 shown]
	v_accvgpr_read_b32 v0, a95
	scratch_store_dwordx4 off, v[6:9], off offset:672
	s_waitcnt vmcnt(1)
	ds_write_b128 v0, v[2:5]
.LBB46_213:
	s_or_b64 exec, exec, s[0:1]
	s_waitcnt lgkmcnt(0)
	; wave barrier
	scratch_load_dwordx4 v[4:7], off, off offset:688
	scratch_load_dwordx4 v[8:11], off, off offset:704
	;; [unrolled: 1-line block ×6, first 2 shown]
	v_mov_b32_e32 v2, 0
	ds_read_b128 v[28:31], v2 offset:1424
	ds_read_b128 v[32:35], v2 offset:1440
	;; [unrolled: 1-line block ×5, first 2 shown]
	v_cmp_lt_u32_e32 vcc, 40, v250
	s_waitcnt vmcnt(5) lgkmcnt(4)
	v_mul_f64 v[48:49], v[28:29], v[6:7]
	v_mul_f64 v[6:7], v[30:31], v[6:7]
	s_waitcnt vmcnt(4) lgkmcnt(3)
	v_mul_f64 v[50:51], v[32:33], v[10:11]
	s_waitcnt vmcnt(3) lgkmcnt(2)
	v_mul_f64 v[52:53], v[36:37], v[14:15]
	v_mul_f64 v[10:11], v[34:35], v[10:11]
	;; [unrolled: 1-line block ×3, first 2 shown]
	v_fmac_f64_e32 v[48:49], v[30:31], v[4:5]
	v_fma_f64 v[4:5], v[28:29], v[4:5], -v[6:7]
	v_fmac_f64_e32 v[50:51], v[34:35], v[8:9]
	v_fma_f64 v[6:7], v[32:33], v[8:9], -v[10:11]
	v_fma_f64 v[8:9], v[36:37], v[12:13], -v[14:15]
	v_add_f64 v[14:15], v[48:49], 0
	v_add_f64 v[4:5], v[4:5], 0
	s_waitcnt vmcnt(2) lgkmcnt(1)
	v_mul_f64 v[54:55], v[40:41], v[18:19]
	v_mul_f64 v[18:19], v[42:43], v[18:19]
	v_fmac_f64_e32 v[52:53], v[38:39], v[12:13]
	v_add_f64 v[14:15], v[14:15], v[50:51]
	v_add_f64 v[4:5], v[4:5], v[6:7]
	s_waitcnt vmcnt(1) lgkmcnt(0)
	v_mul_f64 v[56:57], v[44:45], v[22:23]
	v_mul_f64 v[22:23], v[46:47], v[22:23]
	v_fmac_f64_e32 v[54:55], v[42:43], v[16:17]
	v_fma_f64 v[10:11], v[40:41], v[16:17], -v[18:19]
	v_add_f64 v[6:7], v[14:15], v[52:53]
	v_add_f64 v[4:5], v[4:5], v[8:9]
	v_fmac_f64_e32 v[56:57], v[46:47], v[20:21]
	v_fma_f64 v[12:13], v[44:45], v[20:21], -v[22:23]
	v_add_f64 v[6:7], v[6:7], v[54:55]
	v_add_f64 v[4:5], v[4:5], v[10:11]
	;; [unrolled: 1-line block ×4, first 2 shown]
	s_waitcnt vmcnt(0)
	v_add_f64 v[4:5], v[24:25], -v[4:5]
	v_add_f64 v[6:7], v[26:27], -v[6:7]
	scratch_store_dwordx4 off, v[4:7], off offset:672
	s_and_saveexec_b64 s[0:1], vcc
	s_cbranch_execz .LBB46_215
; %bb.214:
	scratch_load_dwordx4 v[6:9], off, s28
	v_mov_b32_e32 v3, v2
	v_mov_b32_e32 v4, v2
	;; [unrolled: 1-line block ×3, first 2 shown]
	v_accvgpr_read_b32 v0, a95
	scratch_store_dwordx4 off, v[2:5], off offset:656
	s_waitcnt vmcnt(1)
	ds_write_b128 v0, v[6:9]
.LBB46_215:
	s_or_b64 exec, exec, s[0:1]
	s_waitcnt lgkmcnt(0)
	; wave barrier
	scratch_load_dwordx4 v[4:7], off, off offset:672
	scratch_load_dwordx4 v[8:11], off, off offset:688
	;; [unrolled: 1-line block ×7, first 2 shown]
	ds_read_b128 v[32:35], v2 offset:1408
	ds_read_b128 v[36:39], v2 offset:1424
	;; [unrolled: 1-line block ×6, first 2 shown]
	v_cmp_lt_u32_e32 vcc, 39, v250
	s_waitcnt vmcnt(6) lgkmcnt(5)
	v_mul_f64 v[2:3], v[32:33], v[6:7]
	v_mul_f64 v[6:7], v[34:35], v[6:7]
	s_waitcnt vmcnt(5) lgkmcnt(4)
	v_mul_f64 v[56:57], v[36:37], v[10:11]
	v_mul_f64 v[10:11], v[38:39], v[10:11]
	v_fmac_f64_e32 v[2:3], v[34:35], v[4:5]
	v_fma_f64 v[4:5], v[32:33], v[4:5], -v[6:7]
	s_waitcnt vmcnt(4) lgkmcnt(3)
	v_mul_f64 v[58:59], v[40:41], v[14:15]
	v_mul_f64 v[14:15], v[42:43], v[14:15]
	v_fmac_f64_e32 v[56:57], v[38:39], v[8:9]
	v_fma_f64 v[6:7], v[36:37], v[8:9], -v[10:11]
	v_add_f64 v[2:3], v[2:3], 0
	v_add_f64 v[4:5], v[4:5], 0
	s_waitcnt vmcnt(3) lgkmcnt(2)
	v_mul_f64 v[60:61], v[44:45], v[18:19]
	v_mul_f64 v[18:19], v[46:47], v[18:19]
	v_fmac_f64_e32 v[58:59], v[42:43], v[12:13]
	v_fma_f64 v[8:9], v[40:41], v[12:13], -v[14:15]
	v_add_f64 v[2:3], v[2:3], v[56:57]
	v_add_f64 v[4:5], v[4:5], v[6:7]
	;; [unrolled: 7-line block ×4, first 2 shown]
	v_fmac_f64_e32 v[64:65], v[54:55], v[24:25]
	v_fma_f64 v[14:15], v[52:53], v[24:25], -v[26:27]
	v_add_f64 v[2:3], v[2:3], v[62:63]
	v_add_f64 v[4:5], v[4:5], v[12:13]
	;; [unrolled: 1-line block ×4, first 2 shown]
	s_waitcnt vmcnt(0)
	v_add_f64 v[2:3], v[28:29], -v[2:3]
	v_add_f64 v[4:5], v[30:31], -v[6:7]
	scratch_store_dwordx4 off, v[2:5], off offset:656
	s_and_saveexec_b64 s[0:1], vcc
	s_cbranch_execz .LBB46_217
; %bb.216:
	scratch_load_dwordx4 v[2:5], off, s27
	v_mov_b32_e32 v6, 0
	v_mov_b32_e32 v7, v6
	;; [unrolled: 1-line block ×4, first 2 shown]
	v_accvgpr_read_b32 v0, a95
	scratch_store_dwordx4 off, v[6:9], off offset:640
	s_waitcnt vmcnt(1)
	ds_write_b128 v0, v[2:5]
.LBB46_217:
	s_or_b64 exec, exec, s[0:1]
	v_mov_b32_e32 v2, 0
	s_waitcnt lgkmcnt(0)
	; wave barrier
	ds_read_b128 v[4:7], v2 offset:1392
	ds_read_b128 v[8:11], v2 offset:1408
	ds_read_b128 v[12:15], v2 offset:1424
	ds_read_b128 v[16:19], v2 offset:1440
	scratch_load_dwordx4 v[20:23], off, off offset:656
	scratch_load_dwordx4 v[40:43], off, off offset:720
	v_cmp_lt_u32_e32 vcc, 38, v250
	scratch_load_dwordx4 v[48:51], off, off offset:736
	scratch_load_dwordx4 v[56:59], off, off offset:752
	s_waitcnt vmcnt(3) lgkmcnt(3)
	v_mul_f64 v[24:25], v[4:5], v[22:23]
	v_fmac_f64_e32 v[24:25], v[6:7], v[20:21]
	v_add_f64 v[28:29], v[24:25], 0
	scratch_load_dwordx4 v[24:27], off, off offset:672
	v_mul_f64 v[6:7], v[6:7], v[22:23]
	v_fma_f64 v[4:5], v[4:5], v[20:21], -v[6:7]
	v_add_f64 v[4:5], v[4:5], 0
	s_waitcnt vmcnt(0) lgkmcnt(2)
	v_mul_f64 v[30:31], v[8:9], v[26:27]
	v_fmac_f64_e32 v[30:31], v[10:11], v[24:25]
	v_add_f64 v[32:33], v[28:29], v[30:31]
	scratch_load_dwordx4 v[28:31], off, off offset:688
	v_mul_f64 v[6:7], v[10:11], v[26:27]
	v_fma_f64 v[6:7], v[8:9], v[24:25], -v[6:7]
	v_add_f64 v[4:5], v[4:5], v[6:7]
	;; [unrolled: 8-line block ×3, first 2 shown]
	s_waitcnt vmcnt(0) lgkmcnt(0)
	v_mul_f64 v[38:39], v[16:17], v[34:35]
	v_fmac_f64_e32 v[38:39], v[18:19], v[32:33]
	v_add_f64 v[44:45], v[36:37], v[38:39]
	ds_read_b128 v[36:39], v2 offset:1456
	v_mul_f64 v[6:7], v[18:19], v[34:35]
	v_fma_f64 v[6:7], v[16:17], v[32:33], -v[6:7]
	v_add_f64 v[4:5], v[4:5], v[6:7]
	s_waitcnt lgkmcnt(0)
	v_mul_f64 v[46:47], v[36:37], v[42:43]
	v_fmac_f64_e32 v[46:47], v[38:39], v[40:41]
	v_add_f64 v[52:53], v[44:45], v[46:47]
	ds_read_b128 v[44:47], v2 offset:1472
	v_mul_f64 v[6:7], v[38:39], v[42:43]
	v_fma_f64 v[6:7], v[36:37], v[40:41], -v[6:7]
	v_add_f64 v[4:5], v[4:5], v[6:7]
	s_waitcnt lgkmcnt(0)
	;; [unrolled: 8-line block ×3, first 2 shown]
	v_mul_f64 v[6:7], v[54:55], v[58:59]
	v_fma_f64 v[6:7], v[52:53], v[56:57], -v[6:7]
	v_add_f64 v[8:9], v[4:5], v[6:7]
	scratch_load_dwordx4 v[4:7], off, off offset:640
	v_mul_f64 v[62:63], v[52:53], v[58:59]
	v_fmac_f64_e32 v[62:63], v[54:55], v[56:57]
	v_add_f64 v[60:61], v[60:61], v[62:63]
	s_waitcnt vmcnt(0)
	v_add_f64 v[4:5], v[4:5], -v[8:9]
	v_add_f64 v[6:7], v[6:7], -v[60:61]
	scratch_store_dwordx4 off, v[4:7], off offset:640
	s_and_saveexec_b64 s[0:1], vcc
	s_cbranch_execz .LBB46_219
; %bb.218:
	scratch_load_dwordx4 v[6:9], off, s60
	v_mov_b32_e32 v3, v2
	v_mov_b32_e32 v4, v2
	;; [unrolled: 1-line block ×3, first 2 shown]
	v_accvgpr_read_b32 v0, a95
	scratch_store_dwordx4 off, v[2:5], off offset:624
	s_waitcnt vmcnt(1)
	ds_write_b128 v0, v[6:9]
.LBB46_219:
	s_or_b64 exec, exec, s[0:1]
	s_waitcnt lgkmcnt(0)
	; wave barrier
	ds_read_b128 v[4:7], v2 offset:1376
	ds_read_b128 v[8:11], v2 offset:1392
	ds_read_b128 v[12:15], v2 offset:1408
	ds_read_b128 v[16:19], v2 offset:1424
	scratch_load_dwordx4 v[20:23], off, off offset:640
	scratch_load_dwordx4 v[40:43], off, off offset:704
	v_cmp_lt_u32_e32 vcc, 37, v250
	scratch_load_dwordx4 v[48:51], off, off offset:720
	scratch_load_dwordx4 v[56:59], off, off offset:736
	;; [unrolled: 1-line block ×3, first 2 shown]
	s_waitcnt vmcnt(4) lgkmcnt(3)
	v_mul_f64 v[24:25], v[4:5], v[22:23]
	v_fmac_f64_e32 v[24:25], v[6:7], v[20:21]
	v_add_f64 v[28:29], v[24:25], 0
	scratch_load_dwordx4 v[24:27], off, off offset:656
	s_waitcnt vmcnt(0) lgkmcnt(2)
	v_mul_f64 v[30:31], v[8:9], v[26:27]
	v_fmac_f64_e32 v[30:31], v[10:11], v[24:25]
	v_add_f64 v[32:33], v[28:29], v[30:31]
	scratch_load_dwordx4 v[28:31], off, off offset:672
	;; [unrolled: 5-line block ×3, first 2 shown]
	s_waitcnt vmcnt(0) lgkmcnt(0)
	v_mul_f64 v[38:39], v[16:17], v[34:35]
	v_fmac_f64_e32 v[38:39], v[18:19], v[32:33]
	v_add_f64 v[44:45], v[36:37], v[38:39]
	ds_read_b128 v[36:39], v2 offset:1440
	s_waitcnt lgkmcnt(0)
	v_mul_f64 v[46:47], v[36:37], v[42:43]
	v_fmac_f64_e32 v[46:47], v[38:39], v[40:41]
	v_add_f64 v[52:53], v[44:45], v[46:47]
	ds_read_b128 v[44:47], v2 offset:1456
	s_waitcnt lgkmcnt(0)
	;; [unrolled: 5-line block ×4, first 2 shown]
	v_mul_f64 v[2:3], v[60:61], v[66:67]
	v_fmac_f64_e32 v[2:3], v[62:63], v[64:65]
	v_add_f64 v[68:69], v[68:69], v[2:3]
	v_mul_f64 v[2:3], v[6:7], v[22:23]
	v_fma_f64 v[2:3], v[4:5], v[20:21], -v[2:3]
	v_mul_f64 v[4:5], v[10:11], v[26:27]
	v_add_f64 v[2:3], v[2:3], 0
	v_fma_f64 v[4:5], v[8:9], v[24:25], -v[4:5]
	v_add_f64 v[2:3], v[2:3], v[4:5]
	v_mul_f64 v[4:5], v[14:15], v[30:31]
	v_fma_f64 v[4:5], v[12:13], v[28:29], -v[4:5]
	v_add_f64 v[2:3], v[2:3], v[4:5]
	v_mul_f64 v[4:5], v[18:19], v[34:35]
	;; [unrolled: 3-line block ×6, first 2 shown]
	v_fma_f64 v[4:5], v[60:61], v[64:65], -v[4:5]
	v_add_f64 v[6:7], v[2:3], v[4:5]
	scratch_load_dwordx4 v[2:5], off, off offset:624
	s_waitcnt vmcnt(0)
	v_add_f64 v[2:3], v[2:3], -v[6:7]
	v_add_f64 v[4:5], v[4:5], -v[68:69]
	scratch_store_dwordx4 off, v[2:5], off offset:624
	s_and_saveexec_b64 s[0:1], vcc
	s_cbranch_execz .LBB46_221
; %bb.220:
	scratch_load_dwordx4 v[2:5], off, s59
	v_mov_b32_e32 v6, 0
	v_mov_b32_e32 v7, v6
	;; [unrolled: 1-line block ×4, first 2 shown]
	v_accvgpr_read_b32 v0, a95
	scratch_store_dwordx4 off, v[6:9], off offset:608
	s_waitcnt vmcnt(1)
	ds_write_b128 v0, v[2:5]
.LBB46_221:
	s_or_b64 exec, exec, s[0:1]
	s_waitcnt lgkmcnt(0)
	; wave barrier
	scratch_load_dwordx4 v[4:7], off, off offset:624
	scratch_load_dwordx4 v[8:11], off, off offset:640
	scratch_load_dwordx4 v[12:15], off, off offset:656
	scratch_load_dwordx4 v[16:19], off, off offset:672
	scratch_load_dwordx4 v[20:23], off, off offset:688
	scratch_load_dwordx4 v[24:27], off, off offset:704
	scratch_load_dwordx4 v[28:31], off, off offset:720
	scratch_load_dwordx4 v[32:35], off, off offset:736
	scratch_load_dwordx4 v[36:39], off, off offset:752
	scratch_load_dwordx4 v[40:43], off, off offset:608
	v_mov_b32_e32 v2, 0
	ds_read_b128 v[44:47], v2 offset:1360
	ds_read_b128 v[48:51], v2 offset:1376
	;; [unrolled: 1-line block ×9, first 2 shown]
	v_cmp_lt_u32_e32 vcc, 36, v250
	s_waitcnt vmcnt(9) lgkmcnt(8)
	v_mul_f64 v[80:81], v[44:45], v[6:7]
	v_mul_f64 v[6:7], v[46:47], v[6:7]
	s_waitcnt vmcnt(8) lgkmcnt(7)
	v_mul_f64 v[82:83], v[48:49], v[10:11]
	s_waitcnt vmcnt(7) lgkmcnt(6)
	;; [unrolled: 2-line block ×3, first 2 shown]
	v_mul_f64 v[88:89], v[60:61], v[22:23]
	v_mul_f64 v[10:11], v[50:51], v[10:11]
	;; [unrolled: 1-line block ×4, first 2 shown]
	v_fmac_f64_e32 v[80:81], v[46:47], v[4:5]
	v_fma_f64 v[4:5], v[44:45], v[4:5], -v[6:7]
	v_fmac_f64_e32 v[82:83], v[50:51], v[8:9]
	v_fmac_f64_e32 v[84:85], v[54:55], v[12:13]
	v_fma_f64 v[6:7], v[48:49], v[8:9], -v[10:11]
	v_fma_f64 v[8:9], v[52:53], v[12:13], -v[14:15]
	;; [unrolled: 1-line block ×3, first 2 shown]
	v_add_f64 v[22:23], v[80:81], 0
	v_add_f64 v[4:5], v[4:5], 0
	v_mul_f64 v[86:87], v[56:57], v[18:19]
	v_mul_f64 v[18:19], v[58:59], v[18:19]
	v_add_f64 v[22:23], v[22:23], v[82:83]
	v_add_f64 v[4:5], v[4:5], v[6:7]
	v_fmac_f64_e32 v[86:87], v[58:59], v[16:17]
	v_fma_f64 v[10:11], v[56:57], v[16:17], -v[18:19]
	v_add_f64 v[6:7], v[22:23], v[84:85]
	v_add_f64 v[4:5], v[4:5], v[8:9]
	s_waitcnt vmcnt(4) lgkmcnt(3)
	v_mul_f64 v[90:91], v[64:65], v[26:27]
	v_mul_f64 v[26:27], v[66:67], v[26:27]
	v_fmac_f64_e32 v[88:89], v[62:63], v[20:21]
	v_add_f64 v[6:7], v[6:7], v[86:87]
	v_add_f64 v[4:5], v[4:5], v[10:11]
	s_waitcnt vmcnt(3) lgkmcnt(2)
	v_mul_f64 v[92:93], v[68:69], v[30:31]
	v_mul_f64 v[30:31], v[70:71], v[30:31]
	v_fmac_f64_e32 v[90:91], v[66:67], v[24:25]
	v_fma_f64 v[14:15], v[64:65], v[24:25], -v[26:27]
	v_add_f64 v[6:7], v[6:7], v[88:89]
	v_add_f64 v[4:5], v[4:5], v[12:13]
	s_waitcnt vmcnt(2) lgkmcnt(1)
	v_mul_f64 v[94:95], v[72:73], v[34:35]
	v_mul_f64 v[34:35], v[74:75], v[34:35]
	v_fmac_f64_e32 v[92:93], v[70:71], v[28:29]
	v_fma_f64 v[16:17], v[68:69], v[28:29], -v[30:31]
	;; [unrolled: 7-line block ×3, first 2 shown]
	v_add_f64 v[6:7], v[6:7], v[92:93]
	v_add_f64 v[4:5], v[4:5], v[16:17]
	v_fmac_f64_e32 v[96:97], v[78:79], v[36:37]
	v_fma_f64 v[20:21], v[76:77], v[36:37], -v[38:39]
	v_add_f64 v[6:7], v[6:7], v[94:95]
	v_add_f64 v[4:5], v[4:5], v[18:19]
	;; [unrolled: 1-line block ×4, first 2 shown]
	s_waitcnt vmcnt(0)
	v_add_f64 v[4:5], v[40:41], -v[4:5]
	v_add_f64 v[6:7], v[42:43], -v[6:7]
	scratch_store_dwordx4 off, v[4:7], off offset:608
	s_and_saveexec_b64 s[0:1], vcc
	s_cbranch_execz .LBB46_223
; %bb.222:
	scratch_load_dwordx4 v[6:9], off, s58
	v_mov_b32_e32 v3, v2
	v_mov_b32_e32 v4, v2
	;; [unrolled: 1-line block ×3, first 2 shown]
	v_accvgpr_read_b32 v0, a95
	scratch_store_dwordx4 off, v[2:5], off offset:592
	s_waitcnt vmcnt(1)
	ds_write_b128 v0, v[6:9]
.LBB46_223:
	s_or_b64 exec, exec, s[0:1]
	s_waitcnt lgkmcnt(0)
	; wave barrier
	scratch_load_dwordx4 v[4:7], off, off offset:608
	scratch_load_dwordx4 v[8:11], off, off offset:624
	;; [unrolled: 1-line block ×11, first 2 shown]
	ds_read_b128 v[48:51], v2 offset:1344
	ds_read_b128 v[52:55], v2 offset:1360
	ds_read_b128 v[56:59], v2 offset:1376
	ds_read_b128 v[60:63], v2 offset:1392
	ds_read_b128 v[64:67], v2 offset:1408
	ds_read_b128 v[68:71], v2 offset:1424
	ds_read_b128 v[72:75], v2 offset:1440
	ds_read_b128 v[76:79], v2 offset:1456
	ds_read_b128 v[80:83], v2 offset:1472
	ds_read_b128 v[84:87], v2 offset:1488
	v_cmp_lt_u32_e32 vcc, 35, v250
	s_waitcnt vmcnt(10) lgkmcnt(9)
	v_mul_f64 v[2:3], v[48:49], v[6:7]
	v_mul_f64 v[6:7], v[50:51], v[6:7]
	s_waitcnt vmcnt(9) lgkmcnt(8)
	v_mul_f64 v[88:89], v[52:53], v[10:11]
	v_mul_f64 v[10:11], v[54:55], v[10:11]
	v_fmac_f64_e32 v[2:3], v[50:51], v[4:5]
	v_fma_f64 v[4:5], v[48:49], v[4:5], -v[6:7]
	s_waitcnt vmcnt(8) lgkmcnt(7)
	v_mul_f64 v[90:91], v[56:57], v[14:15]
	v_mul_f64 v[14:15], v[58:59], v[14:15]
	v_fmac_f64_e32 v[88:89], v[54:55], v[8:9]
	v_fma_f64 v[6:7], v[52:53], v[8:9], -v[10:11]
	v_add_f64 v[2:3], v[2:3], 0
	v_add_f64 v[4:5], v[4:5], 0
	s_waitcnt vmcnt(7) lgkmcnt(6)
	v_mul_f64 v[92:93], v[60:61], v[18:19]
	v_mul_f64 v[18:19], v[62:63], v[18:19]
	v_fmac_f64_e32 v[90:91], v[58:59], v[12:13]
	v_fma_f64 v[8:9], v[56:57], v[12:13], -v[14:15]
	v_add_f64 v[2:3], v[2:3], v[88:89]
	v_add_f64 v[4:5], v[4:5], v[6:7]
	;; [unrolled: 7-line block ×8, first 2 shown]
	v_fmac_f64_e32 v[104:105], v[86:87], v[40:41]
	v_fma_f64 v[22:23], v[84:85], v[40:41], -v[42:43]
	v_add_f64 v[2:3], v[2:3], v[102:103]
	v_add_f64 v[4:5], v[4:5], v[20:21]
	;; [unrolled: 1-line block ×4, first 2 shown]
	s_waitcnt vmcnt(0)
	v_add_f64 v[2:3], v[44:45], -v[2:3]
	v_add_f64 v[4:5], v[46:47], -v[6:7]
	scratch_store_dwordx4 off, v[2:5], off offset:592
	s_and_saveexec_b64 s[0:1], vcc
	s_cbranch_execz .LBB46_225
; %bb.224:
	scratch_load_dwordx4 v[2:5], off, s57
	v_mov_b32_e32 v6, 0
	v_mov_b32_e32 v7, v6
	;; [unrolled: 1-line block ×4, first 2 shown]
	v_accvgpr_read_b32 v0, a95
	scratch_store_dwordx4 off, v[6:9], off offset:576
	s_waitcnt vmcnt(1)
	ds_write_b128 v0, v[2:5]
.LBB46_225:
	s_or_b64 exec, exec, s[0:1]
	s_waitcnt lgkmcnt(0)
	; wave barrier
	scratch_load_dwordx4 v[4:7], off, off offset:592
	scratch_load_dwordx4 v[8:11], off, off offset:608
	;; [unrolled: 1-line block ×12, first 2 shown]
	v_mov_b32_e32 v2, 0
	ds_read_b128 v[52:55], v2 offset:1328
	ds_read_b128 v[56:59], v2 offset:1344
	;; [unrolled: 1-line block ×11, first 2 shown]
	v_cmp_lt_u32_e32 vcc, 34, v250
	s_waitcnt vmcnt(11) lgkmcnt(10)
	v_mul_f64 v[96:97], v[52:53], v[6:7]
	v_mul_f64 v[6:7], v[54:55], v[6:7]
	s_waitcnt vmcnt(10) lgkmcnt(9)
	v_mul_f64 v[98:99], v[56:57], v[10:11]
	s_waitcnt vmcnt(9) lgkmcnt(8)
	v_mul_f64 v[100:101], v[60:61], v[14:15]
	v_mul_f64 v[10:11], v[58:59], v[10:11]
	s_waitcnt vmcnt(6) lgkmcnt(5)
	v_mul_f64 v[106:107], v[72:73], v[26:27]
	v_mul_f64 v[14:15], v[62:63], v[14:15]
	;; [unrolled: 1-line block ×3, first 2 shown]
	v_fmac_f64_e32 v[96:97], v[54:55], v[4:5]
	v_fma_f64 v[4:5], v[52:53], v[4:5], -v[6:7]
	v_fmac_f64_e32 v[98:99], v[58:59], v[8:9]
	v_fma_f64 v[6:7], v[56:57], v[8:9], -v[10:11]
	v_fma_f64 v[8:9], v[60:61], v[12:13], -v[14:15]
	;; [unrolled: 1-line block ×3, first 2 shown]
	v_add_f64 v[26:27], v[96:97], 0
	v_add_f64 v[4:5], v[4:5], 0
	v_mul_f64 v[102:103], v[64:65], v[18:19]
	v_mul_f64 v[18:19], v[66:67], v[18:19]
	v_fmac_f64_e32 v[100:101], v[62:63], v[12:13]
	v_add_f64 v[26:27], v[26:27], v[98:99]
	v_add_f64 v[4:5], v[4:5], v[6:7]
	v_mul_f64 v[104:105], v[68:69], v[22:23]
	v_mul_f64 v[22:23], v[70:71], v[22:23]
	v_fmac_f64_e32 v[102:103], v[66:67], v[16:17]
	v_fma_f64 v[10:11], v[64:65], v[16:17], -v[18:19]
	v_add_f64 v[6:7], v[26:27], v[100:101]
	v_add_f64 v[4:5], v[4:5], v[8:9]
	v_fmac_f64_e32 v[104:105], v[70:71], v[20:21]
	v_fma_f64 v[12:13], v[68:69], v[20:21], -v[22:23]
	v_add_f64 v[6:7], v[6:7], v[102:103]
	v_add_f64 v[4:5], v[4:5], v[10:11]
	s_waitcnt vmcnt(5) lgkmcnt(4)
	v_mul_f64 v[108:109], v[76:77], v[30:31]
	v_mul_f64 v[30:31], v[78:79], v[30:31]
	v_fmac_f64_e32 v[106:107], v[74:75], v[24:25]
	v_add_f64 v[6:7], v[6:7], v[104:105]
	v_add_f64 v[4:5], v[4:5], v[12:13]
	s_waitcnt vmcnt(4) lgkmcnt(3)
	v_mul_f64 v[110:111], v[80:81], v[34:35]
	v_mul_f64 v[34:35], v[82:83], v[34:35]
	v_fmac_f64_e32 v[108:109], v[78:79], v[28:29]
	v_fma_f64 v[16:17], v[76:77], v[28:29], -v[30:31]
	v_add_f64 v[6:7], v[6:7], v[106:107]
	v_add_f64 v[4:5], v[4:5], v[14:15]
	s_waitcnt vmcnt(3) lgkmcnt(2)
	v_mul_f64 v[112:113], v[84:85], v[38:39]
	v_mul_f64 v[38:39], v[86:87], v[38:39]
	v_fmac_f64_e32 v[110:111], v[82:83], v[32:33]
	v_fma_f64 v[18:19], v[80:81], v[32:33], -v[34:35]
	;; [unrolled: 7-line block ×4, first 2 shown]
	v_add_f64 v[6:7], v[6:7], v[112:113]
	v_add_f64 v[4:5], v[4:5], v[20:21]
	v_fmac_f64_e32 v[116:117], v[94:95], v[44:45]
	v_fma_f64 v[24:25], v[92:93], v[44:45], -v[46:47]
	v_add_f64 v[6:7], v[6:7], v[114:115]
	v_add_f64 v[4:5], v[4:5], v[22:23]
	;; [unrolled: 1-line block ×4, first 2 shown]
	s_waitcnt vmcnt(0)
	v_add_f64 v[4:5], v[48:49], -v[4:5]
	v_add_f64 v[6:7], v[50:51], -v[6:7]
	scratch_store_dwordx4 off, v[4:7], off offset:576
	s_and_saveexec_b64 s[0:1], vcc
	s_cbranch_execz .LBB46_227
; %bb.226:
	scratch_load_dwordx4 v[6:9], off, s56
	v_mov_b32_e32 v3, v2
	v_mov_b32_e32 v4, v2
	;; [unrolled: 1-line block ×3, first 2 shown]
	v_accvgpr_read_b32 v0, a95
	scratch_store_dwordx4 off, v[2:5], off offset:560
	s_waitcnt vmcnt(1)
	ds_write_b128 v0, v[6:9]
.LBB46_227:
	s_or_b64 exec, exec, s[0:1]
	s_waitcnt lgkmcnt(0)
	; wave barrier
	scratch_load_dwordx4 v[4:7], off, off offset:576
	scratch_load_dwordx4 v[8:11], off, off offset:592
	;; [unrolled: 1-line block ×12, first 2 shown]
	ds_read_b128 v[52:55], v2 offset:1312
	ds_read_b128 v[56:59], v2 offset:1328
	;; [unrolled: 1-line block ×4, first 2 shown]
	scratch_load_dwordx4 v[68:71], off, off offset:560
	ds_read_b128 v[72:75], v2 offset:1376
	ds_read_b128 v[76:79], v2 offset:1392
	;; [unrolled: 1-line block ×8, first 2 shown]
	v_cmp_lt_u32_e32 vcc, 33, v250
	s_waitcnt vmcnt(12) lgkmcnt(11)
	v_mul_f64 v[2:3], v[52:53], v[6:7]
	s_waitcnt vmcnt(11) lgkmcnt(10)
	v_mul_f64 v[104:105], v[56:57], v[10:11]
	v_fmac_f64_e32 v[2:3], v[54:55], v[4:5]
	s_waitcnt vmcnt(10) lgkmcnt(9)
	v_mul_f64 v[106:107], v[60:61], v[14:15]
	v_mul_f64 v[6:7], v[54:55], v[6:7]
	v_fmac_f64_e32 v[104:105], v[58:59], v[8:9]
	v_add_f64 v[2:3], v[2:3], 0
	s_waitcnt vmcnt(9) lgkmcnt(8)
	v_mul_f64 v[108:109], v[64:65], v[18:19]
	v_mul_f64 v[10:11], v[58:59], v[10:11]
	v_fmac_f64_e32 v[106:107], v[62:63], v[12:13]
	v_fma_f64 v[4:5], v[52:53], v[4:5], -v[6:7]
	v_add_f64 v[2:3], v[2:3], v[104:105]
	s_waitcnt vmcnt(8) lgkmcnt(7)
	v_mul_f64 v[110:111], v[72:73], v[22:23]
	v_mul_f64 v[14:15], v[62:63], v[14:15]
	v_fmac_f64_e32 v[108:109], v[66:67], v[16:17]
	v_fma_f64 v[6:7], v[56:57], v[8:9], -v[10:11]
	v_add_f64 v[4:5], v[4:5], 0
	v_add_f64 v[2:3], v[2:3], v[106:107]
	s_waitcnt vmcnt(7) lgkmcnt(6)
	v_mul_f64 v[112:113], v[76:77], v[26:27]
	v_mul_f64 v[18:19], v[66:67], v[18:19]
	v_fmac_f64_e32 v[110:111], v[74:75], v[20:21]
	v_fma_f64 v[8:9], v[60:61], v[12:13], -v[14:15]
	v_add_f64 v[4:5], v[4:5], v[6:7]
	;; [unrolled: 7-line block ×8, first 2 shown]
	v_add_f64 v[2:3], v[2:3], v[120:121]
	v_mul_f64 v[46:47], v[98:99], v[46:47]
	v_fmac_f64_e32 v[124:125], v[102:103], v[48:49]
	v_fma_f64 v[22:23], v[92:93], v[40:41], -v[42:43]
	v_add_f64 v[4:5], v[4:5], v[20:21]
	v_add_f64 v[2:3], v[2:3], v[122:123]
	;; [unrolled: 1-line block ×4, first 2 shown]
	v_fma_f64 v[2:3], v[96:97], v[44:45], -v[46:47]
	v_add_f64 v[2:3], v[4:5], v[2:3]
	v_mul_f64 v[4:5], v[102:103], v[50:51]
	v_fma_f64 v[4:5], v[100:101], v[48:49], -v[4:5]
	v_add_f64 v[2:3], v[2:3], v[4:5]
	s_waitcnt vmcnt(0)
	v_add_f64 v[2:3], v[68:69], -v[2:3]
	v_add_f64 v[4:5], v[70:71], -v[6:7]
	scratch_store_dwordx4 off, v[2:5], off offset:560
	s_and_saveexec_b64 s[0:1], vcc
	s_cbranch_execz .LBB46_229
; %bb.228:
	scratch_load_dwordx4 v[2:5], off, s55
	v_mov_b32_e32 v6, 0
	v_mov_b32_e32 v7, v6
	;; [unrolled: 1-line block ×4, first 2 shown]
	v_accvgpr_read_b32 v0, a95
	scratch_store_dwordx4 off, v[6:9], off offset:544
	s_waitcnt vmcnt(1)
	ds_write_b128 v0, v[2:5]
.LBB46_229:
	s_or_b64 exec, exec, s[0:1]
	s_waitcnt lgkmcnt(0)
	; wave barrier
	scratch_load_dwordx4 v[4:7], off, off offset:560
	scratch_load_dwordx4 v[8:11], off, off offset:576
	;; [unrolled: 1-line block ×14, first 2 shown]
	v_mov_b32_e32 v2, 0
	ds_read_b128 v[60:63], v2 offset:1296
	ds_read_b128 v[64:67], v2 offset:1312
	;; [unrolled: 1-line block ×13, first 2 shown]
	v_cmp_lt_u32_e32 vcc, 32, v250
	s_waitcnt vmcnt(13) lgkmcnt(12)
	v_mul_f64 v[112:113], v[60:61], v[6:7]
	v_mul_f64 v[6:7], v[62:63], v[6:7]
	s_waitcnt vmcnt(12) lgkmcnt(11)
	v_mul_f64 v[114:115], v[64:65], v[10:11]
	v_mul_f64 v[10:11], v[66:67], v[10:11]
	v_fmac_f64_e32 v[112:113], v[62:63], v[4:5]
	v_fma_f64 v[4:5], v[60:61], v[4:5], -v[6:7]
	s_waitcnt vmcnt(11) lgkmcnt(10)
	v_mul_f64 v[116:117], v[68:69], v[14:15]
	v_mul_f64 v[14:15], v[70:71], v[14:15]
	v_fma_f64 v[6:7], v[64:65], v[8:9], -v[10:11]
	v_add_f64 v[4:5], v[4:5], 0
	s_waitcnt vmcnt(10) lgkmcnt(9)
	v_mul_f64 v[118:119], v[72:73], v[18:19]
	v_mul_f64 v[18:19], v[74:75], v[18:19]
	v_fmac_f64_e32 v[114:115], v[66:67], v[8:9]
	v_fma_f64 v[8:9], v[68:69], v[12:13], -v[14:15]
	v_add_f64 v[4:5], v[4:5], v[6:7]
	s_waitcnt vmcnt(9) lgkmcnt(8)
	v_mul_f64 v[120:121], v[76:77], v[22:23]
	v_mul_f64 v[22:23], v[78:79], v[22:23]
	v_fma_f64 v[10:11], v[72:73], v[16:17], -v[18:19]
	v_add_f64 v[4:5], v[4:5], v[8:9]
	s_waitcnt vmcnt(8) lgkmcnt(7)
	v_mul_f64 v[122:123], v[80:81], v[26:27]
	v_mul_f64 v[26:27], v[82:83], v[26:27]
	v_fmac_f64_e32 v[116:117], v[70:71], v[12:13]
	v_fma_f64 v[12:13], v[76:77], v[20:21], -v[22:23]
	v_add_f64 v[22:23], v[112:113], 0
	v_add_f64 v[4:5], v[4:5], v[10:11]
	s_waitcnt vmcnt(7) lgkmcnt(6)
	v_mul_f64 v[124:125], v[84:85], v[30:31]
	v_mul_f64 v[30:31], v[86:87], v[30:31]
	v_fma_f64 v[14:15], v[80:81], v[24:25], -v[26:27]
	v_add_f64 v[22:23], v[22:23], v[114:115]
	v_add_f64 v[4:5], v[4:5], v[12:13]
	s_waitcnt vmcnt(6) lgkmcnt(5)
	v_mul_f64 v[126:127], v[88:89], v[34:35]
	v_mul_f64 v[34:35], v[90:91], v[34:35]
	v_fmac_f64_e32 v[118:119], v[74:75], v[16:17]
	v_fma_f64 v[16:17], v[84:85], v[28:29], -v[30:31]
	v_add_f64 v[6:7], v[22:23], v[116:117]
	v_add_f64 v[4:5], v[4:5], v[14:15]
	s_waitcnt vmcnt(5) lgkmcnt(4)
	v_mul_f64 v[128:129], v[92:93], v[38:39]
	v_mul_f64 v[38:39], v[94:95], v[38:39]
	v_fmac_f64_e32 v[120:121], v[78:79], v[20:21]
	v_fma_f64 v[18:19], v[88:89], v[32:33], -v[34:35]
	v_add_f64 v[6:7], v[6:7], v[118:119]
	v_add_f64 v[4:5], v[4:5], v[16:17]
	v_fmac_f64_e32 v[122:123], v[82:83], v[24:25]
	v_fma_f64 v[20:21], v[92:93], v[36:37], -v[38:39]
	v_add_f64 v[6:7], v[6:7], v[120:121]
	v_add_f64 v[4:5], v[4:5], v[18:19]
	s_waitcnt vmcnt(4) lgkmcnt(3)
	v_mul_f64 v[8:9], v[98:99], v[42:43]
	v_fmac_f64_e32 v[124:125], v[86:87], v[28:29]
	v_add_f64 v[6:7], v[6:7], v[122:123]
	v_add_f64 v[4:5], v[4:5], v[20:21]
	v_fma_f64 v[8:9], v[96:97], v[40:41], -v[8:9]
	v_fmac_f64_e32 v[126:127], v[90:91], v[32:33]
	v_add_f64 v[6:7], v[6:7], v[124:125]
	v_add_f64 v[4:5], v[4:5], v[8:9]
	s_waitcnt vmcnt(3) lgkmcnt(2)
	v_mul_f64 v[8:9], v[102:103], v[46:47]
	v_mul_f64 v[130:131], v[96:97], v[42:43]
	v_fmac_f64_e32 v[128:129], v[94:95], v[36:37]
	v_add_f64 v[6:7], v[6:7], v[126:127]
	v_fma_f64 v[8:9], v[100:101], v[44:45], -v[8:9]
	v_mul_f64 v[132:133], v[100:101], v[46:47]
	v_fmac_f64_e32 v[130:131], v[98:99], v[40:41]
	v_add_f64 v[6:7], v[6:7], v[128:129]
	v_add_f64 v[4:5], v[4:5], v[8:9]
	s_waitcnt vmcnt(2) lgkmcnt(1)
	v_mul_f64 v[8:9], v[106:107], v[50:51]
	v_mul_f64 v[134:135], v[104:105], v[50:51]
	v_fmac_f64_e32 v[132:133], v[102:103], v[44:45]
	v_add_f64 v[6:7], v[6:7], v[130:131]
	v_fma_f64 v[8:9], v[104:105], v[48:49], -v[8:9]
	s_waitcnt vmcnt(1) lgkmcnt(0)
	v_mul_f64 v[136:137], v[108:109], v[54:55]
	v_fmac_f64_e32 v[134:135], v[106:107], v[48:49]
	v_add_f64 v[6:7], v[6:7], v[132:133]
	v_add_f64 v[4:5], v[4:5], v[8:9]
	v_mul_f64 v[8:9], v[110:111], v[54:55]
	v_fmac_f64_e32 v[136:137], v[110:111], v[52:53]
	v_add_f64 v[6:7], v[6:7], v[134:135]
	v_fma_f64 v[8:9], v[108:109], v[52:53], -v[8:9]
	v_add_f64 v[6:7], v[6:7], v[136:137]
	v_add_f64 v[4:5], v[4:5], v[8:9]
	s_waitcnt vmcnt(0)
	v_add_f64 v[4:5], v[56:57], -v[4:5]
	v_add_f64 v[6:7], v[58:59], -v[6:7]
	scratch_store_dwordx4 off, v[4:7], off offset:544
	s_and_saveexec_b64 s[0:1], vcc
	s_cbranch_execz .LBB46_231
; %bb.230:
	scratch_load_dwordx4 v[6:9], off, s54
	v_mov_b32_e32 v3, v2
	v_mov_b32_e32 v4, v2
	;; [unrolled: 1-line block ×3, first 2 shown]
	v_accvgpr_read_b32 v0, a95
	scratch_store_dwordx4 off, v[2:5], off offset:528
	s_waitcnt vmcnt(1)
	ds_write_b128 v0, v[6:9]
.LBB46_231:
	s_or_b64 exec, exec, s[0:1]
	s_waitcnt lgkmcnt(0)
	; wave barrier
	scratch_load_dwordx4 v[4:7], off, off offset:544
	scratch_load_dwordx4 v[8:11], off, off offset:560
	;; [unrolled: 1-line block ×14, first 2 shown]
	ds_read_b128 v[60:63], v2 offset:1280
	ds_read_b128 v[64:67], v2 offset:1296
	;; [unrolled: 1-line block ×14, first 2 shown]
	scratch_load_dwordx4 v[116:119], off, off offset:528
	v_cmp_lt_u32_e32 vcc, 31, v250
	s_waitcnt vmcnt(14) lgkmcnt(13)
	v_mul_f64 v[2:3], v[60:61], v[6:7]
	s_waitcnt vmcnt(13) lgkmcnt(12)
	v_mul_f64 v[120:121], v[64:65], v[10:11]
	v_fmac_f64_e32 v[2:3], v[62:63], v[4:5]
	s_waitcnt vmcnt(12) lgkmcnt(11)
	v_mul_f64 v[122:123], v[68:69], v[14:15]
	v_fmac_f64_e32 v[120:121], v[66:67], v[8:9]
	v_add_f64 v[2:3], v[2:3], 0
	s_waitcnt vmcnt(11) lgkmcnt(10)
	v_mul_f64 v[124:125], v[72:73], v[18:19]
	v_fmac_f64_e32 v[122:123], v[70:71], v[12:13]
	v_add_f64 v[2:3], v[2:3], v[120:121]
	;; [unrolled: 4-line block ×4, first 2 shown]
	s_waitcnt vmcnt(8) lgkmcnt(7)
	v_mul_f64 v[130:131], v[84:85], v[30:31]
	v_mul_f64 v[6:7], v[62:63], v[6:7]
	v_fmac_f64_e32 v[128:129], v[82:83], v[24:25]
	v_add_f64 v[2:3], v[2:3], v[126:127]
	s_waitcnt vmcnt(7) lgkmcnt(6)
	v_mul_f64 v[132:133], v[88:89], v[34:35]
	v_mul_f64 v[10:11], v[66:67], v[10:11]
	v_fmac_f64_e32 v[130:131], v[86:87], v[28:29]
	v_fma_f64 v[4:5], v[60:61], v[4:5], -v[6:7]
	v_add_f64 v[2:3], v[2:3], v[128:129]
	s_waitcnt vmcnt(6) lgkmcnt(5)
	v_mul_f64 v[134:135], v[92:93], v[38:39]
	v_mul_f64 v[14:15], v[70:71], v[14:15]
	v_fmac_f64_e32 v[132:133], v[90:91], v[32:33]
	v_fma_f64 v[6:7], v[64:65], v[8:9], -v[10:11]
	v_add_f64 v[4:5], v[4:5], 0
	v_add_f64 v[2:3], v[2:3], v[130:131]
	s_waitcnt vmcnt(5) lgkmcnt(4)
	v_mul_f64 v[136:137], v[96:97], v[42:43]
	v_mul_f64 v[18:19], v[74:75], v[18:19]
	v_fmac_f64_e32 v[134:135], v[94:95], v[36:37]
	v_fma_f64 v[8:9], v[68:69], v[12:13], -v[14:15]
	v_add_f64 v[4:5], v[4:5], v[6:7]
	;; [unrolled: 7-line block ×6, first 2 shown]
	v_add_f64 v[2:3], v[2:3], v[140:141]
	v_fmac_f64_e32 v[144:145], v[114:115], v[56:57]
	v_fma_f64 v[18:19], v[88:89], v[32:33], -v[34:35]
	v_add_f64 v[4:5], v[4:5], v[16:17]
	v_add_f64 v[2:3], v[2:3], v[142:143]
	;; [unrolled: 1-line block ×4, first 2 shown]
	v_mul_f64 v[4:5], v[94:95], v[38:39]
	v_fma_f64 v[4:5], v[92:93], v[36:37], -v[4:5]
	v_add_f64 v[2:3], v[2:3], v[4:5]
	v_mul_f64 v[4:5], v[98:99], v[42:43]
	v_fma_f64 v[4:5], v[96:97], v[40:41], -v[4:5]
	v_add_f64 v[2:3], v[2:3], v[4:5]
	;; [unrolled: 3-line block ×6, first 2 shown]
	s_waitcnt vmcnt(0)
	v_add_f64 v[2:3], v[116:117], -v[2:3]
	v_add_f64 v[4:5], v[118:119], -v[6:7]
	scratch_store_dwordx4 off, v[2:5], off offset:528
	s_and_saveexec_b64 s[0:1], vcc
	s_cbranch_execz .LBB46_233
; %bb.232:
	scratch_load_dwordx4 v[2:5], off, s53
	v_mov_b32_e32 v6, 0
	v_mov_b32_e32 v7, v6
	v_mov_b32_e32 v8, v6
	v_mov_b32_e32 v9, v6
	v_accvgpr_read_b32 v0, a95
	scratch_store_dwordx4 off, v[6:9], off offset:512
	s_waitcnt vmcnt(1)
	ds_write_b128 v0, v[2:5]
.LBB46_233:
	s_or_b64 exec, exec, s[0:1]
	s_waitcnt lgkmcnt(0)
	; wave barrier
	scratch_load_dwordx4 v[4:7], off, off offset:528
	scratch_load_dwordx4 v[8:11], off, off offset:544
	;; [unrolled: 1-line block ×16, first 2 shown]
	v_mov_b32_e32 v2, 0
	ds_read_b128 v[68:71], v2 offset:1264
	ds_read_b128 v[72:75], v2 offset:1280
	;; [unrolled: 1-line block ×15, first 2 shown]
	v_cmp_lt_u32_e32 vcc, 30, v250
	s_waitcnt vmcnt(15) lgkmcnt(14)
	v_mul_f64 v[128:129], v[68:69], v[6:7]
	v_mul_f64 v[6:7], v[70:71], v[6:7]
	s_waitcnt vmcnt(14) lgkmcnt(13)
	v_mul_f64 v[130:131], v[72:73], v[10:11]
	v_mul_f64 v[10:11], v[74:75], v[10:11]
	v_fmac_f64_e32 v[128:129], v[70:71], v[4:5]
	v_fma_f64 v[4:5], v[68:69], v[4:5], -v[6:7]
	s_waitcnt vmcnt(13) lgkmcnt(12)
	v_mul_f64 v[132:133], v[76:77], v[14:15]
	v_mul_f64 v[14:15], v[78:79], v[14:15]
	v_fma_f64 v[6:7], v[72:73], v[8:9], -v[10:11]
	v_add_f64 v[4:5], v[4:5], 0
	s_waitcnt vmcnt(12) lgkmcnt(11)
	v_mul_f64 v[134:135], v[80:81], v[18:19]
	v_mul_f64 v[18:19], v[82:83], v[18:19]
	v_fmac_f64_e32 v[130:131], v[74:75], v[8:9]
	v_fma_f64 v[8:9], v[76:77], v[12:13], -v[14:15]
	v_add_f64 v[4:5], v[4:5], v[6:7]
	s_waitcnt vmcnt(11) lgkmcnt(10)
	v_mul_f64 v[136:137], v[84:85], v[22:23]
	v_mul_f64 v[22:23], v[86:87], v[22:23]
	v_fma_f64 v[10:11], v[80:81], v[16:17], -v[18:19]
	v_add_f64 v[4:5], v[4:5], v[8:9]
	s_waitcnt vmcnt(10) lgkmcnt(9)
	v_mul_f64 v[138:139], v[88:89], v[26:27]
	v_mul_f64 v[26:27], v[90:91], v[26:27]
	v_fmac_f64_e32 v[132:133], v[78:79], v[12:13]
	v_fma_f64 v[12:13], v[84:85], v[20:21], -v[22:23]
	v_add_f64 v[4:5], v[4:5], v[10:11]
	v_fma_f64 v[14:15], v[88:89], v[24:25], -v[26:27]
	v_add_f64 v[4:5], v[4:5], v[12:13]
	s_waitcnt vmcnt(9) lgkmcnt(8)
	v_mul_f64 v[8:9], v[94:95], v[30:31]
	v_add_f64 v[4:5], v[4:5], v[14:15]
	v_fma_f64 v[8:9], v[92:93], v[28:29], -v[8:9]
	v_add_f64 v[4:5], v[4:5], v[8:9]
	s_waitcnt vmcnt(8) lgkmcnt(7)
	v_mul_f64 v[8:9], v[98:99], v[34:35]
	v_fma_f64 v[8:9], v[96:97], v[32:33], -v[8:9]
	v_fmac_f64_e32 v[134:135], v[82:83], v[16:17]
	v_add_f64 v[16:17], v[128:129], 0
	v_add_f64 v[4:5], v[4:5], v[8:9]
	s_waitcnt vmcnt(7) lgkmcnt(6)
	v_mul_f64 v[8:9], v[102:103], v[38:39]
	v_add_f64 v[16:17], v[16:17], v[130:131]
	v_fma_f64 v[8:9], v[100:101], v[36:37], -v[8:9]
	v_add_f64 v[6:7], v[16:17], v[132:133]
	v_add_f64 v[4:5], v[4:5], v[8:9]
	s_waitcnt vmcnt(6) lgkmcnt(5)
	v_mul_f64 v[8:9], v[106:107], v[42:43]
	v_fmac_f64_e32 v[136:137], v[86:87], v[20:21]
	v_add_f64 v[6:7], v[6:7], v[134:135]
	v_fma_f64 v[8:9], v[104:105], v[40:41], -v[8:9]
	v_mul_f64 v[140:141], v[92:93], v[30:31]
	v_fmac_f64_e32 v[138:139], v[90:91], v[24:25]
	v_add_f64 v[6:7], v[6:7], v[136:137]
	v_add_f64 v[4:5], v[4:5], v[8:9]
	s_waitcnt vmcnt(5) lgkmcnt(4)
	v_mul_f64 v[8:9], v[110:111], v[46:47]
	v_mul_f64 v[142:143], v[96:97], v[34:35]
	v_fmac_f64_e32 v[140:141], v[94:95], v[28:29]
	v_add_f64 v[6:7], v[6:7], v[138:139]
	v_fma_f64 v[8:9], v[108:109], v[44:45], -v[8:9]
	v_mul_f64 v[144:145], v[100:101], v[38:39]
	v_fmac_f64_e32 v[142:143], v[98:99], v[32:33]
	v_add_f64 v[6:7], v[6:7], v[140:141]
	v_add_f64 v[4:5], v[4:5], v[8:9]
	s_waitcnt vmcnt(4) lgkmcnt(3)
	v_mul_f64 v[8:9], v[114:115], v[50:51]
	v_mul_f64 v[146:147], v[104:105], v[42:43]
	v_fmac_f64_e32 v[144:145], v[102:103], v[36:37]
	v_add_f64 v[6:7], v[6:7], v[142:143]
	v_fma_f64 v[8:9], v[112:113], v[48:49], -v[8:9]
	v_mul_f64 v[148:149], v[108:109], v[46:47]
	v_fmac_f64_e32 v[146:147], v[106:107], v[40:41]
	v_add_f64 v[6:7], v[6:7], v[144:145]
	v_add_f64 v[4:5], v[4:5], v[8:9]
	s_waitcnt vmcnt(3) lgkmcnt(2)
	v_mul_f64 v[8:9], v[118:119], v[54:55]
	v_mul_f64 v[150:151], v[112:113], v[50:51]
	v_fmac_f64_e32 v[148:149], v[110:111], v[44:45]
	v_add_f64 v[6:7], v[6:7], v[146:147]
	v_fma_f64 v[8:9], v[116:117], v[52:53], -v[8:9]
	v_mul_f64 v[152:153], v[116:117], v[54:55]
	v_fmac_f64_e32 v[150:151], v[114:115], v[48:49]
	v_add_f64 v[6:7], v[6:7], v[148:149]
	v_add_f64 v[4:5], v[4:5], v[8:9]
	s_waitcnt vmcnt(2) lgkmcnt(1)
	v_mul_f64 v[8:9], v[122:123], v[58:59]
	v_mul_f64 v[154:155], v[120:121], v[58:59]
	v_fmac_f64_e32 v[152:153], v[118:119], v[52:53]
	v_add_f64 v[6:7], v[6:7], v[150:151]
	v_fma_f64 v[8:9], v[120:121], v[56:57], -v[8:9]
	s_waitcnt vmcnt(1) lgkmcnt(0)
	v_mul_f64 v[156:157], v[124:125], v[62:63]
	v_fmac_f64_e32 v[154:155], v[122:123], v[56:57]
	v_add_f64 v[6:7], v[6:7], v[152:153]
	v_add_f64 v[4:5], v[4:5], v[8:9]
	v_mul_f64 v[8:9], v[126:127], v[62:63]
	v_fmac_f64_e32 v[156:157], v[126:127], v[60:61]
	v_add_f64 v[6:7], v[6:7], v[154:155]
	v_fma_f64 v[8:9], v[124:125], v[60:61], -v[8:9]
	v_add_f64 v[6:7], v[6:7], v[156:157]
	v_add_f64 v[4:5], v[4:5], v[8:9]
	s_waitcnt vmcnt(0)
	v_add_f64 v[4:5], v[64:65], -v[4:5]
	v_add_f64 v[6:7], v[66:67], -v[6:7]
	scratch_store_dwordx4 off, v[4:7], off offset:512
	s_and_saveexec_b64 s[0:1], vcc
	s_cbranch_execz .LBB46_235
; %bb.234:
	scratch_load_dwordx4 v[6:9], off, s52
	v_mov_b32_e32 v3, v2
	v_mov_b32_e32 v4, v2
	;; [unrolled: 1-line block ×3, first 2 shown]
	v_accvgpr_read_b32 v0, a95
	scratch_store_dwordx4 off, v[2:5], off offset:496
	s_waitcnt vmcnt(1)
	ds_write_b128 v0, v[6:9]
.LBB46_235:
	s_or_b64 exec, exec, s[0:1]
	s_waitcnt lgkmcnt(0)
	; wave barrier
	ds_read_b128 v[16:19], v2 offset:1248
	ds_read_b128 v[12:15], v2 offset:1264
	;; [unrolled: 1-line block ×4, first 2 shown]
	scratch_load_dwordx4 v[20:23], off, off offset:512
	scratch_load_dwordx4 v[40:43], off, off offset:576
	;; [unrolled: 1-line block ×10, first 2 shown]
	v_cmp_lt_u32_e32 vcc, 29, v250
	scratch_load_dwordx4 v[48:51], off, off offset:592
	scratch_load_dwordx4 v[56:59], off, off offset:608
	;; [unrolled: 1-line block ×3, first 2 shown]
	s_waitcnt vmcnt(12) lgkmcnt(3)
	v_mul_f64 v[24:25], v[16:17], v[22:23]
	v_fmac_f64_e32 v[24:25], v[18:19], v[20:21]
	v_add_f64 v[28:29], v[24:25], 0
	scratch_load_dwordx4 v[24:27], off, off offset:528
	s_waitcnt vmcnt(0) lgkmcnt(2)
	v_mul_f64 v[30:31], v[12:13], v[26:27]
	v_fmac_f64_e32 v[30:31], v[14:15], v[24:25]
	v_add_f64 v[32:33], v[28:29], v[30:31]
	scratch_load_dwordx4 v[28:31], off, off offset:544
	v_mul_f64 v[14:15], v[14:15], v[26:27]
	v_fma_f64 v[12:13], v[12:13], v[24:25], -v[14:15]
	s_waitcnt vmcnt(0) lgkmcnt(1)
	v_mul_f64 v[34:35], v[8:9], v[30:31]
	v_fmac_f64_e32 v[34:35], v[10:11], v[28:29]
	v_add_f64 v[36:37], v[32:33], v[34:35]
	scratch_load_dwordx4 v[32:35], off, off offset:560
	v_mul_f64 v[10:11], v[10:11], v[30:31]
	v_fma_f64 v[8:9], v[8:9], v[28:29], -v[10:11]
	s_waitcnt vmcnt(0) lgkmcnt(0)
	v_mul_f64 v[38:39], v[4:5], v[34:35]
	v_fmac_f64_e32 v[38:39], v[6:7], v[32:33]
	v_add_f64 v[44:45], v[36:37], v[38:39]
	ds_read_b128 v[36:39], v2 offset:1312
	v_mul_f64 v[6:7], v[6:7], v[34:35]
	v_fma_f64 v[4:5], v[4:5], v[32:33], -v[6:7]
	s_waitcnt lgkmcnt(0)
	v_mul_f64 v[46:47], v[36:37], v[42:43]
	v_fmac_f64_e32 v[46:47], v[38:39], v[40:41]
	v_add_f64 v[52:53], v[44:45], v[46:47]
	ds_read_b128 v[44:47], v2 offset:1328
	s_waitcnt lgkmcnt(0)
	v_mul_f64 v[54:55], v[44:45], v[50:51]
	v_fmac_f64_e32 v[54:55], v[46:47], v[48:49]
	v_add_f64 v[60:61], v[52:53], v[54:55]
	ds_read_b128 v[52:55], v2 offset:1344
	s_waitcnt lgkmcnt(0)
	v_mul_f64 v[62:63], v[52:53], v[58:59]
	v_fmac_f64_e32 v[62:63], v[54:55], v[56:57]
	v_add_f64 v[64:65], v[60:61], v[62:63]
	ds_read_b128 v[60:63], v2 offset:1360
	s_waitcnt lgkmcnt(0)
	v_mul_f64 v[70:71], v[60:61], v[68:69]
	v_fmac_f64_e32 v[70:71], v[62:63], v[66:67]
	v_add_f64 v[64:65], v[64:65], v[70:71]
	ds_read_b128 v[70:73], v2 offset:1376
	s_waitcnt lgkmcnt(0)
	v_mul_f64 v[78:79], v[70:71], v[76:77]
	v_fmac_f64_e32 v[78:79], v[72:73], v[74:75]
	v_add_f64 v[64:65], v[64:65], v[78:79]
	ds_read_b128 v[78:81], v2 offset:1392
	s_waitcnt lgkmcnt(0)
	v_mul_f64 v[86:87], v[78:79], v[84:85]
	v_fmac_f64_e32 v[86:87], v[80:81], v[82:83]
	v_add_f64 v[64:65], v[64:65], v[86:87]
	ds_read_b128 v[86:89], v2 offset:1408
	s_waitcnt lgkmcnt(0)
	v_mul_f64 v[94:95], v[86:87], v[92:93]
	v_fmac_f64_e32 v[94:95], v[88:89], v[90:91]
	v_add_f64 v[64:65], v[64:65], v[94:95]
	ds_read_b128 v[94:97], v2 offset:1424
	s_waitcnt lgkmcnt(0)
	v_mul_f64 v[102:103], v[94:95], v[100:101]
	v_fmac_f64_e32 v[102:103], v[96:97], v[98:99]
	v_add_f64 v[64:65], v[64:65], v[102:103]
	ds_read_b128 v[102:105], v2 offset:1440
	s_waitcnt lgkmcnt(0)
	v_mul_f64 v[110:111], v[102:103], v[108:109]
	v_fmac_f64_e32 v[110:111], v[104:105], v[106:107]
	v_add_f64 v[64:65], v[64:65], v[110:111]
	ds_read_b128 v[110:113], v2 offset:1456
	s_waitcnt lgkmcnt(0)
	v_mul_f64 v[118:119], v[110:111], v[116:117]
	v_fmac_f64_e32 v[118:119], v[112:113], v[114:115]
	v_add_f64 v[64:65], v[64:65], v[118:119]
	ds_read_b128 v[118:121], v2 offset:1472
	s_waitcnt lgkmcnt(0)
	v_mul_f64 v[126:127], v[118:119], v[124:125]
	v_fmac_f64_e32 v[126:127], v[120:121], v[122:123]
	v_add_f64 v[64:65], v[64:65], v[126:127]
	ds_read_b128 v[126:129], v2 offset:1488
	s_waitcnt lgkmcnt(0)
	v_mul_f64 v[2:3], v[126:127], v[132:133]
	v_fmac_f64_e32 v[2:3], v[128:129], v[130:131]
	v_add_f64 v[64:65], v[64:65], v[2:3]
	v_mul_f64 v[2:3], v[18:19], v[22:23]
	v_fma_f64 v[2:3], v[16:17], v[20:21], -v[2:3]
	v_add_f64 v[2:3], v[2:3], 0
	v_add_f64 v[2:3], v[2:3], v[12:13]
	;; [unrolled: 1-line block ×4, first 2 shown]
	v_mul_f64 v[4:5], v[38:39], v[42:43]
	v_fma_f64 v[4:5], v[36:37], v[40:41], -v[4:5]
	v_add_f64 v[2:3], v[2:3], v[4:5]
	v_mul_f64 v[4:5], v[46:47], v[50:51]
	v_fma_f64 v[4:5], v[44:45], v[48:49], -v[4:5]
	v_add_f64 v[2:3], v[2:3], v[4:5]
	;; [unrolled: 3-line block ×12, first 2 shown]
	scratch_load_dwordx4 v[2:5], off, off offset:496
	s_waitcnt vmcnt(0)
	v_add_f64 v[2:3], v[2:3], -v[6:7]
	v_add_f64 v[4:5], v[4:5], -v[64:65]
	scratch_store_dwordx4 off, v[2:5], off offset:496
	s_and_saveexec_b64 s[0:1], vcc
	s_cbranch_execz .LBB46_237
; %bb.236:
	scratch_load_dwordx4 v[2:5], off, s51
	v_mov_b32_e32 v6, 0
	v_mov_b32_e32 v7, v6
	v_mov_b32_e32 v8, v6
	v_mov_b32_e32 v9, v6
	v_accvgpr_read_b32 v0, a95
	scratch_store_dwordx4 off, v[6:9], off offset:480
	s_waitcnt vmcnt(1)
	ds_write_b128 v0, v[2:5]
.LBB46_237:
	s_or_b64 exec, exec, s[0:1]
	v_mov_b32_e32 v2, 0
	s_waitcnt lgkmcnt(0)
	; wave barrier
	ds_read_b128 v[16:19], v2 offset:1232
	ds_read_b128 v[12:15], v2 offset:1248
	;; [unrolled: 1-line block ×4, first 2 shown]
	scratch_load_dwordx4 v[20:23], off, off offset:496
	scratch_load_dwordx4 v[40:43], off, off offset:560
	;; [unrolled: 1-line block ×11, first 2 shown]
	v_cmp_lt_u32_e32 vcc, 28, v250
	scratch_load_dwordx4 v[48:51], off, off offset:576
	scratch_load_dwordx4 v[56:59], off, off offset:592
	;; [unrolled: 1-line block ×3, first 2 shown]
	s_waitcnt vmcnt(13) lgkmcnt(3)
	v_mul_f64 v[24:25], v[16:17], v[22:23]
	v_fmac_f64_e32 v[24:25], v[18:19], v[20:21]
	v_add_f64 v[28:29], v[24:25], 0
	scratch_load_dwordx4 v[24:27], off, off offset:512
	v_mul_f64 v[18:19], v[18:19], v[22:23]
	v_fma_f64 v[16:17], v[16:17], v[20:21], -v[18:19]
	v_add_f64 v[16:17], v[16:17], 0
	s_waitcnt vmcnt(0) lgkmcnt(2)
	v_mul_f64 v[30:31], v[12:13], v[26:27]
	v_fmac_f64_e32 v[30:31], v[14:15], v[24:25]
	v_add_f64 v[32:33], v[28:29], v[30:31]
	scratch_load_dwordx4 v[28:31], off, off offset:528
	v_mul_f64 v[14:15], v[14:15], v[26:27]
	v_fma_f64 v[12:13], v[12:13], v[24:25], -v[14:15]
	v_add_f64 v[12:13], v[16:17], v[12:13]
	;; [unrolled: 8-line block ×3, first 2 shown]
	s_waitcnt vmcnt(0) lgkmcnt(0)
	v_mul_f64 v[38:39], v[4:5], v[34:35]
	v_fmac_f64_e32 v[38:39], v[6:7], v[32:33]
	v_add_f64 v[44:45], v[36:37], v[38:39]
	ds_read_b128 v[36:39], v2 offset:1296
	v_mul_f64 v[6:7], v[6:7], v[34:35]
	v_fma_f64 v[4:5], v[4:5], v[32:33], -v[6:7]
	v_add_f64 v[4:5], v[8:9], v[4:5]
	s_waitcnt lgkmcnt(0)
	v_mul_f64 v[46:47], v[36:37], v[42:43]
	v_fmac_f64_e32 v[46:47], v[38:39], v[40:41]
	v_add_f64 v[52:53], v[44:45], v[46:47]
	ds_read_b128 v[44:47], v2 offset:1312
	v_mul_f64 v[6:7], v[38:39], v[42:43]
	v_fma_f64 v[6:7], v[36:37], v[40:41], -v[6:7]
	v_add_f64 v[4:5], v[4:5], v[6:7]
	s_waitcnt lgkmcnt(0)
	;; [unrolled: 8-line block ×13, first 2 shown]
	v_mul_f64 v[6:7], v[136:137], v[140:141]
	v_fma_f64 v[6:7], v[134:135], v[138:139], -v[6:7]
	v_add_f64 v[8:9], v[4:5], v[6:7]
	scratch_load_dwordx4 v[4:7], off, off offset:480
	v_mul_f64 v[142:143], v[134:135], v[140:141]
	v_fmac_f64_e32 v[142:143], v[136:137], v[138:139]
	v_add_f64 v[72:73], v[72:73], v[142:143]
	s_waitcnt vmcnt(0)
	v_add_f64 v[4:5], v[4:5], -v[8:9]
	v_add_f64 v[6:7], v[6:7], -v[72:73]
	scratch_store_dwordx4 off, v[4:7], off offset:480
	s_and_saveexec_b64 s[0:1], vcc
	s_cbranch_execz .LBB46_239
; %bb.238:
	scratch_load_dwordx4 v[6:9], off, s50
	v_mov_b32_e32 v3, v2
	v_mov_b32_e32 v4, v2
	;; [unrolled: 1-line block ×3, first 2 shown]
	v_accvgpr_read_b32 v0, a95
	scratch_store_dwordx4 off, v[2:5], off offset:464
	s_waitcnt vmcnt(1)
	ds_write_b128 v0, v[6:9]
.LBB46_239:
	s_or_b64 exec, exec, s[0:1]
	s_waitcnt lgkmcnt(0)
	; wave barrier
	ds_read_b128 v[16:19], v2 offset:1216
	ds_read_b128 v[12:15], v2 offset:1232
	;; [unrolled: 1-line block ×4, first 2 shown]
	scratch_load_dwordx4 v[20:23], off, off offset:480
	scratch_load_dwordx4 v[40:43], off, off offset:544
	;; [unrolled: 1-line block ×12, first 2 shown]
	v_cmp_lt_u32_e32 vcc, 27, v250
	scratch_load_dwordx4 v[48:51], off, off offset:560
	scratch_load_dwordx4 v[56:59], off, off offset:576
	;; [unrolled: 1-line block ×3, first 2 shown]
	s_waitcnt vmcnt(14) lgkmcnt(3)
	v_mul_f64 v[24:25], v[16:17], v[22:23]
	v_fmac_f64_e32 v[24:25], v[18:19], v[20:21]
	v_add_f64 v[28:29], v[24:25], 0
	scratch_load_dwordx4 v[24:27], off, off offset:496
	s_waitcnt vmcnt(0) lgkmcnt(2)
	v_mul_f64 v[30:31], v[12:13], v[26:27]
	v_fmac_f64_e32 v[30:31], v[14:15], v[24:25]
	v_add_f64 v[32:33], v[28:29], v[30:31]
	scratch_load_dwordx4 v[28:31], off, off offset:512
	v_mul_f64 v[14:15], v[14:15], v[26:27]
	v_fma_f64 v[12:13], v[12:13], v[24:25], -v[14:15]
	s_waitcnt vmcnt(0) lgkmcnt(1)
	v_mul_f64 v[34:35], v[8:9], v[30:31]
	v_fmac_f64_e32 v[34:35], v[10:11], v[28:29]
	v_add_f64 v[36:37], v[32:33], v[34:35]
	scratch_load_dwordx4 v[32:35], off, off offset:528
	v_mul_f64 v[10:11], v[10:11], v[30:31]
	v_fma_f64 v[8:9], v[8:9], v[28:29], -v[10:11]
	s_waitcnt vmcnt(0) lgkmcnt(0)
	v_mul_f64 v[38:39], v[4:5], v[34:35]
	v_fmac_f64_e32 v[38:39], v[6:7], v[32:33]
	v_add_f64 v[44:45], v[36:37], v[38:39]
	ds_read_b128 v[36:39], v2 offset:1280
	v_mul_f64 v[6:7], v[6:7], v[34:35]
	v_fma_f64 v[4:5], v[4:5], v[32:33], -v[6:7]
	s_waitcnt lgkmcnt(0)
	v_mul_f64 v[46:47], v[36:37], v[42:43]
	v_fmac_f64_e32 v[46:47], v[38:39], v[40:41]
	v_add_f64 v[52:53], v[44:45], v[46:47]
	ds_read_b128 v[44:47], v2 offset:1296
	s_waitcnt lgkmcnt(0)
	v_mul_f64 v[54:55], v[44:45], v[50:51]
	v_fmac_f64_e32 v[54:55], v[46:47], v[48:49]
	v_add_f64 v[60:61], v[52:53], v[54:55]
	ds_read_b128 v[52:55], v2 offset:1312
	;; [unrolled: 5-line block ×13, first 2 shown]
	s_waitcnt lgkmcnt(0)
	v_mul_f64 v[2:3], v[142:143], v[148:149]
	v_fmac_f64_e32 v[2:3], v[144:145], v[146:147]
	v_add_f64 v[80:81], v[80:81], v[2:3]
	v_mul_f64 v[2:3], v[18:19], v[22:23]
	v_fma_f64 v[2:3], v[16:17], v[20:21], -v[2:3]
	v_add_f64 v[2:3], v[2:3], 0
	v_add_f64 v[2:3], v[2:3], v[12:13]
	;; [unrolled: 1-line block ×4, first 2 shown]
	v_mul_f64 v[4:5], v[38:39], v[42:43]
	v_fma_f64 v[4:5], v[36:37], v[40:41], -v[4:5]
	v_add_f64 v[2:3], v[2:3], v[4:5]
	v_mul_f64 v[4:5], v[46:47], v[50:51]
	v_fma_f64 v[4:5], v[44:45], v[48:49], -v[4:5]
	v_add_f64 v[2:3], v[2:3], v[4:5]
	;; [unrolled: 3-line block ×14, first 2 shown]
	scratch_load_dwordx4 v[2:5], off, off offset:464
	s_waitcnt vmcnt(0)
	v_add_f64 v[2:3], v[2:3], -v[6:7]
	v_add_f64 v[4:5], v[4:5], -v[80:81]
	scratch_store_dwordx4 off, v[2:5], off offset:464
	s_and_saveexec_b64 s[0:1], vcc
	s_cbranch_execz .LBB46_241
; %bb.240:
	scratch_load_dwordx4 v[2:5], off, s49
	v_mov_b32_e32 v6, 0
	v_mov_b32_e32 v7, v6
	;; [unrolled: 1-line block ×4, first 2 shown]
	v_accvgpr_read_b32 v0, a95
	scratch_store_dwordx4 off, v[6:9], off offset:448
	s_waitcnt vmcnt(1)
	ds_write_b128 v0, v[2:5]
.LBB46_241:
	s_or_b64 exec, exec, s[0:1]
	v_mov_b32_e32 v2, 0
	s_waitcnt lgkmcnt(0)
	; wave barrier
	ds_read_b128 v[16:19], v2 offset:1200
	ds_read_b128 v[12:15], v2 offset:1216
	;; [unrolled: 1-line block ×4, first 2 shown]
	scratch_load_dwordx4 v[20:23], off, off offset:464
	scratch_load_dwordx4 v[40:43], off, off offset:528
	;; [unrolled: 1-line block ×13, first 2 shown]
	v_cmp_lt_u32_e32 vcc, 26, v250
	scratch_load_dwordx4 v[48:51], off, off offset:544
	scratch_load_dwordx4 v[56:59], off, off offset:560
	;; [unrolled: 1-line block ×3, first 2 shown]
	s_waitcnt vmcnt(15) lgkmcnt(3)
	v_mul_f64 v[24:25], v[16:17], v[22:23]
	v_fmac_f64_e32 v[24:25], v[18:19], v[20:21]
	v_add_f64 v[28:29], v[24:25], 0
	scratch_load_dwordx4 v[24:27], off, off offset:480
	v_mul_f64 v[18:19], v[18:19], v[22:23]
	v_fma_f64 v[16:17], v[16:17], v[20:21], -v[18:19]
	v_add_f64 v[16:17], v[16:17], 0
	s_waitcnt vmcnt(0) lgkmcnt(2)
	v_mul_f64 v[30:31], v[12:13], v[26:27]
	v_fmac_f64_e32 v[30:31], v[14:15], v[24:25]
	v_add_f64 v[32:33], v[28:29], v[30:31]
	scratch_load_dwordx4 v[28:31], off, off offset:496
	v_mul_f64 v[14:15], v[14:15], v[26:27]
	v_fma_f64 v[12:13], v[12:13], v[24:25], -v[14:15]
	v_add_f64 v[12:13], v[16:17], v[12:13]
	;; [unrolled: 8-line block ×3, first 2 shown]
	s_waitcnt vmcnt(0) lgkmcnt(0)
	v_mul_f64 v[38:39], v[4:5], v[34:35]
	v_fmac_f64_e32 v[38:39], v[6:7], v[32:33]
	v_add_f64 v[44:45], v[36:37], v[38:39]
	ds_read_b128 v[36:39], v2 offset:1264
	v_mul_f64 v[6:7], v[6:7], v[34:35]
	v_fma_f64 v[4:5], v[4:5], v[32:33], -v[6:7]
	v_add_f64 v[4:5], v[8:9], v[4:5]
	s_waitcnt lgkmcnt(0)
	v_mul_f64 v[46:47], v[36:37], v[42:43]
	v_fmac_f64_e32 v[46:47], v[38:39], v[40:41]
	v_add_f64 v[52:53], v[44:45], v[46:47]
	ds_read_b128 v[44:47], v2 offset:1280
	v_mul_f64 v[6:7], v[38:39], v[42:43]
	v_fma_f64 v[6:7], v[36:37], v[40:41], -v[6:7]
	v_add_f64 v[4:5], v[4:5], v[6:7]
	s_waitcnt lgkmcnt(0)
	;; [unrolled: 8-line block ×15, first 2 shown]
	v_mul_f64 v[6:7], v[152:153], v[156:157]
	v_fma_f64 v[6:7], v[150:151], v[154:155], -v[6:7]
	v_add_f64 v[8:9], v[4:5], v[6:7]
	scratch_load_dwordx4 v[4:7], off, off offset:448
	v_mul_f64 v[158:159], v[150:151], v[156:157]
	v_fmac_f64_e32 v[158:159], v[152:153], v[154:155]
	v_add_f64 v[88:89], v[88:89], v[158:159]
	s_waitcnt vmcnt(0)
	v_add_f64 v[4:5], v[4:5], -v[8:9]
	v_add_f64 v[6:7], v[6:7], -v[88:89]
	scratch_store_dwordx4 off, v[4:7], off offset:448
	s_and_saveexec_b64 s[0:1], vcc
	s_cbranch_execz .LBB46_243
; %bb.242:
	scratch_load_dwordx4 v[6:9], off, s48
	v_mov_b32_e32 v3, v2
	v_mov_b32_e32 v4, v2
	v_mov_b32_e32 v5, v2
	v_accvgpr_read_b32 v0, a95
	scratch_store_dwordx4 off, v[2:5], off offset:432
	s_waitcnt vmcnt(1)
	ds_write_b128 v0, v[6:9]
.LBB46_243:
	s_or_b64 exec, exec, s[0:1]
	s_waitcnt lgkmcnt(0)
	; wave barrier
	ds_read_b128 v[16:19], v2 offset:1184
	ds_read_b128 v[12:15], v2 offset:1200
	ds_read_b128 v[8:11], v2 offset:1216
	ds_read_b128 v[4:7], v2 offset:1232
	scratch_load_dwordx4 v[20:23], off, off offset:448
	scratch_load_dwordx4 v[40:43], off, off offset:512
	;; [unrolled: 1-line block ×14, first 2 shown]
	v_cmp_lt_u32_e32 vcc, 25, v250
	scratch_load_dwordx4 v[48:51], off, off offset:528
	scratch_load_dwordx4 v[56:59], off, off offset:544
	;; [unrolled: 1-line block ×3, first 2 shown]
	s_waitcnt vmcnt(16) lgkmcnt(3)
	v_mul_f64 v[24:25], v[16:17], v[22:23]
	v_fmac_f64_e32 v[24:25], v[18:19], v[20:21]
	v_add_f64 v[28:29], v[24:25], 0
	scratch_load_dwordx4 v[24:27], off, off offset:464
	s_waitcnt vmcnt(0) lgkmcnt(2)
	v_mul_f64 v[30:31], v[12:13], v[26:27]
	v_fmac_f64_e32 v[30:31], v[14:15], v[24:25]
	v_add_f64 v[32:33], v[28:29], v[30:31]
	scratch_load_dwordx4 v[28:31], off, off offset:480
	v_mul_f64 v[14:15], v[14:15], v[26:27]
	v_fma_f64 v[12:13], v[12:13], v[24:25], -v[14:15]
	s_waitcnt vmcnt(0) lgkmcnt(1)
	v_mul_f64 v[34:35], v[8:9], v[30:31]
	v_fmac_f64_e32 v[34:35], v[10:11], v[28:29]
	v_add_f64 v[36:37], v[32:33], v[34:35]
	scratch_load_dwordx4 v[32:35], off, off offset:496
	v_mul_f64 v[10:11], v[10:11], v[30:31]
	v_fma_f64 v[8:9], v[8:9], v[28:29], -v[10:11]
	s_waitcnt vmcnt(0) lgkmcnt(0)
	v_mul_f64 v[38:39], v[4:5], v[34:35]
	v_fmac_f64_e32 v[38:39], v[6:7], v[32:33]
	v_add_f64 v[44:45], v[36:37], v[38:39]
	ds_read_b128 v[36:39], v2 offset:1248
	v_mul_f64 v[6:7], v[6:7], v[34:35]
	v_fma_f64 v[4:5], v[4:5], v[32:33], -v[6:7]
	s_waitcnt lgkmcnt(0)
	v_mul_f64 v[46:47], v[36:37], v[42:43]
	v_fmac_f64_e32 v[46:47], v[38:39], v[40:41]
	v_add_f64 v[52:53], v[44:45], v[46:47]
	ds_read_b128 v[44:47], v2 offset:1264
	s_waitcnt lgkmcnt(0)
	v_mul_f64 v[54:55], v[44:45], v[50:51]
	v_fmac_f64_e32 v[54:55], v[46:47], v[48:49]
	v_add_f64 v[60:61], v[52:53], v[54:55]
	ds_read_b128 v[52:55], v2 offset:1280
	;; [unrolled: 5-line block ×15, first 2 shown]
	s_waitcnt lgkmcnt(0)
	v_mul_f64 v[2:3], v[158:159], v[164:165]
	v_fmac_f64_e32 v[2:3], v[160:161], v[162:163]
	v_add_f64 v[96:97], v[96:97], v[2:3]
	v_mul_f64 v[2:3], v[18:19], v[22:23]
	v_fma_f64 v[2:3], v[16:17], v[20:21], -v[2:3]
	v_add_f64 v[2:3], v[2:3], 0
	v_add_f64 v[2:3], v[2:3], v[12:13]
	;; [unrolled: 1-line block ×4, first 2 shown]
	v_mul_f64 v[4:5], v[38:39], v[42:43]
	v_fma_f64 v[4:5], v[36:37], v[40:41], -v[4:5]
	v_add_f64 v[2:3], v[2:3], v[4:5]
	v_mul_f64 v[4:5], v[46:47], v[50:51]
	v_fma_f64 v[4:5], v[44:45], v[48:49], -v[4:5]
	v_add_f64 v[2:3], v[2:3], v[4:5]
	;; [unrolled: 3-line block ×16, first 2 shown]
	scratch_load_dwordx4 v[2:5], off, off offset:432
	s_waitcnt vmcnt(0)
	v_add_f64 v[2:3], v[2:3], -v[6:7]
	v_add_f64 v[4:5], v[4:5], -v[96:97]
	scratch_store_dwordx4 off, v[2:5], off offset:432
	s_and_saveexec_b64 s[0:1], vcc
	s_cbranch_execz .LBB46_245
; %bb.244:
	scratch_load_dwordx4 v[2:5], off, s47
	v_mov_b32_e32 v6, 0
	v_mov_b32_e32 v7, v6
	;; [unrolled: 1-line block ×4, first 2 shown]
	v_accvgpr_read_b32 v0, a95
	scratch_store_dwordx4 off, v[6:9], off offset:416
	s_waitcnt vmcnt(1)
	ds_write_b128 v0, v[2:5]
.LBB46_245:
	s_or_b64 exec, exec, s[0:1]
	v_mov_b32_e32 v2, 0
	s_waitcnt lgkmcnt(0)
	; wave barrier
	ds_read_b128 v[16:19], v2 offset:1168
	ds_read_b128 v[12:15], v2 offset:1184
	;; [unrolled: 1-line block ×4, first 2 shown]
	scratch_load_dwordx4 v[20:23], off, off offset:432
	scratch_load_dwordx4 v[40:43], off, off offset:496
	;; [unrolled: 1-line block ×15, first 2 shown]
	v_cmp_lt_u32_e32 vcc, 24, v250
	scratch_load_dwordx4 v[48:51], off, off offset:512
	scratch_load_dwordx4 v[56:59], off, off offset:528
	;; [unrolled: 1-line block ×3, first 2 shown]
	s_waitcnt vmcnt(17) lgkmcnt(3)
	v_mul_f64 v[24:25], v[16:17], v[22:23]
	v_fmac_f64_e32 v[24:25], v[18:19], v[20:21]
	v_add_f64 v[28:29], v[24:25], 0
	scratch_load_dwordx4 v[24:27], off, off offset:448
	v_mul_f64 v[18:19], v[18:19], v[22:23]
	v_fma_f64 v[16:17], v[16:17], v[20:21], -v[18:19]
	v_add_f64 v[16:17], v[16:17], 0
	s_waitcnt vmcnt(0) lgkmcnt(2)
	v_mul_f64 v[30:31], v[12:13], v[26:27]
	v_fmac_f64_e32 v[30:31], v[14:15], v[24:25]
	v_add_f64 v[32:33], v[28:29], v[30:31]
	scratch_load_dwordx4 v[28:31], off, off offset:464
	v_mul_f64 v[14:15], v[14:15], v[26:27]
	v_fma_f64 v[12:13], v[12:13], v[24:25], -v[14:15]
	v_add_f64 v[12:13], v[16:17], v[12:13]
	s_waitcnt vmcnt(0) lgkmcnt(1)
	v_mul_f64 v[34:35], v[8:9], v[30:31]
	v_fmac_f64_e32 v[34:35], v[10:11], v[28:29]
	v_add_f64 v[36:37], v[32:33], v[34:35]
	scratch_load_dwordx4 v[32:35], off, off offset:480
	v_mul_f64 v[10:11], v[10:11], v[30:31]
	v_fma_f64 v[8:9], v[8:9], v[28:29], -v[10:11]
	v_add_f64 v[8:9], v[12:13], v[8:9]
	s_waitcnt vmcnt(0) lgkmcnt(0)
	v_mul_f64 v[38:39], v[4:5], v[34:35]
	v_fmac_f64_e32 v[38:39], v[6:7], v[32:33]
	v_add_f64 v[44:45], v[36:37], v[38:39]
	ds_read_b128 v[36:39], v2 offset:1232
	v_mul_f64 v[6:7], v[6:7], v[34:35]
	v_fma_f64 v[4:5], v[4:5], v[32:33], -v[6:7]
	v_add_f64 v[4:5], v[8:9], v[4:5]
	s_waitcnt lgkmcnt(0)
	v_mul_f64 v[46:47], v[36:37], v[42:43]
	v_fmac_f64_e32 v[46:47], v[38:39], v[40:41]
	v_add_f64 v[52:53], v[44:45], v[46:47]
	ds_read_b128 v[44:47], v2 offset:1248
	v_mul_f64 v[6:7], v[38:39], v[42:43]
	v_fma_f64 v[6:7], v[36:37], v[40:41], -v[6:7]
	v_add_f64 v[4:5], v[4:5], v[6:7]
	s_waitcnt lgkmcnt(0)
	v_mul_f64 v[54:55], v[44:45], v[50:51]
	v_fmac_f64_e32 v[54:55], v[46:47], v[48:49]
	v_add_f64 v[60:61], v[52:53], v[54:55]
	ds_read_b128 v[52:55], v2 offset:1264
	v_mul_f64 v[6:7], v[46:47], v[50:51]
	v_fma_f64 v[6:7], v[44:45], v[48:49], -v[6:7]
	v_add_f64 v[4:5], v[4:5], v[6:7]
	s_waitcnt lgkmcnt(0)
	v_mul_f64 v[62:63], v[52:53], v[58:59]
	v_fmac_f64_e32 v[62:63], v[54:55], v[56:57]
	v_add_f64 v[68:69], v[60:61], v[62:63]
	ds_read_b128 v[60:63], v2 offset:1280
	v_mul_f64 v[6:7], v[54:55], v[58:59]
	v_fma_f64 v[6:7], v[52:53], v[56:57], -v[6:7]
	v_add_f64 v[4:5], v[4:5], v[6:7]
	s_waitcnt lgkmcnt(0)
	v_mul_f64 v[70:71], v[60:61], v[66:67]
	v_fmac_f64_e32 v[70:71], v[62:63], v[64:65]
	v_add_f64 v[76:77], v[68:69], v[70:71]
	ds_read_b128 v[68:71], v2 offset:1296
	v_mul_f64 v[6:7], v[62:63], v[66:67]
	v_fma_f64 v[6:7], v[60:61], v[64:65], -v[6:7]
	v_add_f64 v[4:5], v[4:5], v[6:7]
	s_waitcnt lgkmcnt(0)
	v_mul_f64 v[78:79], v[68:69], v[74:75]
	v_fmac_f64_e32 v[78:79], v[70:71], v[72:73]
	v_add_f64 v[84:85], v[76:77], v[78:79]
	ds_read_b128 v[76:79], v2 offset:1312
	v_mul_f64 v[6:7], v[70:71], v[74:75]
	v_fma_f64 v[6:7], v[68:69], v[72:73], -v[6:7]
	v_add_f64 v[4:5], v[4:5], v[6:7]
	s_waitcnt lgkmcnt(0)
	v_mul_f64 v[86:87], v[76:77], v[82:83]
	v_fmac_f64_e32 v[86:87], v[78:79], v[80:81]
	v_add_f64 v[92:93], v[84:85], v[86:87]
	ds_read_b128 v[84:87], v2 offset:1328
	v_mul_f64 v[6:7], v[78:79], v[82:83]
	v_fma_f64 v[6:7], v[76:77], v[80:81], -v[6:7]
	v_add_f64 v[4:5], v[4:5], v[6:7]
	s_waitcnt lgkmcnt(0)
	v_mul_f64 v[94:95], v[84:85], v[90:91]
	v_fmac_f64_e32 v[94:95], v[86:87], v[88:89]
	v_add_f64 v[100:101], v[92:93], v[94:95]
	ds_read_b128 v[92:95], v2 offset:1344
	v_mul_f64 v[6:7], v[86:87], v[90:91]
	v_fma_f64 v[6:7], v[84:85], v[88:89], -v[6:7]
	v_add_f64 v[4:5], v[4:5], v[6:7]
	s_waitcnt lgkmcnt(0)
	v_mul_f64 v[102:103], v[92:93], v[98:99]
	v_fmac_f64_e32 v[102:103], v[94:95], v[96:97]
	v_add_f64 v[104:105], v[100:101], v[102:103]
	ds_read_b128 v[100:103], v2 offset:1360
	v_mul_f64 v[6:7], v[94:95], v[98:99]
	v_fma_f64 v[6:7], v[92:93], v[96:97], -v[6:7]
	v_add_f64 v[4:5], v[4:5], v[6:7]
	s_waitcnt lgkmcnt(0)
	v_mul_f64 v[110:111], v[100:101], v[108:109]
	v_fmac_f64_e32 v[110:111], v[102:103], v[106:107]
	v_add_f64 v[104:105], v[104:105], v[110:111]
	ds_read_b128 v[110:113], v2 offset:1376
	v_mul_f64 v[6:7], v[102:103], v[108:109]
	v_fma_f64 v[6:7], v[100:101], v[106:107], -v[6:7]
	v_add_f64 v[4:5], v[4:5], v[6:7]
	s_waitcnt lgkmcnt(0)
	v_mul_f64 v[118:119], v[110:111], v[116:117]
	v_fmac_f64_e32 v[118:119], v[112:113], v[114:115]
	v_add_f64 v[104:105], v[104:105], v[118:119]
	ds_read_b128 v[118:121], v2 offset:1392
	v_mul_f64 v[6:7], v[112:113], v[116:117]
	v_fma_f64 v[6:7], v[110:111], v[114:115], -v[6:7]
	v_add_f64 v[4:5], v[4:5], v[6:7]
	s_waitcnt lgkmcnt(0)
	v_mul_f64 v[126:127], v[118:119], v[124:125]
	v_fmac_f64_e32 v[126:127], v[120:121], v[122:123]
	v_add_f64 v[104:105], v[104:105], v[126:127]
	ds_read_b128 v[126:129], v2 offset:1408
	v_mul_f64 v[6:7], v[120:121], v[124:125]
	v_fma_f64 v[6:7], v[118:119], v[122:123], -v[6:7]
	v_add_f64 v[4:5], v[4:5], v[6:7]
	s_waitcnt lgkmcnt(0)
	v_mul_f64 v[134:135], v[126:127], v[132:133]
	v_fmac_f64_e32 v[134:135], v[128:129], v[130:131]
	v_add_f64 v[104:105], v[104:105], v[134:135]
	ds_read_b128 v[134:137], v2 offset:1424
	v_mul_f64 v[6:7], v[128:129], v[132:133]
	v_fma_f64 v[6:7], v[126:127], v[130:131], -v[6:7]
	v_add_f64 v[4:5], v[4:5], v[6:7]
	s_waitcnt lgkmcnt(0)
	v_mul_f64 v[142:143], v[134:135], v[140:141]
	v_fmac_f64_e32 v[142:143], v[136:137], v[138:139]
	v_add_f64 v[104:105], v[104:105], v[142:143]
	ds_read_b128 v[142:145], v2 offset:1440
	v_mul_f64 v[6:7], v[136:137], v[140:141]
	v_fma_f64 v[6:7], v[134:135], v[138:139], -v[6:7]
	v_add_f64 v[4:5], v[4:5], v[6:7]
	s_waitcnt lgkmcnt(0)
	v_mul_f64 v[150:151], v[142:143], v[148:149]
	v_fmac_f64_e32 v[150:151], v[144:145], v[146:147]
	v_add_f64 v[104:105], v[104:105], v[150:151]
	ds_read_b128 v[150:153], v2 offset:1456
	v_mul_f64 v[6:7], v[144:145], v[148:149]
	v_fma_f64 v[6:7], v[142:143], v[146:147], -v[6:7]
	v_add_f64 v[4:5], v[4:5], v[6:7]
	s_waitcnt lgkmcnt(0)
	v_mul_f64 v[158:159], v[150:151], v[156:157]
	v_fmac_f64_e32 v[158:159], v[152:153], v[154:155]
	v_add_f64 v[104:105], v[104:105], v[158:159]
	ds_read_b128 v[158:161], v2 offset:1472
	v_mul_f64 v[6:7], v[152:153], v[156:157]
	v_fma_f64 v[6:7], v[150:151], v[154:155], -v[6:7]
	v_add_f64 v[4:5], v[4:5], v[6:7]
	s_waitcnt lgkmcnt(0)
	v_mul_f64 v[166:167], v[158:159], v[164:165]
	v_fmac_f64_e32 v[166:167], v[160:161], v[162:163]
	v_add_f64 v[104:105], v[104:105], v[166:167]
	ds_read_b128 v[166:169], v2 offset:1488
	v_mul_f64 v[6:7], v[160:161], v[164:165]
	v_fma_f64 v[6:7], v[158:159], v[162:163], -v[6:7]
	v_add_f64 v[4:5], v[4:5], v[6:7]
	s_waitcnt lgkmcnt(0)
	v_mul_f64 v[6:7], v[168:169], v[172:173]
	v_fma_f64 v[6:7], v[166:167], v[170:171], -v[6:7]
	v_add_f64 v[8:9], v[4:5], v[6:7]
	scratch_load_dwordx4 v[4:7], off, off offset:416
	v_mul_f64 v[174:175], v[166:167], v[172:173]
	v_fmac_f64_e32 v[174:175], v[168:169], v[170:171]
	v_add_f64 v[104:105], v[104:105], v[174:175]
	s_waitcnt vmcnt(0)
	v_add_f64 v[4:5], v[4:5], -v[8:9]
	v_add_f64 v[6:7], v[6:7], -v[104:105]
	scratch_store_dwordx4 off, v[4:7], off offset:416
	s_and_saveexec_b64 s[0:1], vcc
	s_cbranch_execz .LBB46_247
; %bb.246:
	scratch_load_dwordx4 v[6:9], off, s46
	v_mov_b32_e32 v3, v2
	v_mov_b32_e32 v4, v2
	;; [unrolled: 1-line block ×3, first 2 shown]
	v_accvgpr_read_b32 v0, a95
	scratch_store_dwordx4 off, v[2:5], off offset:400
	s_waitcnt vmcnt(1)
	ds_write_b128 v0, v[6:9]
.LBB46_247:
	s_or_b64 exec, exec, s[0:1]
	s_waitcnt lgkmcnt(0)
	; wave barrier
	ds_read_b128 v[16:19], v2 offset:1152
	ds_read_b128 v[12:15], v2 offset:1168
	;; [unrolled: 1-line block ×4, first 2 shown]
	scratch_load_dwordx4 v[20:23], off, off offset:416
	scratch_load_dwordx4 v[40:43], off, off offset:480
	;; [unrolled: 1-line block ×16, first 2 shown]
	v_cmp_lt_u32_e32 vcc, 23, v250
	scratch_load_dwordx4 v[48:51], off, off offset:496
	scratch_load_dwordx4 v[56:59], off, off offset:512
	;; [unrolled: 1-line block ×3, first 2 shown]
	s_waitcnt vmcnt(18) lgkmcnt(3)
	v_mul_f64 v[24:25], v[16:17], v[22:23]
	v_fmac_f64_e32 v[24:25], v[18:19], v[20:21]
	v_add_f64 v[28:29], v[24:25], 0
	scratch_load_dwordx4 v[24:27], off, off offset:432
	s_waitcnt vmcnt(0) lgkmcnt(2)
	v_mul_f64 v[30:31], v[12:13], v[26:27]
	v_fmac_f64_e32 v[30:31], v[14:15], v[24:25]
	v_add_f64 v[32:33], v[28:29], v[30:31]
	scratch_load_dwordx4 v[28:31], off, off offset:448
	v_mul_f64 v[14:15], v[14:15], v[26:27]
	v_fma_f64 v[12:13], v[12:13], v[24:25], -v[14:15]
	s_waitcnt vmcnt(0) lgkmcnt(1)
	v_mul_f64 v[34:35], v[8:9], v[30:31]
	v_fmac_f64_e32 v[34:35], v[10:11], v[28:29]
	v_add_f64 v[36:37], v[32:33], v[34:35]
	scratch_load_dwordx4 v[32:35], off, off offset:464
	v_mul_f64 v[10:11], v[10:11], v[30:31]
	v_fma_f64 v[8:9], v[8:9], v[28:29], -v[10:11]
	s_waitcnt vmcnt(0) lgkmcnt(0)
	v_mul_f64 v[38:39], v[4:5], v[34:35]
	v_fmac_f64_e32 v[38:39], v[6:7], v[32:33]
	v_add_f64 v[44:45], v[36:37], v[38:39]
	ds_read_b128 v[36:39], v2 offset:1216
	v_mul_f64 v[6:7], v[6:7], v[34:35]
	v_fma_f64 v[4:5], v[4:5], v[32:33], -v[6:7]
	s_waitcnt lgkmcnt(0)
	v_mul_f64 v[46:47], v[36:37], v[42:43]
	v_fmac_f64_e32 v[46:47], v[38:39], v[40:41]
	v_add_f64 v[52:53], v[44:45], v[46:47]
	ds_read_b128 v[44:47], v2 offset:1232
	s_waitcnt lgkmcnt(0)
	v_mul_f64 v[54:55], v[44:45], v[50:51]
	v_fmac_f64_e32 v[54:55], v[46:47], v[48:49]
	v_add_f64 v[60:61], v[52:53], v[54:55]
	ds_read_b128 v[52:55], v2 offset:1248
	;; [unrolled: 5-line block ×17, first 2 shown]
	s_waitcnt lgkmcnt(0)
	v_mul_f64 v[2:3], v[174:175], v[180:181]
	v_fmac_f64_e32 v[2:3], v[176:177], v[178:179]
	v_add_f64 v[120:121], v[120:121], v[2:3]
	v_mul_f64 v[2:3], v[18:19], v[22:23]
	v_fma_f64 v[2:3], v[16:17], v[20:21], -v[2:3]
	v_add_f64 v[2:3], v[2:3], 0
	v_add_f64 v[2:3], v[2:3], v[12:13]
	;; [unrolled: 1-line block ×4, first 2 shown]
	v_mul_f64 v[4:5], v[38:39], v[42:43]
	v_fma_f64 v[4:5], v[36:37], v[40:41], -v[4:5]
	v_add_f64 v[2:3], v[2:3], v[4:5]
	v_mul_f64 v[4:5], v[46:47], v[50:51]
	v_fma_f64 v[4:5], v[44:45], v[48:49], -v[4:5]
	v_add_f64 v[2:3], v[2:3], v[4:5]
	;; [unrolled: 3-line block ×18, first 2 shown]
	scratch_load_dwordx4 v[2:5], off, off offset:400
	s_waitcnt vmcnt(0)
	v_add_f64 v[2:3], v[2:3], -v[6:7]
	v_add_f64 v[4:5], v[4:5], -v[120:121]
	scratch_store_dwordx4 off, v[2:5], off offset:400
	s_and_saveexec_b64 s[0:1], vcc
	s_cbranch_execz .LBB46_249
; %bb.248:
	scratch_load_dwordx4 v[2:5], off, s45
	v_mov_b32_e32 v6, 0
	v_mov_b32_e32 v7, v6
	;; [unrolled: 1-line block ×4, first 2 shown]
	v_accvgpr_read_b32 v0, a95
	scratch_store_dwordx4 off, v[6:9], off offset:384
	s_waitcnt vmcnt(1)
	ds_write_b128 v0, v[2:5]
.LBB46_249:
	s_or_b64 exec, exec, s[0:1]
	v_mov_b32_e32 v2, 0
	s_waitcnt lgkmcnt(0)
	; wave barrier
	ds_read_b128 v[16:19], v2 offset:1136
	ds_read_b128 v[12:15], v2 offset:1152
	;; [unrolled: 1-line block ×4, first 2 shown]
	scratch_load_dwordx4 v[20:23], off, off offset:400
	scratch_load_dwordx4 v[40:43], off, off offset:464
	;; [unrolled: 1-line block ×17, first 2 shown]
	v_cmp_lt_u32_e32 vcc, 22, v250
	scratch_load_dwordx4 v[48:51], off, off offset:480
	scratch_load_dwordx4 v[56:59], off, off offset:496
	scratch_load_dwordx4 v[64:67], off, off offset:512
	s_waitcnt vmcnt(19) lgkmcnt(3)
	v_mul_f64 v[24:25], v[16:17], v[22:23]
	v_fmac_f64_e32 v[24:25], v[18:19], v[20:21]
	v_add_f64 v[28:29], v[24:25], 0
	scratch_load_dwordx4 v[24:27], off, off offset:416
	v_mul_f64 v[18:19], v[18:19], v[22:23]
	v_fma_f64 v[16:17], v[16:17], v[20:21], -v[18:19]
	v_add_f64 v[16:17], v[16:17], 0
	s_waitcnt vmcnt(0) lgkmcnt(2)
	v_mul_f64 v[30:31], v[12:13], v[26:27]
	v_fmac_f64_e32 v[30:31], v[14:15], v[24:25]
	v_add_f64 v[32:33], v[28:29], v[30:31]
	scratch_load_dwordx4 v[28:31], off, off offset:432
	v_mul_f64 v[14:15], v[14:15], v[26:27]
	v_fma_f64 v[12:13], v[12:13], v[24:25], -v[14:15]
	v_add_f64 v[12:13], v[16:17], v[12:13]
	;; [unrolled: 8-line block ×3, first 2 shown]
	s_waitcnt vmcnt(0) lgkmcnt(0)
	v_mul_f64 v[38:39], v[4:5], v[34:35]
	v_fmac_f64_e32 v[38:39], v[6:7], v[32:33]
	v_add_f64 v[44:45], v[36:37], v[38:39]
	ds_read_b128 v[36:39], v2 offset:1200
	v_mul_f64 v[6:7], v[6:7], v[34:35]
	v_fma_f64 v[4:5], v[4:5], v[32:33], -v[6:7]
	v_add_f64 v[4:5], v[8:9], v[4:5]
	s_waitcnt lgkmcnt(0)
	v_mul_f64 v[46:47], v[36:37], v[42:43]
	v_fmac_f64_e32 v[46:47], v[38:39], v[40:41]
	v_add_f64 v[52:53], v[44:45], v[46:47]
	ds_read_b128 v[44:47], v2 offset:1216
	v_mul_f64 v[6:7], v[38:39], v[42:43]
	v_fma_f64 v[6:7], v[36:37], v[40:41], -v[6:7]
	v_add_f64 v[4:5], v[4:5], v[6:7]
	s_waitcnt lgkmcnt(0)
	;; [unrolled: 8-line block ×19, first 2 shown]
	v_mul_f64 v[6:7], v[184:185], v[188:189]
	v_fma_f64 v[6:7], v[182:183], v[186:187], -v[6:7]
	v_add_f64 v[8:9], v[4:5], v[6:7]
	scratch_load_dwordx4 v[4:7], off, off offset:384
	v_mul_f64 v[190:191], v[182:183], v[188:189]
	v_fmac_f64_e32 v[190:191], v[184:185], v[186:187]
	v_add_f64 v[128:129], v[128:129], v[190:191]
	s_waitcnt vmcnt(0)
	v_add_f64 v[4:5], v[4:5], -v[8:9]
	v_add_f64 v[6:7], v[6:7], -v[128:129]
	scratch_store_dwordx4 off, v[4:7], off offset:384
	s_and_saveexec_b64 s[0:1], vcc
	s_cbranch_execz .LBB46_251
; %bb.250:
	scratch_load_dwordx4 v[6:9], off, s44
	v_mov_b32_e32 v3, v2
	v_mov_b32_e32 v4, v2
	;; [unrolled: 1-line block ×3, first 2 shown]
	v_accvgpr_read_b32 v0, a95
	scratch_store_dwordx4 off, v[2:5], off offset:368
	s_waitcnt vmcnt(1)
	ds_write_b128 v0, v[6:9]
.LBB46_251:
	s_or_b64 exec, exec, s[0:1]
	s_waitcnt lgkmcnt(0)
	; wave barrier
	ds_read_b128 v[16:19], v2 offset:1120
	ds_read_b128 v[12:15], v2 offset:1136
	;; [unrolled: 1-line block ×4, first 2 shown]
	scratch_load_dwordx4 v[20:23], off, off offset:384
	scratch_load_dwordx4 v[40:43], off, off offset:448
	;; [unrolled: 1-line block ×18, first 2 shown]
	v_cmp_lt_u32_e32 vcc, 21, v250
	scratch_load_dwordx4 v[48:51], off, off offset:464
	scratch_load_dwordx4 v[56:59], off, off offset:480
	;; [unrolled: 1-line block ×3, first 2 shown]
	s_waitcnt vmcnt(20) lgkmcnt(3)
	v_mul_f64 v[24:25], v[16:17], v[22:23]
	v_fmac_f64_e32 v[24:25], v[18:19], v[20:21]
	v_add_f64 v[28:29], v[24:25], 0
	scratch_load_dwordx4 v[24:27], off, off offset:400
	s_waitcnt vmcnt(0) lgkmcnt(2)
	v_mul_f64 v[30:31], v[12:13], v[26:27]
	v_fmac_f64_e32 v[30:31], v[14:15], v[24:25]
	v_add_f64 v[32:33], v[28:29], v[30:31]
	scratch_load_dwordx4 v[28:31], off, off offset:416
	v_mul_f64 v[14:15], v[14:15], v[26:27]
	v_fma_f64 v[12:13], v[12:13], v[24:25], -v[14:15]
	s_waitcnt vmcnt(0) lgkmcnt(1)
	v_mul_f64 v[34:35], v[8:9], v[30:31]
	v_fmac_f64_e32 v[34:35], v[10:11], v[28:29]
	v_add_f64 v[36:37], v[32:33], v[34:35]
	scratch_load_dwordx4 v[32:35], off, off offset:432
	v_mul_f64 v[10:11], v[10:11], v[30:31]
	v_fma_f64 v[8:9], v[8:9], v[28:29], -v[10:11]
	s_waitcnt vmcnt(0) lgkmcnt(0)
	v_mul_f64 v[38:39], v[4:5], v[34:35]
	v_fmac_f64_e32 v[38:39], v[6:7], v[32:33]
	v_add_f64 v[44:45], v[36:37], v[38:39]
	ds_read_b128 v[36:39], v2 offset:1184
	v_mul_f64 v[6:7], v[6:7], v[34:35]
	v_fma_f64 v[4:5], v[4:5], v[32:33], -v[6:7]
	s_waitcnt lgkmcnt(0)
	v_mul_f64 v[46:47], v[36:37], v[42:43]
	v_fmac_f64_e32 v[46:47], v[38:39], v[40:41]
	v_add_f64 v[52:53], v[44:45], v[46:47]
	ds_read_b128 v[44:47], v2 offset:1200
	s_waitcnt lgkmcnt(0)
	v_mul_f64 v[54:55], v[44:45], v[50:51]
	v_fmac_f64_e32 v[54:55], v[46:47], v[48:49]
	v_add_f64 v[60:61], v[52:53], v[54:55]
	ds_read_b128 v[52:55], v2 offset:1216
	;; [unrolled: 5-line block ×19, first 2 shown]
	s_waitcnt lgkmcnt(0)
	v_mul_f64 v[2:3], v[190:191], v[196:197]
	v_fmac_f64_e32 v[2:3], v[192:193], v[194:195]
	v_add_f64 v[148:149], v[148:149], v[2:3]
	v_mul_f64 v[2:3], v[18:19], v[22:23]
	v_fma_f64 v[2:3], v[16:17], v[20:21], -v[2:3]
	v_add_f64 v[2:3], v[2:3], 0
	v_add_f64 v[2:3], v[2:3], v[12:13]
	;; [unrolled: 1-line block ×4, first 2 shown]
	v_mul_f64 v[4:5], v[38:39], v[42:43]
	v_fma_f64 v[4:5], v[36:37], v[40:41], -v[4:5]
	v_add_f64 v[2:3], v[2:3], v[4:5]
	v_mul_f64 v[4:5], v[46:47], v[50:51]
	v_fma_f64 v[4:5], v[44:45], v[48:49], -v[4:5]
	v_add_f64 v[2:3], v[2:3], v[4:5]
	;; [unrolled: 3-line block ×20, first 2 shown]
	scratch_load_dwordx4 v[2:5], off, off offset:368
	s_waitcnt vmcnt(0)
	v_add_f64 v[2:3], v[2:3], -v[6:7]
	v_add_f64 v[4:5], v[4:5], -v[148:149]
	scratch_store_dwordx4 off, v[2:5], off offset:368
	s_and_saveexec_b64 s[0:1], vcc
	s_cbranch_execz .LBB46_253
; %bb.252:
	scratch_load_dwordx4 v[2:5], off, s43
	v_mov_b32_e32 v6, 0
	v_mov_b32_e32 v7, v6
	;; [unrolled: 1-line block ×4, first 2 shown]
	v_accvgpr_read_b32 v0, a95
	scratch_store_dwordx4 off, v[6:9], off offset:352
	s_waitcnt vmcnt(1)
	ds_write_b128 v0, v[2:5]
.LBB46_253:
	s_or_b64 exec, exec, s[0:1]
	v_mov_b32_e32 v2, 0
	s_waitcnt lgkmcnt(0)
	; wave barrier
	ds_read_b128 v[16:19], v2 offset:1104
	ds_read_b128 v[12:15], v2 offset:1120
	;; [unrolled: 1-line block ×4, first 2 shown]
	scratch_load_dwordx4 v[20:23], off, off offset:368
	scratch_load_dwordx4 v[40:43], off, off offset:432
	;; [unrolled: 1-line block ×19, first 2 shown]
	v_cmp_lt_u32_e32 vcc, 20, v250
	scratch_load_dwordx4 v[48:51], off, off offset:448
	scratch_load_dwordx4 v[56:59], off, off offset:464
	;; [unrolled: 1-line block ×3, first 2 shown]
	s_waitcnt vmcnt(21) lgkmcnt(3)
	v_mul_f64 v[24:25], v[16:17], v[22:23]
	v_fmac_f64_e32 v[24:25], v[18:19], v[20:21]
	v_add_f64 v[28:29], v[24:25], 0
	scratch_load_dwordx4 v[24:27], off, off offset:384
	v_mul_f64 v[18:19], v[18:19], v[22:23]
	v_fma_f64 v[16:17], v[16:17], v[20:21], -v[18:19]
	v_add_f64 v[16:17], v[16:17], 0
	s_waitcnt vmcnt(0) lgkmcnt(2)
	v_mul_f64 v[30:31], v[12:13], v[26:27]
	v_fmac_f64_e32 v[30:31], v[14:15], v[24:25]
	v_add_f64 v[32:33], v[28:29], v[30:31]
	scratch_load_dwordx4 v[28:31], off, off offset:400
	v_mul_f64 v[14:15], v[14:15], v[26:27]
	v_fma_f64 v[12:13], v[12:13], v[24:25], -v[14:15]
	v_add_f64 v[12:13], v[16:17], v[12:13]
	;; [unrolled: 8-line block ×3, first 2 shown]
	s_waitcnt vmcnt(0) lgkmcnt(0)
	v_mul_f64 v[38:39], v[4:5], v[34:35]
	v_fmac_f64_e32 v[38:39], v[6:7], v[32:33]
	v_add_f64 v[44:45], v[36:37], v[38:39]
	ds_read_b128 v[36:39], v2 offset:1168
	v_mul_f64 v[6:7], v[6:7], v[34:35]
	v_fma_f64 v[4:5], v[4:5], v[32:33], -v[6:7]
	v_add_f64 v[4:5], v[8:9], v[4:5]
	s_waitcnt lgkmcnt(0)
	v_mul_f64 v[46:47], v[36:37], v[42:43]
	v_fmac_f64_e32 v[46:47], v[38:39], v[40:41]
	v_add_f64 v[52:53], v[44:45], v[46:47]
	ds_read_b128 v[44:47], v2 offset:1184
	v_mul_f64 v[6:7], v[38:39], v[42:43]
	v_fma_f64 v[6:7], v[36:37], v[40:41], -v[6:7]
	v_add_f64 v[4:5], v[4:5], v[6:7]
	s_waitcnt lgkmcnt(0)
	;; [unrolled: 8-line block ×21, first 2 shown]
	v_mul_f64 v[6:7], v[200:201], v[204:205]
	v_fma_f64 v[6:7], v[198:199], v[202:203], -v[6:7]
	v_add_f64 v[8:9], v[4:5], v[6:7]
	scratch_load_dwordx4 v[4:7], off, off offset:352
	v_mul_f64 v[206:207], v[198:199], v[204:205]
	v_fmac_f64_e32 v[206:207], v[200:201], v[202:203]
	v_add_f64 v[144:145], v[144:145], v[206:207]
	s_waitcnt vmcnt(0)
	v_add_f64 v[4:5], v[4:5], -v[8:9]
	v_add_f64 v[6:7], v[6:7], -v[144:145]
	scratch_store_dwordx4 off, v[4:7], off offset:352
	s_and_saveexec_b64 s[0:1], vcc
	s_cbranch_execz .LBB46_255
; %bb.254:
	scratch_load_dwordx4 v[6:9], off, s42
	v_mov_b32_e32 v3, v2
	v_mov_b32_e32 v4, v2
	;; [unrolled: 1-line block ×3, first 2 shown]
	v_accvgpr_read_b32 v0, a95
	scratch_store_dwordx4 off, v[2:5], off offset:336
	s_waitcnt vmcnt(1)
	ds_write_b128 v0, v[6:9]
.LBB46_255:
	s_or_b64 exec, exec, s[0:1]
	s_waitcnt lgkmcnt(0)
	; wave barrier
	ds_read_b128 v[16:19], v2 offset:1088
	ds_read_b128 v[12:15], v2 offset:1104
	;; [unrolled: 1-line block ×4, first 2 shown]
	scratch_load_dwordx4 v[20:23], off, off offset:352
	scratch_load_dwordx4 v[40:43], off, off offset:416
	;; [unrolled: 1-line block ×20, first 2 shown]
	v_cmp_lt_u32_e32 vcc, 19, v250
	scratch_load_dwordx4 v[48:51], off, off offset:432
	scratch_load_dwordx4 v[56:59], off, off offset:448
	;; [unrolled: 1-line block ×3, first 2 shown]
	s_waitcnt vmcnt(22) lgkmcnt(3)
	v_mul_f64 v[24:25], v[16:17], v[22:23]
	v_fmac_f64_e32 v[24:25], v[18:19], v[20:21]
	v_add_f64 v[28:29], v[24:25], 0
	scratch_load_dwordx4 v[24:27], off, off offset:368
	s_waitcnt vmcnt(0) lgkmcnt(2)
	v_mul_f64 v[30:31], v[12:13], v[26:27]
	v_fmac_f64_e32 v[30:31], v[14:15], v[24:25]
	v_add_f64 v[32:33], v[28:29], v[30:31]
	scratch_load_dwordx4 v[28:31], off, off offset:384
	v_mul_f64 v[14:15], v[14:15], v[26:27]
	v_fma_f64 v[12:13], v[12:13], v[24:25], -v[14:15]
	s_waitcnt vmcnt(0) lgkmcnt(1)
	v_mul_f64 v[34:35], v[8:9], v[30:31]
	v_fmac_f64_e32 v[34:35], v[10:11], v[28:29]
	v_add_f64 v[36:37], v[32:33], v[34:35]
	scratch_load_dwordx4 v[32:35], off, off offset:400
	v_mul_f64 v[10:11], v[10:11], v[30:31]
	v_fma_f64 v[8:9], v[8:9], v[28:29], -v[10:11]
	s_waitcnt vmcnt(0) lgkmcnt(0)
	v_mul_f64 v[38:39], v[4:5], v[34:35]
	v_fmac_f64_e32 v[38:39], v[6:7], v[32:33]
	v_add_f64 v[44:45], v[36:37], v[38:39]
	ds_read_b128 v[36:39], v2 offset:1152
	v_mul_f64 v[6:7], v[6:7], v[34:35]
	v_fma_f64 v[4:5], v[4:5], v[32:33], -v[6:7]
	s_waitcnt lgkmcnt(0)
	v_mul_f64 v[46:47], v[36:37], v[42:43]
	v_fmac_f64_e32 v[46:47], v[38:39], v[40:41]
	v_add_f64 v[52:53], v[44:45], v[46:47]
	ds_read_b128 v[44:47], v2 offset:1168
	s_waitcnt lgkmcnt(0)
	v_mul_f64 v[54:55], v[44:45], v[50:51]
	v_fmac_f64_e32 v[54:55], v[46:47], v[48:49]
	v_add_f64 v[60:61], v[52:53], v[54:55]
	ds_read_b128 v[52:55], v2 offset:1184
	;; [unrolled: 5-line block ×21, first 2 shown]
	s_waitcnt lgkmcnt(0)
	v_mul_f64 v[2:3], v[206:207], v[212:213]
	v_fmac_f64_e32 v[2:3], v[208:209], v[210:211]
	v_add_f64 v[168:169], v[168:169], v[2:3]
	v_mul_f64 v[2:3], v[18:19], v[22:23]
	v_fma_f64 v[2:3], v[16:17], v[20:21], -v[2:3]
	v_add_f64 v[2:3], v[2:3], 0
	v_add_f64 v[2:3], v[2:3], v[12:13]
	;; [unrolled: 1-line block ×4, first 2 shown]
	v_mul_f64 v[4:5], v[38:39], v[42:43]
	v_fma_f64 v[4:5], v[36:37], v[40:41], -v[4:5]
	v_add_f64 v[2:3], v[2:3], v[4:5]
	v_mul_f64 v[4:5], v[46:47], v[50:51]
	v_fma_f64 v[4:5], v[44:45], v[48:49], -v[4:5]
	v_add_f64 v[2:3], v[2:3], v[4:5]
	;; [unrolled: 3-line block ×22, first 2 shown]
	scratch_load_dwordx4 v[2:5], off, off offset:336
	s_waitcnt vmcnt(0)
	v_add_f64 v[2:3], v[2:3], -v[6:7]
	v_add_f64 v[4:5], v[4:5], -v[168:169]
	scratch_store_dwordx4 off, v[2:5], off offset:336
	s_and_saveexec_b64 s[0:1], vcc
	s_cbranch_execz .LBB46_257
; %bb.256:
	scratch_load_dwordx4 v[2:5], off, s41
	v_mov_b32_e32 v6, 0
	v_mov_b32_e32 v7, v6
	;; [unrolled: 1-line block ×4, first 2 shown]
	v_accvgpr_read_b32 v0, a95
	scratch_store_dwordx4 off, v[6:9], off offset:320
	s_waitcnt vmcnt(1)
	ds_write_b128 v0, v[2:5]
.LBB46_257:
	s_or_b64 exec, exec, s[0:1]
	v_mov_b32_e32 v2, 0
	s_waitcnt lgkmcnt(0)
	; wave barrier
	ds_read_b128 v[16:19], v2 offset:1072
	ds_read_b128 v[12:15], v2 offset:1088
	;; [unrolled: 1-line block ×4, first 2 shown]
	scratch_load_dwordx4 v[20:23], off, off offset:336
	scratch_load_dwordx4 v[40:43], off, off offset:400
	;; [unrolled: 1-line block ×21, first 2 shown]
	v_cmp_lt_u32_e32 vcc, 18, v250
	scratch_load_dwordx4 v[48:51], off, off offset:416
	scratch_load_dwordx4 v[56:59], off, off offset:432
	;; [unrolled: 1-line block ×3, first 2 shown]
	s_waitcnt vmcnt(23) lgkmcnt(3)
	v_mul_f64 v[24:25], v[16:17], v[22:23]
	v_fmac_f64_e32 v[24:25], v[18:19], v[20:21]
	v_add_f64 v[28:29], v[24:25], 0
	scratch_load_dwordx4 v[24:27], off, off offset:352
	v_mul_f64 v[18:19], v[18:19], v[22:23]
	v_fma_f64 v[16:17], v[16:17], v[20:21], -v[18:19]
	v_add_f64 v[16:17], v[16:17], 0
	s_waitcnt vmcnt(0) lgkmcnt(2)
	v_mul_f64 v[30:31], v[12:13], v[26:27]
	v_fmac_f64_e32 v[30:31], v[14:15], v[24:25]
	v_add_f64 v[32:33], v[28:29], v[30:31]
	scratch_load_dwordx4 v[28:31], off, off offset:368
	v_mul_f64 v[14:15], v[14:15], v[26:27]
	v_fma_f64 v[12:13], v[12:13], v[24:25], -v[14:15]
	v_add_f64 v[12:13], v[16:17], v[12:13]
	;; [unrolled: 8-line block ×3, first 2 shown]
	s_waitcnt vmcnt(0) lgkmcnt(0)
	v_mul_f64 v[38:39], v[4:5], v[34:35]
	v_fmac_f64_e32 v[38:39], v[6:7], v[32:33]
	v_add_f64 v[44:45], v[36:37], v[38:39]
	ds_read_b128 v[36:39], v2 offset:1136
	v_mul_f64 v[6:7], v[6:7], v[34:35]
	v_fma_f64 v[4:5], v[4:5], v[32:33], -v[6:7]
	v_add_f64 v[4:5], v[8:9], v[4:5]
	s_waitcnt lgkmcnt(0)
	v_mul_f64 v[46:47], v[36:37], v[42:43]
	v_fmac_f64_e32 v[46:47], v[38:39], v[40:41]
	v_add_f64 v[52:53], v[44:45], v[46:47]
	ds_read_b128 v[44:47], v2 offset:1152
	v_mul_f64 v[6:7], v[38:39], v[42:43]
	v_fma_f64 v[6:7], v[36:37], v[40:41], -v[6:7]
	v_add_f64 v[4:5], v[4:5], v[6:7]
	s_waitcnt lgkmcnt(0)
	;; [unrolled: 8-line block ×23, first 2 shown]
	v_mul_f64 v[6:7], v[216:217], v[220:221]
	v_fma_f64 v[6:7], v[214:215], v[218:219], -v[6:7]
	v_add_f64 v[8:9], v[4:5], v[6:7]
	scratch_load_dwordx4 v[4:7], off, off offset:320
	v_mul_f64 v[222:223], v[214:215], v[220:221]
	v_fmac_f64_e32 v[222:223], v[216:217], v[218:219]
	v_add_f64 v[160:161], v[160:161], v[222:223]
	s_waitcnt vmcnt(0)
	v_add_f64 v[4:5], v[4:5], -v[8:9]
	v_add_f64 v[6:7], v[6:7], -v[160:161]
	scratch_store_dwordx4 off, v[4:7], off offset:320
	s_and_saveexec_b64 s[0:1], vcc
	s_cbranch_execz .LBB46_259
; %bb.258:
	scratch_load_dwordx4 v[6:9], off, s40
	v_mov_b32_e32 v3, v2
	v_mov_b32_e32 v4, v2
	;; [unrolled: 1-line block ×3, first 2 shown]
	v_accvgpr_read_b32 v0, a95
	scratch_store_dwordx4 off, v[2:5], off offset:304
	s_waitcnt vmcnt(1)
	ds_write_b128 v0, v[6:9]
.LBB46_259:
	s_or_b64 exec, exec, s[0:1]
	s_waitcnt lgkmcnt(0)
	; wave barrier
	ds_read_b128 v[16:19], v2 offset:1056
	ds_read_b128 v[12:15], v2 offset:1072
	;; [unrolled: 1-line block ×4, first 2 shown]
	scratch_load_dwordx4 v[20:23], off, off offset:320
	scratch_load_dwordx4 v[40:43], off, off offset:384
	;; [unrolled: 1-line block ×22, first 2 shown]
	v_cmp_lt_u32_e32 vcc, 17, v250
	scratch_load_dwordx4 v[48:51], off, off offset:400
	scratch_load_dwordx4 v[56:59], off, off offset:416
	;; [unrolled: 1-line block ×3, first 2 shown]
	s_waitcnt vmcnt(24) lgkmcnt(3)
	v_mul_f64 v[24:25], v[16:17], v[22:23]
	v_fmac_f64_e32 v[24:25], v[18:19], v[20:21]
	v_add_f64 v[28:29], v[24:25], 0
	scratch_load_dwordx4 v[24:27], off, off offset:336
	s_waitcnt vmcnt(0) lgkmcnt(2)
	v_mul_f64 v[30:31], v[12:13], v[26:27]
	v_fmac_f64_e32 v[30:31], v[14:15], v[24:25]
	v_add_f64 v[32:33], v[28:29], v[30:31]
	scratch_load_dwordx4 v[28:31], off, off offset:352
	v_mul_f64 v[14:15], v[14:15], v[26:27]
	v_fma_f64 v[12:13], v[12:13], v[24:25], -v[14:15]
	s_waitcnt vmcnt(0) lgkmcnt(1)
	v_mul_f64 v[34:35], v[8:9], v[30:31]
	v_fmac_f64_e32 v[34:35], v[10:11], v[28:29]
	v_add_f64 v[36:37], v[32:33], v[34:35]
	scratch_load_dwordx4 v[32:35], off, off offset:368
	v_mul_f64 v[10:11], v[10:11], v[30:31]
	v_fma_f64 v[8:9], v[8:9], v[28:29], -v[10:11]
	s_waitcnt vmcnt(0) lgkmcnt(0)
	v_mul_f64 v[38:39], v[4:5], v[34:35]
	v_fmac_f64_e32 v[38:39], v[6:7], v[32:33]
	v_add_f64 v[44:45], v[36:37], v[38:39]
	ds_read_b128 v[36:39], v2 offset:1120
	v_mul_f64 v[6:7], v[6:7], v[34:35]
	v_fma_f64 v[4:5], v[4:5], v[32:33], -v[6:7]
	s_waitcnt lgkmcnt(0)
	v_mul_f64 v[46:47], v[36:37], v[42:43]
	v_fmac_f64_e32 v[46:47], v[38:39], v[40:41]
	v_add_f64 v[52:53], v[44:45], v[46:47]
	ds_read_b128 v[44:47], v2 offset:1136
	s_waitcnt lgkmcnt(0)
	v_mul_f64 v[54:55], v[44:45], v[50:51]
	v_fmac_f64_e32 v[54:55], v[46:47], v[48:49]
	v_add_f64 v[60:61], v[52:53], v[54:55]
	ds_read_b128 v[52:55], v2 offset:1152
	;; [unrolled: 5-line block ×23, first 2 shown]
	s_waitcnt lgkmcnt(0)
	v_mul_f64 v[2:3], v[222:223], v[228:229]
	v_fmac_f64_e32 v[2:3], v[224:225], v[226:227]
	v_add_f64 v[176:177], v[176:177], v[2:3]
	v_mul_f64 v[2:3], v[18:19], v[22:23]
	v_fma_f64 v[2:3], v[16:17], v[20:21], -v[2:3]
	v_add_f64 v[2:3], v[2:3], 0
	v_add_f64 v[2:3], v[2:3], v[12:13]
	;; [unrolled: 1-line block ×4, first 2 shown]
	v_mul_f64 v[4:5], v[38:39], v[42:43]
	v_fma_f64 v[4:5], v[36:37], v[40:41], -v[4:5]
	v_add_f64 v[2:3], v[2:3], v[4:5]
	v_mul_f64 v[4:5], v[46:47], v[50:51]
	v_fma_f64 v[4:5], v[44:45], v[48:49], -v[4:5]
	v_add_f64 v[2:3], v[2:3], v[4:5]
	;; [unrolled: 3-line block ×24, first 2 shown]
	scratch_load_dwordx4 v[2:5], off, off offset:304
	s_waitcnt vmcnt(0)
	v_add_f64 v[2:3], v[2:3], -v[6:7]
	v_add_f64 v[4:5], v[4:5], -v[176:177]
	scratch_store_dwordx4 off, v[2:5], off offset:304
	s_and_saveexec_b64 s[0:1], vcc
	s_cbranch_execz .LBB46_261
; %bb.260:
	scratch_load_dwordx4 v[2:5], off, s39
	v_mov_b32_e32 v6, 0
	v_mov_b32_e32 v7, v6
	;; [unrolled: 1-line block ×4, first 2 shown]
	v_accvgpr_read_b32 v0, a95
	scratch_store_dwordx4 off, v[6:9], off offset:288
	s_waitcnt vmcnt(1)
	ds_write_b128 v0, v[2:5]
.LBB46_261:
	s_or_b64 exec, exec, s[0:1]
	v_mov_b32_e32 v2, 0
	s_waitcnt lgkmcnt(0)
	; wave barrier
	ds_read_b128 v[16:19], v2 offset:1040
	ds_read_b128 v[12:15], v2 offset:1056
	;; [unrolled: 1-line block ×4, first 2 shown]
	scratch_load_dwordx4 v[20:23], off, off offset:304
	scratch_load_dwordx4 v[40:43], off, off offset:368
	;; [unrolled: 1-line block ×23, first 2 shown]
	v_cmp_lt_u32_e32 vcc, 16, v250
	scratch_load_dwordx4 v[48:51], off, off offset:384
	scratch_load_dwordx4 v[56:59], off, off offset:400
	;; [unrolled: 1-line block ×3, first 2 shown]
	s_waitcnt vmcnt(25) lgkmcnt(3)
	v_mul_f64 v[24:25], v[16:17], v[22:23]
	v_fmac_f64_e32 v[24:25], v[18:19], v[20:21]
	v_add_f64 v[28:29], v[24:25], 0
	scratch_load_dwordx4 v[24:27], off, off offset:320
	v_mul_f64 v[18:19], v[18:19], v[22:23]
	v_fma_f64 v[16:17], v[16:17], v[20:21], -v[18:19]
	v_add_f64 v[16:17], v[16:17], 0
	s_waitcnt vmcnt(0) lgkmcnt(2)
	v_mul_f64 v[30:31], v[12:13], v[26:27]
	v_fmac_f64_e32 v[30:31], v[14:15], v[24:25]
	v_add_f64 v[32:33], v[28:29], v[30:31]
	scratch_load_dwordx4 v[28:31], off, off offset:336
	v_mul_f64 v[14:15], v[14:15], v[26:27]
	v_fma_f64 v[12:13], v[12:13], v[24:25], -v[14:15]
	v_add_f64 v[12:13], v[16:17], v[12:13]
	;; [unrolled: 8-line block ×3, first 2 shown]
	s_waitcnt vmcnt(0) lgkmcnt(0)
	v_mul_f64 v[38:39], v[4:5], v[34:35]
	v_fmac_f64_e32 v[38:39], v[6:7], v[32:33]
	v_add_f64 v[44:45], v[36:37], v[38:39]
	ds_read_b128 v[36:39], v2 offset:1104
	v_mul_f64 v[6:7], v[6:7], v[34:35]
	v_fma_f64 v[4:5], v[4:5], v[32:33], -v[6:7]
	v_add_f64 v[4:5], v[8:9], v[4:5]
	s_waitcnt lgkmcnt(0)
	v_mul_f64 v[46:47], v[36:37], v[42:43]
	v_fmac_f64_e32 v[46:47], v[38:39], v[40:41]
	v_add_f64 v[52:53], v[44:45], v[46:47]
	ds_read_b128 v[44:47], v2 offset:1120
	v_mul_f64 v[6:7], v[38:39], v[42:43]
	v_fma_f64 v[6:7], v[36:37], v[40:41], -v[6:7]
	v_add_f64 v[4:5], v[4:5], v[6:7]
	s_waitcnt lgkmcnt(0)
	;; [unrolled: 8-line block ×25, first 2 shown]
	v_mul_f64 v[6:7], v[232:233], v[236:237]
	v_fma_f64 v[6:7], v[230:231], v[234:235], -v[6:7]
	v_add_f64 v[8:9], v[4:5], v[6:7]
	scratch_load_dwordx4 v[4:7], off, off offset:288
	v_mul_f64 v[238:239], v[230:231], v[236:237]
	v_fmac_f64_e32 v[238:239], v[232:233], v[234:235]
	v_add_f64 v[176:177], v[176:177], v[238:239]
	s_waitcnt vmcnt(0)
	v_add_f64 v[4:5], v[4:5], -v[8:9]
	v_add_f64 v[6:7], v[6:7], -v[176:177]
	scratch_store_dwordx4 off, v[4:7], off offset:288
	s_and_saveexec_b64 s[0:1], vcc
	s_cbranch_execz .LBB46_263
; %bb.262:
	scratch_load_dwordx4 v[6:9], off, s38
	v_mov_b32_e32 v3, v2
	v_mov_b32_e32 v4, v2
	;; [unrolled: 1-line block ×3, first 2 shown]
	v_accvgpr_read_b32 v0, a95
	scratch_store_dwordx4 off, v[2:5], off offset:272
	s_waitcnt vmcnt(1)
	ds_write_b128 v0, v[6:9]
.LBB46_263:
	s_or_b64 exec, exec, s[0:1]
	s_waitcnt lgkmcnt(0)
	; wave barrier
	ds_read_b128 v[16:19], v2 offset:1024
	ds_read_b128 v[12:15], v2 offset:1040
	;; [unrolled: 1-line block ×4, first 2 shown]
	scratch_load_dwordx4 v[20:23], off, off offset:288
	scratch_load_dwordx4 v[40:43], off, off offset:352
	;; [unrolled: 1-line block ×24, first 2 shown]
	v_cmp_lt_u32_e32 vcc, 15, v250
	scratch_load_dwordx4 v[48:51], off, off offset:368
	scratch_load_dwordx4 v[56:59], off, off offset:384
	;; [unrolled: 1-line block ×3, first 2 shown]
	s_waitcnt vmcnt(26) lgkmcnt(3)
	v_mul_f64 v[24:25], v[16:17], v[22:23]
	v_fmac_f64_e32 v[24:25], v[18:19], v[20:21]
	v_add_f64 v[28:29], v[24:25], 0
	scratch_load_dwordx4 v[24:27], off, off offset:304
	s_waitcnt vmcnt(0) lgkmcnt(2)
	v_mul_f64 v[30:31], v[12:13], v[26:27]
	v_fmac_f64_e32 v[30:31], v[14:15], v[24:25]
	v_add_f64 v[32:33], v[28:29], v[30:31]
	scratch_load_dwordx4 v[28:31], off, off offset:320
	v_mul_f64 v[14:15], v[14:15], v[26:27]
	v_fma_f64 v[12:13], v[12:13], v[24:25], -v[14:15]
	s_waitcnt vmcnt(0) lgkmcnt(1)
	v_mul_f64 v[34:35], v[8:9], v[30:31]
	v_fmac_f64_e32 v[34:35], v[10:11], v[28:29]
	v_add_f64 v[36:37], v[32:33], v[34:35]
	scratch_load_dwordx4 v[32:35], off, off offset:336
	v_mul_f64 v[10:11], v[10:11], v[30:31]
	v_fma_f64 v[8:9], v[8:9], v[28:29], -v[10:11]
	s_waitcnt vmcnt(0) lgkmcnt(0)
	v_mul_f64 v[38:39], v[4:5], v[34:35]
	v_fmac_f64_e32 v[38:39], v[6:7], v[32:33]
	v_add_f64 v[44:45], v[36:37], v[38:39]
	ds_read_b128 v[36:39], v2 offset:1088
	v_mul_f64 v[6:7], v[6:7], v[34:35]
	v_fma_f64 v[4:5], v[4:5], v[32:33], -v[6:7]
	s_waitcnt lgkmcnt(0)
	v_mul_f64 v[46:47], v[36:37], v[42:43]
	v_fmac_f64_e32 v[46:47], v[38:39], v[40:41]
	v_add_f64 v[52:53], v[44:45], v[46:47]
	ds_read_b128 v[44:47], v2 offset:1104
	s_waitcnt lgkmcnt(0)
	v_mul_f64 v[54:55], v[44:45], v[50:51]
	v_fmac_f64_e32 v[54:55], v[46:47], v[48:49]
	v_add_f64 v[60:61], v[52:53], v[54:55]
	ds_read_b128 v[52:55], v2 offset:1120
	;; [unrolled: 5-line block ×25, first 2 shown]
	s_waitcnt lgkmcnt(0)
	v_mul_f64 v[2:3], v[238:239], v[244:245]
	v_fmac_f64_e32 v[2:3], v[240:241], v[242:243]
	v_add_f64 v[184:185], v[184:185], v[2:3]
	v_mul_f64 v[2:3], v[18:19], v[22:23]
	v_fma_f64 v[2:3], v[16:17], v[20:21], -v[2:3]
	v_add_f64 v[2:3], v[2:3], 0
	v_add_f64 v[2:3], v[2:3], v[12:13]
	;; [unrolled: 1-line block ×4, first 2 shown]
	v_mul_f64 v[4:5], v[38:39], v[42:43]
	v_fma_f64 v[4:5], v[36:37], v[40:41], -v[4:5]
	v_add_f64 v[2:3], v[2:3], v[4:5]
	v_mul_f64 v[4:5], v[46:47], v[50:51]
	v_fma_f64 v[4:5], v[44:45], v[48:49], -v[4:5]
	v_add_f64 v[2:3], v[2:3], v[4:5]
	;; [unrolled: 3-line block ×26, first 2 shown]
	scratch_load_dwordx4 v[2:5], off, off offset:272
	s_waitcnt vmcnt(0)
	v_add_f64 v[2:3], v[2:3], -v[6:7]
	v_add_f64 v[4:5], v[4:5], -v[184:185]
	scratch_store_dwordx4 off, v[2:5], off offset:272
	s_and_saveexec_b64 s[0:1], vcc
	s_cbranch_execz .LBB46_265
; %bb.264:
	scratch_load_dwordx4 v[2:5], off, s37
	v_mov_b32_e32 v6, 0
	v_mov_b32_e32 v7, v6
	;; [unrolled: 1-line block ×4, first 2 shown]
	v_accvgpr_read_b32 v0, a95
	scratch_store_dwordx4 off, v[6:9], off offset:256
	s_waitcnt vmcnt(1)
	ds_write_b128 v0, v[2:5]
.LBB46_265:
	s_or_b64 exec, exec, s[0:1]
	s_waitcnt lgkmcnt(0)
	; wave barrier
	scratch_load_dwordx4 v[16:19], off, off offset:272
	scratch_load_dwordx4 v[12:15], off, off offset:288
	scratch_load_dwordx4 v[8:11], off, off offset:304
	scratch_load_dwordx4 v[4:7], off, off offset:320
	scratch_load_dwordx4 v[20:23], off, off offset:336
	scratch_load_dwordx4 v[24:27], off, off offset:352
	scratch_load_dwordx4 v[28:31], off, off offset:368
	scratch_load_dwordx4 v[32:35], off, off offset:384
	scratch_load_dwordx4 v[36:39], off, off offset:400
	scratch_load_dwordx4 v[40:43], off, off offset:416
	scratch_load_dwordx4 v[44:47], off, off offset:432
	scratch_load_dwordx4 v[48:51], off, off offset:448
	scratch_load_dwordx4 v[52:55], off, off offset:464
	scratch_load_dwordx4 v[56:59], off, off offset:480
	scratch_load_dwordx4 v[60:63], off, off offset:496
	scratch_load_dwordx4 v[64:67], off, off offset:512
	scratch_load_dwordx4 v[68:71], off, off offset:528
	scratch_load_dwordx4 v[72:75], off, off offset:544
	scratch_load_dwordx4 v[76:79], off, off offset:560
	scratch_load_dwordx4 v[80:83], off, off offset:576
	scratch_load_dwordx4 v[84:87], off, off offset:592
	scratch_load_dwordx4 v[88:91], off, off offset:608
	scratch_load_dwordx4 v[92:95], off, off offset:624
	scratch_load_dwordx4 v[96:99], off, off offset:640
	scratch_load_dwordx4 v[100:103], off, off offset:656
	scratch_load_dwordx4 v[104:107], off, off offset:672
	scratch_load_dwordx4 v[108:111], off, off offset:688
	scratch_load_dwordx4 v[112:115], off, off offset:704
	scratch_load_dwordx4 v[116:119], off, off offset:720
	scratch_load_dwordx4 v[120:123], off, off offset:736
	scratch_load_dwordx4 v[124:127], off, off offset:752
	scratch_load_dwordx4 v[128:131], off, off offset:256
	v_mov_b32_e32 v2, 0
	ds_read_b128 v[132:135], v2 offset:1008
	ds_read_b128 v[136:139], v2 offset:1024
	;; [unrolled: 1-line block ×17, first 2 shown]
	v_cmp_lt_u32_e32 vcc, 14, v250
	s_waitcnt vmcnt(31) lgkmcnt(14)
	v_mul_f64 v[200:201], v[132:133], v[18:19]
	s_waitcnt vmcnt(30)
	v_mul_f64 v[202:203], v[136:137], v[14:15]
	v_fmac_f64_e32 v[200:201], v[134:135], v[16:17]
	s_waitcnt vmcnt(29)
	v_mul_f64 v[204:205], v[140:141], v[10:11]
	v_fmac_f64_e32 v[202:203], v[138:139], v[12:13]
	v_add_f64 v[200:201], v[200:201], 0
	s_waitcnt vmcnt(28) lgkmcnt(13)
	v_mul_f64 v[206:207], v[144:145], v[6:7]
	v_fmac_f64_e32 v[204:205], v[142:143], v[8:9]
	v_add_f64 v[200:201], v[200:201], v[202:203]
	s_waitcnt vmcnt(27) lgkmcnt(12)
	;; [unrolled: 4-line block ×12, first 2 shown]
	v_mul_f64 v[228:229], v[188:189], v[62:63]
	v_fmac_f64_e32 v[226:227], v[186:187], v[56:57]
	v_add_f64 v[200:201], v[200:201], v[224:225]
	v_fmac_f64_e32 v[228:229], v[190:191], v[60:61]
	v_add_f64 v[200:201], v[200:201], v[226:227]
	s_waitcnt vmcnt(16) lgkmcnt(1)
	v_mul_f64 v[202:203], v[192:193], v[66:67]
	v_add_f64 v[200:201], v[200:201], v[228:229]
	v_fmac_f64_e32 v[202:203], v[194:195], v[64:65]
	s_waitcnt vmcnt(15) lgkmcnt(0)
	v_mul_f64 v[206:207], v[196:197], v[70:71]
	v_add_f64 v[204:205], v[200:201], v[202:203]
	ds_read_b128 v[200:203], v2 offset:1280
	v_fmac_f64_e32 v[206:207], v[198:199], v[68:69]
	v_add_f64 v[208:209], v[204:205], v[206:207]
	ds_read_b128 v[204:207], v2 offset:1296
	v_mul_f64 v[18:19], v[134:135], v[18:19]
	s_waitcnt vmcnt(14) lgkmcnt(1)
	v_mul_f64 v[210:211], v[200:201], v[74:75]
	v_fmac_f64_e32 v[210:211], v[202:203], v[72:73]
	v_add_f64 v[212:213], v[208:209], v[210:211]
	s_waitcnt vmcnt(13) lgkmcnt(0)
	v_mul_f64 v[214:215], v[204:205], v[78:79]
	ds_read_b128 v[208:211], v2 offset:1312
	v_fmac_f64_e32 v[214:215], v[206:207], v[76:77]
	v_add_f64 v[216:217], v[212:213], v[214:215]
	ds_read_b128 v[212:215], v2 offset:1328
	v_fma_f64 v[242:243], v[132:133], v[16:17], -v[18:19]
	s_waitcnt vmcnt(12) lgkmcnt(1)
	v_mul_f64 v[218:219], v[208:209], v[82:83]
	v_fmac_f64_e32 v[218:219], v[210:211], v[80:81]
	v_add_f64 v[220:221], v[216:217], v[218:219]
	s_waitcnt vmcnt(11) lgkmcnt(0)
	v_mul_f64 v[222:223], v[212:213], v[86:87]
	ds_read_b128 v[216:219], v2 offset:1344
	v_fmac_f64_e32 v[222:223], v[214:215], v[84:85]
	v_add_f64 v[224:225], v[220:221], v[222:223]
	ds_read_b128 v[220:223], v2 offset:1360
	ds_read_b128 v[16:19], v2 offset:1440
	s_waitcnt vmcnt(10) lgkmcnt(2)
	v_mul_f64 v[226:227], v[216:217], v[90:91]
	v_fmac_f64_e32 v[226:227], v[218:219], v[88:89]
	v_add_f64 v[228:229], v[224:225], v[226:227]
	s_waitcnt vmcnt(9) lgkmcnt(1)
	v_mul_f64 v[230:231], v[220:221], v[94:95]
	ds_read_b128 v[224:227], v2 offset:1376
	v_fmac_f64_e32 v[230:231], v[222:223], v[92:93]
	v_add_f64 v[232:233], v[228:229], v[230:231]
	ds_read_b128 v[228:231], v2 offset:1392
	v_mul_f64 v[14:15], v[138:139], v[14:15]
	s_waitcnt vmcnt(8) lgkmcnt(1)
	v_mul_f64 v[234:235], v[224:225], v[98:99]
	v_fmac_f64_e32 v[234:235], v[226:227], v[96:97]
	v_add_f64 v[236:237], v[232:233], v[234:235]
	s_waitcnt vmcnt(7) lgkmcnt(0)
	v_mul_f64 v[238:239], v[228:229], v[102:103]
	ds_read_b128 v[232:235], v2 offset:1408
	v_fmac_f64_e32 v[238:239], v[230:231], v[100:101]
	v_add_f64 v[240:241], v[236:237], v[238:239]
	ds_read_b128 v[236:239], v2 offset:1424
	v_fma_f64 v[136:137], v[136:137], v[12:13], -v[14:15]
	s_waitcnt vmcnt(6) lgkmcnt(1)
	v_mul_f64 v[132:133], v[232:233], v[106:107]
	v_fmac_f64_e32 v[132:133], v[234:235], v[104:105]
	v_add_f64 v[132:133], v[240:241], v[132:133]
	s_waitcnt vmcnt(5) lgkmcnt(0)
	v_mul_f64 v[134:135], v[236:237], v[110:111]
	v_fmac_f64_e32 v[134:135], v[238:239], v[108:109]
	v_add_f64 v[132:133], v[132:133], v[134:135]
	ds_read_b128 v[12:15], v2 offset:1456
	s_waitcnt vmcnt(4)
	v_mul_f64 v[134:135], v[16:17], v[114:115]
	v_fmac_f64_e32 v[134:135], v[18:19], v[112:113]
	v_add_f64 v[138:139], v[132:133], v[134:135]
	ds_read_b128 v[132:135], v2 offset:1472
	v_mul_f64 v[10:11], v[142:143], v[10:11]
	v_fma_f64 v[140:141], v[140:141], v[8:9], -v[10:11]
	ds_read_b128 v[8:11], v2 offset:1488
	s_waitcnt vmcnt(3) lgkmcnt(2)
	v_mul_f64 v[142:143], v[12:13], v[118:119]
	v_fmac_f64_e32 v[142:143], v[14:15], v[116:117]
	v_add_f64 v[138:139], v[138:139], v[142:143]
	s_waitcnt vmcnt(2) lgkmcnt(1)
	v_mul_f64 v[142:143], v[132:133], v[122:123]
	v_fmac_f64_e32 v[142:143], v[134:135], v[120:121]
	v_add_f64 v[138:139], v[138:139], v[142:143]
	;; [unrolled: 4-line block ×3, first 2 shown]
	v_add_f64 v[142:143], v[242:243], 0
	v_add_f64 v[136:137], v[142:143], v[136:137]
	v_mul_f64 v[6:7], v[146:147], v[6:7]
	v_add_f64 v[136:137], v[136:137], v[140:141]
	v_fma_f64 v[4:5], v[144:145], v[4:5], -v[6:7]
	v_mul_f64 v[6:7], v[150:151], v[22:23]
	v_add_f64 v[4:5], v[136:137], v[4:5]
	v_fma_f64 v[6:7], v[148:149], v[20:21], -v[6:7]
	v_add_f64 v[4:5], v[4:5], v[6:7]
	v_mul_f64 v[6:7], v[154:155], v[26:27]
	v_fma_f64 v[6:7], v[152:153], v[24:25], -v[6:7]
	v_add_f64 v[4:5], v[4:5], v[6:7]
	v_mul_f64 v[6:7], v[158:159], v[30:31]
	;; [unrolled: 3-line block ×26, first 2 shown]
	v_fma_f64 v[6:7], v[8:9], v[124:125], -v[6:7]
	v_add_f64 v[4:5], v[4:5], v[6:7]
	s_waitcnt vmcnt(0)
	v_add_f64 v[4:5], v[128:129], -v[4:5]
	v_add_f64 v[6:7], v[130:131], -v[138:139]
	scratch_store_dwordx4 off, v[4:7], off offset:256
	s_and_saveexec_b64 s[0:1], vcc
	s_cbranch_execz .LBB46_267
; %bb.266:
	scratch_load_dwordx4 v[6:9], off, s36
	v_mov_b32_e32 v3, v2
	v_mov_b32_e32 v4, v2
	;; [unrolled: 1-line block ×3, first 2 shown]
	v_accvgpr_read_b32 v0, a95
	scratch_store_dwordx4 off, v[2:5], off offset:240
	s_waitcnt vmcnt(1)
	ds_write_b128 v0, v[6:9]
.LBB46_267:
	s_or_b64 exec, exec, s[0:1]
	s_waitcnt lgkmcnt(0)
	; wave barrier
	scratch_load_dwordx4 v[140:143], off, off offset:256
	scratch_load_dwordx4 v[148:151], off, off offset:272
	;; [unrolled: 1-line block ×16, first 2 shown]
	ds_read_b128 v[188:191], v2 offset:992
	ds_read_b128 v[184:187], v2 offset:1008
	scratch_load_dwordx4 v[56:59], off, off offset:512
	ds_read_b128 v[192:195], v2 offset:1024
	ds_read_b128 v[68:71], v2 offset:1040
	scratch_load_dwordx4 v[60:63], off, off offset:528
	ds_read_b128 v[88:91], v2 offset:1056
	ds_read_b128 v[84:87], v2 offset:1072
	;; [unrolled: 1-line block ×4, first 2 shown]
	scratch_load_dwordx4 v[64:67], off, off offset:544
	ds_read_b128 v[100:103], v2 offset:1120
	ds_read_b128 v[96:99], v2 offset:1136
	scratch_load_dwordx4 v[72:75], off, off offset:560
	ds_read_b128 v[116:119], v2 offset:1152
	ds_read_b128 v[112:115], v2 offset:1168
	;; [unrolled: 1-line block ×4, first 2 shown]
	scratch_load_dwordx4 v[92:95], off, off offset:576
	ds_read_b128 v[132:135], v2 offset:1216
	ds_read_b128 v[128:131], v2 offset:1232
	;; [unrolled: 1-line block ×3, first 2 shown]
	scratch_load_dwordx4 v[120:123], off, off offset:592
	scratch_load_dwordx4 v[136:139], off, off offset:608
	;; [unrolled: 1-line block ×11, first 2 shown]
	v_cmp_lt_u32_e32 vcc, 13, v250
	s_waitcnt vmcnt(31) lgkmcnt(14)
	v_mul_f64 v[200:201], v[188:189], v[142:143]
	s_waitcnt vmcnt(30)
	v_mul_f64 v[202:203], v[184:185], v[150:151]
	v_fmac_f64_e32 v[200:201], v[190:191], v[140:141]
	s_waitcnt vmcnt(29)
	v_mul_f64 v[204:205], v[192:193], v[154:155]
	v_fmac_f64_e32 v[202:203], v[186:187], v[148:149]
	v_add_f64 v[200:201], v[200:201], 0
	s_waitcnt vmcnt(28) lgkmcnt(13)
	v_mul_f64 v[206:207], v[68:69], v[6:7]
	v_fmac_f64_e32 v[204:205], v[194:195], v[152:153]
	v_add_f64 v[200:201], v[200:201], v[202:203]
	s_waitcnt vmcnt(27) lgkmcnt(12)
	;; [unrolled: 4-line block ×13, first 2 shown]
	v_mul_f64 v[230:231], v[128:129], v[54:55]
	v_fmac_f64_e32 v[228:229], v[134:135], v[48:49]
	v_add_f64 v[200:201], v[200:201], v[226:227]
	v_add_f64 v[200:201], v[200:201], v[228:229]
	v_fmac_f64_e32 v[230:231], v[130:131], v[52:53]
	v_add_f64 v[204:205], v[200:201], v[230:231]
	ds_read_b128 v[200:203], v2 offset:1264
	s_waitcnt vmcnt(15) lgkmcnt(1)
	v_mul_f64 v[206:207], v[124:125], v[58:59]
	v_fmac_f64_e32 v[206:207], v[126:127], v[56:57]
	v_add_f64 v[208:209], v[204:205], v[206:207]
	ds_read_b128 v[204:207], v2 offset:1280
	s_waitcnt vmcnt(14) lgkmcnt(1)
	v_mul_f64 v[210:211], v[200:201], v[62:63]
	v_fmac_f64_e32 v[210:211], v[202:203], v[60:61]
	v_add_f64 v[212:213], v[208:209], v[210:211]
	ds_read_b128 v[208:211], v2 offset:1296
	s_waitcnt vmcnt(13) lgkmcnt(1)
	v_mul_f64 v[214:215], v[204:205], v[66:67]
	v_fmac_f64_e32 v[214:215], v[206:207], v[64:65]
	v_add_f64 v[216:217], v[212:213], v[214:215]
	ds_read_b128 v[212:215], v2 offset:1312
	s_waitcnt vmcnt(12) lgkmcnt(1)
	v_mul_f64 v[218:219], v[208:209], v[74:75]
	v_fmac_f64_e32 v[218:219], v[210:211], v[72:73]
	v_add_f64 v[220:221], v[216:217], v[218:219]
	ds_read_b128 v[216:219], v2 offset:1328
	s_waitcnt vmcnt(11) lgkmcnt(1)
	v_mul_f64 v[222:223], v[212:213], v[94:95]
	v_fmac_f64_e32 v[222:223], v[214:215], v[92:93]
	v_add_f64 v[224:225], v[220:221], v[222:223]
	ds_read_b128 v[220:223], v2 offset:1344
	s_waitcnt vmcnt(10) lgkmcnt(1)
	v_mul_f64 v[226:227], v[216:217], v[122:123]
	v_fmac_f64_e32 v[226:227], v[218:219], v[120:121]
	v_add_f64 v[228:229], v[224:225], v[226:227]
	ds_read_b128 v[224:227], v2 offset:1360
	s_waitcnt vmcnt(9) lgkmcnt(1)
	v_mul_f64 v[230:231], v[220:221], v[138:139]
	v_fmac_f64_e32 v[230:231], v[222:223], v[136:137]
	v_add_f64 v[232:233], v[228:229], v[230:231]
	ds_read_b128 v[228:231], v2 offset:1376
	s_waitcnt vmcnt(8) lgkmcnt(1)
	v_mul_f64 v[234:235], v[224:225], v[146:147]
	v_fmac_f64_e32 v[234:235], v[226:227], v[144:145]
	v_add_f64 v[236:237], v[232:233], v[234:235]
	ds_read_b128 v[232:235], v2 offset:1392
	s_waitcnt vmcnt(7) lgkmcnt(1)
	v_mul_f64 v[238:239], v[228:229], v[158:159]
	v_fmac_f64_e32 v[238:239], v[230:231], v[156:157]
	v_add_f64 v[240:241], v[236:237], v[238:239]
	ds_read_b128 v[236:239], v2 offset:1408
	s_waitcnt vmcnt(6) lgkmcnt(1)
	v_mul_f64 v[242:243], v[232:233], v[162:163]
	v_fmac_f64_e32 v[242:243], v[234:235], v[160:161]
	v_mul_f64 v[142:143], v[190:191], v[142:143]
	v_add_f64 v[242:243], v[240:241], v[242:243]
	v_fma_f64 v[240:241], v[188:189], v[140:141], -v[142:143]
	ds_read_b128 v[140:143], v2 offset:1424
	s_waitcnt vmcnt(5) lgkmcnt(1)
	v_mul_f64 v[188:189], v[236:237], v[166:167]
	v_fmac_f64_e32 v[188:189], v[238:239], v[164:165]
	v_mul_f64 v[150:151], v[186:187], v[150:151]
	v_add_f64 v[188:189], v[242:243], v[188:189]
	v_fma_f64 v[242:243], v[184:185], v[148:149], -v[150:151]
	ds_read_b128 v[148:151], v2 offset:1440
	s_waitcnt vmcnt(4) lgkmcnt(1)
	v_mul_f64 v[184:185], v[140:141], v[170:171]
	v_fmac_f64_e32 v[184:185], v[142:143], v[168:169]
	v_add_f64 v[188:189], v[188:189], v[184:185]
	ds_read_b128 v[184:187], v2 offset:1456
	v_mul_f64 v[154:155], v[194:195], v[154:155]
	s_waitcnt vmcnt(3) lgkmcnt(1)
	v_mul_f64 v[190:191], v[148:149], v[174:175]
	v_fma_f64 v[254:255], v[192:193], v[152:153], -v[154:155]
	ds_read_b128 v[152:155], v2 offset:1472
	v_fmac_f64_e32 v[190:191], v[150:151], v[172:173]
	v_add_f64 v[244:245], v[188:189], v[190:191]
	ds_read_b128 v[188:191], v2 offset:1488
	s_waitcnt vmcnt(2) lgkmcnt(2)
	v_mul_f64 v[192:193], v[184:185], v[178:179]
	v_fmac_f64_e32 v[192:193], v[186:187], v[176:177]
	v_add_f64 v[2:3], v[244:245], v[192:193]
	s_waitcnt vmcnt(1) lgkmcnt(1)
	v_mul_f64 v[192:193], v[152:153], v[182:183]
	v_fmac_f64_e32 v[192:193], v[154:155], v[180:181]
	v_add_f64 v[2:3], v[2:3], v[192:193]
	;; [unrolled: 4-line block ×3, first 2 shown]
	scratch_load_dwordx4 v[192:195], off, off offset:240
	v_add_f64 v[240:241], v[240:241], 0
	v_add_f64 v[240:241], v[240:241], v[242:243]
	v_mul_f64 v[6:7], v[70:71], v[6:7]
	v_add_f64 v[240:241], v[240:241], v[254:255]
	v_fma_f64 v[4:5], v[68:69], v[4:5], -v[6:7]
	v_mul_f64 v[6:7], v[90:91], v[10:11]
	v_add_f64 v[4:5], v[240:241], v[4:5]
	v_fma_f64 v[6:7], v[88:89], v[8:9], -v[6:7]
	v_add_f64 v[4:5], v[4:5], v[6:7]
	v_mul_f64 v[6:7], v[86:87], v[14:15]
	v_fma_f64 v[6:7], v[84:85], v[12:13], -v[6:7]
	v_add_f64 v[4:5], v[4:5], v[6:7]
	v_mul_f64 v[6:7], v[82:83], v[18:19]
	;; [unrolled: 3-line block ×27, first 2 shown]
	v_fma_f64 v[6:7], v[188:189], v[196:197], -v[6:7]
	v_add_f64 v[4:5], v[4:5], v[6:7]
	s_waitcnt vmcnt(0)
	v_add_f64 v[4:5], v[192:193], -v[4:5]
	v_add_f64 v[6:7], v[194:195], -v[2:3]
	scratch_store_dwordx4 off, v[4:7], off offset:240
	s_and_saveexec_b64 s[0:1], vcc
	s_cbranch_execz .LBB46_269
; %bb.268:
	scratch_load_dwordx4 v[2:5], off, s35
	v_mov_b32_e32 v6, 0
	v_mov_b32_e32 v7, v6
	v_mov_b32_e32 v8, v6
	v_mov_b32_e32 v9, v6
	v_accvgpr_read_b32 v0, a95
	scratch_store_dwordx4 off, v[6:9], off offset:224
	s_waitcnt vmcnt(1)
	ds_write_b128 v0, v[2:5]
.LBB46_269:
	s_or_b64 exec, exec, s[0:1]
	s_waitcnt lgkmcnt(0)
	; wave barrier
	scratch_load_dwordx4 v[108:111], off, off offset:240
	scratch_load_dwordx4 v[116:119], off, off offset:256
	;; [unrolled: 1-line block ×33, first 2 shown]
	v_mov_b32_e32 v2, 0
	ds_read_b128 v[220:223], v2 offset:976
	ds_read_b128 v[224:227], v2 offset:992
	;; [unrolled: 1-line block ×16, first 2 shown]
	v_cmp_lt_u32_e32 vcc, 12, v250
	s_waitcnt vmcnt(32) lgkmcnt(14)
	v_mul_f64 v[180:181], v[220:221], v[110:111]
	s_waitcnt vmcnt(31)
	v_mul_f64 v[182:183], v[224:225], v[118:119]
	v_fmac_f64_e32 v[180:181], v[222:223], v[108:109]
	s_waitcnt vmcnt(30) lgkmcnt(13)
	v_mul_f64 v[184:185], v[234:235], v[122:123]
	v_fmac_f64_e32 v[182:183], v[226:227], v[116:117]
	v_add_f64 v[180:181], v[180:181], 0
	s_waitcnt vmcnt(29) lgkmcnt(12)
	v_mul_f64 v[186:187], v[238:239], v[126:127]
	v_fmac_f64_e32 v[184:185], v[236:237], v[120:121]
	v_add_f64 v[180:181], v[180:181], v[182:183]
	s_waitcnt vmcnt(28) lgkmcnt(11)
	v_mul_f64 v[188:189], v[242:243], v[130:131]
	v_fmac_f64_e32 v[186:187], v[240:241], v[124:125]
	v_add_f64 v[180:181], v[180:181], v[184:185]
	s_waitcnt vmcnt(27) lgkmcnt(10)
	v_mul_f64 v[190:191], v[176:177], v[6:7]
	v_fmac_f64_e32 v[188:189], v[244:245], v[128:129]
	v_add_f64 v[180:181], v[180:181], v[186:187]
	s_waitcnt vmcnt(26) lgkmcnt(9)
	v_mul_f64 v[192:193], v[172:173], v[10:11]
	v_fmac_f64_e32 v[190:191], v[178:179], v[4:5]
	v_add_f64 v[180:181], v[180:181], v[188:189]
	s_waitcnt vmcnt(25) lgkmcnt(8)
	v_mul_f64 v[194:195], v[168:169], v[14:15]
	v_fmac_f64_e32 v[192:193], v[174:175], v[8:9]
	v_add_f64 v[180:181], v[180:181], v[190:191]
	s_waitcnt vmcnt(24) lgkmcnt(7)
	v_mul_f64 v[196:197], v[164:165], v[18:19]
	v_fmac_f64_e32 v[194:195], v[170:171], v[12:13]
	v_add_f64 v[180:181], v[180:181], v[192:193]
	s_waitcnt vmcnt(23) lgkmcnt(6)
	v_mul_f64 v[198:199], v[160:161], v[22:23]
	v_fmac_f64_e32 v[196:197], v[166:167], v[16:17]
	v_add_f64 v[180:181], v[180:181], v[194:195]
	s_waitcnt vmcnt(22) lgkmcnt(5)
	v_mul_f64 v[200:201], v[156:157], v[26:27]
	v_fmac_f64_e32 v[198:199], v[162:163], v[20:21]
	v_add_f64 v[180:181], v[180:181], v[196:197]
	s_waitcnt vmcnt(21) lgkmcnt(4)
	v_mul_f64 v[202:203], v[152:153], v[30:31]
	v_fmac_f64_e32 v[200:201], v[158:159], v[24:25]
	v_add_f64 v[180:181], v[180:181], v[198:199]
	s_waitcnt vmcnt(20) lgkmcnt(3)
	v_mul_f64 v[204:205], v[148:149], v[34:35]
	v_fmac_f64_e32 v[202:203], v[154:155], v[28:29]
	v_add_f64 v[180:181], v[180:181], v[200:201]
	s_waitcnt vmcnt(19) lgkmcnt(2)
	v_mul_f64 v[206:207], v[144:145], v[38:39]
	v_fmac_f64_e32 v[204:205], v[150:151], v[32:33]
	v_add_f64 v[180:181], v[180:181], v[202:203]
	s_waitcnt vmcnt(18) lgkmcnt(1)
	v_mul_f64 v[208:209], v[140:141], v[42:43]
	v_fmac_f64_e32 v[206:207], v[146:147], v[36:37]
	v_add_f64 v[180:181], v[180:181], v[204:205]
	v_fmac_f64_e32 v[208:209], v[142:143], v[40:41]
	v_add_f64 v[180:181], v[180:181], v[206:207]
	v_add_f64 v[184:185], v[180:181], v[208:209]
	ds_read_b128 v[180:183], v2 offset:1232
	s_waitcnt vmcnt(17) lgkmcnt(1)
	v_mul_f64 v[186:187], v[136:137], v[46:47]
	v_fmac_f64_e32 v[186:187], v[138:139], v[44:45]
	v_add_f64 v[188:189], v[184:185], v[186:187]
	ds_read_b128 v[184:187], v2 offset:1248
	s_waitcnt vmcnt(16) lgkmcnt(1)
	v_mul_f64 v[190:191], v[180:181], v[50:51]
	v_fmac_f64_e32 v[190:191], v[182:183], v[48:49]
	;; [unrolled: 5-line block ×10, first 2 shown]
	v_mul_f64 v[110:111], v[222:223], v[110:111]
	v_add_f64 v[228:229], v[228:229], v[230:231]
	v_fma_f64 v[230:231], v[220:221], v[108:109], -v[110:111]
	ds_read_b128 v[108:111], v2 offset:1392
	s_waitcnt vmcnt(7) lgkmcnt(1)
	v_mul_f64 v[220:221], v[216:217], v[86:87]
	v_mul_f64 v[118:119], v[226:227], v[118:119]
	v_fmac_f64_e32 v[220:221], v[218:219], v[84:85]
	v_fma_f64 v[232:233], v[224:225], v[116:117], -v[118:119]
	ds_read_b128 v[116:119], v2 offset:1408
	s_waitcnt vmcnt(6) lgkmcnt(1)
	v_mul_f64 v[222:223], v[108:109], v[90:91]
	v_add_f64 v[220:221], v[228:229], v[220:221]
	v_fmac_f64_e32 v[222:223], v[110:111], v[88:89]
	v_add_f64 v[224:225], v[220:221], v[222:223]
	ds_read_b128 v[220:223], v2 offset:1424
	v_mul_f64 v[122:123], v[236:237], v[122:123]
	v_fma_f64 v[234:235], v[234:235], v[120:121], -v[122:123]
	ds_read_b128 v[120:123], v2 offset:1440
	s_waitcnt vmcnt(5) lgkmcnt(2)
	v_mul_f64 v[226:227], v[116:117], v[94:95]
	v_fmac_f64_e32 v[226:227], v[118:119], v[92:93]
	v_mul_f64 v[126:127], v[240:241], v[126:127]
	v_add_f64 v[224:225], v[224:225], v[226:227]
	s_waitcnt vmcnt(4) lgkmcnt(1)
	v_mul_f64 v[226:227], v[220:221], v[98:99]
	v_fma_f64 v[236:237], v[238:239], v[124:125], -v[126:127]
	ds_read_b128 v[124:127], v2 offset:1456
	v_fmac_f64_e32 v[226:227], v[222:223], v[96:97]
	v_add_f64 v[228:229], v[224:225], v[226:227]
	s_waitcnt vmcnt(3) lgkmcnt(1)
	v_mul_f64 v[238:239], v[120:121], v[102:103]
	ds_read_b128 v[224:227], v2 offset:1472
	v_fmac_f64_e32 v[238:239], v[122:123], v[100:101]
	v_mul_f64 v[130:131], v[244:245], v[130:131]
	v_add_f64 v[228:229], v[228:229], v[238:239]
	v_fma_f64 v[238:239], v[242:243], v[128:129], -v[130:131]
	ds_read_b128 v[128:131], v2 offset:1488
	s_waitcnt vmcnt(2) lgkmcnt(2)
	v_mul_f64 v[240:241], v[124:125], v[106:107]
	v_fmac_f64_e32 v[240:241], v[126:127], v[104:105]
	v_add_f64 v[228:229], v[228:229], v[240:241]
	s_waitcnt vmcnt(1) lgkmcnt(1)
	v_mul_f64 v[240:241], v[224:225], v[114:115]
	v_fmac_f64_e32 v[240:241], v[226:227], v[112:113]
	v_add_f64 v[228:229], v[228:229], v[240:241]
	;; [unrolled: 4-line block ×3, first 2 shown]
	scratch_load_dwordx4 v[240:243], off, off offset:224
	v_add_f64 v[230:231], v[230:231], 0
	v_add_f64 v[230:231], v[230:231], v[232:233]
	;; [unrolled: 1-line block ×4, first 2 shown]
	v_mul_f64 v[6:7], v[178:179], v[6:7]
	v_add_f64 v[230:231], v[230:231], v[238:239]
	v_fma_f64 v[4:5], v[176:177], v[4:5], -v[6:7]
	v_mul_f64 v[6:7], v[174:175], v[10:11]
	v_add_f64 v[4:5], v[230:231], v[4:5]
	v_fma_f64 v[6:7], v[172:173], v[8:9], -v[6:7]
	v_add_f64 v[4:5], v[4:5], v[6:7]
	v_mul_f64 v[6:7], v[170:171], v[14:15]
	v_fma_f64 v[6:7], v[168:169], v[12:13], -v[6:7]
	v_add_f64 v[4:5], v[4:5], v[6:7]
	v_mul_f64 v[6:7], v[166:167], v[18:19]
	;; [unrolled: 3-line block ×26, first 2 shown]
	v_fma_f64 v[6:7], v[128:129], v[132:133], -v[6:7]
	v_add_f64 v[4:5], v[4:5], v[6:7]
	s_waitcnt vmcnt(0)
	v_add_f64 v[4:5], v[240:241], -v[4:5]
	v_add_f64 v[6:7], v[242:243], -v[228:229]
	scratch_store_dwordx4 off, v[4:7], off offset:224
	s_and_saveexec_b64 s[0:1], vcc
	s_cbranch_execz .LBB46_271
; %bb.270:
	scratch_load_dwordx4 v[6:9], off, s34
	v_mov_b32_e32 v3, v2
	v_mov_b32_e32 v4, v2
	v_mov_b32_e32 v5, v2
	v_accvgpr_read_b32 v0, a95
	scratch_store_dwordx4 off, v[2:5], off offset:208
	s_waitcnt vmcnt(1)
	ds_write_b128 v0, v[6:9]
.LBB46_271:
	s_or_b64 exec, exec, s[0:1]
	s_waitcnt lgkmcnt(0)
	; wave barrier
	scratch_load_dwordx4 v[144:147], off, off offset:224
	scratch_load_dwordx4 v[152:155], off, off offset:240
	;; [unrolled: 1-line block ×16, first 2 shown]
	ds_read_b128 v[196:199], v2 offset:960
	ds_read_b128 v[188:191], v2 offset:976
	ds_read_b128 v[180:183], v2 offset:992
	scratch_load_dwordx4 v[48:51], off, off offset:480
	ds_read_b128 v[192:195], v2 offset:1008
	ds_read_b128 v[184:187], v2 offset:1024
	ds_read_b128 v[64:67], v2 offset:1040
	scratch_load_dwordx4 v[52:55], off, off offset:496
	;; [unrolled: 4-line block ×5, first 2 shown]
	ds_read_b128 v[116:119], v2 offset:1200
	ds_read_b128 v[112:115], v2 offset:1216
	scratch_load_dwordx4 v[108:111], off, off offset:560
	scratch_load_dwordx4 v[120:123], off, off offset:576
	;; [unrolled: 1-line block ×12, first 2 shown]
	v_cmp_lt_u32_e32 vcc, 11, v250
	s_waitcnt vmcnt(32) lgkmcnt(14)
	v_mul_f64 v[204:205], v[196:197], v[146:147]
	s_waitcnt vmcnt(31)
	v_mul_f64 v[206:207], v[188:189], v[154:155]
	v_fmac_f64_e32 v[204:205], v[198:199], v[144:145]
	s_waitcnt vmcnt(30)
	v_mul_f64 v[208:209], v[180:181], v[158:159]
	v_fmac_f64_e32 v[206:207], v[190:191], v[152:153]
	v_add_f64 v[204:205], v[204:205], 0
	s_waitcnt vmcnt(29) lgkmcnt(13)
	v_mul_f64 v[210:211], v[192:193], v[162:163]
	v_fmac_f64_e32 v[208:209], v[182:183], v[156:157]
	v_add_f64 v[204:205], v[204:205], v[206:207]
	s_waitcnt vmcnt(28) lgkmcnt(12)
	;; [unrolled: 4-line block ×12, first 2 shown]
	v_mul_f64 v[232:233], v[96:97], v[42:43]
	v_fmac_f64_e32 v[230:231], v[102:103], v[36:37]
	v_add_f64 v[204:205], v[204:205], v[228:229]
	v_fmac_f64_e32 v[232:233], v[98:99], v[40:41]
	v_add_f64 v[204:205], v[204:205], v[230:231]
	s_waitcnt vmcnt(17) lgkmcnt(1)
	v_mul_f64 v[206:207], v[116:117], v[46:47]
	v_add_f64 v[204:205], v[204:205], v[232:233]
	v_fmac_f64_e32 v[206:207], v[118:119], v[44:45]
	s_waitcnt vmcnt(16) lgkmcnt(0)
	v_mul_f64 v[210:211], v[112:113], v[50:51]
	v_add_f64 v[208:209], v[204:205], v[206:207]
	ds_read_b128 v[204:207], v2 offset:1232
	v_fmac_f64_e32 v[210:211], v[114:115], v[48:49]
	v_add_f64 v[212:213], v[208:209], v[210:211]
	ds_read_b128 v[208:211], v2 offset:1248
	v_mul_f64 v[146:147], v[198:199], v[146:147]
	s_waitcnt vmcnt(15) lgkmcnt(1)
	v_mul_f64 v[214:215], v[204:205], v[54:55]
	v_fmac_f64_e32 v[214:215], v[206:207], v[52:53]
	v_add_f64 v[216:217], v[212:213], v[214:215]
	s_waitcnt vmcnt(14) lgkmcnt(0)
	v_mul_f64 v[218:219], v[208:209], v[58:59]
	ds_read_b128 v[212:215], v2 offset:1264
	v_fmac_f64_e32 v[218:219], v[210:211], v[56:57]
	v_add_f64 v[220:221], v[216:217], v[218:219]
	ds_read_b128 v[216:219], v2 offset:1280
	v_mul_f64 v[154:155], v[190:191], v[154:155]
	s_waitcnt vmcnt(13) lgkmcnt(1)
	v_mul_f64 v[222:223], v[212:213], v[62:63]
	v_fmac_f64_e32 v[222:223], v[214:215], v[60:61]
	v_add_f64 v[224:225], v[220:221], v[222:223]
	s_waitcnt vmcnt(12) lgkmcnt(0)
	v_mul_f64 v[226:227], v[216:217], v[94:95]
	ds_read_b128 v[220:223], v2 offset:1296
	v_fmac_f64_e32 v[226:227], v[218:219], v[92:93]
	v_add_f64 v[228:229], v[224:225], v[226:227]
	ds_read_b128 v[224:227], v2 offset:1312
	v_fma_f64 v[244:245], v[188:189], v[152:153], -v[154:155]
	s_waitcnt vmcnt(11) lgkmcnt(1)
	v_mul_f64 v[230:231], v[220:221], v[110:111]
	v_fmac_f64_e32 v[230:231], v[222:223], v[108:109]
	v_add_f64 v[232:233], v[228:229], v[230:231]
	s_waitcnt vmcnt(10) lgkmcnt(0)
	v_mul_f64 v[234:235], v[224:225], v[122:123]
	ds_read_b128 v[228:231], v2 offset:1328
	v_fmac_f64_e32 v[234:235], v[226:227], v[120:121]
	v_add_f64 v[236:237], v[232:233], v[234:235]
	ds_read_b128 v[232:235], v2 offset:1344
	ds_read_b128 v[152:155], v2 offset:1392
	s_waitcnt vmcnt(9) lgkmcnt(2)
	v_mul_f64 v[238:239], v[228:229], v[126:127]
	v_fmac_f64_e32 v[238:239], v[230:231], v[124:125]
	v_add_f64 v[240:241], v[236:237], v[238:239]
	s_waitcnt vmcnt(8) lgkmcnt(1)
	v_mul_f64 v[242:243], v[232:233], v[130:131]
	ds_read_b128 v[236:239], v2 offset:1360
	v_fmac_f64_e32 v[242:243], v[234:235], v[128:129]
	v_add_f64 v[240:241], v[240:241], v[242:243]
	v_fma_f64 v[242:243], v[196:197], v[144:145], -v[146:147]
	ds_read_b128 v[144:147], v2 offset:1376
	s_waitcnt vmcnt(7) lgkmcnt(1)
	v_mul_f64 v[196:197], v[236:237], v[134:135]
	v_fmac_f64_e32 v[196:197], v[238:239], v[132:133]
	v_add_f64 v[188:189], v[240:241], v[196:197]
	v_mul_f64 v[158:159], v[182:183], v[158:159]
	s_waitcnt vmcnt(6) lgkmcnt(0)
	v_mul_f64 v[190:191], v[144:145], v[138:139]
	v_fmac_f64_e32 v[190:191], v[146:147], v[136:137]
	v_add_f64 v[196:197], v[188:189], v[190:191]
	ds_read_b128 v[188:191], v2 offset:1408
	v_fma_f64 v[240:241], v[180:181], v[156:157], -v[158:159]
	ds_read_b128 v[156:159], v2 offset:1424
	s_waitcnt vmcnt(5)
	v_mul_f64 v[198:199], v[152:153], v[142:143]
	v_fmac_f64_e32 v[198:199], v[154:155], v[140:141]
	s_waitcnt vmcnt(4) lgkmcnt(1)
	v_mul_f64 v[180:181], v[188:189], v[150:151]
	v_add_f64 v[196:197], v[196:197], v[198:199]
	v_fmac_f64_e32 v[180:181], v[190:191], v[148:149]
	v_mul_f64 v[162:163], v[194:195], v[162:163]
	v_add_f64 v[198:199], v[196:197], v[180:181]
	v_fma_f64 v[196:197], v[192:193], v[160:161], -v[162:163]
	ds_read_b128 v[160:163], v2 offset:1440
	s_waitcnt vmcnt(3) lgkmcnt(1)
	v_mul_f64 v[192:193], v[156:157], v[166:167]
	ds_read_b128 v[180:183], v2 offset:1456
	v_fmac_f64_e32 v[192:193], v[158:159], v[164:165]
	v_mul_f64 v[170:171], v[186:187], v[170:171]
	v_add_f64 v[192:193], v[198:199], v[192:193]
	v_fma_f64 v[198:199], v[184:185], v[168:169], -v[170:171]
	ds_read_b128 v[168:171], v2 offset:1472
	s_waitcnt vmcnt(2) lgkmcnt(2)
	v_mul_f64 v[184:185], v[160:161], v[174:175]
	v_fmac_f64_e32 v[184:185], v[162:163], v[172:173]
	s_waitcnt vmcnt(1) lgkmcnt(1)
	v_mul_f64 v[186:187], v[180:181], v[178:179]
	v_add_f64 v[184:185], v[192:193], v[184:185]
	v_fmac_f64_e32 v[186:187], v[182:183], v[176:177]
	v_add_f64 v[184:185], v[184:185], v[186:187]
	s_waitcnt vmcnt(0) lgkmcnt(0)
	v_mul_f64 v[186:187], v[168:169], v[202:203]
	v_fmac_f64_e32 v[186:187], v[170:171], v[200:201]
	v_add_f64 v[254:255], v[184:185], v[186:187]
	scratch_load_dwordx4 v[184:187], off, off offset:752
	v_add_f64 v[242:243], v[242:243], 0
	v_add_f64 v[242:243], v[242:243], v[244:245]
	;; [unrolled: 1-line block ×3, first 2 shown]
	scratch_load_dwordx4 v[242:245], off, off offset:208
	v_add_f64 v[196:197], v[240:241], v[196:197]
	v_mul_f64 v[6:7], v[66:67], v[6:7]
	v_add_f64 v[196:197], v[196:197], v[198:199]
	v_fma_f64 v[4:5], v[64:65], v[4:5], -v[6:7]
	v_mul_f64 v[6:7], v[78:79], v[10:11]
	v_add_f64 v[4:5], v[196:197], v[4:5]
	v_fma_f64 v[6:7], v[76:77], v[8:9], -v[6:7]
	v_add_f64 v[4:5], v[4:5], v[6:7]
	v_mul_f64 v[6:7], v[74:75], v[14:15]
	v_fma_f64 v[6:7], v[72:73], v[12:13], -v[6:7]
	v_add_f64 v[4:5], v[4:5], v[6:7]
	v_mul_f64 v[6:7], v[70:71], v[18:19]
	;; [unrolled: 3-line block ×24, first 2 shown]
	ds_read_b128 v[192:195], v2 offset:1488
	v_fma_f64 v[6:7], v[160:161], v[172:173], -v[6:7]
	v_add_f64 v[4:5], v[4:5], v[6:7]
	v_mul_f64 v[6:7], v[182:183], v[178:179]
	v_fma_f64 v[6:7], v[180:181], v[176:177], -v[6:7]
	v_add_f64 v[4:5], v[4:5], v[6:7]
	v_mul_f64 v[6:7], v[170:171], v[202:203]
	v_fma_f64 v[6:7], v[168:169], v[200:201], -v[6:7]
	s_waitcnt vmcnt(1) lgkmcnt(0)
	v_mul_f64 v[2:3], v[192:193], v[186:187]
	v_add_f64 v[4:5], v[4:5], v[6:7]
	v_mul_f64 v[6:7], v[194:195], v[186:187]
	v_fmac_f64_e32 v[2:3], v[194:195], v[184:185]
	v_fma_f64 v[6:7], v[192:193], v[184:185], -v[6:7]
	v_add_f64 v[2:3], v[254:255], v[2:3]
	v_add_f64 v[4:5], v[4:5], v[6:7]
	s_waitcnt vmcnt(0)
	v_add_f64 v[4:5], v[242:243], -v[4:5]
	v_add_f64 v[6:7], v[244:245], -v[2:3]
	scratch_store_dwordx4 off, v[4:7], off offset:208
	s_and_saveexec_b64 s[0:1], vcc
	s_cbranch_execz .LBB46_273
; %bb.272:
	scratch_load_dwordx4 v[2:5], off, s33
	v_mov_b32_e32 v6, 0
	v_mov_b32_e32 v7, v6
	v_mov_b32_e32 v8, v6
	v_mov_b32_e32 v9, v6
	v_accvgpr_read_b32 v0, a95
	scratch_store_dwordx4 off, v[6:9], off offset:192
	s_waitcnt vmcnt(1)
	ds_write_b128 v0, v[2:5]
.LBB46_273:
	s_or_b64 exec, exec, s[0:1]
	s_waitcnt lgkmcnt(0)
	; wave barrier
	scratch_load_dwordx4 v[184:187], off, off offset:208
	scratch_load_dwordx4 v[188:191], off, off offset:224
	scratch_load_dwordx4 v[196:199], off, off offset:240
	scratch_load_dwordx4 v[200:203], off, off offset:256
	scratch_load_dwordx4 v[208:211], off, off offset:272
	scratch_load_dwordx4 v[212:215], off, off offset:288
	scratch_load_dwordx4 v[220:223], off, off offset:304
	scratch_load_dwordx4 v[4:7], off, off offset:320
	scratch_load_dwordx4 v[8:11], off, off offset:336
	scratch_load_dwordx4 v[12:15], off, off offset:352
	scratch_load_dwordx4 v[16:19], off, off offset:368
	scratch_load_dwordx4 v[20:23], off, off offset:384
	scratch_load_dwordx4 v[24:27], off, off offset:400
	scratch_load_dwordx4 v[28:31], off, off offset:416
	scratch_load_dwordx4 v[32:35], off, off offset:432
	scratch_load_dwordx4 v[36:39], off, off offset:448
	scratch_load_dwordx4 v[40:43], off, off offset:464
	scratch_load_dwordx4 v[44:47], off, off offset:480
	scratch_load_dwordx4 v[48:51], off, off offset:496
	scratch_load_dwordx4 v[52:55], off, off offset:512
	scratch_load_dwordx4 v[56:59], off, off offset:528
	scratch_load_dwordx4 v[60:63], off, off offset:544
	scratch_load_dwordx4 v[64:67], off, off offset:560
	scratch_load_dwordx4 v[68:71], off, off offset:576
	scratch_load_dwordx4 v[72:75], off, off offset:592
	scratch_load_dwordx4 v[76:79], off, off offset:608
	scratch_load_dwordx4 v[80:83], off, off offset:624
	scratch_load_dwordx4 v[84:87], off, off offset:640
	scratch_load_dwordx4 v[88:91], off, off offset:656
	scratch_load_dwordx4 v[92:95], off, off offset:672
	scratch_load_dwordx4 v[100:103], off, off offset:688
	scratch_load_dwordx4 v[96:99], off, off offset:704
	v_mov_b32_e32 v2, 0
	ds_read_b128 v[192:195], v2 offset:944
	ds_read_b128 v[204:207], v2 offset:960
	;; [unrolled: 1-line block ×16, first 2 shown]
	v_cmp_lt_u32_e32 vcc, 10, v250
	s_waitcnt vmcnt(31) lgkmcnt(14)
	v_mul_f64 v[104:105], v[192:193], v[186:187]
	s_waitcnt vmcnt(30)
	v_mul_f64 v[106:107], v[204:205], v[190:191]
	v_fmac_f64_e32 v[104:105], v[194:195], v[184:185]
	s_waitcnt vmcnt(29) lgkmcnt(13)
	v_mul_f64 v[112:113], v[216:217], v[198:199]
	v_fmac_f64_e32 v[106:107], v[206:207], v[188:189]
	v_add_f64 v[104:105], v[104:105], 0
	s_waitcnt vmcnt(28) lgkmcnt(12)
	v_mul_f64 v[114:115], v[224:225], v[202:203]
	v_fmac_f64_e32 v[112:113], v[218:219], v[196:197]
	v_add_f64 v[104:105], v[104:105], v[106:107]
	;; [unrolled: 4-line block ×10, first 2 shown]
	ds_read_b128 v[152:155], v2 offset:1200
	ds_read_b128 v[156:159], v2 offset:1216
	s_waitcnt vmcnt(19) lgkmcnt(5)
	v_mul_f64 v[164:165], v[124:125], v[26:27]
	v_fmac_f64_e32 v[162:163], v[134:135], v[20:21]
	v_add_f64 v[104:105], v[104:105], v[160:161]
	s_waitcnt vmcnt(18) lgkmcnt(4)
	v_mul_f64 v[166:167], v[120:121], v[30:31]
	v_fmac_f64_e32 v[164:165], v[126:127], v[24:25]
	v_add_f64 v[104:105], v[104:105], v[162:163]
	;; [unrolled: 4-line block ×4, first 2 shown]
	v_add_f64 v[112:113], v[104:105], v[168:169]
	v_fmac_f64_e32 v[170:171], v[110:111], v[36:37]
	scratch_load_dwordx4 v[104:107], off, off offset:720
	s_waitcnt vmcnt(16) lgkmcnt(1)
	v_mul_f64 v[114:115], v[152:153], v[42:43]
	v_add_f64 v[112:113], v[112:113], v[170:171]
	v_fmac_f64_e32 v[114:115], v[154:155], v[40:41]
	v_add_f64 v[128:129], v[112:113], v[114:115]
	scratch_load_dwordx4 v[112:115], off, off offset:736
	s_waitcnt vmcnt(16) lgkmcnt(0)
	v_mul_f64 v[130:131], v[156:157], v[46:47]
	v_fmac_f64_e32 v[130:131], v[158:159], v[44:45]
	v_add_f64 v[168:169], v[128:129], v[130:131]
	scratch_load_dwordx4 v[128:131], off, off offset:752
	ds_read_b128 v[160:163], v2 offset:1232
	ds_read_b128 v[164:167], v2 offset:1248
	v_mul_f64 v[186:187], v[194:195], v[186:187]
	v_fma_f64 v[254:255], v[192:193], v[184:185], -v[186:187]
	ds_read_b128 v[184:187], v2 offset:1328
	s_waitcnt vmcnt(16) lgkmcnt(2)
	v_mul_f64 v[170:171], v[160:161], v[50:51]
	v_fmac_f64_e32 v[170:171], v[162:163], v[48:49]
	s_waitcnt vmcnt(15) lgkmcnt(1)
	v_mul_f64 v[174:175], v[164:165], v[54:55]
	v_add_f64 v[172:173], v[168:169], v[170:171]
	ds_read_b128 v[168:171], v2 offset:1264
	v_fmac_f64_e32 v[174:175], v[166:167], v[52:53]
	v_add_f64 v[176:177], v[172:173], v[174:175]
	ds_read_b128 v[172:175], v2 offset:1280
	v_mul_f64 v[190:191], v[206:207], v[190:191]
	s_waitcnt vmcnt(14) lgkmcnt(1)
	v_mul_f64 v[178:179], v[168:169], v[58:59]
	v_fmac_f64_e32 v[178:179], v[170:171], v[56:57]
	v_add_f64 v[180:181], v[176:177], v[178:179]
	s_waitcnt vmcnt(13) lgkmcnt(0)
	v_mul_f64 v[182:183], v[172:173], v[62:63]
	ds_read_b128 v[176:179], v2 offset:1296
	v_fmac_f64_e32 v[182:183], v[174:175], v[60:61]
	v_add_f64 v[232:233], v[180:181], v[182:183]
	ds_read_b128 v[180:183], v2 offset:1312
	v_fma_f64 v[246:247], v[204:205], v[188:189], -v[190:191]
	s_waitcnt vmcnt(12) lgkmcnt(1)
	v_mul_f64 v[234:235], v[176:177], v[66:67]
	v_fmac_f64_e32 v[234:235], v[178:179], v[64:65]
	v_add_f64 v[232:233], v[232:233], v[234:235]
	s_waitcnt vmcnt(11) lgkmcnt(0)
	v_mul_f64 v[192:193], v[180:181], v[70:71]
	v_fmac_f64_e32 v[192:193], v[182:183], v[68:69]
	ds_read_b128 v[188:191], v2 offset:1344
	s_waitcnt vmcnt(10)
	v_mul_f64 v[194:195], v[184:185], v[74:75]
	v_add_f64 v[192:193], v[232:233], v[192:193]
	v_fmac_f64_e32 v[194:195], v[186:187], v[72:73]
	v_add_f64 v[204:205], v[192:193], v[194:195]
	ds_read_b128 v[192:195], v2 offset:1360
	v_mul_f64 v[198:199], v[218:219], v[198:199]
	v_fma_f64 v[248:249], v[216:217], v[196:197], -v[198:199]
	ds_read_b128 v[196:199], v2 offset:1376
	s_waitcnt vmcnt(9) lgkmcnt(2)
	v_mul_f64 v[206:207], v[188:189], v[78:79]
	v_fmac_f64_e32 v[206:207], v[190:191], v[76:77]
	v_add_f64 v[204:205], v[204:205], v[206:207]
	s_waitcnt vmcnt(8) lgkmcnt(1)
	v_mul_f64 v[206:207], v[192:193], v[82:83]
	v_fmac_f64_e32 v[206:207], v[194:195], v[80:81]
	v_mul_f64 v[202:203], v[226:227], v[202:203]
	v_add_f64 v[204:205], v[204:205], v[206:207]
	v_fma_f64 v[234:235], v[224:225], v[200:201], -v[202:203]
	ds_read_b128 v[200:203], v2 offset:1392
	s_waitcnt vmcnt(7) lgkmcnt(1)
	v_mul_f64 v[206:207], v[196:197], v[86:87]
	v_fmac_f64_e32 v[206:207], v[198:199], v[84:85]
	v_add_f64 v[216:217], v[204:205], v[206:207]
	ds_read_b128 v[204:207], v2 offset:1408
	v_mul_f64 v[210:211], v[230:231], v[210:211]
	v_fma_f64 v[236:237], v[228:229], v[208:209], -v[210:211]
	ds_read_b128 v[208:211], v2 offset:1424
	s_waitcnt vmcnt(6) lgkmcnt(2)
	v_mul_f64 v[218:219], v[200:201], v[90:91]
	v_fmac_f64_e32 v[218:219], v[202:203], v[88:89]
	v_add_f64 v[216:217], v[216:217], v[218:219]
	s_waitcnt vmcnt(5) lgkmcnt(1)
	v_mul_f64 v[218:219], v[204:205], v[94:95]
	v_fmac_f64_e32 v[218:219], v[206:207], v[92:93]
	v_mul_f64 v[214:215], v[240:241], v[214:215]
	v_fma_f64 v[238:239], v[238:239], v[212:213], -v[214:215]
	ds_read_b128 v[212:215], v2 offset:1440
	v_add_f64 v[216:217], v[216:217], v[218:219]
	s_waitcnt vmcnt(4) lgkmcnt(1)
	v_mul_f64 v[218:219], v[208:209], v[102:103]
	v_fmac_f64_e32 v[218:219], v[210:211], v[100:101]
	v_add_f64 v[224:225], v[216:217], v[218:219]
	ds_read_b128 v[216:219], v2 offset:1456
	v_mul_f64 v[222:223], v[244:245], v[222:223]
	v_fma_f64 v[240:241], v[242:243], v[220:221], -v[222:223]
	ds_read_b128 v[220:223], v2 offset:1472
	s_waitcnt vmcnt(3) lgkmcnt(2)
	v_mul_f64 v[226:227], v[212:213], v[98:99]
	v_fmac_f64_e32 v[226:227], v[214:215], v[96:97]
	v_add_f64 v[224:225], v[224:225], v[226:227]
	s_waitcnt vmcnt(2) lgkmcnt(1)
	v_mul_f64 v[226:227], v[216:217], v[106:107]
	v_fmac_f64_e32 v[226:227], v[218:219], v[104:105]
	v_add_f64 v[224:225], v[224:225], v[226:227]
	;; [unrolled: 4-line block ×3, first 2 shown]
	ds_read_b128 v[224:227], v2 offset:1488
	v_mul_f64 v[6:7], v[150:151], v[6:7]
	v_fma_f64 v[4:5], v[148:149], v[4:5], -v[6:7]
	v_mul_f64 v[6:7], v[146:147], v[10:11]
	v_fma_f64 v[6:7], v[144:145], v[8:9], -v[6:7]
	s_waitcnt vmcnt(0) lgkmcnt(0)
	v_mul_f64 v[230:231], v[224:225], v[130:131]
	v_fmac_f64_e32 v[230:231], v[226:227], v[128:129]
	v_add_f64 v[232:233], v[228:229], v[230:231]
	v_add_f64 v[228:229], v[254:255], 0
	;; [unrolled: 1-line block ×4, first 2 shown]
	scratch_load_dwordx4 v[228:231], off, off offset:192
	v_add_f64 v[234:235], v[242:243], v[234:235]
	v_add_f64 v[234:235], v[234:235], v[236:237]
	;; [unrolled: 1-line block ×6, first 2 shown]
	v_mul_f64 v[6:7], v[142:143], v[14:15]
	v_fma_f64 v[6:7], v[140:141], v[12:13], -v[6:7]
	v_add_f64 v[4:5], v[4:5], v[6:7]
	v_mul_f64 v[6:7], v[138:139], v[18:19]
	v_fma_f64 v[6:7], v[136:137], v[16:17], -v[6:7]
	v_add_f64 v[4:5], v[4:5], v[6:7]
	;; [unrolled: 3-line block ×26, first 2 shown]
	s_waitcnt vmcnt(0)
	v_add_f64 v[4:5], v[228:229], -v[4:5]
	v_add_f64 v[6:7], v[230:231], -v[232:233]
	scratch_store_dwordx4 off, v[4:7], off offset:192
	s_and_saveexec_b64 s[0:1], vcc
	s_cbranch_execz .LBB46_275
; %bb.274:
	scratch_load_dwordx4 v[6:9], off, s31
	v_mov_b32_e32 v3, v2
	v_mov_b32_e32 v4, v2
	;; [unrolled: 1-line block ×3, first 2 shown]
	v_accvgpr_read_b32 v0, a95
	scratch_store_dwordx4 off, v[2:5], off offset:176
	s_waitcnt vmcnt(1)
	ds_write_b128 v0, v[6:9]
.LBB46_275:
	s_or_b64 exec, exec, s[0:1]
	s_waitcnt lgkmcnt(0)
	; wave barrier
	scratch_load_dwordx4 v[140:143], off, off offset:192
	scratch_load_dwordx4 v[144:147], off, off offset:208
	;; [unrolled: 1-line block ×16, first 2 shown]
	ds_read_b128 v[208:211], v2 offset:928
	ds_read_b128 v[200:203], v2 offset:944
	;; [unrolled: 1-line block ×3, first 2 shown]
	scratch_load_dwordx4 v[40:43], off, off offset:448
	ds_read_b128 v[204:207], v2 offset:976
	ds_read_b128 v[192:195], v2 offset:992
	;; [unrolled: 1-line block ×3, first 2 shown]
	scratch_load_dwordx4 v[44:47], off, off offset:464
	ds_read_b128 v[196:199], v2 offset:1024
	ds_read_b128 v[64:67], v2 offset:1040
	;; [unrolled: 1-line block ×4, first 2 shown]
	scratch_load_dwordx4 v[48:51], off, off offset:480
	ds_read_b128 v[72:75], v2 offset:1088
	ds_read_b128 v[68:71], v2 offset:1104
	scratch_load_dwordx4 v[56:59], off, off offset:496
	ds_read_b128 v[92:95], v2 offset:1120
	ds_read_b128 v[88:91], v2 offset:1136
	;; [unrolled: 1-line block ×4, first 2 shown]
	scratch_load_dwordx4 v[76:79], off, off offset:512
	scratch_load_dwordx4 v[96:99], off, off offset:528
	;; [unrolled: 1-line block ×12, first 2 shown]
	ds_read_b128 v[168:171], v2 offset:1184
	v_accvgpr_write_b32 a94, v250
	v_cmp_lt_u32_e32 vcc, 9, v250
	s_waitcnt vmcnt(31) lgkmcnt(14)
	v_mul_f64 v[172:173], v[208:209], v[142:143]
	s_waitcnt vmcnt(30)
	v_mul_f64 v[174:175], v[200:201], v[146:147]
	v_fmac_f64_e32 v[172:173], v[210:211], v[140:141]
	s_waitcnt vmcnt(29)
	v_mul_f64 v[176:177], v[188:189], v[150:151]
	v_fmac_f64_e32 v[174:175], v[202:203], v[144:145]
	v_add_f64 v[172:173], v[172:173], 0
	s_waitcnt vmcnt(28) lgkmcnt(13)
	v_mul_f64 v[178:179], v[204:205], v[154:155]
	v_fmac_f64_e32 v[176:177], v[190:191], v[148:149]
	v_add_f64 v[172:173], v[172:173], v[174:175]
	s_waitcnt vmcnt(27) lgkmcnt(12)
	;; [unrolled: 4-line block ×10, first 2 shown]
	v_mul_f64 v[224:225], v[92:93], v[26:27]
	v_fmac_f64_e32 v[222:223], v[70:71], v[20:21]
	v_add_f64 v[172:173], v[172:173], v[220:221]
	ds_read_b128 v[212:215], v2 offset:1200
	s_waitcnt vmcnt(18) lgkmcnt(4)
	v_mul_f64 v[226:227], v[88:89], v[30:31]
	v_fmac_f64_e32 v[224:225], v[94:95], v[24:25]
	v_add_f64 v[172:173], v[172:173], v[222:223]
	ds_read_b128 v[216:219], v2 offset:1216
	ds_read_b128 v[220:223], v2 offset:1232
	s_waitcnt vmcnt(17) lgkmcnt(5)
	v_mul_f64 v[228:229], v[84:85], v[34:35]
	v_fmac_f64_e32 v[226:227], v[90:91], v[28:29]
	v_add_f64 v[172:173], v[172:173], v[224:225]
	s_waitcnt vmcnt(16) lgkmcnt(4)
	v_mul_f64 v[230:231], v[80:81], v[38:39]
	v_fmac_f64_e32 v[228:229], v[86:87], v[32:33]
	v_add_f64 v[172:173], v[172:173], v[226:227]
	v_add_f64 v[176:177], v[172:173], v[228:229]
	v_fmac_f64_e32 v[230:231], v[82:83], v[36:37]
	s_waitcnt vmcnt(15) lgkmcnt(3)
	v_mul_f64 v[178:179], v[168:169], v[42:43]
	v_add_f64 v[176:177], v[176:177], v[230:231]
	v_fmac_f64_e32 v[178:179], v[170:171], v[40:41]
	s_waitcnt vmcnt(14) lgkmcnt(2)
	v_mul_f64 v[182:183], v[212:213], v[46:47]
	;; [unrolled: 4-line block ×3, first 2 shown]
	v_add_f64 v[224:225], v[180:181], v[182:183]
	v_fmac_f64_e32 v[226:227], v[218:219], v[48:49]
	v_add_f64 v[228:229], v[224:225], v[226:227]
	ds_read_b128 v[224:227], v2 offset:1248
	s_waitcnt vmcnt(12) lgkmcnt(1)
	v_mul_f64 v[230:231], v[220:221], v[58:59]
	v_fmac_f64_e32 v[230:231], v[222:223], v[56:57]
	v_add_f64 v[232:233], v[228:229], v[230:231]
	ds_read_b128 v[228:231], v2 offset:1264
	s_waitcnt vmcnt(11) lgkmcnt(1)
	v_mul_f64 v[234:235], v[224:225], v[78:79]
	;; [unrolled: 5-line block ×4, first 2 shown]
	v_fmac_f64_e32 v[242:243], v[234:235], v[100:101]
	v_mul_f64 v[142:143], v[210:211], v[142:143]
	v_add_f64 v[240:241], v[240:241], v[242:243]
	v_fma_f64 v[242:243], v[208:209], v[140:141], -v[142:143]
	ds_read_b128 v[140:143], v2 offset:1312
	s_waitcnt vmcnt(8) lgkmcnt(1)
	v_mul_f64 v[208:209], v[236:237], v[106:107]
	v_fmac_f64_e32 v[208:209], v[238:239], v[104:105]
	v_mul_f64 v[146:147], v[202:203], v[146:147]
	v_add_f64 v[208:209], v[240:241], v[208:209]
	v_fma_f64 v[240:241], v[200:201], v[144:145], -v[146:147]
	ds_read_b128 v[144:147], v2 offset:1328
	s_waitcnt vmcnt(7) lgkmcnt(1)
	v_mul_f64 v[200:201], v[140:141], v[110:111]
	scratch_load_dwordx4 v[172:175], off, off offset:704
	v_fmac_f64_e32 v[200:201], v[142:143], v[108:109]
	v_add_f64 v[208:209], v[208:209], v[200:201]
	ds_read_b128 v[200:203], v2 offset:1344
	v_mul_f64 v[150:151], v[190:191], v[150:151]
	scratch_load_dwordx4 v[176:179], off, off offset:720
	scratch_load_dwordx4 v[180:183], off, off offset:736
	v_fma_f64 v[244:245], v[188:189], v[148:149], -v[150:151]
	ds_read_b128 v[148:151], v2 offset:1360
	s_waitcnt vmcnt(9) lgkmcnt(2)
	v_mul_f64 v[210:211], v[144:145], v[114:115]
	v_fmac_f64_e32 v[210:211], v[146:147], v[112:113]
	s_waitcnt vmcnt(8) lgkmcnt(1)
	v_mul_f64 v[188:189], v[200:201], v[118:119]
	v_add_f64 v[208:209], v[208:209], v[210:211]
	v_fmac_f64_e32 v[188:189], v[202:203], v[116:117]
	v_mul_f64 v[154:155], v[206:207], v[154:155]
	s_waitcnt vmcnt(7) lgkmcnt(0)
	v_mul_f64 v[190:191], v[148:149], v[122:123]
	v_add_f64 v[188:189], v[208:209], v[188:189]
	v_fma_f64 v[246:247], v[204:205], v[152:153], -v[154:155]
	ds_read_b128 v[152:155], v2 offset:1376
	v_fmac_f64_e32 v[190:191], v[150:151], v[120:121]
	v_add_f64 v[204:205], v[188:189], v[190:191]
	ds_read_b128 v[188:191], v2 offset:1392
	v_mul_f64 v[158:159], v[194:195], v[158:159]
	s_waitcnt vmcnt(6) lgkmcnt(1)
	v_mul_f64 v[206:207], v[152:153], v[126:127]
	v_fmac_f64_e32 v[206:207], v[154:155], v[124:125]
	v_fma_f64 v[248:249], v[192:193], v[156:157], -v[158:159]
	s_waitcnt vmcnt(5) lgkmcnt(0)
	v_mul_f64 v[192:193], v[188:189], v[130:131]
	v_add_f64 v[204:205], v[204:205], v[206:207]
	v_fmac_f64_e32 v[192:193], v[190:191], v[128:129]
	v_mul_f64 v[162:163], v[186:187], v[162:163]
	v_fma_f64 v[208:209], v[184:185], v[160:161], -v[162:163]
	v_add_f64 v[184:185], v[204:205], v[192:193]
	scratch_load_dwordx4 v[204:207], off, off offset:752
	v_add_f64 v[242:243], v[242:243], 0
	v_add_f64 v[240:241], v[242:243], v[240:241]
	v_add_f64 v[240:241], v[240:241], v[244:245]
	scratch_load_dwordx4 v[242:245], off, off offset:176
	v_add_f64 v[240:241], v[240:241], v[246:247]
	v_mul_f64 v[166:167], v[198:199], v[166:167]
	v_add_f64 v[240:241], v[240:241], v[248:249]
	v_fma_f64 v[210:211], v[196:197], v[164:165], -v[166:167]
	v_add_f64 v[208:209], v[240:241], v[208:209]
	v_mul_f64 v[6:7], v[66:67], v[6:7]
	v_add_f64 v[208:209], v[208:209], v[210:211]
	v_fma_f64 v[4:5], v[64:65], v[4:5], -v[6:7]
	v_mul_f64 v[6:7], v[62:63], v[10:11]
	v_add_f64 v[4:5], v[208:209], v[4:5]
	v_fma_f64 v[6:7], v[60:61], v[8:9], -v[6:7]
	v_add_f64 v[4:5], v[4:5], v[6:7]
	v_mul_f64 v[6:7], v[54:55], v[14:15]
	v_fma_f64 v[6:7], v[52:53], v[12:13], -v[6:7]
	v_add_f64 v[4:5], v[4:5], v[6:7]
	v_mul_f64 v[6:7], v[74:75], v[18:19]
	;; [unrolled: 3-line block ×12, first 2 shown]
	v_fma_f64 v[6:7], v[224:225], v[76:77], -v[6:7]
	ds_read_b128 v[156:159], v2 offset:1408
	ds_read_b128 v[160:163], v2 offset:1424
	v_add_f64 v[4:5], v[4:5], v[6:7]
	v_mul_f64 v[6:7], v[230:231], v[98:99]
	v_fma_f64 v[6:7], v[228:229], v[96:97], -v[6:7]
	v_add_f64 v[4:5], v[4:5], v[6:7]
	v_mul_f64 v[6:7], v[234:235], v[102:103]
	v_fma_f64 v[6:7], v[232:233], v[100:101], -v[6:7]
	v_add_f64 v[4:5], v[4:5], v[6:7]
	v_mul_f64 v[6:7], v[238:239], v[106:107]
	s_waitcnt vmcnt(6) lgkmcnt(1)
	v_mul_f64 v[186:187], v[156:157], v[138:139]
	v_fma_f64 v[6:7], v[236:237], v[104:105], -v[6:7]
	v_fmac_f64_e32 v[186:187], v[158:159], v[136:137]
	v_add_f64 v[4:5], v[4:5], v[6:7]
	v_mul_f64 v[6:7], v[142:143], v[110:111]
	v_add_f64 v[192:193], v[184:185], v[186:187]
	ds_read_b128 v[184:187], v2 offset:1440
	ds_read_b128 v[164:167], v2 offset:1456
	v_fma_f64 v[6:7], v[140:141], v[108:109], -v[6:7]
	v_add_f64 v[4:5], v[4:5], v[6:7]
	v_mul_f64 v[6:7], v[146:147], v[114:115]
	v_fma_f64 v[6:7], v[144:145], v[112:113], -v[6:7]
	s_waitcnt vmcnt(5) lgkmcnt(2)
	v_mul_f64 v[194:195], v[160:161], v[134:135]
	v_add_f64 v[4:5], v[4:5], v[6:7]
	v_mul_f64 v[6:7], v[202:203], v[118:119]
	v_fmac_f64_e32 v[194:195], v[162:163], v[132:133]
	v_fma_f64 v[6:7], v[200:201], v[116:117], -v[6:7]
	v_add_f64 v[192:193], v[192:193], v[194:195]
	s_waitcnt vmcnt(4) lgkmcnt(1)
	v_mul_f64 v[194:195], v[184:185], v[174:175]
	v_add_f64 v[4:5], v[4:5], v[6:7]
	v_mul_f64 v[6:7], v[150:151], v[122:123]
	v_fmac_f64_e32 v[194:195], v[186:187], v[172:173]
	v_fma_f64 v[6:7], v[148:149], v[120:121], -v[6:7]
	v_add_f64 v[192:193], v[192:193], v[194:195]
	;; [unrolled: 7-line block ×3, first 2 shown]
	ds_read_b128 v[192:195], v2 offset:1472
	v_add_f64 v[4:5], v[4:5], v[6:7]
	v_mul_f64 v[6:7], v[190:191], v[130:131]
	v_fma_f64 v[6:7], v[188:189], v[128:129], -v[6:7]
	v_add_f64 v[4:5], v[4:5], v[6:7]
	v_mul_f64 v[6:7], v[158:159], v[138:139]
	v_fma_f64 v[6:7], v[156:157], v[136:137], -v[6:7]
	v_add_f64 v[4:5], v[4:5], v[6:7]
	v_mul_f64 v[6:7], v[162:163], v[134:135]
	s_waitcnt vmcnt(2) lgkmcnt(0)
	v_mul_f64 v[198:199], v[192:193], v[182:183]
	v_fma_f64 v[6:7], v[160:161], v[132:133], -v[6:7]
	v_fmac_f64_e32 v[198:199], v[194:195], v[180:181]
	v_add_f64 v[4:5], v[4:5], v[6:7]
	v_mul_f64 v[6:7], v[186:187], v[174:175]
	v_add_f64 v[254:255], v[196:197], v[198:199]
	ds_read_b128 v[196:199], v2 offset:1488
	v_fma_f64 v[6:7], v[184:185], v[172:173], -v[6:7]
	v_add_f64 v[4:5], v[4:5], v[6:7]
	v_mul_f64 v[6:7], v[166:167], v[178:179]
	v_fma_f64 v[6:7], v[164:165], v[176:177], -v[6:7]
	v_add_f64 v[4:5], v[4:5], v[6:7]
	v_mul_f64 v[6:7], v[194:195], v[182:183]
	v_fma_f64 v[6:7], v[192:193], v[180:181], -v[6:7]
	s_waitcnt vmcnt(1) lgkmcnt(0)
	v_mul_f64 v[2:3], v[196:197], v[206:207]
	v_add_f64 v[4:5], v[4:5], v[6:7]
	v_mul_f64 v[6:7], v[198:199], v[206:207]
	v_fmac_f64_e32 v[2:3], v[198:199], v[204:205]
	v_fma_f64 v[6:7], v[196:197], v[204:205], -v[6:7]
	v_add_f64 v[2:3], v[254:255], v[2:3]
	v_add_f64 v[4:5], v[4:5], v[6:7]
	s_waitcnt vmcnt(0)
	v_add_f64 v[4:5], v[242:243], -v[4:5]
	v_add_f64 v[6:7], v[244:245], -v[2:3]
	scratch_store_dwordx4 off, v[4:7], off offset:176
	s_and_saveexec_b64 s[0:1], vcc
	s_cbranch_execz .LBB46_277
; %bb.276:
	scratch_load_dwordx4 v[2:5], off, s30
	v_mov_b32_e32 v6, 0
	v_mov_b32_e32 v7, v6
	;; [unrolled: 1-line block ×4, first 2 shown]
	v_accvgpr_read_b32 v0, a95
	scratch_store_dwordx4 off, v[6:9], off offset:160
	s_waitcnt vmcnt(1)
	ds_write_b128 v0, v[2:5]
.LBB46_277:
	s_or_b64 exec, exec, s[0:1]
	s_waitcnt lgkmcnt(0)
	; wave barrier
	scratch_load_dwordx4 v[168:171], off, off offset:176
	scratch_load_dwordx4 v[172:175], off, off offset:192
	;; [unrolled: 1-line block ×32, first 2 shown]
	v_mov_b32_e32 v2, 0
	ds_read_b128 v[176:179], v2 offset:912
	ds_read_b128 v[188:191], v2 offset:928
	;; [unrolled: 1-line block ×17, first 2 shown]
	v_accvgpr_read_b32 v0, a94
	v_cmp_lt_u32_e32 vcc, 8, v0
	s_waitcnt vmcnt(31) lgkmcnt(14)
	v_mul_f64 v[104:105], v[176:177], v[170:171]
	s_waitcnt vmcnt(30)
	v_mul_f64 v[106:107], v[188:189], v[174:175]
	v_fmac_f64_e32 v[104:105], v[178:179], v[168:169]
	s_waitcnt vmcnt(29)
	v_mul_f64 v[108:109], v[200:201], v[182:183]
	v_fmac_f64_e32 v[106:107], v[190:191], v[172:173]
	v_add_f64 v[104:105], v[104:105], 0
	s_waitcnt vmcnt(28) lgkmcnt(13)
	v_mul_f64 v[110:111], v[212:213], v[186:187]
	v_fmac_f64_e32 v[108:109], v[202:203], v[180:181]
	v_add_f64 v[104:105], v[104:105], v[106:107]
	s_waitcnt vmcnt(27) lgkmcnt(12)
	;; [unrolled: 4-line block ×12, first 2 shown]
	v_mul_f64 v[156:157], v[112:113], v[26:27]
	v_fmac_f64_e32 v[154:155], v[118:119], v[20:21]
	v_add_f64 v[104:105], v[104:105], v[152:153]
	v_fmac_f64_e32 v[156:157], v[114:115], v[24:25]
	v_add_f64 v[104:105], v[104:105], v[154:155]
	s_waitcnt vmcnt(16) lgkmcnt(1)
	v_mul_f64 v[106:107], v[100:101], v[30:31]
	v_add_f64 v[104:105], v[104:105], v[156:157]
	v_fmac_f64_e32 v[106:107], v[102:103], v[28:29]
	v_add_f64 v[108:109], v[104:105], v[106:107]
	ds_read_b128 v[144:147], v2 offset:1184
	ds_read_b128 v[148:151], v2 offset:1200
	scratch_load_dwordx4 v[104:107], off, off offset:688
	s_waitcnt vmcnt(16) lgkmcnt(2)
	v_mul_f64 v[110:111], v[96:97], v[34:35]
	v_fmac_f64_e32 v[110:111], v[98:99], v[32:33]
	v_add_f64 v[120:121], v[108:109], v[110:111]
	scratch_load_dwordx4 v[108:111], off, off offset:704
	s_waitcnt vmcnt(16) lgkmcnt(1)
	v_mul_f64 v[122:123], v[144:145], v[38:39]
	v_fmac_f64_e32 v[122:123], v[146:147], v[36:37]
	v_add_f64 v[132:133], v[120:121], v[122:123]
	s_waitcnt vmcnt(15) lgkmcnt(0)
	v_mul_f64 v[134:135], v[148:149], v[42:43]
	scratch_load_dwordx4 v[120:123], off, off offset:720
	v_fmac_f64_e32 v[134:135], v[150:151], v[40:41]
	v_add_f64 v[160:161], v[132:133], v[134:135]
	scratch_load_dwordx4 v[132:135], off, off offset:736
	ds_read_b128 v[152:155], v2 offset:1216
	ds_read_b128 v[156:159], v2 offset:1232
	v_mul_f64 v[170:171], v[178:179], v[170:171]
	v_fma_f64 v[246:247], v[176:177], v[168:169], -v[170:171]
	ds_read_b128 v[168:171], v2 offset:1280
	s_waitcnt vmcnt(16) lgkmcnt(2)
	v_mul_f64 v[162:163], v[152:153], v[46:47]
	v_fmac_f64_e32 v[162:163], v[154:155], v[44:45]
	s_waitcnt vmcnt(15) lgkmcnt(1)
	v_mul_f64 v[166:167], v[156:157], v[50:51]
	v_add_f64 v[164:165], v[160:161], v[162:163]
	ds_read_b128 v[160:163], v2 offset:1248
	v_fmac_f64_e32 v[166:167], v[158:159], v[48:49]
	v_add_f64 v[232:233], v[164:165], v[166:167]
	ds_read_b128 v[164:167], v2 offset:1264
	v_mul_f64 v[174:175], v[190:191], v[174:175]
	s_waitcnt vmcnt(14) lgkmcnt(1)
	v_mul_f64 v[234:235], v[160:161], v[54:55]
	v_fmac_f64_e32 v[234:235], v[162:163], v[52:53]
	v_add_f64 v[232:233], v[232:233], v[234:235]
	s_waitcnt vmcnt(13) lgkmcnt(0)
	v_mul_f64 v[176:177], v[164:165], v[58:59]
	v_fmac_f64_e32 v[176:177], v[166:167], v[56:57]
	v_fma_f64 v[248:249], v[188:189], v[172:173], -v[174:175]
	ds_read_b128 v[172:175], v2 offset:1296
	s_waitcnt vmcnt(12)
	v_mul_f64 v[178:179], v[168:169], v[62:63]
	v_add_f64 v[176:177], v[232:233], v[176:177]
	v_fmac_f64_e32 v[178:179], v[170:171], v[60:61]
	v_add_f64 v[188:189], v[176:177], v[178:179]
	ds_read_b128 v[176:179], v2 offset:1312
	v_mul_f64 v[182:183], v[202:203], v[182:183]
	v_fma_f64 v[254:255], v[200:201], v[180:181], -v[182:183]
	ds_read_b128 v[180:183], v2 offset:1328
	s_waitcnt vmcnt(11) lgkmcnt(2)
	v_mul_f64 v[190:191], v[172:173], v[66:67]
	v_fmac_f64_e32 v[190:191], v[174:175], v[64:65]
	v_add_f64 v[188:189], v[188:189], v[190:191]
	s_waitcnt vmcnt(10) lgkmcnt(1)
	v_mul_f64 v[190:191], v[176:177], v[70:71]
	v_fmac_f64_e32 v[190:191], v[178:179], v[68:69]
	v_mul_f64 v[186:187], v[214:215], v[186:187]
	v_fma_f64 v[250:251], v[212:213], v[184:185], -v[186:187]
	ds_read_b128 v[184:187], v2 offset:1344
	v_add_f64 v[188:189], v[188:189], v[190:191]
	s_waitcnt vmcnt(9) lgkmcnt(1)
	v_mul_f64 v[190:191], v[180:181], v[74:75]
	v_fmac_f64_e32 v[190:191], v[182:183], v[72:73]
	v_add_f64 v[200:201], v[188:189], v[190:191]
	ds_read_b128 v[188:191], v2 offset:1360
	v_mul_f64 v[194:195], v[222:223], v[194:195]
	v_fma_f64 v[252:253], v[220:221], v[192:193], -v[194:195]
	ds_read_b128 v[192:195], v2 offset:1376
	s_waitcnt vmcnt(8) lgkmcnt(2)
	v_mul_f64 v[202:203], v[184:185], v[78:79]
	v_fmac_f64_e32 v[202:203], v[186:187], v[76:77]
	v_add_f64 v[200:201], v[200:201], v[202:203]
	s_waitcnt vmcnt(7) lgkmcnt(1)
	v_mul_f64 v[202:203], v[188:189], v[82:83]
	v_fmac_f64_e32 v[202:203], v[190:191], v[80:81]
	v_mul_f64 v[198:199], v[226:227], v[198:199]
	v_add_f64 v[200:201], v[200:201], v[202:203]
	v_fma_f64 v[234:235], v[224:225], v[196:197], -v[198:199]
	ds_read_b128 v[196:199], v2 offset:1392
	s_waitcnt vmcnt(6) lgkmcnt(1)
	v_mul_f64 v[202:203], v[192:193], v[86:87]
	v_fmac_f64_e32 v[202:203], v[194:195], v[84:85]
	v_add_f64 v[212:213], v[200:201], v[202:203]
	ds_read_b128 v[200:203], v2 offset:1408
	v_mul_f64 v[206:207], v[230:231], v[206:207]
	v_fma_f64 v[236:237], v[228:229], v[204:205], -v[206:207]
	ds_read_b128 v[204:207], v2 offset:1424
	s_waitcnt vmcnt(5) lgkmcnt(2)
	v_mul_f64 v[214:215], v[196:197], v[94:95]
	v_fmac_f64_e32 v[214:215], v[198:199], v[92:93]
	v_add_f64 v[212:213], v[212:213], v[214:215]
	s_waitcnt vmcnt(4) lgkmcnt(1)
	v_mul_f64 v[214:215], v[200:201], v[90:91]
	v_fmac_f64_e32 v[214:215], v[202:203], v[88:89]
	v_mul_f64 v[210:211], v[240:241], v[210:211]
	v_fma_f64 v[238:239], v[238:239], v[208:209], -v[210:211]
	ds_read_b128 v[208:211], v2 offset:1440
	v_add_f64 v[212:213], v[212:213], v[214:215]
	s_waitcnt vmcnt(3) lgkmcnt(1)
	v_mul_f64 v[214:215], v[204:205], v[106:107]
	v_fmac_f64_e32 v[214:215], v[206:207], v[104:105]
	v_add_f64 v[220:221], v[212:213], v[214:215]
	ds_read_b128 v[212:215], v2 offset:1456
	v_mul_f64 v[218:219], v[244:245], v[218:219]
	v_fma_f64 v[240:241], v[242:243], v[216:217], -v[218:219]
	ds_read_b128 v[216:219], v2 offset:1472
	ds_read_b128 v[224:227], v2 offset:1488
	s_waitcnt vmcnt(2) lgkmcnt(3)
	v_mul_f64 v[222:223], v[208:209], v[110:111]
	v_fmac_f64_e32 v[222:223], v[210:211], v[108:109]
	v_add_f64 v[220:221], v[220:221], v[222:223]
	s_waitcnt vmcnt(1) lgkmcnt(2)
	v_mul_f64 v[222:223], v[212:213], v[122:123]
	v_fmac_f64_e32 v[222:223], v[214:215], v[120:121]
	v_add_f64 v[220:221], v[220:221], v[222:223]
	;; [unrolled: 4-line block ×3, first 2 shown]
	scratch_load_dwordx4 v[220:223], off, off offset:752
	v_mul_f64 v[6:7], v[142:143], v[6:7]
	v_fma_f64 v[4:5], v[140:141], v[4:5], -v[6:7]
	v_mul_f64 v[6:7], v[138:139], v[10:11]
	v_fma_f64 v[6:7], v[136:137], v[8:9], -v[6:7]
	s_waitcnt vmcnt(0) lgkmcnt(0)
	v_mul_f64 v[230:231], v[224:225], v[222:223]
	v_fmac_f64_e32 v[230:231], v[226:227], v[220:221]
	v_add_f64 v[232:233], v[228:229], v[230:231]
	v_add_f64 v[228:229], v[246:247], 0
	;; [unrolled: 1-line block ×6, first 2 shown]
	scratch_load_dwordx4 v[228:231], off, off offset:160
	v_add_f64 v[234:235], v[242:243], v[234:235]
	v_add_f64 v[234:235], v[234:235], v[236:237]
	;; [unrolled: 1-line block ×6, first 2 shown]
	v_mul_f64 v[6:7], v[130:131], v[14:15]
	v_fma_f64 v[6:7], v[128:129], v[12:13], -v[6:7]
	v_add_f64 v[4:5], v[4:5], v[6:7]
	v_mul_f64 v[6:7], v[126:127], v[18:19]
	v_fma_f64 v[6:7], v[124:125], v[16:17], -v[6:7]
	v_add_f64 v[4:5], v[4:5], v[6:7]
	v_mul_f64 v[6:7], v[118:119], v[22:23]
	v_fma_f64 v[6:7], v[116:117], v[20:21], -v[6:7]
	v_add_f64 v[4:5], v[4:5], v[6:7]
	v_mul_f64 v[6:7], v[114:115], v[26:27]
	v_fma_f64 v[6:7], v[112:113], v[24:25], -v[6:7]
	v_add_f64 v[4:5], v[4:5], v[6:7]
	v_mul_f64 v[6:7], v[102:103], v[30:31]
	v_fma_f64 v[6:7], v[100:101], v[28:29], -v[6:7]
	v_add_f64 v[4:5], v[4:5], v[6:7]
	v_mul_f64 v[6:7], v[98:99], v[34:35]
	v_fma_f64 v[6:7], v[96:97], v[32:33], -v[6:7]
	v_add_f64 v[4:5], v[4:5], v[6:7]
	v_mul_f64 v[6:7], v[146:147], v[38:39]
	v_fma_f64 v[6:7], v[144:145], v[36:37], -v[6:7]
	v_add_f64 v[4:5], v[4:5], v[6:7]
	v_mul_f64 v[6:7], v[150:151], v[42:43]
	v_fma_f64 v[6:7], v[148:149], v[40:41], -v[6:7]
	v_add_f64 v[4:5], v[4:5], v[6:7]
	v_mul_f64 v[6:7], v[154:155], v[46:47]
	v_fma_f64 v[6:7], v[152:153], v[44:45], -v[6:7]
	v_add_f64 v[4:5], v[4:5], v[6:7]
	v_mul_f64 v[6:7], v[158:159], v[50:51]
	v_fma_f64 v[6:7], v[156:157], v[48:49], -v[6:7]
	v_add_f64 v[4:5], v[4:5], v[6:7]
	v_mul_f64 v[6:7], v[162:163], v[54:55]
	v_fma_f64 v[6:7], v[160:161], v[52:53], -v[6:7]
	v_add_f64 v[4:5], v[4:5], v[6:7]
	v_mul_f64 v[6:7], v[166:167], v[58:59]
	v_fma_f64 v[6:7], v[164:165], v[56:57], -v[6:7]
	v_add_f64 v[4:5], v[4:5], v[6:7]
	v_mul_f64 v[6:7], v[170:171], v[62:63]
	v_fma_f64 v[6:7], v[168:169], v[60:61], -v[6:7]
	v_add_f64 v[4:5], v[4:5], v[6:7]
	v_mul_f64 v[6:7], v[174:175], v[66:67]
	v_fma_f64 v[6:7], v[172:173], v[64:65], -v[6:7]
	v_add_f64 v[4:5], v[4:5], v[6:7]
	v_mul_f64 v[6:7], v[178:179], v[70:71]
	v_fma_f64 v[6:7], v[176:177], v[68:69], -v[6:7]
	v_add_f64 v[4:5], v[4:5], v[6:7]
	v_mul_f64 v[6:7], v[182:183], v[74:75]
	v_fma_f64 v[6:7], v[180:181], v[72:73], -v[6:7]
	v_add_f64 v[4:5], v[4:5], v[6:7]
	v_mul_f64 v[6:7], v[186:187], v[78:79]
	v_fma_f64 v[6:7], v[184:185], v[76:77], -v[6:7]
	v_add_f64 v[4:5], v[4:5], v[6:7]
	v_mul_f64 v[6:7], v[190:191], v[82:83]
	v_fma_f64 v[6:7], v[188:189], v[80:81], -v[6:7]
	v_add_f64 v[4:5], v[4:5], v[6:7]
	v_mul_f64 v[6:7], v[194:195], v[86:87]
	v_fma_f64 v[6:7], v[192:193], v[84:85], -v[6:7]
	v_add_f64 v[4:5], v[4:5], v[6:7]
	v_mul_f64 v[6:7], v[198:199], v[94:95]
	v_fma_f64 v[6:7], v[196:197], v[92:93], -v[6:7]
	v_add_f64 v[4:5], v[4:5], v[6:7]
	v_mul_f64 v[6:7], v[202:203], v[90:91]
	v_fma_f64 v[6:7], v[200:201], v[88:89], -v[6:7]
	v_add_f64 v[4:5], v[4:5], v[6:7]
	v_mul_f64 v[6:7], v[206:207], v[106:107]
	v_fma_f64 v[6:7], v[204:205], v[104:105], -v[6:7]
	v_add_f64 v[4:5], v[4:5], v[6:7]
	v_mul_f64 v[6:7], v[210:211], v[110:111]
	v_fma_f64 v[6:7], v[208:209], v[108:109], -v[6:7]
	v_add_f64 v[4:5], v[4:5], v[6:7]
	v_mul_f64 v[6:7], v[214:215], v[122:123]
	v_fma_f64 v[6:7], v[212:213], v[120:121], -v[6:7]
	v_add_f64 v[4:5], v[4:5], v[6:7]
	v_mul_f64 v[6:7], v[218:219], v[134:135]
	v_fma_f64 v[6:7], v[216:217], v[132:133], -v[6:7]
	v_add_f64 v[4:5], v[4:5], v[6:7]
	v_mul_f64 v[6:7], v[226:227], v[222:223]
	v_fma_f64 v[6:7], v[224:225], v[220:221], -v[6:7]
	v_add_f64 v[4:5], v[4:5], v[6:7]
	s_waitcnt vmcnt(0)
	v_add_f64 v[4:5], v[228:229], -v[4:5]
	v_add_f64 v[6:7], v[230:231], -v[232:233]
	scratch_store_dwordx4 off, v[4:7], off offset:160
	s_and_saveexec_b64 s[0:1], vcc
	s_cbranch_execz .LBB46_279
; %bb.278:
	scratch_load_dwordx4 v[6:9], off, s29
	v_mov_b32_e32 v3, v2
	v_mov_b32_e32 v4, v2
	;; [unrolled: 1-line block ×3, first 2 shown]
	v_accvgpr_read_b32 v0, a95
	scratch_store_dwordx4 off, v[2:5], off offset:144
	s_waitcnt vmcnt(1)
	ds_write_b128 v0, v[6:9]
.LBB46_279:
	s_or_b64 exec, exec, s[0:1]
	s_waitcnt lgkmcnt(0)
	; wave barrier
	scratch_load_dwordx4 v[168:171], off, off offset:160
	scratch_load_dwordx4 v[172:175], off, off offset:176
	;; [unrolled: 1-line block ×16, first 2 shown]
	ds_read_b128 v[232:235], v2 offset:896
	ds_read_b128 v[176:179], v2 offset:912
	scratch_load_dwordx4 v[32:35], off, off offset:416
	ds_read_b128 v[236:239], v2 offset:928
	ds_read_b128 v[188:191], v2 offset:944
	;; [unrolled: 1-line block ×5, first 2 shown]
	scratch_load_dwordx4 v[36:39], off, off offset:432
	ds_read_b128 v[224:227], v2 offset:1008
	ds_read_b128 v[220:223], v2 offset:1024
	;; [unrolled: 1-line block ×3, first 2 shown]
	scratch_load_dwordx4 v[40:43], off, off offset:448
	ds_read_b128 v[64:67], v2 offset:1056
	ds_read_b128 v[60:63], v2 offset:1072
	;; [unrolled: 1-line block ×4, first 2 shown]
	scratch_load_dwordx4 v[48:51], off, off offset:464
	ds_read_b128 v[80:83], v2 offset:1120
	ds_read_b128 v[72:75], v2 offset:1136
	;; [unrolled: 1-line block ×3, first 2 shown]
	scratch_load_dwordx4 v[76:79], off, off offset:480
	scratch_load_dwordx4 v[84:87], off, off offset:496
	;; [unrolled: 1-line block ×12, first 2 shown]
	v_accvgpr_read_b32 v0, a94
	v_cmp_lt_u32_e32 vcc, 7, v0
	s_waitcnt vmcnt(31) lgkmcnt(14)
	v_mul_f64 v[128:129], v[232:233], v[170:171]
	s_waitcnt vmcnt(30)
	v_mul_f64 v[130:131], v[176:177], v[174:175]
	v_fmac_f64_e32 v[128:129], v[234:235], v[168:169]
	s_waitcnt vmcnt(29)
	v_mul_f64 v[132:133], v[236:237], v[182:183]
	v_fmac_f64_e32 v[130:131], v[178:179], v[172:173]
	v_add_f64 v[128:129], v[128:129], 0
	s_waitcnt vmcnt(28) lgkmcnt(13)
	v_mul_f64 v[134:135], v[188:189], v[186:187]
	v_fmac_f64_e32 v[132:133], v[238:239], v[180:181]
	v_add_f64 v[128:129], v[128:129], v[130:131]
	s_waitcnt vmcnt(27) lgkmcnt(12)
	;; [unrolled: 4-line block ×13, first 2 shown]
	v_mul_f64 v[158:159], v[72:73], v[30:31]
	v_fmac_f64_e32 v[156:157], v[82:83], v[24:25]
	v_add_f64 v[128:129], v[128:129], v[154:155]
	v_add_f64 v[128:129], v[128:129], v[156:157]
	v_fmac_f64_e32 v[158:159], v[74:75], v[28:29]
	v_add_f64 v[132:133], v[128:129], v[158:159]
	ds_read_b128 v[144:147], v2 offset:1168
	ds_read_b128 v[148:151], v2 offset:1184
	scratch_load_dwordx4 v[128:131], off, off offset:672
	s_waitcnt vmcnt(16) lgkmcnt(2)
	v_mul_f64 v[134:135], v[68:69], v[34:35]
	v_fmac_f64_e32 v[134:135], v[70:71], v[32:33]
	s_waitcnt vmcnt(15) lgkmcnt(1)
	v_mul_f64 v[138:139], v[144:145], v[38:39]
	v_add_f64 v[136:137], v[132:133], v[134:135]
	scratch_load_dwordx4 v[132:135], off, off offset:688
	v_fmac_f64_e32 v[138:139], v[146:147], v[36:37]
	v_add_f64 v[140:141], v[136:137], v[138:139]
	s_waitcnt vmcnt(15) lgkmcnt(0)
	v_mul_f64 v[142:143], v[148:149], v[42:43]
	scratch_load_dwordx4 v[136:139], off, off offset:704
	v_fmac_f64_e32 v[142:143], v[150:151], v[40:41]
	v_add_f64 v[160:161], v[140:141], v[142:143]
	scratch_load_dwordx4 v[140:143], off, off offset:720
	ds_read_b128 v[152:155], v2 offset:1200
	ds_read_b128 v[156:159], v2 offset:1216
	v_mul_f64 v[170:171], v[234:235], v[170:171]
	v_fma_f64 v[244:245], v[232:233], v[168:169], -v[170:171]
	ds_read_b128 v[168:171], v2 offset:1264
	s_waitcnt vmcnt(16) lgkmcnt(2)
	v_mul_f64 v[162:163], v[152:153], v[50:51]
	v_fmac_f64_e32 v[162:163], v[154:155], v[48:49]
	s_waitcnt vmcnt(15) lgkmcnt(1)
	v_mul_f64 v[166:167], v[156:157], v[78:79]
	v_add_f64 v[164:165], v[160:161], v[162:163]
	ds_read_b128 v[160:163], v2 offset:1232
	v_fmac_f64_e32 v[166:167], v[158:159], v[76:77]
	v_add_f64 v[240:241], v[164:165], v[166:167]
	ds_read_b128 v[164:167], v2 offset:1248
	v_mul_f64 v[174:175], v[178:179], v[174:175]
	s_waitcnt vmcnt(14) lgkmcnt(1)
	v_mul_f64 v[242:243], v[160:161], v[86:87]
	v_fmac_f64_e32 v[242:243], v[162:163], v[84:85]
	v_add_f64 v[240:241], v[240:241], v[242:243]
	s_waitcnt vmcnt(13) lgkmcnt(0)
	v_mul_f64 v[232:233], v[164:165], v[90:91]
	v_fmac_f64_e32 v[232:233], v[166:167], v[88:89]
	v_fma_f64 v[246:247], v[176:177], v[172:173], -v[174:175]
	ds_read_b128 v[172:175], v2 offset:1280
	s_waitcnt vmcnt(12)
	v_mul_f64 v[176:177], v[168:169], v[94:95]
	v_add_f64 v[232:233], v[240:241], v[232:233]
	v_fmac_f64_e32 v[176:177], v[170:171], v[92:93]
	v_add_f64 v[232:233], v[232:233], v[176:177]
	ds_read_b128 v[176:179], v2 offset:1296
	v_mul_f64 v[182:183], v[238:239], v[182:183]
	v_fma_f64 v[236:237], v[236:237], v[180:181], -v[182:183]
	ds_read_b128 v[180:183], v2 offset:1312
	s_waitcnt vmcnt(11) lgkmcnt(2)
	v_mul_f64 v[234:235], v[172:173], v[98:99]
	v_fmac_f64_e32 v[234:235], v[174:175], v[96:97]
	v_add_f64 v[232:233], v[232:233], v[234:235]
	s_waitcnt vmcnt(10) lgkmcnt(1)
	v_mul_f64 v[234:235], v[176:177], v[102:103]
	v_fmac_f64_e32 v[234:235], v[178:179], v[100:101]
	v_mul_f64 v[186:187], v[190:191], v[186:187]
	s_waitcnt vmcnt(9) lgkmcnt(0)
	v_mul_f64 v[190:191], v[180:181], v[106:107]
	v_fma_f64 v[238:239], v[188:189], v[184:185], -v[186:187]
	ds_read_b128 v[184:187], v2 offset:1328
	v_add_f64 v[188:189], v[232:233], v[234:235]
	v_fmac_f64_e32 v[190:191], v[182:183], v[104:105]
	v_add_f64 v[232:233], v[188:189], v[190:191]
	ds_read_b128 v[188:191], v2 offset:1344
	v_mul_f64 v[194:195], v[230:231], v[194:195]
	v_fma_f64 v[248:249], v[228:229], v[192:193], -v[194:195]
	ds_read_b128 v[192:195], v2 offset:1360
	s_waitcnt vmcnt(8) lgkmcnt(2)
	v_mul_f64 v[234:235], v[184:185], v[110:111]
	v_fmac_f64_e32 v[234:235], v[186:187], v[108:109]
	s_waitcnt vmcnt(7) lgkmcnt(1)
	v_mul_f64 v[228:229], v[188:189], v[114:115]
	v_mul_f64 v[198:199], v[202:203], v[198:199]
	v_add_f64 v[232:233], v[232:233], v[234:235]
	v_fmac_f64_e32 v[228:229], v[190:191], v[112:113]
	v_fma_f64 v[250:251], v[200:201], v[196:197], -v[198:199]
	ds_read_b128 v[196:199], v2 offset:1376
	s_waitcnt vmcnt(6) lgkmcnt(1)
	v_mul_f64 v[200:201], v[192:193], v[118:119]
	v_add_f64 v[228:229], v[232:233], v[228:229]
	v_fmac_f64_e32 v[200:201], v[194:195], v[116:117]
	v_add_f64 v[228:229], v[228:229], v[200:201]
	ds_read_b128 v[200:203], v2 offset:1392
	v_mul_f64 v[206:207], v[214:215], v[206:207]
	v_fma_f64 v[252:253], v[212:213], v[204:205], -v[206:207]
	ds_read_b128 v[204:207], v2 offset:1408
	s_waitcnt vmcnt(5) lgkmcnt(2)
	v_mul_f64 v[230:231], v[196:197], v[126:127]
	v_fmac_f64_e32 v[230:231], v[198:199], v[124:125]
	s_waitcnt vmcnt(4) lgkmcnt(1)
	v_mul_f64 v[212:213], v[200:201], v[122:123]
	v_add_f64 v[228:229], v[228:229], v[230:231]
	v_fmac_f64_e32 v[212:213], v[202:203], v[120:121]
	v_mul_f64 v[210:211], v[226:227], v[210:211]
	s_waitcnt vmcnt(3) lgkmcnt(0)
	v_mul_f64 v[214:215], v[204:205], v[130:131]
	v_fma_f64 v[240:241], v[224:225], v[208:209], -v[210:211]
	ds_read_b128 v[208:211], v2 offset:1424
	v_add_f64 v[212:213], v[228:229], v[212:213]
	v_fmac_f64_e32 v[214:215], v[206:207], v[128:129]
	v_add_f64 v[224:225], v[212:213], v[214:215]
	ds_read_b128 v[212:215], v2 offset:1440
	v_mul_f64 v[218:219], v[222:223], v[218:219]
	v_fma_f64 v[242:243], v[220:221], v[216:217], -v[218:219]
	ds_read_b128 v[216:219], v2 offset:1456
	s_waitcnt vmcnt(2) lgkmcnt(2)
	v_mul_f64 v[220:221], v[208:209], v[134:135]
	v_fmac_f64_e32 v[220:221], v[210:211], v[132:133]
	s_waitcnt vmcnt(1) lgkmcnt(1)
	v_mul_f64 v[222:223], v[212:213], v[138:139]
	v_add_f64 v[220:221], v[224:225], v[220:221]
	v_fmac_f64_e32 v[222:223], v[214:215], v[136:137]
	v_add_f64 v[220:221], v[220:221], v[222:223]
	ds_read_b128 v[224:227], v2 offset:1472
	s_waitcnt vmcnt(0) lgkmcnt(1)
	v_mul_f64 v[222:223], v[216:217], v[142:143]
	v_fmac_f64_e32 v[222:223], v[218:219], v[140:141]
	v_add_f64 v[228:229], v[220:221], v[222:223]
	scratch_load_dwordx4 v[220:223], off, off offset:736
	scratch_load_dwordx4 v[232:235], off, off offset:752
	v_add_f64 v[244:245], v[244:245], 0
	v_add_f64 v[244:245], v[244:245], v[246:247]
	;; [unrolled: 1-line block ×6, first 2 shown]
	v_mul_f64 v[6:7], v[46:47], v[6:7]
	v_fma_f64 v[4:5], v[44:45], v[4:5], -v[6:7]
	v_mul_f64 v[6:7], v[66:67], v[10:11]
	v_fma_f64 v[6:7], v[64:65], v[8:9], -v[6:7]
	s_waitcnt vmcnt(1) lgkmcnt(0)
	v_mul_f64 v[230:231], v[224:225], v[222:223]
	v_fmac_f64_e32 v[230:231], v[226:227], v[220:221]
	v_add_f64 v[254:255], v[228:229], v[230:231]
	ds_read_b128 v[228:231], v2 offset:1488
	s_waitcnt vmcnt(0) lgkmcnt(0)
	v_mul_f64 v[2:3], v[228:229], v[234:235]
	v_fmac_f64_e32 v[2:3], v[230:231], v[232:233]
	v_add_f64 v[2:3], v[254:255], v[2:3]
	v_add_f64 v[254:255], v[236:237], v[252:253]
	scratch_load_dwordx4 v[236:239], off, off offset:144
	v_add_f64 v[240:241], v[254:255], v[240:241]
	v_add_f64 v[240:241], v[240:241], v[242:243]
	;; [unrolled: 1-line block ×4, first 2 shown]
	v_mul_f64 v[6:7], v[62:63], v[14:15]
	v_fma_f64 v[6:7], v[60:61], v[12:13], -v[6:7]
	v_add_f64 v[4:5], v[4:5], v[6:7]
	v_mul_f64 v[6:7], v[58:59], v[18:19]
	v_fma_f64 v[6:7], v[56:57], v[16:17], -v[6:7]
	v_add_f64 v[4:5], v[4:5], v[6:7]
	;; [unrolled: 3-line block ×27, first 2 shown]
	s_waitcnt vmcnt(0)
	v_add_f64 v[4:5], v[236:237], -v[4:5]
	v_add_f64 v[6:7], v[238:239], -v[2:3]
	scratch_store_dwordx4 off, v[4:7], off offset:144
	s_and_saveexec_b64 s[0:1], vcc
	s_cbranch_execz .LBB46_281
; %bb.280:
	scratch_load_dwordx4 v[2:5], off, s62
	v_mov_b32_e32 v6, 0
	v_mov_b32_e32 v7, v6
	;; [unrolled: 1-line block ×4, first 2 shown]
	v_accvgpr_read_b32 v0, a95
	scratch_store_dwordx4 off, v[6:9], off offset:128
	s_waitcnt vmcnt(1)
	ds_write_b128 v0, v[2:5]
.LBB46_281:
	s_or_b64 exec, exec, s[0:1]
	s_waitcnt lgkmcnt(0)
	; wave barrier
	scratch_load_dwordx4 v[80:83], off, off offset:144
	scratch_load_dwordx4 v[84:87], off, off offset:160
	;; [unrolled: 1-line block ×31, first 2 shown]
	v_mov_b32_e32 v2, 0
	ds_read_b128 v[196:199], v2 offset:880
	ds_read_b128 v[200:203], v2 offset:896
	;; [unrolled: 1-line block ×20, first 2 shown]
	s_waitcnt vmcnt(30) lgkmcnt(14)
	v_mul_f64 v[140:141], v[196:197], v[82:83]
	s_waitcnt vmcnt(29)
	v_mul_f64 v[142:143], v[200:201], v[86:87]
	v_fmac_f64_e32 v[140:141], v[198:199], v[80:81]
	s_waitcnt vmcnt(28)
	v_mul_f64 v[152:153], v[204:205], v[90:91]
	v_fmac_f64_e32 v[142:143], v[202:203], v[84:85]
	v_add_f64 v[140:141], v[140:141], 0
	s_waitcnt vmcnt(27)
	v_mul_f64 v[154:155], v[208:209], v[94:95]
	v_fmac_f64_e32 v[152:153], v[206:207], v[88:89]
	v_add_f64 v[140:141], v[140:141], v[142:143]
	;; [unrolled: 4-line block ×4, first 2 shown]
	s_waitcnt vmcnt(24) lgkmcnt(13)
	v_mul_f64 v[164:165], v[220:221], v[106:107]
	v_fmac_f64_e32 v[162:163], v[218:219], v[100:101]
	v_add_f64 v[140:141], v[140:141], v[160:161]
	s_waitcnt vmcnt(23) lgkmcnt(12)
	v_mul_f64 v[166:167], v[224:225], v[110:111]
	v_fmac_f64_e32 v[164:165], v[222:223], v[104:105]
	v_add_f64 v[140:141], v[140:141], v[162:163]
	;; [unrolled: 4-line block ×8, first 2 shown]
	v_fmac_f64_e32 v[178:179], v[146:147], v[12:13]
	v_add_f64 v[140:141], v[140:141], v[176:177]
	v_add_f64 v[140:141], v[140:141], v[178:179]
	ds_read_b128 v[176:179], v2 offset:1152
	s_waitcnt vmcnt(16) lgkmcnt(6)
	v_mul_f64 v[180:181], v[136:137], v[18:19]
	s_waitcnt vmcnt(15) lgkmcnt(5)
	v_mul_f64 v[182:183], v[132:133], v[22:23]
	v_fmac_f64_e32 v[180:181], v[138:139], v[16:17]
	v_add_f64 v[152:153], v[140:141], v[180:181]
	v_fmac_f64_e32 v[182:183], v[134:135], v[20:21]
	scratch_load_dwordx4 v[140:143], off, off offset:640
	s_waitcnt vmcnt(15) lgkmcnt(4)
	v_mul_f64 v[154:155], v[128:129], v[26:27]
	v_add_f64 v[152:153], v[152:153], v[182:183]
	v_fmac_f64_e32 v[154:155], v[130:131], v[24:25]
	v_add_f64 v[160:161], v[152:153], v[154:155]
	ds_read_b128 v[180:183], v2 offset:1168
	s_waitcnt vmcnt(14) lgkmcnt(1)
	v_mul_f64 v[162:163], v[176:177], v[30:31]
	scratch_load_dwordx4 v[152:155], off, off offset:656
	v_fmac_f64_e32 v[162:163], v[178:179], v[28:29]
	v_add_f64 v[164:165], v[160:161], v[162:163]
	scratch_load_dwordx4 v[160:163], off, off offset:672
	s_waitcnt vmcnt(15) lgkmcnt(0)
	v_mul_f64 v[166:167], v[180:181], v[34:35]
	v_fmac_f64_e32 v[166:167], v[182:183], v[32:33]
	v_add_f64 v[168:169], v[164:165], v[166:167]
	s_waitcnt vmcnt(14)
	v_mul_f64 v[170:171], v[184:185], v[38:39]
	scratch_load_dwordx4 v[164:167], off, off offset:688
	v_fmac_f64_e32 v[170:171], v[186:187], v[36:37]
	v_add_f64 v[168:169], v[168:169], v[170:171]
	s_waitcnt vmcnt(14)
	v_mul_f64 v[170:171], v[188:189], v[42:43]
	scratch_load_dwordx4 v[172:175], off, off offset:704
	v_fmac_f64_e32 v[170:171], v[190:191], v[40:41]
	v_add_f64 v[232:233], v[168:169], v[170:171]
	scratch_load_dwordx4 v[168:171], off, off offset:720
	v_mul_f64 v[82:83], v[198:199], v[82:83]
	v_fma_f64 v[246:247], v[196:197], v[80:81], -v[82:83]
	ds_read_b128 v[196:199], v2 offset:1232
	s_waitcnt vmcnt(15)
	v_mul_f64 v[80:81], v[192:193], v[46:47]
	v_fmac_f64_e32 v[80:81], v[194:195], v[44:45]
	v_add_f64 v[232:233], v[232:233], v[80:81]
	v_mul_f64 v[80:81], v[202:203], v[86:87]
	v_fma_f64 v[248:249], v[200:201], v[84:85], -v[80:81]
	scratch_load_dwordx4 v[80:83], off, off offset:736
	ds_read_b128 v[84:87], v2 offset:1248
	v_mul_f64 v[90:91], v[206:207], v[90:91]
	v_fma_f64 v[250:251], v[204:205], v[88:89], -v[90:91]
	ds_read_b128 v[88:91], v2 offset:1264
	s_waitcnt vmcnt(15) lgkmcnt(2)
	v_mul_f64 v[200:201], v[196:197], v[50:51]
	v_fmac_f64_e32 v[200:201], v[198:199], v[48:49]
	s_waitcnt vmcnt(14) lgkmcnt(1)
	v_mul_f64 v[202:203], v[84:85], v[54:55]
	v_add_f64 v[200:201], v[232:233], v[200:201]
	v_fmac_f64_e32 v[202:203], v[86:87], v[52:53]
	v_mul_f64 v[94:95], v[210:211], v[94:95]
	v_fma_f64 v[252:253], v[208:209], v[92:93], -v[94:95]
	ds_read_b128 v[92:95], v2 offset:1280
	v_add_f64 v[200:201], v[200:201], v[202:203]
	s_waitcnt vmcnt(13) lgkmcnt(1)
	v_mul_f64 v[202:203], v[88:89], v[58:59]
	v_fmac_f64_e32 v[202:203], v[90:91], v[56:57]
	v_add_f64 v[204:205], v[200:201], v[202:203]
	ds_read_b128 v[200:203], v2 offset:1296
	v_mul_f64 v[98:99], v[214:215], v[98:99]
	v_fma_f64 v[254:255], v[212:213], v[96:97], -v[98:99]
	ds_read_b128 v[96:99], v2 offset:1312
	s_waitcnt vmcnt(12) lgkmcnt(2)
	v_mul_f64 v[206:207], v[92:93], v[62:63]
	v_fmac_f64_e32 v[206:207], v[94:95], v[60:61]
	v_add_f64 v[204:205], v[204:205], v[206:207]
	s_waitcnt vmcnt(11) lgkmcnt(1)
	v_mul_f64 v[206:207], v[200:201], v[66:67]
	v_fmac_f64_e32 v[206:207], v[202:203], v[64:65]
	v_mul_f64 v[102:103], v[218:219], v[102:103]
	v_add_f64 v[204:205], v[204:205], v[206:207]
	v_fma_f64 v[232:233], v[216:217], v[100:101], -v[102:103]
	ds_read_b128 v[100:103], v2 offset:1328
	s_waitcnt vmcnt(10) lgkmcnt(1)
	v_mul_f64 v[206:207], v[96:97], v[70:71]
	v_fmac_f64_e32 v[206:207], v[98:99], v[68:69]
	v_add_f64 v[208:209], v[204:205], v[206:207]
	ds_read_b128 v[204:207], v2 offset:1344
	v_mul_f64 v[106:107], v[222:223], v[106:107]
	v_fma_f64 v[0:1], v[220:221], v[104:105], -v[106:107]
	ds_read_b128 v[104:107], v2 offset:1360
	s_waitcnt vmcnt(9) lgkmcnt(2)
	v_mul_f64 v[210:211], v[100:101], v[74:75]
	v_fmac_f64_e32 v[210:211], v[102:103], v[72:73]
	v_add_f64 v[208:209], v[208:209], v[210:211]
	s_waitcnt vmcnt(8) lgkmcnt(1)
	v_mul_f64 v[210:211], v[204:205], v[78:79]
	v_fmac_f64_e32 v[210:211], v[206:207], v[76:77]
	v_mul_f64 v[110:111], v[226:227], v[110:111]
	v_fma_f64 v[234:235], v[224:225], v[108:109], -v[110:111]
	ds_read_b128 v[108:111], v2 offset:1376
	v_add_f64 v[208:209], v[208:209], v[210:211]
	s_waitcnt vmcnt(7) lgkmcnt(1)
	v_mul_f64 v[210:211], v[104:105], v[126:127]
	v_fmac_f64_e32 v[210:211], v[106:107], v[124:125]
	v_add_f64 v[212:213], v[208:209], v[210:211]
	ds_read_b128 v[208:211], v2 offset:1392
	v_mul_f64 v[114:115], v[230:231], v[114:115]
	v_fma_f64 v[236:237], v[228:229], v[112:113], -v[114:115]
	ds_read_b128 v[112:115], v2 offset:1408
	s_waitcnt vmcnt(6) lgkmcnt(2)
	v_mul_f64 v[214:215], v[108:109], v[142:143]
	v_fmac_f64_e32 v[214:215], v[110:111], v[140:141]
	v_add_f64 v[212:213], v[212:213], v[214:215]
	s_waitcnt vmcnt(5) lgkmcnt(1)
	v_mul_f64 v[214:215], v[208:209], v[154:155]
	v_fmac_f64_e32 v[214:215], v[210:211], v[152:153]
	v_mul_f64 v[118:119], v[240:241], v[118:119]
	v_add_f64 v[212:213], v[212:213], v[214:215]
	v_fma_f64 v[238:239], v[238:239], v[116:117], -v[118:119]
	ds_read_b128 v[116:119], v2 offset:1424
	s_waitcnt vmcnt(4) lgkmcnt(1)
	v_mul_f64 v[214:215], v[112:113], v[162:163]
	v_fmac_f64_e32 v[214:215], v[114:115], v[160:161]
	v_add_f64 v[216:217], v[212:213], v[214:215]
	ds_read_b128 v[212:215], v2 offset:1440
	v_mul_f64 v[122:123], v[244:245], v[122:123]
	v_fma_f64 v[240:241], v[242:243], v[120:121], -v[122:123]
	ds_read_b128 v[120:123], v2 offset:1456
	s_waitcnt vmcnt(3) lgkmcnt(2)
	v_mul_f64 v[218:219], v[116:117], v[166:167]
	v_fmac_f64_e32 v[218:219], v[118:119], v[164:165]
	v_add_f64 v[216:217], v[216:217], v[218:219]
	s_waitcnt vmcnt(2) lgkmcnt(1)
	v_mul_f64 v[218:219], v[212:213], v[174:175]
	v_fmac_f64_e32 v[218:219], v[214:215], v[172:173]
	v_add_f64 v[216:217], v[216:217], v[218:219]
	;; [unrolled: 4-line block ×3, first 2 shown]
	ds_read_b128 v[216:219], v2 offset:1472
	ds_read_b128 v[224:227], v2 offset:1488
	v_mul_f64 v[6:7], v[158:159], v[6:7]
	v_fma_f64 v[4:5], v[156:157], v[4:5], -v[6:7]
	s_waitcnt vmcnt(0) lgkmcnt(1)
	v_mul_f64 v[222:223], v[216:217], v[82:83]
	v_fmac_f64_e32 v[222:223], v[218:219], v[80:81]
	v_add_f64 v[228:229], v[220:221], v[222:223]
	scratch_load_dwordx4 v[220:223], off, off offset:752
	s_waitcnt vmcnt(0) lgkmcnt(0)
	v_mul_f64 v[230:231], v[224:225], v[222:223]
	v_fmac_f64_e32 v[230:231], v[226:227], v[220:221]
	v_add_f64 v[244:245], v[228:229], v[230:231]
	v_add_f64 v[228:229], v[246:247], 0
	;; [unrolled: 1-line block ×8, first 2 shown]
	scratch_load_dwordx4 v[228:231], off, off offset:128
	v_add_f64 v[0:1], v[242:243], v[234:235]
	v_add_f64 v[0:1], v[0:1], v[236:237]
	;; [unrolled: 1-line block ×5, first 2 shown]
	v_mul_f64 v[4:5], v[150:151], v[10:11]
	v_fma_f64 v[4:5], v[148:149], v[8:9], -v[4:5]
	v_add_f64 v[0:1], v[0:1], v[4:5]
	v_mul_f64 v[4:5], v[146:147], v[14:15]
	v_fma_f64 v[4:5], v[144:145], v[12:13], -v[4:5]
	v_add_f64 v[0:1], v[0:1], v[4:5]
	;; [unrolled: 3-line block ×27, first 2 shown]
	s_waitcnt vmcnt(0)
	v_add_f64 v[4:5], v[228:229], -v[0:1]
	v_accvgpr_read_b32 v0, a94
	v_add_f64 v[6:7], v[230:231], -v[244:245]
	v_cmp_lt_u32_e32 vcc, 6, v0
	scratch_store_dwordx4 off, v[4:7], off offset:128
	s_and_saveexec_b64 s[0:1], vcc
	s_cbranch_execz .LBB46_283
; %bb.282:
	scratch_load_dwordx4 v[6:9], off, s61
	v_mov_b32_e32 v3, v2
	v_mov_b32_e32 v4, v2
	;; [unrolled: 1-line block ×3, first 2 shown]
	v_accvgpr_read_b32 v0, a95
	scratch_store_dwordx4 off, v[2:5], off offset:112
	s_waitcnt vmcnt(1)
	ds_write_b128 v0, v[6:9]
.LBB46_283:
	s_or_b64 exec, exec, s[0:1]
	s_waitcnt lgkmcnt(0)
	; wave barrier
	scratch_load_dwordx4 v[132:135], off, off offset:128
	scratch_load_dwordx4 v[160:163], off, off offset:144
	;; [unrolled: 1-line block ×16, first 2 shown]
	ds_read_b128 v[156:159], v2 offset:864
	ds_read_b128 v[172:175], v2 offset:880
	scratch_load_dwordx4 v[24:27], off, off offset:384
	ds_read_b128 v[232:235], v2 offset:896
	ds_read_b128 v[228:231], v2 offset:912
	scratch_load_dwordx4 v[28:31], off, off offset:400
	ds_read_b128 v[236:239], v2 offset:928
	ds_read_b128 v[184:187], v2 offset:944
	;; [unrolled: 1-line block ×5, first 2 shown]
	scratch_load_dwordx4 v[32:35], off, off offset:416
	ds_read_b128 v[220:223], v2 offset:1008
	ds_read_b128 v[216:219], v2 offset:1024
	ds_read_b128 v[40:43], v2 offset:1040
	scratch_load_dwordx4 v[36:39], off, off offset:432
	ds_read_b128 v[64:67], v2 offset:1056
	ds_read_b128 v[60:63], v2 offset:1072
	;; [unrolled: 1-line block ×5, first 2 shown]
	scratch_load_dwordx4 v[52:55], off, off offset:448
	scratch_load_dwordx4 v[68:71], off, off offset:464
	;; [unrolled: 1-line block ×11, first 2 shown]
	ds_read_b128 v[144:147], v2 offset:1168
	ds_read_b128 v[148:151], v2 offset:1184
	;; [unrolled: 1-line block ×3, first 2 shown]
	s_waitcnt vmcnt(30) lgkmcnt(14)
	v_mul_f64 v[0:1], v[156:157], v[134:135]
	s_waitcnt vmcnt(29)
	v_mul_f64 v[108:109], v[172:173], v[162:163]
	v_fmac_f64_e32 v[0:1], v[158:159], v[132:133]
	s_waitcnt vmcnt(28)
	v_mul_f64 v[110:111], v[232:233], v[166:167]
	v_fmac_f64_e32 v[108:109], v[174:175], v[160:161]
	v_add_f64 v[0:1], v[0:1], 0
	s_waitcnt vmcnt(27)
	v_mul_f64 v[112:113], v[228:229], v[170:171]
	v_fmac_f64_e32 v[110:111], v[234:235], v[164:165]
	v_add_f64 v[0:1], v[0:1], v[108:109]
	;; [unrolled: 4-line block ×4, first 2 shown]
	s_waitcnt vmcnt(24) lgkmcnt(13)
	v_mul_f64 v[118:119], v[224:225], v[190:191]
	v_fmac_f64_e32 v[116:117], v[186:187], v[180:181]
	v_add_f64 v[0:1], v[0:1], v[114:115]
	s_waitcnt vmcnt(23) lgkmcnt(12)
	v_mul_f64 v[120:121], v[196:197], v[194:195]
	v_fmac_f64_e32 v[118:119], v[226:227], v[188:189]
	v_add_f64 v[0:1], v[0:1], v[116:117]
	s_waitcnt vmcnt(22) lgkmcnt(11)
	v_mul_f64 v[122:123], v[208:209], v[202:203]
	v_fmac_f64_e32 v[120:121], v[198:199], v[192:193]
	v_add_f64 v[0:1], v[0:1], v[118:119]
	s_waitcnt vmcnt(21) lgkmcnt(10)
	v_mul_f64 v[124:125], v[220:221], v[206:207]
	v_fmac_f64_e32 v[122:123], v[210:211], v[200:201]
	v_add_f64 v[0:1], v[0:1], v[120:121]
	s_waitcnt vmcnt(20) lgkmcnt(9)
	v_mul_f64 v[126:127], v[216:217], v[214:215]
	v_fmac_f64_e32 v[124:125], v[222:223], v[204:205]
	v_add_f64 v[0:1], v[0:1], v[122:123]
	s_waitcnt vmcnt(19) lgkmcnt(8)
	v_mul_f64 v[128:129], v[40:41], v[6:7]
	v_fmac_f64_e32 v[126:127], v[218:219], v[212:213]
	v_add_f64 v[0:1], v[0:1], v[124:125]
	s_waitcnt vmcnt(18) lgkmcnt(7)
	v_mul_f64 v[130:131], v[64:65], v[10:11]
	v_fmac_f64_e32 v[128:129], v[42:43], v[4:5]
	v_add_f64 v[0:1], v[0:1], v[126:127]
	s_waitcnt vmcnt(17) lgkmcnt(6)
	v_mul_f64 v[136:137], v[60:61], v[14:15]
	v_fmac_f64_e32 v[130:131], v[66:67], v[8:9]
	v_add_f64 v[0:1], v[0:1], v[128:129]
	s_waitcnt vmcnt(16) lgkmcnt(5)
	v_mul_f64 v[138:139], v[56:57], v[18:19]
	v_fmac_f64_e32 v[136:137], v[62:63], v[12:13]
	v_add_f64 v[0:1], v[0:1], v[130:131]
	v_fmac_f64_e32 v[138:139], v[58:59], v[16:17]
	v_add_f64 v[0:1], v[0:1], v[136:137]
	v_add_f64 v[0:1], v[0:1], v[138:139]
	ds_read_b128 v[136:139], v2 offset:1136
	s_waitcnt vmcnt(15) lgkmcnt(5)
	v_mul_f64 v[140:141], v[48:49], v[22:23]
	v_fmac_f64_e32 v[140:141], v[50:51], v[20:21]
	s_waitcnt vmcnt(14) lgkmcnt(4)
	v_mul_f64 v[112:113], v[44:45], v[26:27]
	scratch_load_dwordx4 v[108:111], off, off offset:624
	v_add_f64 v[0:1], v[0:1], v[140:141]
	v_fmac_f64_e32 v[112:113], v[46:47], v[24:25]
	v_add_f64 v[0:1], v[0:1], v[112:113]
	scratch_load_dwordx4 v[112:115], off, off offset:640
	ds_read_b128 v[140:143], v2 offset:1152
	s_waitcnt vmcnt(15) lgkmcnt(1)
	v_mul_f64 v[116:117], v[136:137], v[30:31]
	v_fmac_f64_e32 v[116:117], v[138:139], v[28:29]
	v_add_f64 v[0:1], v[0:1], v[116:117]
	scratch_load_dwordx4 v[116:119], off, off offset:656
	s_waitcnt vmcnt(15) lgkmcnt(0)
	v_mul_f64 v[120:121], v[140:141], v[34:35]
	v_fmac_f64_e32 v[120:121], v[142:143], v[32:33]
	s_waitcnt vmcnt(14)
	v_mul_f64 v[124:125], v[144:145], v[38:39]
	v_add_f64 v[0:1], v[0:1], v[120:121]
	scratch_load_dwordx4 v[120:123], off, off offset:672
	v_fmac_f64_e32 v[124:125], v[146:147], v[36:37]
	v_add_f64 v[0:1], v[0:1], v[124:125]
	s_waitcnt vmcnt(14)
	v_mul_f64 v[124:125], v[148:149], v[54:55]
	scratch_load_dwordx4 v[128:131], off, off offset:688
	v_fmac_f64_e32 v[124:125], v[150:151], v[52:53]
	v_add_f64 v[0:1], v[0:1], v[124:125]
	scratch_load_dwordx4 v[124:127], off, off offset:704
	v_mul_f64 v[134:135], v[158:159], v[134:135]
	v_fma_f64 v[242:243], v[156:157], v[132:133], -v[134:135]
	ds_read_b128 v[156:159], v2 offset:1216
	s_waitcnt vmcnt(15)
	v_mul_f64 v[132:133], v[152:153], v[70:71]
	v_fmac_f64_e32 v[132:133], v[154:155], v[68:69]
	v_add_f64 v[0:1], v[0:1], v[132:133]
	v_mul_f64 v[132:133], v[174:175], v[162:163]
	v_fma_f64 v[244:245], v[172:173], v[160:161], -v[132:133]
	scratch_load_dwordx4 v[132:135], off, off offset:720
	ds_read_b128 v[160:163], v2 offset:1232
	v_mul_f64 v[166:167], v[234:235], v[166:167]
	v_fma_f64 v[246:247], v[232:233], v[164:165], -v[166:167]
	ds_read_b128 v[164:167], v2 offset:1248
	s_waitcnt vmcnt(15) lgkmcnt(2)
	v_mul_f64 v[172:173], v[156:157], v[74:75]
	v_fmac_f64_e32 v[172:173], v[158:159], v[72:73]
	v_add_f64 v[0:1], v[0:1], v[172:173]
	s_waitcnt vmcnt(14) lgkmcnt(1)
	v_mul_f64 v[172:173], v[160:161], v[78:79]
	v_fmac_f64_e32 v[172:173], v[162:163], v[76:77]
	v_mul_f64 v[170:171], v[230:231], v[170:171]
	v_fma_f64 v[248:249], v[228:229], v[168:169], -v[170:171]
	ds_read_b128 v[168:171], v2 offset:1264
	v_add_f64 v[0:1], v[0:1], v[172:173]
	s_waitcnt vmcnt(13) lgkmcnt(1)
	v_mul_f64 v[172:173], v[164:165], v[82:83]
	v_fmac_f64_e32 v[172:173], v[166:167], v[80:81]
	v_add_f64 v[0:1], v[0:1], v[172:173]
	ds_read_b128 v[172:175], v2 offset:1280
	v_mul_f64 v[178:179], v[238:239], v[178:179]
	v_fma_f64 v[236:237], v[236:237], v[176:177], -v[178:179]
	ds_read_b128 v[176:179], v2 offset:1296
	s_waitcnt vmcnt(12) lgkmcnt(2)
	v_mul_f64 v[228:229], v[168:169], v[86:87]
	v_fmac_f64_e32 v[228:229], v[170:171], v[84:85]
	v_add_f64 v[0:1], v[0:1], v[228:229]
	s_waitcnt vmcnt(11) lgkmcnt(1)
	v_mul_f64 v[228:229], v[172:173], v[90:91]
	v_mul_f64 v[182:183], v[186:187], v[182:183]
	v_fmac_f64_e32 v[228:229], v[174:175], v[88:89]
	v_fma_f64 v[238:239], v[184:185], v[180:181], -v[182:183]
	ds_read_b128 v[180:183], v2 offset:1312
	s_waitcnt vmcnt(10) lgkmcnt(1)
	v_mul_f64 v[184:185], v[176:177], v[94:95]
	v_add_f64 v[0:1], v[0:1], v[228:229]
	v_fmac_f64_e32 v[184:185], v[178:179], v[92:93]
	v_add_f64 v[0:1], v[0:1], v[184:185]
	ds_read_b128 v[184:187], v2 offset:1328
	v_mul_f64 v[190:191], v[226:227], v[190:191]
	v_fma_f64 v[250:251], v[224:225], v[188:189], -v[190:191]
	ds_read_b128 v[188:191], v2 offset:1344
	s_waitcnt vmcnt(9) lgkmcnt(2)
	v_mul_f64 v[228:229], v[180:181], v[98:99]
	v_fmac_f64_e32 v[228:229], v[182:183], v[96:97]
	s_waitcnt vmcnt(8) lgkmcnt(1)
	v_mul_f64 v[224:225], v[184:185], v[102:103]
	v_mul_f64 v[194:195], v[198:199], v[194:195]
	v_add_f64 v[0:1], v[0:1], v[228:229]
	v_fmac_f64_e32 v[224:225], v[186:187], v[100:101]
	v_fma_f64 v[252:253], v[196:197], v[192:193], -v[194:195]
	s_waitcnt vmcnt(7) lgkmcnt(0)
	v_mul_f64 v[196:197], v[188:189], v[106:107]
	ds_read_b128 v[192:195], v2 offset:1360
	v_add_f64 v[0:1], v[0:1], v[224:225]
	v_fmac_f64_e32 v[196:197], v[190:191], v[104:105]
	v_add_f64 v[0:1], v[0:1], v[196:197]
	ds_read_b128 v[196:199], v2 offset:1376
	v_mul_f64 v[202:203], v[210:211], v[202:203]
	v_fma_f64 v[240:241], v[208:209], v[200:201], -v[202:203]
	ds_read_b128 v[200:203], v2 offset:1392
	s_waitcnt vmcnt(6) lgkmcnt(2)
	v_mul_f64 v[224:225], v[192:193], v[110:111]
	v_fmac_f64_e32 v[224:225], v[194:195], v[108:109]
	s_waitcnt vmcnt(5) lgkmcnt(1)
	v_mul_f64 v[208:209], v[196:197], v[114:115]
	v_add_f64 v[0:1], v[0:1], v[224:225]
	v_fmac_f64_e32 v[208:209], v[198:199], v[112:113]
	v_add_f64 v[208:209], v[0:1], v[208:209]
	v_mul_f64 v[0:1], v[222:223], v[206:207]
	v_fma_f64 v[0:1], v[220:221], v[204:205], -v[0:1]
	ds_read_b128 v[204:207], v2 offset:1408
	s_waitcnt vmcnt(4) lgkmcnt(1)
	v_mul_f64 v[210:211], v[200:201], v[118:119]
	v_fmac_f64_e32 v[210:211], v[202:203], v[116:117]
	v_add_f64 v[220:221], v[208:209], v[210:211]
	ds_read_b128 v[208:211], v2 offset:1424
	v_mul_f64 v[214:215], v[218:219], v[214:215]
	v_fma_f64 v[254:255], v[216:217], v[212:213], -v[214:215]
	ds_read_b128 v[212:215], v2 offset:1440
	s_waitcnt vmcnt(3) lgkmcnt(2)
	v_mul_f64 v[216:217], v[204:205], v[122:123]
	v_fmac_f64_e32 v[216:217], v[206:207], v[120:121]
	s_waitcnt vmcnt(2) lgkmcnt(1)
	v_mul_f64 v[218:219], v[208:209], v[130:131]
	v_add_f64 v[216:217], v[220:221], v[216:217]
	v_fmac_f64_e32 v[218:219], v[210:211], v[128:129]
	v_add_f64 v[216:217], v[216:217], v[218:219]
	s_waitcnt vmcnt(1) lgkmcnt(0)
	v_mul_f64 v[218:219], v[212:213], v[126:127]
	v_fmac_f64_e32 v[218:219], v[214:215], v[124:125]
	v_add_f64 v[220:221], v[216:217], v[218:219]
	ds_read_b128 v[216:219], v2 offset:1456
	ds_read_b128 v[224:227], v2 offset:1472
	scratch_load_dwordx4 v[232:235], off, off offset:752
	v_accvgpr_write_b32 a97, v1
	v_accvgpr_write_b32 a96, v0
	s_waitcnt vmcnt(1) lgkmcnt(1)
	v_mul_f64 v[222:223], v[216:217], v[134:135]
	v_fmac_f64_e32 v[222:223], v[218:219], v[132:133]
	v_add_f64 v[228:229], v[220:221], v[222:223]
	scratch_load_dwordx4 v[220:223], off, off offset:736
	v_mul_f64 v[6:7], v[42:43], v[6:7]
	v_fma_f64 v[4:5], v[40:41], v[4:5], -v[6:7]
	s_waitcnt vmcnt(0) lgkmcnt(0)
	v_mul_f64 v[230:231], v[224:225], v[222:223]
	v_fmac_f64_e32 v[230:231], v[226:227], v[220:221]
	v_add_f64 v[0:1], v[228:229], v[230:231]
	ds_read_b128 v[228:231], v2 offset:1488
	s_waitcnt lgkmcnt(0)
	v_mul_f64 v[2:3], v[228:229], v[234:235]
	v_fmac_f64_e32 v[2:3], v[230:231], v[232:233]
	v_add_f64 v[2:3], v[0:1], v[2:3]
	v_add_f64 v[0:1], v[242:243], 0
	;; [unrolled: 1-line block ×7, first 2 shown]
	scratch_load_dwordx4 v[236:239], off, off offset:112
	v_add_f64 v[0:1], v[0:1], v[250:251]
	v_add_f64 v[0:1], v[0:1], v[252:253]
	v_add_f64 v[242:243], v[0:1], v[240:241]
	v_accvgpr_read_b32 v0, a96
	v_accvgpr_read_b32 v1, a97
	v_add_f64 v[0:1], v[242:243], v[0:1]
	v_add_f64 v[0:1], v[0:1], v[254:255]
	;; [unrolled: 1-line block ×3, first 2 shown]
	v_mul_f64 v[4:5], v[66:67], v[10:11]
	v_fma_f64 v[4:5], v[64:65], v[8:9], -v[4:5]
	v_add_f64 v[0:1], v[0:1], v[4:5]
	v_mul_f64 v[4:5], v[62:63], v[14:15]
	v_fma_f64 v[4:5], v[60:61], v[12:13], -v[4:5]
	v_add_f64 v[0:1], v[0:1], v[4:5]
	;; [unrolled: 3-line block ×28, first 2 shown]
	s_waitcnt vmcnt(0)
	v_add_f64 v[4:5], v[236:237], -v[0:1]
	v_accvgpr_read_b32 v0, a94
	v_add_f64 v[6:7], v[238:239], -v[2:3]
	v_cmp_lt_u32_e32 vcc, 5, v0
	scratch_store_dwordx4 off, v[4:7], off offset:112
	s_and_saveexec_b64 s[0:1], vcc
	s_cbranch_execz .LBB46_285
; %bb.284:
	scratch_load_dwordx4 v[2:5], off, s26
	v_mov_b32_e32 v6, 0
	v_mov_b32_e32 v7, v6
	;; [unrolled: 1-line block ×4, first 2 shown]
	v_accvgpr_read_b32 v0, a95
	scratch_store_dwordx4 off, v[6:9], off offset:96
	s_waitcnt vmcnt(1)
	ds_write_b128 v0, v[2:5]
.LBB46_285:
	s_or_b64 exec, exec, s[0:1]
	s_waitcnt lgkmcnt(0)
	; wave barrier
	scratch_load_dwordx4 v[112:115], off, off offset:112
	scratch_load_dwordx4 v[116:119], off, off offset:128
	;; [unrolled: 1-line block ×30, first 2 shown]
	v_mov_b32_e32 v2, 0
	ds_read_b128 v[144:147], v2 offset:848
	ds_read_b128 v[156:159], v2 offset:864
	;; [unrolled: 1-line block ×20, first 2 shown]
	s_waitcnt vmcnt(29) lgkmcnt(14)
	v_mul_f64 v[0:1], v[144:145], v[114:115]
	s_waitcnt vmcnt(28)
	v_mul_f64 v[88:89], v[156:157], v[118:119]
	v_fmac_f64_e32 v[0:1], v[146:147], v[112:113]
	s_waitcnt vmcnt(27)
	v_mul_f64 v[90:91], v[168:169], v[122:123]
	v_fmac_f64_e32 v[88:89], v[158:159], v[116:117]
	v_add_f64 v[0:1], v[0:1], 0
	s_waitcnt vmcnt(26)
	v_mul_f64 v[92:93], v[180:181], v[154:155]
	v_fmac_f64_e32 v[90:91], v[170:171], v[120:121]
	v_add_f64 v[0:1], v[0:1], v[88:89]
	;; [unrolled: 4-line block ×4, first 2 shown]
	s_waitcnt vmcnt(23) lgkmcnt(13)
	v_mul_f64 v[98:99], v[212:213], v[174:175]
	v_fmac_f64_e32 v[96:97], v[206:207], v[164:165]
	v_add_f64 v[0:1], v[0:1], v[94:95]
	s_waitcnt vmcnt(22) lgkmcnt(12)
	v_mul_f64 v[100:101], v[216:217], v[178:179]
	v_fmac_f64_e32 v[98:99], v[214:215], v[172:173]
	v_add_f64 v[0:1], v[0:1], v[96:97]
	;; [unrolled: 4-line block ×9, first 2 shown]
	v_fmac_f64_e32 v[126:127], v[82:83], v[234:235]
	v_add_f64 v[0:1], v[0:1], v[124:125]
	scratch_load_dwordx4 v[88:91], off, off offset:592
	s_waitcnt vmcnt(15) lgkmcnt(4)
	v_mul_f64 v[128:129], v[76:77], v[14:15]
	v_add_f64 v[0:1], v[0:1], v[126:127]
	ds_read_b128 v[124:127], v2 offset:1120
	v_fmac_f64_e32 v[128:129], v[78:79], v[12:13]
	v_add_f64 v[0:1], v[0:1], v[128:129]
	ds_read_b128 v[128:131], v2 offset:1136
	s_waitcnt vmcnt(14) lgkmcnt(5)
	v_mul_f64 v[92:93], v[72:73], v[18:19]
	v_fmac_f64_e32 v[92:93], v[74:75], v[16:17]
	v_add_f64 v[0:1], v[0:1], v[92:93]
	s_waitcnt vmcnt(13) lgkmcnt(1)
	v_mul_f64 v[96:97], v[124:125], v[22:23]
	scratch_load_dwordx4 v[92:95], off, off offset:608
	v_fmac_f64_e32 v[96:97], v[126:127], v[20:21]
	v_add_f64 v[0:1], v[0:1], v[96:97]
	s_waitcnt vmcnt(13) lgkmcnt(0)
	v_mul_f64 v[100:101], v[128:129], v[26:27]
	scratch_load_dwordx4 v[96:99], off, off offset:624
	v_fmac_f64_e32 v[100:101], v[130:131], v[24:25]
	v_add_f64 v[0:1], v[0:1], v[100:101]
	scratch_load_dwordx4 v[100:103], off, off offset:640
	s_waitcnt vmcnt(14)
	v_mul_f64 v[104:105], v[132:133], v[30:31]
	v_fmac_f64_e32 v[104:105], v[134:135], v[28:29]
	v_add_f64 v[0:1], v[0:1], v[104:105]
	s_waitcnt vmcnt(13)
	v_mul_f64 v[104:105], v[136:137], v[34:35]
	v_fmac_f64_e32 v[104:105], v[138:139], v[32:33]
	v_add_f64 v[0:1], v[0:1], v[104:105]
	scratch_load_dwordx4 v[104:107], off, off offset:656
	s_waitcnt vmcnt(13)
	v_mul_f64 v[108:109], v[140:141], v[38:39]
	v_fmac_f64_e32 v[108:109], v[142:143], v[36:37]
	v_add_f64 v[0:1], v[0:1], v[108:109]
	scratch_load_dwordx4 v[108:111], off, off offset:672
	v_mul_f64 v[114:115], v[146:147], v[114:115]
	v_fma_f64 v[246:247], v[144:145], v[112:113], -v[114:115]
	v_mul_f64 v[112:113], v[158:159], v[118:119]
	ds_read_b128 v[148:151], v2 offset:1200
	ds_read_b128 v[144:147], v2 offset:1216
	v_fma_f64 v[248:249], v[156:157], v[116:117], -v[112:113]
	scratch_load_dwordx4 v[116:119], off, off offset:688
	scratch_load_dwordx4 v[112:115], off, off offset:704
	v_mul_f64 v[122:123], v[170:171], v[122:123]
	v_fma_f64 v[250:251], v[168:169], v[120:121], -v[122:123]
	scratch_load_dwordx4 v[120:123], off, off offset:720
	s_waitcnt vmcnt(16) lgkmcnt(1)
	v_mul_f64 v[156:157], v[148:149], v[42:43]
	v_fmac_f64_e32 v[156:157], v[150:151], v[40:41]
	v_mul_f64 v[154:155], v[182:183], v[154:155]
	v_add_f64 v[0:1], v[0:1], v[156:157]
	v_fma_f64 v[252:253], v[180:181], v[152:153], -v[154:155]
	ds_read_b128 v[152:155], v2 offset:1232
	s_waitcnt vmcnt(15) lgkmcnt(1)
	v_mul_f64 v[156:157], v[144:145], v[46:47]
	v_fmac_f64_e32 v[156:157], v[146:147], v[44:45]
	v_add_f64 v[0:1], v[0:1], v[156:157]
	ds_read_b128 v[156:159], v2 offset:1248
	v_mul_f64 v[162:163], v[194:195], v[162:163]
	v_fma_f64 v[254:255], v[192:193], v[160:161], -v[162:163]
	ds_read_b128 v[160:163], v2 offset:1264
	s_waitcnt vmcnt(14) lgkmcnt(2)
	v_mul_f64 v[168:169], v[152:153], v[50:51]
	v_fmac_f64_e32 v[168:169], v[154:155], v[48:49]
	v_add_f64 v[0:1], v[0:1], v[168:169]
	s_waitcnt vmcnt(13) lgkmcnt(1)
	v_mul_f64 v[168:169], v[156:157], v[54:55]
	v_fmac_f64_e32 v[168:169], v[158:159], v[52:53]
	v_mul_f64 v[166:167], v[206:207], v[166:167]
	v_add_f64 v[0:1], v[0:1], v[168:169]
	v_fma_f64 v[232:233], v[204:205], v[164:165], -v[166:167]
	ds_read_b128 v[164:167], v2 offset:1280
	s_waitcnt vmcnt(12) lgkmcnt(1)
	v_mul_f64 v[168:169], v[160:161], v[58:59]
	v_fmac_f64_e32 v[168:169], v[162:163], v[56:57]
	v_add_f64 v[0:1], v[0:1], v[168:169]
	ds_read_b128 v[168:171], v2 offset:1296
	v_accvgpr_write_b32 a99, v7
	v_accvgpr_write_b32 a98, v6
	;; [unrolled: 1-line block ×4, first 2 shown]
	s_waitcnt vmcnt(11) lgkmcnt(1)
	v_mul_f64 v[6:7], v[164:165], v[62:63]
	v_mul_f64 v[174:175], v[214:215], v[174:175]
	v_fmac_f64_e32 v[6:7], v[166:167], v[60:61]
	v_fma_f64 v[8:9], v[212:213], v[172:173], -v[174:175]
	ds_read_b128 v[172:175], v2 offset:1312
	v_add_f64 v[0:1], v[0:1], v[6:7]
	s_waitcnt vmcnt(10) lgkmcnt(1)
	v_mul_f64 v[6:7], v[168:169], v[66:67]
	v_fmac_f64_e32 v[6:7], v[170:171], v[64:65]
	v_add_f64 v[0:1], v[0:1], v[6:7]
	v_mul_f64 v[6:7], v[218:219], v[178:179]
	v_fma_f64 v[4:5], v[216:217], v[176:177], -v[6:7]
	ds_read_b128 v[176:179], v2 offset:1328
	ds_read_b128 v[180:183], v2 offset:1344
	s_waitcnt vmcnt(9) lgkmcnt(2)
	v_mul_f64 v[6:7], v[172:173], v[70:71]
	v_fmac_f64_e32 v[6:7], v[174:175], v[68:69]
	v_add_f64 v[0:1], v[0:1], v[6:7]
	s_waitcnt vmcnt(8) lgkmcnt(1)
	v_mul_f64 v[6:7], v[176:177], v[90:91]
	v_fmac_f64_e32 v[6:7], v[178:179], v[88:89]
	v_add_f64 v[0:1], v[0:1], v[6:7]
	v_mul_f64 v[6:7], v[222:223], v[186:187]
	v_fma_f64 v[10:11], v[220:221], v[184:185], -v[6:7]
	ds_read_b128 v[184:187], v2 offset:1360
	v_mul_f64 v[6:7], v[226:227], v[190:191]
	v_fma_f64 v[6:7], v[224:225], v[188:189], -v[6:7]
	ds_read_b128 v[188:191], v2 offset:1376
	s_waitcnt vmcnt(7) lgkmcnt(2)
	v_mul_f64 v[192:193], v[180:181], v[94:95]
	v_fmac_f64_e32 v[192:193], v[182:183], v[92:93]
	v_add_f64 v[0:1], v[0:1], v[192:193]
	s_waitcnt vmcnt(6) lgkmcnt(1)
	v_mul_f64 v[192:193], v[184:185], v[98:99]
	v_fmac_f64_e32 v[192:193], v[186:187], v[96:97]
	v_add_f64 v[0:1], v[0:1], v[192:193]
	s_waitcnt vmcnt(5) lgkmcnt(0)
	v_mul_f64 v[204:205], v[188:189], v[102:103]
	ds_read_b128 v[192:195], v2 offset:1392
	v_fmac_f64_e32 v[204:205], v[190:191], v[100:101]
	v_add_f64 v[204:205], v[0:1], v[204:205]
	v_mul_f64 v[0:1], v[230:231], v[198:199]
	v_fma_f64 v[0:1], v[228:229], v[196:197], -v[0:1]
	ds_read_b128 v[196:199], v2 offset:1408
	v_mul_f64 v[202:203], v[240:241], v[202:203]
	s_waitcnt vmcnt(4) lgkmcnt(1)
	v_mul_f64 v[206:207], v[192:193], v[106:107]
	v_fma_f64 v[238:239], v[238:239], v[200:201], -v[202:203]
	ds_read_b128 v[200:203], v2 offset:1424
	v_fmac_f64_e32 v[206:207], v[194:195], v[104:105]
	v_add_f64 v[212:213], v[204:205], v[206:207]
	ds_read_b128 v[204:207], v2 offset:1440
	s_waitcnt vmcnt(3) lgkmcnt(2)
	v_mul_f64 v[214:215], v[196:197], v[110:111]
	v_mul_f64 v[210:211], v[244:245], v[210:211]
	v_fmac_f64_e32 v[214:215], v[198:199], v[108:109]
	v_fma_f64 v[240:241], v[242:243], v[208:209], -v[210:211]
	ds_read_b128 v[208:211], v2 offset:1456
	ds_read_b128 v[216:219], v2 offset:1472
	v_add_f64 v[212:213], v[212:213], v[214:215]
	s_waitcnt vmcnt(2) lgkmcnt(3)
	v_mul_f64 v[214:215], v[200:201], v[118:119]
	v_fmac_f64_e32 v[214:215], v[202:203], v[116:117]
	v_add_f64 v[212:213], v[212:213], v[214:215]
	s_waitcnt vmcnt(1) lgkmcnt(2)
	v_mul_f64 v[214:215], v[204:205], v[114:115]
	v_fmac_f64_e32 v[214:215], v[206:207], v[112:113]
	;; [unrolled: 4-line block ×3, first 2 shown]
	v_add_f64 v[220:221], v[212:213], v[214:215]
	scratch_load_dwordx4 v[212:215], off, off offset:736
	ds_read_b128 v[224:227], v2 offset:1488
	s_waitcnt vmcnt(0) lgkmcnt(1)
	v_mul_f64 v[222:223], v[216:217], v[214:215]
	v_fmac_f64_e32 v[222:223], v[218:219], v[212:213]
	v_add_f64 v[228:229], v[220:221], v[222:223]
	scratch_load_dwordx4 v[220:223], off, off offset:752
	s_waitcnt vmcnt(0) lgkmcnt(0)
	v_mul_f64 v[230:231], v[224:225], v[222:223]
	v_fmac_f64_e32 v[230:231], v[226:227], v[220:221]
	v_add_f64 v[242:243], v[228:229], v[230:231]
	v_add_f64 v[228:229], v[246:247], 0
	;; [unrolled: 1-line block ×8, first 2 shown]
	scratch_load_dwordx4 v[228:231], off, off offset:96
	v_add_f64 v[4:5], v[8:9], v[4:5]
	v_add_f64 v[254:255], v[4:5], v[10:11]
	;; [unrolled: 1-line block ×3, first 2 shown]
	v_accvgpr_read_b32 v6, a96
	v_add_f64 v[0:1], v[4:5], v[0:1]
	v_accvgpr_read_b32 v8, a98
	v_accvgpr_read_b32 v9, a99
	v_add_f64 v[0:1], v[0:1], v[238:239]
	v_accvgpr_read_b32 v7, a97
	v_mul_f64 v[4:5], v[86:87], v[8:9]
	v_add_f64 v[0:1], v[0:1], v[240:241]
	v_fma_f64 v[4:5], v[84:85], v[6:7], -v[4:5]
	v_add_f64 v[0:1], v[0:1], v[4:5]
	v_mul_f64 v[4:5], v[82:83], v[236:237]
	v_fma_f64 v[4:5], v[80:81], v[234:235], -v[4:5]
	v_add_f64 v[0:1], v[0:1], v[4:5]
	v_mul_f64 v[4:5], v[78:79], v[14:15]
	;; [unrolled: 3-line block ×27, first 2 shown]
	v_fma_f64 v[4:5], v[224:225], v[220:221], -v[4:5]
	v_add_f64 v[0:1], v[0:1], v[4:5]
	s_waitcnt vmcnt(0)
	v_add_f64 v[4:5], v[228:229], -v[0:1]
	v_accvgpr_read_b32 v0, a94
	v_add_f64 v[6:7], v[230:231], -v[242:243]
	v_cmp_lt_u32_e32 vcc, 4, v0
	scratch_store_dwordx4 off, v[4:7], off offset:96
	s_and_saveexec_b64 s[0:1], vcc
	s_cbranch_execz .LBB46_287
; %bb.286:
	scratch_load_dwordx4 v[6:9], off, s20
	v_mov_b32_e32 v3, v2
	v_mov_b32_e32 v4, v2
	;; [unrolled: 1-line block ×3, first 2 shown]
	v_accvgpr_read_b32 v0, a95
	scratch_store_dwordx4 off, v[2:5], off offset:80
	s_waitcnt vmcnt(1)
	ds_write_b128 v0, v[6:9]
.LBB46_287:
	s_or_b64 exec, exec, s[0:1]
	s_waitcnt lgkmcnt(0)
	; wave barrier
	scratch_load_dwordx4 v[88:91], off, off offset:96
	scratch_load_dwordx4 v[92:95], off, off offset:112
	;; [unrolled: 1-line block ×17, first 2 shown]
	ds_read_b128 v[212:215], v2 offset:832
	ds_read_b128 v[204:207], v2 offset:848
	;; [unrolled: 1-line block ×3, first 2 shown]
	scratch_load_dwordx4 v[20:23], off, off offset:368
	ds_read_b128 v[216:219], v2 offset:880
	ds_read_b128 v[208:211], v2 offset:896
	ds_read_b128 v[200:203], v2 offset:912
	ds_read_b128 v[184:187], v2 offset:928
	ds_read_b128 v[156:159], v2 offset:944
	scratch_load_dwordx4 v[24:27], off, off offset:384
	ds_read_b128 v[180:183], v2 offset:960
	ds_read_b128 v[160:163], v2 offset:976
	;; [unrolled: 1-line block ×3, first 2 shown]
	scratch_load_dwordx4 v[28:31], off, off offset:400
	ds_read_b128 v[172:175], v2 offset:1008
	ds_read_b128 v[148:151], v2 offset:1024
	;; [unrolled: 1-line block ×5, first 2 shown]
	scratch_load_dwordx4 v[36:39], off, off offset:416
	ds_read_b128 v[48:51], v2 offset:1088
	scratch_load_dwordx4 v[52:55], off, off offset:432
	scratch_load_dwordx4 v[56:59], off, off offset:448
	;; [unrolled: 1-line block ×9, first 2 shown]
	ds_read_b128 v[140:143], v2 offset:1104
	ds_read_b128 v[232:235], v2 offset:1168
	;; [unrolled: 1-line block ×3, first 2 shown]
	s_waitcnt vmcnt(29) lgkmcnt(14)
	v_mul_f64 v[0:1], v[212:213], v[90:91]
	s_waitcnt vmcnt(28)
	v_mul_f64 v[152:153], v[204:205], v[94:95]
	v_fmac_f64_e32 v[0:1], v[214:215], v[88:89]
	s_waitcnt vmcnt(27)
	v_mul_f64 v[154:155], v[196:197], v[98:99]
	v_fmac_f64_e32 v[152:153], v[206:207], v[92:93]
	v_add_f64 v[0:1], v[0:1], 0
	s_waitcnt vmcnt(26)
	v_mul_f64 v[164:165], v[216:217], v[102:103]
	v_fmac_f64_e32 v[154:155], v[198:199], v[96:97]
	v_add_f64 v[0:1], v[0:1], v[152:153]
	;; [unrolled: 4-line block ×4, first 2 shown]
	s_waitcnt vmcnt(23) lgkmcnt(13)
	v_mul_f64 v[170:171], v[184:185], v[114:115]
	v_fmac_f64_e32 v[168:169], v[202:203], v[108:109]
	v_add_f64 v[0:1], v[0:1], v[166:167]
	s_waitcnt vmcnt(22) lgkmcnt(12)
	v_mul_f64 v[176:177], v[156:157], v[118:119]
	v_fmac_f64_e32 v[170:171], v[186:187], v[112:113]
	v_add_f64 v[0:1], v[0:1], v[168:169]
	;; [unrolled: 4-line block ×10, first 2 shown]
	v_fmac_f64_e32 v[224:225], v[34:35], v[12:13]
	v_add_f64 v[0:1], v[0:1], v[222:223]
	ds_read_b128 v[220:223], v2 offset:1120
	v_add_f64 v[0:1], v[0:1], v[224:225]
	ds_read_b128 v[224:227], v2 offset:1136
	s_waitcnt vmcnt(13) lgkmcnt(5)
	v_mul_f64 v[164:165], v[48:49], v[18:19]
	scratch_load_dwordx4 v[152:155], off, off offset:576
	v_fmac_f64_e32 v[164:165], v[50:51], v[16:17]
	s_waitcnt vmcnt(13) lgkmcnt(4)
	v_mul_f64 v[168:169], v[140:141], v[22:23]
	v_add_f64 v[0:1], v[0:1], v[164:165]
	v_fmac_f64_e32 v[168:169], v[142:143], v[20:21]
	scratch_load_dwordx4 v[164:167], off, off offset:592
	v_add_f64 v[0:1], v[0:1], v[168:169]
	s_waitcnt vmcnt(13) lgkmcnt(1)
	v_mul_f64 v[176:177], v[220:221], v[26:27]
	scratch_load_dwordx4 v[168:171], off, off offset:608
	v_fmac_f64_e32 v[176:177], v[222:223], v[24:25]
	s_waitcnt vmcnt(13) lgkmcnt(0)
	v_mul_f64 v[188:189], v[224:225], v[30:31]
	v_add_f64 v[0:1], v[0:1], v[176:177]
	scratch_load_dwordx4 v[176:179], off, off offset:624
	v_fmac_f64_e32 v[188:189], v[226:227], v[28:29]
	v_add_f64 v[0:1], v[0:1], v[188:189]
	s_waitcnt vmcnt(13)
	v_mul_f64 v[188:189], v[228:229], v[38:39]
	v_fmac_f64_e32 v[188:189], v[230:231], v[36:37]
	v_add_f64 v[0:1], v[0:1], v[188:189]
	scratch_load_dwordx4 v[188:191], off, off offset:640
	s_waitcnt vmcnt(13)
	v_mul_f64 v[192:193], v[232:233], v[54:55]
	v_fmac_f64_e32 v[192:193], v[234:235], v[52:53]
	v_mul_f64 v[90:91], v[214:215], v[90:91]
	v_add_f64 v[0:1], v[0:1], v[192:193]
	scratch_load_dwordx4 v[192:195], off, off offset:656
	v_fma_f64 v[244:245], v[212:213], v[88:89], -v[90:91]
	v_mul_f64 v[88:89], v[206:207], v[94:95]
	ds_read_b128 v[236:239], v2 offset:1184
	ds_read_b128 v[212:215], v2 offset:1200
	v_fma_f64 v[246:247], v[204:205], v[92:93], -v[88:89]
	scratch_load_dwordx4 v[92:95], off, off offset:672
	scratch_load_dwordx4 v[88:91], off, off offset:688
	v_mul_f64 v[98:99], v[198:199], v[98:99]
	v_fma_f64 v[248:249], v[196:197], v[96:97], -v[98:99]
	scratch_load_dwordx4 v[96:99], off, off offset:704
	s_waitcnt vmcnt(16) lgkmcnt(1)
	v_mul_f64 v[204:205], v[236:237], v[58:59]
	v_mul_f64 v[102:103], v[218:219], v[102:103]
	v_fmac_f64_e32 v[204:205], v[238:239], v[56:57]
	v_fma_f64 v[216:217], v[216:217], v[100:101], -v[102:103]
	ds_read_b128 v[100:103], v2 offset:1216
	s_waitcnt vmcnt(15) lgkmcnt(1)
	v_mul_f64 v[196:197], v[212:213], v[62:63]
	v_add_f64 v[0:1], v[0:1], v[204:205]
	v_fmac_f64_e32 v[196:197], v[214:215], v[60:61]
	v_add_f64 v[0:1], v[0:1], v[196:197]
	ds_read_b128 v[196:199], v2 offset:1232
	v_mul_f64 v[106:107], v[210:211], v[106:107]
	v_fma_f64 v[218:219], v[208:209], v[104:105], -v[106:107]
	ds_read_b128 v[104:107], v2 offset:1248
	s_waitcnt vmcnt(14) lgkmcnt(2)
	v_mul_f64 v[204:205], v[100:101], v[66:67]
	v_fmac_f64_e32 v[204:205], v[102:103], v[64:65]
	v_add_f64 v[0:1], v[0:1], v[204:205]
	s_waitcnt vmcnt(13) lgkmcnt(1)
	v_mul_f64 v[204:205], v[196:197], v[70:71]
	v_mul_f64 v[110:111], v[202:203], v[110:111]
	v_fmac_f64_e32 v[204:205], v[198:199], v[68:69]
	v_fma_f64 v[250:251], v[200:201], v[108:109], -v[110:111]
	ds_read_b128 v[108:111], v2 offset:1264
	s_waitcnt vmcnt(12) lgkmcnt(1)
	v_mul_f64 v[200:201], v[104:105], v[74:75]
	v_add_f64 v[0:1], v[0:1], v[204:205]
	v_fmac_f64_e32 v[200:201], v[106:107], v[72:73]
	v_add_f64 v[0:1], v[0:1], v[200:201]
	ds_read_b128 v[200:203], v2 offset:1280
	v_mul_f64 v[114:115], v[186:187], v[114:115]
	v_fma_f64 v[252:253], v[184:185], v[112:113], -v[114:115]
	ds_read_b128 v[112:115], v2 offset:1296
	s_waitcnt vmcnt(11) lgkmcnt(2)
	v_mul_f64 v[184:185], v[108:109], v[78:79]
	v_fmac_f64_e32 v[184:185], v[110:111], v[76:77]
	v_add_f64 v[0:1], v[0:1], v[184:185]
	s_waitcnt vmcnt(10) lgkmcnt(1)
	v_mul_f64 v[184:185], v[200:201], v[82:83]
	v_mul_f64 v[118:119], v[158:159], v[118:119]
	v_fmac_f64_e32 v[184:185], v[202:203], v[80:81]
	v_fma_f64 v[254:255], v[156:157], v[116:117], -v[118:119]
	s_waitcnt vmcnt(9) lgkmcnt(0)
	v_mul_f64 v[156:157], v[112:113], v[86:87]
	v_add_f64 v[0:1], v[0:1], v[184:185]
	ds_read_b128 v[116:119], v2 offset:1312
	v_fmac_f64_e32 v[156:157], v[114:115], v[84:85]
	v_add_f64 v[0:1], v[0:1], v[156:157]
	ds_read_b128 v[156:159], v2 offset:1328
	v_mul_f64 v[122:123], v[182:183], v[122:123]
	v_fma_f64 v[240:241], v[180:181], v[120:121], -v[122:123]
	ds_read_b128 v[120:123], v2 offset:1344
	v_accvgpr_write_b32 a99, v7
	v_mul_f64 v[126:127], v[162:163], v[126:127]
	v_accvgpr_write_b32 a98, v6
	v_accvgpr_write_b32 a97, v5
	;; [unrolled: 1-line block ×3, first 2 shown]
	v_fma_f64 v[4:5], v[160:161], v[124:125], -v[126:127]
	ds_read_b128 v[124:127], v2 offset:1360
	s_waitcnt vmcnt(8) lgkmcnt(3)
	v_mul_f64 v[184:185], v[116:117], v[154:155]
	v_fmac_f64_e32 v[184:185], v[118:119], v[152:153]
	s_waitcnt vmcnt(7) lgkmcnt(2)
	v_mul_f64 v[180:181], v[156:157], v[166:167]
	v_add_f64 v[0:1], v[0:1], v[184:185]
	v_fmac_f64_e32 v[180:181], v[158:159], v[164:165]
	s_waitcnt vmcnt(6) lgkmcnt(1)
	v_mul_f64 v[6:7], v[120:121], v[170:171]
	ds_read_b128 v[160:163], v2 offset:1376
	v_add_f64 v[0:1], v[0:1], v[180:181]
	v_fmac_f64_e32 v[6:7], v[122:123], v[168:169]
	v_add_f64 v[0:1], v[0:1], v[6:7]
	s_waitcnt vmcnt(5) lgkmcnt(1)
	v_mul_f64 v[6:7], v[124:125], v[178:179]
	v_fmac_f64_e32 v[6:7], v[126:127], v[176:177]
	v_add_f64 v[0:1], v[0:1], v[6:7]
	v_mul_f64 v[6:7], v[146:147], v[130:131]
	v_fma_f64 v[6:7], v[144:145], v[128:129], -v[6:7]
	ds_read_b128 v[128:131], v2 offset:1392
	s_waitcnt vmcnt(4) lgkmcnt(1)
	v_mul_f64 v[144:145], v[160:161], v[190:191]
	v_fmac_f64_e32 v[144:145], v[162:163], v[188:189]
	v_add_f64 v[180:181], v[0:1], v[144:145]
	v_mul_f64 v[0:1], v[174:175], v[134:135]
	v_fma_f64 v[0:1], v[172:173], v[132:133], -v[0:1]
	ds_read_b128 v[132:135], v2 offset:1408
	ds_read_b128 v[144:147], v2 offset:1424
	v_mul_f64 v[138:139], v[150:151], v[138:139]
	v_fma_f64 v[242:243], v[148:149], v[136:137], -v[138:139]
	ds_read_b128 v[136:139], v2 offset:1440
	s_waitcnt vmcnt(3) lgkmcnt(3)
	v_mul_f64 v[172:173], v[128:129], v[194:195]
	v_fmac_f64_e32 v[172:173], v[130:131], v[192:193]
	s_waitcnt vmcnt(2) lgkmcnt(2)
	v_mul_f64 v[148:149], v[132:133], v[94:95]
	v_add_f64 v[172:173], v[180:181], v[172:173]
	v_fmac_f64_e32 v[148:149], v[134:135], v[92:93]
	s_waitcnt vmcnt(1) lgkmcnt(1)
	v_mul_f64 v[150:151], v[144:145], v[90:91]
	v_add_f64 v[148:149], v[172:173], v[148:149]
	v_fmac_f64_e32 v[150:151], v[146:147], v[88:89]
	v_add_f64 v[148:149], v[148:149], v[150:151]
	ds_read_b128 v[172:175], v2 offset:1456
	scratch_load_dwordx4 v[208:211], off, off offset:752
	s_waitcnt vmcnt(1) lgkmcnt(1)
	v_mul_f64 v[150:151], v[136:137], v[98:99]
	v_fmac_f64_e32 v[150:151], v[138:139], v[96:97]
	v_add_f64 v[180:181], v[148:149], v[150:151]
	scratch_load_dwordx4 v[148:151], off, off offset:720
	ds_read_b128 v[184:187], v2 offset:1472
	v_accvgpr_write_b32 a101, v1
	v_accvgpr_write_b32 a100, v0
	s_waitcnt vmcnt(0) lgkmcnt(1)
	v_mul_f64 v[182:183], v[172:173], v[150:151]
	v_fmac_f64_e32 v[182:183], v[174:175], v[148:149]
	v_add_f64 v[204:205], v[180:181], v[182:183]
	scratch_load_dwordx4 v[180:183], off, off offset:736
	s_waitcnt vmcnt(0) lgkmcnt(0)
	v_mul_f64 v[206:207], v[184:185], v[182:183]
	v_fmac_f64_e32 v[206:207], v[186:187], v[180:181]
	v_add_f64 v[0:1], v[204:205], v[206:207]
	ds_read_b128 v[204:207], v2 offset:1488
	s_waitcnt lgkmcnt(0)
	v_mul_f64 v[2:3], v[204:205], v[210:211]
	v_fmac_f64_e32 v[2:3], v[206:207], v[208:209]
	v_add_f64 v[2:3], v[0:1], v[2:3]
	v_add_f64 v[0:1], v[244:245], 0
	;; [unrolled: 1-line block ×6, first 2 shown]
	scratch_load_dwordx4 v[216:219], off, off offset:80
	v_add_f64 v[0:1], v[0:1], v[250:251]
	v_add_f64 v[0:1], v[0:1], v[252:253]
	;; [unrolled: 1-line block ×6, first 2 shown]
	v_accvgpr_read_b32 v0, a100
	v_accvgpr_read_b32 v1, a101
	v_add_f64 v[0:1], v[254:255], v[0:1]
	v_add_f64 v[0:1], v[0:1], v[242:243]
	v_accvgpr_read_b32 v243, a99
	v_accvgpr_read_b32 v242, a98
	;; [unrolled: 1-line block ×4, first 2 shown]
	v_mul_f64 v[4:5], v[46:47], v[242:243]
	v_fma_f64 v[4:5], v[44:45], v[240:241], -v[4:5]
	v_add_f64 v[0:1], v[0:1], v[4:5]
	v_mul_f64 v[4:5], v[42:43], v[10:11]
	v_fma_f64 v[4:5], v[40:41], v[8:9], -v[4:5]
	v_add_f64 v[0:1], v[0:1], v[4:5]
	;; [unrolled: 3-line block ×29, first 2 shown]
	s_waitcnt vmcnt(0)
	v_add_f64 v[4:5], v[216:217], -v[0:1]
	v_accvgpr_read_b32 v0, a94
	v_add_f64 v[6:7], v[218:219], -v[2:3]
	v_cmp_lt_u32_e32 vcc, 3, v0
	scratch_store_dwordx4 off, v[4:7], off offset:80
	s_and_saveexec_b64 s[0:1], vcc
	s_cbranch_execz .LBB46_289
; %bb.288:
	scratch_load_dwordx4 v[2:5], off, s13
	v_mov_b32_e32 v6, 0
	v_mov_b32_e32 v7, v6
	;; [unrolled: 1-line block ×4, first 2 shown]
	v_accvgpr_read_b32 v0, a95
	scratch_store_dwordx4 off, v[6:9], off offset:64
	s_waitcnt vmcnt(1)
	ds_write_b128 v0, v[2:5]
.LBB46_289:
	s_or_b64 exec, exec, s[0:1]
	s_waitcnt lgkmcnt(0)
	; wave barrier
	scratch_load_dwordx4 v[96:99], off, off offset:80
	scratch_load_dwordx4 v[100:103], off, off offset:96
	;; [unrolled: 1-line block ×30, first 2 shown]
	v_mov_b32_e32 v2, 0
	ds_read_b128 v[136:139], v2 offset:816
	ds_read_b128 v[144:147], v2 offset:832
	;; [unrolled: 1-line block ×20, first 2 shown]
	s_waitcnt vmcnt(29) lgkmcnt(14)
	v_mul_f64 v[0:1], v[136:137], v[98:99]
	s_waitcnt vmcnt(28)
	v_mul_f64 v[72:73], v[144:145], v[102:103]
	v_fmac_f64_e32 v[0:1], v[138:139], v[96:97]
	s_waitcnt vmcnt(27)
	v_mul_f64 v[74:75], v[148:149], v[106:107]
	v_fmac_f64_e32 v[72:73], v[146:147], v[100:101]
	v_add_f64 v[0:1], v[0:1], 0
	s_waitcnt vmcnt(26)
	v_mul_f64 v[76:77], v[164:165], v[110:111]
	v_fmac_f64_e32 v[74:75], v[150:151], v[104:105]
	v_add_f64 v[0:1], v[0:1], v[72:73]
	;; [unrolled: 4-line block ×4, first 2 shown]
	s_waitcnt vmcnt(23) lgkmcnt(13)
	v_mul_f64 v[82:83], v[200:201], v[158:159]
	v_fmac_f64_e32 v[80:81], v[190:191], v[152:153]
	v_add_f64 v[0:1], v[0:1], v[78:79]
	s_waitcnt vmcnt(22) lgkmcnt(12)
	v_mul_f64 v[84:85], v[208:209], v[162:163]
	v_fmac_f64_e32 v[82:83], v[202:203], v[156:157]
	v_add_f64 v[0:1], v[0:1], v[80:81]
	;; [unrolled: 4-line block ×9, first 2 shown]
	s_waitcnt vmcnt(14) lgkmcnt(4)
	v_mul_f64 v[120:121], v[68:69], v[6:7]
	v_fmac_f64_e32 v[118:119], v[244:245], v[204:205]
	v_accvgpr_write_b32 a99, v7
	v_add_f64 v[0:1], v[0:1], v[116:117]
	v_fmac_f64_e32 v[120:121], v[70:71], v[4:5]
	v_accvgpr_write_b32 a98, v6
	v_accvgpr_write_b32 a97, v5
	;; [unrolled: 1-line block ×3, first 2 shown]
	v_add_f64 v[0:1], v[0:1], v[118:119]
	ds_read_b128 v[116:119], v2 offset:1088
	s_waitcnt vmcnt(13)
	v_mov_b64_e32 v[4:5], v[8:9]
	v_mov_b64_e32 v[6:7], v[10:11]
	s_waitcnt lgkmcnt(4)
	v_mul_f64 v[76:77], v[64:65], v[6:7]
	scratch_load_dwordx4 v[72:75], off, off offset:560
	v_add_f64 v[0:1], v[0:1], v[120:121]
	v_fmac_f64_e32 v[76:77], v[66:67], v[4:5]
	v_add_f64 v[0:1], v[0:1], v[76:77]
	scratch_load_dwordx4 v[76:79], off, off offset:576
	ds_read_b128 v[120:123], v2 offset:1104
	s_waitcnt vmcnt(14) lgkmcnt(1)
	v_mul_f64 v[80:81], v[116:117], v[236:237]
	v_fmac_f64_e32 v[80:81], v[118:119], v[234:235]
	v_add_f64 v[0:1], v[0:1], v[80:81]
	scratch_load_dwordx4 v[80:83], off, off offset:592
	s_waitcnt vmcnt(14) lgkmcnt(0)
	v_mul_f64 v[84:85], v[120:121], v[18:19]
	v_fmac_f64_e32 v[84:85], v[122:123], v[16:17]
	s_waitcnt vmcnt(13)
	v_mul_f64 v[88:89], v[124:125], v[22:23]
	v_add_f64 v[0:1], v[0:1], v[84:85]
	v_fmac_f64_e32 v[88:89], v[126:127], v[20:21]
	scratch_load_dwordx4 v[84:87], off, off offset:608
	v_add_f64 v[0:1], v[0:1], v[88:89]
	s_waitcnt vmcnt(13)
	v_mul_f64 v[88:89], v[128:129], v[26:27]
	v_fmac_f64_e32 v[88:89], v[130:131], v[24:25]
	v_add_f64 v[0:1], v[0:1], v[88:89]
	scratch_load_dwordx4 v[88:91], off, off offset:624
	s_waitcnt vmcnt(13)
	v_mul_f64 v[92:93], v[132:133], v[30:31]
	v_fmac_f64_e32 v[92:93], v[134:135], v[28:29]
	v_add_f64 v[0:1], v[0:1], v[92:93]
	scratch_load_dwordx4 v[92:95], off, off offset:640
	v_mul_f64 v[98:99], v[138:139], v[98:99]
	v_fma_f64 v[246:247], v[136:137], v[96:97], -v[98:99]
	v_mul_f64 v[96:97], v[146:147], v[102:103]
	ds_read_b128 v[140:143], v2 offset:1168
	ds_read_b128 v[136:139], v2 offset:1184
	v_fma_f64 v[248:249], v[144:145], v[100:101], -v[96:97]
	scratch_load_dwordx4 v[100:103], off, off offset:656
	scratch_load_dwordx4 v[96:99], off, off offset:672
	s_waitcnt vmcnt(15) lgkmcnt(1)
	v_mul_f64 v[144:145], v[140:141], v[34:35]
	v_fmac_f64_e32 v[144:145], v[142:143], v[32:33]
	v_mul_f64 v[106:107], v[150:151], v[106:107]
	v_add_f64 v[0:1], v[0:1], v[144:145]
	s_waitcnt vmcnt(14) lgkmcnt(0)
	v_mul_f64 v[144:145], v[136:137], v[38:39]
	v_fma_f64 v[250:251], v[148:149], v[104:105], -v[106:107]
	v_mul_f64 v[104:105], v[166:167], v[110:111]
	v_fmac_f64_e32 v[144:145], v[138:139], v[36:37]
	v_fma_f64 v[252:253], v[164:165], v[108:109], -v[104:105]
	scratch_load_dwordx4 v[104:107], off, off offset:688
	v_add_f64 v[0:1], v[0:1], v[144:145]
	ds_read_b128 v[144:147], v2 offset:1200
	ds_read_b128 v[148:151], v2 offset:1216
	v_mul_f64 v[108:109], v[178:179], v[114:115]
	v_fma_f64 v[254:255], v[176:177], v[112:113], -v[108:109]
	scratch_load_dwordx4 v[108:111], off, off offset:704
	s_waitcnt vmcnt(15) lgkmcnt(1)
	v_mul_f64 v[112:113], v[144:145], v[42:43]
	v_fmac_f64_e32 v[112:113], v[146:147], v[40:41]
	v_add_f64 v[0:1], v[0:1], v[112:113]
	v_mul_f64 v[112:113], v[190:191], v[154:155]
	v_fma_f64 v[232:233], v[188:189], v[152:153], -v[112:113]
	scratch_load_dwordx4 v[112:115], off, off offset:720
	ds_read_b128 v[152:155], v2 offset:1232
	s_waitcnt vmcnt(15) lgkmcnt(1)
	v_mul_f64 v[164:165], v[148:149], v[46:47]
	v_mul_f64 v[158:159], v[202:203], v[158:159]
	v_fmac_f64_e32 v[164:165], v[150:151], v[44:45]
	v_fma_f64 v[12:13], v[200:201], v[156:157], -v[158:159]
	ds_read_b128 v[156:159], v2 offset:1248
	s_waitcnt vmcnt(14) lgkmcnt(1)
	v_mul_f64 v[6:7], v[152:153], v[50:51]
	v_add_f64 v[0:1], v[0:1], v[164:165]
	v_fmac_f64_e32 v[6:7], v[154:155], v[48:49]
	v_accvgpr_write_b32 a103, v11
	v_add_f64 v[0:1], v[0:1], v[6:7]
	v_mul_f64 v[6:7], v[210:211], v[162:163]
	v_accvgpr_write_b32 a102, v10
	v_accvgpr_write_b32 a101, v9
	;; [unrolled: 1-line block ×3, first 2 shown]
	v_fma_f64 v[8:9], v[208:209], v[160:161], -v[6:7]
	ds_read_b128 v[160:163], v2 offset:1264
	ds_read_b128 v[164:167], v2 offset:1280
	s_waitcnt vmcnt(13) lgkmcnt(2)
	v_mul_f64 v[6:7], v[156:157], v[54:55]
	v_fmac_f64_e32 v[6:7], v[158:159], v[52:53]
	v_add_f64 v[0:1], v[0:1], v[6:7]
	s_waitcnt vmcnt(12) lgkmcnt(1)
	v_mul_f64 v[6:7], v[160:161], v[62:63]
	v_fmac_f64_e32 v[6:7], v[162:163], v[60:61]
	v_add_f64 v[0:1], v[0:1], v[6:7]
	v_mul_f64 v[6:7], v[214:215], v[170:171]
	v_fma_f64 v[10:11], v[212:213], v[168:169], -v[6:7]
	s_waitcnt vmcnt(11) lgkmcnt(0)
	v_mul_f64 v[6:7], v[164:165], v[58:59]
	v_fmac_f64_e32 v[6:7], v[166:167], v[56:57]
	ds_read_b128 v[168:171], v2 offset:1296
	v_add_f64 v[0:1], v[0:1], v[6:7]
	v_mul_f64 v[6:7], v[218:219], v[174:175]
	v_fma_f64 v[4:5], v[216:217], v[172:173], -v[6:7]
	ds_read_b128 v[172:175], v2 offset:1312
	s_waitcnt vmcnt(10) lgkmcnt(1)
	v_mul_f64 v[6:7], v[168:169], v[74:75]
	ds_read_b128 v[176:179], v2 offset:1328
	v_fmac_f64_e32 v[6:7], v[170:171], v[72:73]
	v_add_f64 v[0:1], v[0:1], v[6:7]
	s_waitcnt vmcnt(9) lgkmcnt(1)
	v_mul_f64 v[6:7], v[172:173], v[78:79]
	v_fmac_f64_e32 v[6:7], v[174:175], v[76:77]
	v_add_f64 v[0:1], v[0:1], v[6:7]
	v_mul_f64 v[6:7], v[222:223], v[182:183]
	v_fma_f64 v[14:15], v[220:221], v[180:181], -v[6:7]
	ds_read_b128 v[180:183], v2 offset:1344
	s_waitcnt vmcnt(8) lgkmcnt(1)
	v_mul_f64 v[6:7], v[176:177], v[82:83]
	v_fmac_f64_e32 v[6:7], v[178:179], v[80:81]
	v_add_f64 v[0:1], v[0:1], v[6:7]
	v_mul_f64 v[6:7], v[226:227], v[186:187]
	v_fma_f64 v[6:7], v[224:225], v[184:185], -v[6:7]
	ds_read_b128 v[184:187], v2 offset:1360
	s_waitcnt vmcnt(7) lgkmcnt(1)
	v_mul_f64 v[188:189], v[180:181], v[86:87]
	v_fmac_f64_e32 v[188:189], v[182:183], v[84:85]
	v_add_f64 v[0:1], v[0:1], v[188:189]
	ds_read_b128 v[188:191], v2 offset:1376
	s_waitcnt vmcnt(6) lgkmcnt(1)
	v_mul_f64 v[200:201], v[184:185], v[90:91]
	v_fmac_f64_e32 v[200:201], v[186:187], v[88:89]
	v_add_f64 v[200:201], v[0:1], v[200:201]
	v_mul_f64 v[0:1], v[230:231], v[194:195]
	v_fma_f64 v[0:1], v[228:229], v[192:193], -v[0:1]
	ds_read_b128 v[192:195], v2 offset:1392
	s_waitcnt vmcnt(5) lgkmcnt(1)
	v_mul_f64 v[202:203], v[188:189], v[94:95]
	v_fmac_f64_e32 v[202:203], v[190:191], v[92:93]
	v_mul_f64 v[198:199], v[240:241], v[198:199]
	v_fma_f64 v[238:239], v[238:239], v[196:197], -v[198:199]
	ds_read_b128 v[196:199], v2 offset:1408
	v_add_f64 v[200:201], v[200:201], v[202:203]
	s_waitcnt vmcnt(4) lgkmcnt(1)
	v_mul_f64 v[202:203], v[192:193], v[102:103]
	v_fmac_f64_e32 v[202:203], v[194:195], v[100:101]
	v_add_f64 v[208:209], v[200:201], v[202:203]
	ds_read_b128 v[200:203], v2 offset:1424
	v_mul_f64 v[206:207], v[244:245], v[206:207]
	v_fma_f64 v[240:241], v[242:243], v[204:205], -v[206:207]
	ds_read_b128 v[204:207], v2 offset:1440
	s_waitcnt vmcnt(3) lgkmcnt(2)
	v_mul_f64 v[210:211], v[196:197], v[98:99]
	v_fmac_f64_e32 v[210:211], v[198:199], v[96:97]
	v_add_f64 v[208:209], v[208:209], v[210:211]
	s_waitcnt vmcnt(2) lgkmcnt(1)
	v_mul_f64 v[210:211], v[200:201], v[106:107]
	v_fmac_f64_e32 v[210:211], v[202:203], v[104:105]
	v_add_f64 v[208:209], v[208:209], v[210:211]
	;; [unrolled: 4-line block ×3, first 2 shown]
	ds_read_b128 v[208:211], v2 offset:1456
	ds_read_b128 v[216:219], v2 offset:1472
	;; [unrolled: 1-line block ×3, first 2 shown]
	s_waitcnt vmcnt(0) lgkmcnt(2)
	v_mul_f64 v[214:215], v[208:209], v[114:115]
	v_fmac_f64_e32 v[214:215], v[210:211], v[112:113]
	v_add_f64 v[220:221], v[212:213], v[214:215]
	scratch_load_dwordx4 v[212:215], off, off offset:736
	s_waitcnt vmcnt(0) lgkmcnt(1)
	v_mul_f64 v[222:223], v[216:217], v[214:215]
	v_fmac_f64_e32 v[222:223], v[218:219], v[212:213]
	v_add_f64 v[228:229], v[220:221], v[222:223]
	scratch_load_dwordx4 v[220:223], off, off offset:752
	s_waitcnt vmcnt(0) lgkmcnt(0)
	v_mul_f64 v[230:231], v[224:225], v[222:223]
	v_fmac_f64_e32 v[230:231], v[226:227], v[220:221]
	v_add_f64 v[242:243], v[228:229], v[230:231]
	v_add_f64 v[228:229], v[246:247], 0
	;; [unrolled: 1-line block ×8, first 2 shown]
	scratch_load_dwordx4 v[228:231], off, off offset:64
	v_add_f64 v[8:9], v[12:13], v[8:9]
	v_add_f64 v[8:9], v[8:9], v[10:11]
	;; [unrolled: 1-line block ×5, first 2 shown]
	v_accvgpr_read_b32 v6, a96
	v_accvgpr_read_b32 v8, a98
	;; [unrolled: 1-line block ×3, first 2 shown]
	v_add_f64 v[0:1], v[4:5], v[0:1]
	v_accvgpr_read_b32 v7, a97
	v_mul_f64 v[4:5], v[70:71], v[8:9]
	v_add_f64 v[0:1], v[0:1], v[238:239]
	v_fma_f64 v[4:5], v[68:69], v[6:7], -v[4:5]
	v_accvgpr_read_b32 v6, a100
	v_add_f64 v[0:1], v[0:1], v[240:241]
	v_accvgpr_read_b32 v8, a102
	v_accvgpr_read_b32 v9, a103
	v_add_f64 v[0:1], v[0:1], v[4:5]
	v_accvgpr_read_b32 v7, a101
	v_mul_f64 v[4:5], v[66:67], v[8:9]
	v_fma_f64 v[4:5], v[64:65], v[6:7], -v[4:5]
	v_add_f64 v[0:1], v[0:1], v[4:5]
	v_mul_f64 v[4:5], v[118:119], v[236:237]
	v_fma_f64 v[4:5], v[116:117], v[234:235], -v[4:5]
	v_add_f64 v[0:1], v[0:1], v[4:5]
	;; [unrolled: 3-line block ×27, first 2 shown]
	s_waitcnt vmcnt(0)
	v_add_f64 v[4:5], v[228:229], -v[0:1]
	v_accvgpr_read_b32 v0, a94
	v_add_f64 v[6:7], v[230:231], -v[242:243]
	v_cmp_lt_u32_e32 vcc, 2, v0
	scratch_store_dwordx4 off, v[4:7], off offset:64
	s_and_saveexec_b64 s[0:1], vcc
	s_cbranch_execz .LBB46_291
; %bb.290:
	scratch_load_dwordx4 v[6:9], off, s12
	v_mov_b32_e32 v3, v2
	v_mov_b32_e32 v4, v2
	;; [unrolled: 1-line block ×3, first 2 shown]
	v_accvgpr_read_b32 v0, a95
	scratch_store_dwordx4 off, v[2:5], off offset:48
	s_waitcnt vmcnt(1)
	ds_write_b128 v0, v[6:9]
.LBB46_291:
	s_or_b64 exec, exec, s[0:1]
	s_waitcnt lgkmcnt(0)
	; wave barrier
	scratch_load_dwordx4 v[72:75], off, off offset:64
	scratch_load_dwordx4 v[76:79], off, off offset:80
	;; [unrolled: 1-line block ×17, first 2 shown]
	ds_read_b128 v[176:179], v2 offset:800
	ds_read_b128 v[192:195], v2 offset:816
	;; [unrolled: 1-line block ×3, first 2 shown]
	scratch_load_dwordx4 v[20:23], off, off offset:336
	ds_read_b128 v[236:239], v2 offset:848
	ds_read_b128 v[232:235], v2 offset:864
	;; [unrolled: 1-line block ×5, first 2 shown]
	scratch_load_dwordx4 v[168:171], off, off offset:352
	ds_read_b128 v[224:227], v2 offset:928
	ds_read_b128 v[212:215], v2 offset:944
	ds_read_b128 v[200:203], v2 offset:960
	scratch_load_dwordx4 v[12:15], off, off offset:368
	ds_read_b128 v[216:219], v2 offset:976
	ds_read_b128 v[204:207], v2 offset:992
	;; [unrolled: 1-line block ×5, first 2 shown]
	scratch_load_dwordx4 v[28:31], off, off offset:384
	ds_read_b128 v[32:35], v2 offset:1056
	scratch_load_dwordx4 v[36:39], off, off offset:400
	scratch_load_dwordx4 v[40:43], off, off offset:416
	;; [unrolled: 1-line block ×9, first 2 shown]
	ds_read_b128 v[132:135], v2 offset:1072
	s_waitcnt lgkmcnt(2)
	v_accvgpr_write_b32 a103, v19
	v_accvgpr_write_b32 a102, v18
	;; [unrolled: 1-line block ×4, first 2 shown]
	ds_read_b128 v[172:175], v2 offset:1136
	s_waitcnt vmcnt(29)
	v_mul_f64 v[0:1], v[176:177], v[74:75]
	s_waitcnt vmcnt(28)
	v_mul_f64 v[136:137], v[192:193], v[78:79]
	v_fmac_f64_e32 v[0:1], v[178:179], v[72:73]
	s_waitcnt vmcnt(27)
	v_mul_f64 v[138:139], v[188:189], v[82:83]
	v_fmac_f64_e32 v[136:137], v[194:195], v[76:77]
	v_add_f64 v[0:1], v[0:1], 0
	s_waitcnt vmcnt(26)
	v_mul_f64 v[140:141], v[236:237], v[86:87]
	v_fmac_f64_e32 v[138:139], v[190:191], v[80:81]
	v_add_f64 v[0:1], v[0:1], v[136:137]
	;; [unrolled: 4-line block ×14, first 2 shown]
	v_fmac_f64_e32 v[164:165], v[18:19], v[4:5]
	v_add_f64 v[0:1], v[0:1], v[162:163]
	s_waitcnt vmcnt(13) lgkmcnt(2)
	v_mul_f64 v[140:141], v[32:33], v[26:27]
	scratch_load_dwordx4 v[136:139], off, off offset:544
	v_add_f64 v[0:1], v[0:1], v[164:165]
	v_fmac_f64_e32 v[140:141], v[34:35], v[24:25]
	v_add_f64 v[0:1], v[0:1], v[140:141]
	ds_read_b128 v[160:163], v2 offset:1088
	scratch_load_dwordx4 v[140:143], off, off offset:560
	ds_read_b128 v[164:167], v2 offset:1104
	s_waitcnt vmcnt(13)
	v_mov_b64_e32 v[16:17], v[168:169]
	v_mov_b64_e32 v[18:19], v[170:171]
	ds_read_b128 v[168:171], v2 offset:1120
	s_waitcnt lgkmcnt(4)
	v_mul_f64 v[144:145], v[132:133], v[22:23]
	v_fmac_f64_e32 v[144:145], v[134:135], v[20:21]
	s_waitcnt lgkmcnt(2)
	v_mul_f64 v[148:149], v[160:161], v[18:19]
	v_add_f64 v[0:1], v[0:1], v[144:145]
	v_fmac_f64_e32 v[148:149], v[162:163], v[16:17]
	s_waitcnt vmcnt(12) lgkmcnt(1)
	v_mul_f64 v[152:153], v[164:165], v[14:15]
	scratch_load_dwordx4 v[144:147], off, off offset:576
	v_add_f64 v[0:1], v[0:1], v[148:149]
	v_fmac_f64_e32 v[152:153], v[166:167], v[12:13]
	scratch_load_dwordx4 v[148:151], off, off offset:592
	v_add_f64 v[0:1], v[0:1], v[152:153]
	s_waitcnt vmcnt(13) lgkmcnt(0)
	v_mul_f64 v[152:153], v[168:169], v[30:31]
	v_fmac_f64_e32 v[152:153], v[170:171], v[28:29]
	v_add_f64 v[0:1], v[0:1], v[152:153]
	scratch_load_dwordx4 v[152:155], off, off offset:608
	s_waitcnt vmcnt(13)
	v_mul_f64 v[156:157], v[172:173], v[38:39]
	v_fmac_f64_e32 v[156:157], v[174:175], v[36:37]
	v_mul_f64 v[74:75], v[178:179], v[74:75]
	v_add_f64 v[0:1], v[0:1], v[156:157]
	scratch_load_dwordx4 v[156:159], off, off offset:624
	v_fma_f64 v[244:245], v[176:177], v[72:73], -v[74:75]
	v_mul_f64 v[72:73], v[194:195], v[78:79]
	ds_read_b128 v[180:183], v2 offset:1152
	ds_read_b128 v[176:179], v2 offset:1168
	v_fma_f64 v[246:247], v[192:193], v[76:77], -v[72:73]
	scratch_load_dwordx4 v[76:79], off, off offset:640
	scratch_load_dwordx4 v[72:75], off, off offset:656
	v_mul_f64 v[82:83], v[190:191], v[82:83]
	v_fma_f64 v[248:249], v[188:189], v[80:81], -v[82:83]
	v_mul_f64 v[80:81], v[238:239], v[86:87]
	v_fma_f64 v[236:237], v[236:237], v[84:85], -v[80:81]
	scratch_load_dwordx4 v[80:83], off, off offset:672
	ds_read_b128 v[188:191], v2 offset:1184
	v_mul_f64 v[84:85], v[234:235], v[90:91]
	s_waitcnt vmcnt(16) lgkmcnt(2)
	v_mul_f64 v[192:193], v[180:181], v[42:43]
	v_fma_f64 v[238:239], v[232:233], v[88:89], -v[84:85]
	scratch_load_dwordx4 v[84:87], off, off offset:688
	v_fmac_f64_e32 v[192:193], v[182:183], v[40:41]
	v_add_f64 v[0:1], v[0:1], v[192:193]
	s_waitcnt vmcnt(16) lgkmcnt(1)
	v_mul_f64 v[192:193], v[176:177], v[46:47]
	v_fmac_f64_e32 v[192:193], v[178:179], v[44:45]
	v_add_f64 v[0:1], v[0:1], v[192:193]
	ds_read_b128 v[192:195], v2 offset:1200
	s_waitcnt vmcnt(15) lgkmcnt(1)
	v_mul_f64 v[88:89], v[188:189], v[50:51]
	v_fmac_f64_e32 v[88:89], v[190:191], v[48:49]
	v_add_f64 v[0:1], v[0:1], v[88:89]
	v_mul_f64 v[88:89], v[230:231], v[94:95]
	v_fma_f64 v[250:251], v[228:229], v[92:93], -v[88:89]
	scratch_load_dwordx4 v[88:91], off, off offset:704
	scratch_load_dwordx4 v[232:235], off, off offset:752
	ds_read_b128 v[92:95], v2 offset:1216
	v_mul_f64 v[98:99], v[222:223], v[98:99]
	v_fma_f64 v[252:253], v[220:221], v[96:97], -v[98:99]
	ds_read_b128 v[96:99], v2 offset:1232
	v_mul_f64 v[102:103], v[210:211], v[102:103]
	s_waitcnt vmcnt(16) lgkmcnt(2)
	v_mul_f64 v[228:229], v[192:193], v[54:55]
	v_fma_f64 v[254:255], v[208:209], v[100:101], -v[102:103]
	ds_read_b128 v[100:103], v2 offset:1248
	ds_read_b128 v[208:211], v2 offset:1264
	v_fmac_f64_e32 v[228:229], v[194:195], v[52:53]
	s_waitcnt vmcnt(15) lgkmcnt(3)
	v_mul_f64 v[220:221], v[92:93], v[58:59]
	v_add_f64 v[0:1], v[0:1], v[228:229]
	v_fmac_f64_e32 v[220:221], v[94:95], v[56:57]
	v_mul_f64 v[106:107], v[226:227], v[106:107]
	v_add_f64 v[0:1], v[0:1], v[220:221]
	s_waitcnt vmcnt(14) lgkmcnt(2)
	v_mul_f64 v[220:221], v[96:97], v[62:63]
	v_fma_f64 v[240:241], v[224:225], v[104:105], -v[106:107]
	ds_read_b128 v[104:107], v2 offset:1280
	v_fmac_f64_e32 v[220:221], v[98:99], v[60:61]
	v_mul_f64 v[110:111], v[214:215], v[110:111]
	v_add_f64 v[0:1], v[0:1], v[220:221]
	s_waitcnt vmcnt(13) lgkmcnt(2)
	v_mul_f64 v[220:221], v[100:101], v[70:71]
	v_fma_f64 v[8:9], v[212:213], v[108:109], -v[110:111]
	ds_read_b128 v[108:111], v2 offset:1296
	v_fmac_f64_e32 v[220:221], v[102:103], v[68:69]
	v_accvgpr_write_b32 a99, v7
	v_add_f64 v[0:1], v[0:1], v[220:221]
	s_waitcnt vmcnt(12) lgkmcnt(2)
	v_mul_f64 v[220:221], v[208:209], v[66:67]
	v_accvgpr_write_b32 a98, v6
	v_accvgpr_write_b32 a97, v5
	;; [unrolled: 1-line block ×3, first 2 shown]
	v_fmac_f64_e32 v[220:221], v[210:211], v[64:65]
	s_waitcnt vmcnt(11) lgkmcnt(1)
	v_mul_f64 v[6:7], v[104:105], v[138:139]
	v_add_f64 v[0:1], v[0:1], v[220:221]
	v_fmac_f64_e32 v[6:7], v[106:107], v[136:137]
	v_add_f64 v[0:1], v[0:1], v[6:7]
	s_waitcnt vmcnt(10) lgkmcnt(0)
	v_mul_f64 v[6:7], v[108:109], v[142:143]
	v_fmac_f64_e32 v[6:7], v[110:111], v[140:141]
	ds_read_b128 v[212:215], v2 offset:1312
	v_add_f64 v[0:1], v[0:1], v[6:7]
	v_mul_f64 v[6:7], v[202:203], v[114:115]
	v_fma_f64 v[6:7], v[200:201], v[112:113], -v[6:7]
	ds_read_b128 v[112:115], v2 offset:1328
	v_mul_f64 v[118:119], v[218:219], v[118:119]
	v_fma_f64 v[4:5], v[216:217], v[116:117], -v[118:119]
	ds_read_b128 v[116:119], v2 offset:1344
	s_waitcnt vmcnt(9) lgkmcnt(2)
	v_mul_f64 v[200:201], v[212:213], v[146:147]
	v_fmac_f64_e32 v[200:201], v[214:215], v[144:145]
	s_waitcnt vmcnt(8) lgkmcnt(1)
	v_mul_f64 v[10:11], v[112:113], v[150:151]
	v_add_f64 v[0:1], v[0:1], v[200:201]
	v_fmac_f64_e32 v[10:11], v[114:115], v[148:149]
	v_add_f64 v[0:1], v[0:1], v[10:11]
	ds_read_b128 v[200:203], v2 offset:1360
	s_waitcnt vmcnt(7) lgkmcnt(1)
	v_mul_f64 v[10:11], v[116:117], v[154:155]
	v_fmac_f64_e32 v[10:11], v[118:119], v[152:153]
	v_add_f64 v[10:11], v[0:1], v[10:11]
	v_mul_f64 v[0:1], v[206:207], v[122:123]
	v_fma_f64 v[0:1], v[204:205], v[120:121], -v[0:1]
	ds_read_b128 v[120:123], v2 offset:1376
	v_mul_f64 v[126:127], v[198:199], v[126:127]
	v_fma_f64 v[124:125], v[196:197], v[124:125], -v[126:127]
	s_waitcnt vmcnt(6) lgkmcnt(1)
	v_mul_f64 v[204:205], v[200:201], v[158:159]
	v_accvgpr_write_b32 a104, v124
	v_fmac_f64_e32 v[204:205], v[202:203], v[156:157]
	v_accvgpr_write_b32 a105, v125
	ds_read_b128 v[124:127], v2 offset:1392
	s_waitcnt vmcnt(5) lgkmcnt(1)
	v_mul_f64 v[196:197], v[120:121], v[78:79]
	v_add_f64 v[10:11], v[10:11], v[204:205]
	v_fmac_f64_e32 v[196:197], v[122:123], v[76:77]
	v_add_f64 v[10:11], v[10:11], v[196:197]
	ds_read_b128 v[196:199], v2 offset:1408
	v_mul_f64 v[130:131], v[186:187], v[130:131]
	v_fma_f64 v[242:243], v[184:185], v[128:129], -v[130:131]
	ds_read_b128 v[128:131], v2 offset:1424
	s_waitcnt vmcnt(4) lgkmcnt(2)
	v_mul_f64 v[184:185], v[124:125], v[74:75]
	v_fmac_f64_e32 v[184:185], v[126:127], v[72:73]
	v_add_f64 v[10:11], v[10:11], v[184:185]
	s_waitcnt vmcnt(3) lgkmcnt(1)
	v_mul_f64 v[184:185], v[196:197], v[82:83]
	v_fmac_f64_e32 v[184:185], v[198:199], v[80:81]
	v_add_f64 v[10:11], v[10:11], v[184:185]
	;; [unrolled: 4-line block ×3, first 2 shown]
	ds_read_b128 v[184:187], v2 offset:1440
	ds_read_b128 v[216:219], v2 offset:1456
	ds_read_b128 v[224:227], v2 offset:1472
	s_waitcnt vmcnt(1) lgkmcnt(2)
	v_mul_f64 v[204:205], v[184:185], v[90:91]
	v_fmac_f64_e32 v[204:205], v[186:187], v[88:89]
	v_add_f64 v[10:11], v[10:11], v[204:205]
	scratch_load_dwordx4 v[204:207], off, off offset:720
	s_waitcnt vmcnt(0) lgkmcnt(1)
	v_mul_f64 v[220:221], v[216:217], v[206:207]
	v_fmac_f64_e32 v[220:221], v[218:219], v[204:205]
	v_add_f64 v[10:11], v[10:11], v[220:221]
	scratch_load_dwordx4 v[220:223], off, off offset:736
	s_waitcnt vmcnt(0) lgkmcnt(0)
	v_mul_f64 v[228:229], v[224:225], v[222:223]
	v_fmac_f64_e32 v[228:229], v[226:227], v[220:221]
	v_add_f64 v[10:11], v[10:11], v[228:229]
	ds_read_b128 v[228:231], v2 offset:1488
	s_waitcnt lgkmcnt(0)
	v_mul_f64 v[2:3], v[228:229], v[234:235]
	v_fmac_f64_e32 v[2:3], v[230:231], v[232:233]
	v_add_f64 v[2:3], v[10:11], v[2:3]
	v_add_f64 v[10:11], v[244:245], 0
	;; [unrolled: 1-line block ×6, first 2 shown]
	scratch_load_dwordx4 v[236:239], off, off offset:48
	v_add_f64 v[10:11], v[10:11], v[250:251]
	v_add_f64 v[10:11], v[10:11], v[252:253]
	;; [unrolled: 1-line block ×8, first 2 shown]
	v_accvgpr_read_b32 v0, a104
	v_accvgpr_read_b32 v1, a105
	v_add_f64 v[0:1], v[254:255], v[0:1]
	v_add_f64 v[0:1], v[0:1], v[242:243]
	v_accvgpr_read_b32 v6, a96
	v_accvgpr_read_b32 v243, a103
	;; [unrolled: 1-line block ×8, first 2 shown]
	v_mul_f64 v[4:5], v[242:243], v[8:9]
	v_fma_f64 v[4:5], v[240:241], v[6:7], -v[4:5]
	v_add_f64 v[0:1], v[0:1], v[4:5]
	v_mul_f64 v[4:5], v[34:35], v[26:27]
	v_fma_f64 v[4:5], v[32:33], v[24:25], -v[4:5]
	v_add_f64 v[0:1], v[0:1], v[4:5]
	;; [unrolled: 3-line block ×29, first 2 shown]
	s_waitcnt vmcnt(0)
	v_add_f64 v[4:5], v[236:237], -v[0:1]
	v_accvgpr_read_b32 v0, a94
	v_add_f64 v[6:7], v[238:239], -v[2:3]
	v_cmp_lt_u32_e32 vcc, 1, v0
	scratch_store_dwordx4 off, v[4:7], off offset:48
	s_and_saveexec_b64 s[0:1], vcc
	s_cbranch_execz .LBB46_293
; %bb.292:
	scratch_load_dwordx4 v[2:5], off, s23
	v_mov_b32_e32 v6, 0
	v_mov_b32_e32 v7, v6
	;; [unrolled: 1-line block ×4, first 2 shown]
	v_accvgpr_read_b32 v0, a95
	scratch_store_dwordx4 off, v[6:9], off offset:32
	s_waitcnt vmcnt(1)
	ds_write_b128 v0, v[2:5]
.LBB46_293:
	s_or_b64 exec, exec, s[0:1]
	s_waitcnt lgkmcnt(0)
	; wave barrier
	scratch_load_dwordx4 v[80:83], off, off offset:48
	scratch_load_dwordx4 v[84:87], off, off offset:64
	;; [unrolled: 1-line block ×29, first 2 shown]
	v_mov_b32_e32 v2, 0
	ds_read_b128 v[132:135], v2 offset:784
	ds_read_b128 v[136:139], v2 offset:800
	;; [unrolled: 1-line block ×22, first 2 shown]
	s_waitcnt vmcnt(28) lgkmcnt(14)
	v_mul_f64 v[0:1], v[132:133], v[82:83]
	s_waitcnt vmcnt(27)
	v_mul_f64 v[56:57], v[136:137], v[86:87]
	v_fmac_f64_e32 v[0:1], v[134:135], v[80:81]
	s_waitcnt vmcnt(26)
	v_mul_f64 v[58:59], v[140:141], v[90:91]
	v_fmac_f64_e32 v[56:57], v[138:139], v[84:85]
	v_add_f64 v[0:1], v[0:1], 0
	s_waitcnt vmcnt(25)
	v_mul_f64 v[60:61], v[148:149], v[94:95]
	v_fmac_f64_e32 v[58:59], v[142:143], v[88:89]
	v_add_f64 v[0:1], v[0:1], v[56:57]
	;; [unrolled: 4-line block ×6, first 2 shown]
	s_waitcnt vmcnt(20) lgkmcnt(13)
	v_mul_f64 v[70:71], v[204:205], v[154:155]
	v_fmac_f64_e32 v[68:69], v[198:199], v[144:145]
	v_add_f64 v[0:1], v[0:1], v[66:67]
	s_waitcnt vmcnt(19) lgkmcnt(12)
	v_mul_f64 v[72:73], v[208:209], v[158:159]
	v_fmac_f64_e32 v[70:71], v[206:207], v[152:153]
	v_add_f64 v[0:1], v[0:1], v[68:69]
	;; [unrolled: 4-line block ×8, first 2 shown]
	v_fmac_f64_e32 v[112:113], v[240:241], v[192:193]
	v_add_f64 v[0:1], v[0:1], v[110:111]
	s_waitcnt vmcnt(12) lgkmcnt(5)
	v_mul_f64 v[60:61], v[242:243], v[202:203]
	scratch_load_dwordx4 v[56:59], off, off offset:512
	ds_read_b128 v[108:111], v2 offset:1072
	v_add_f64 v[0:1], v[0:1], v[112:113]
	v_fmac_f64_e32 v[60:61], v[244:245], v[200:201]
	v_add_f64 v[0:1], v[0:1], v[60:61]
	s_waitcnt vmcnt(12) lgkmcnt(5)
	v_mul_f64 v[64:65], v[52:53], v[6:7]
	scratch_load_dwordx4 v[60:63], off, off offset:528
	v_accvgpr_write_b32 a99, v7
	v_fmac_f64_e32 v[64:65], v[54:55], v[4:5]
	v_accvgpr_write_b32 a98, v6
	v_accvgpr_write_b32 a97, v5
	;; [unrolled: 1-line block ×3, first 2 shown]
	ds_read_b128 v[112:115], v2 offset:1088
	s_waitcnt vmcnt(12)
	v_mov_b64_e32 v[4:5], v[8:9]
	v_mov_b64_e32 v[6:7], v[10:11]
	s_waitcnt lgkmcnt(1)
	v_mul_f64 v[68:69], v[108:109], v[6:7]
	v_fmac_f64_e32 v[68:69], v[110:111], v[4:5]
	s_waitcnt vmcnt(11)
	v_mov_b64_e32 v[4:5], v[12:13]
	v_add_f64 v[0:1], v[0:1], v[64:65]
	v_mov_b64_e32 v[6:7], v[14:15]
	scratch_load_dwordx4 v[64:67], off, off offset:544
	v_add_f64 v[0:1], v[0:1], v[68:69]
	s_waitcnt lgkmcnt(0)
	v_mul_f64 v[68:69], v[112:113], v[6:7]
	v_fmac_f64_e32 v[68:69], v[114:115], v[4:5]
	v_add_f64 v[0:1], v[0:1], v[68:69]
	scratch_load_dwordx4 v[68:71], off, off offset:560
	s_waitcnt vmcnt(12)
	v_mul_f64 v[76:77], v[116:117], v[236:237]
	scratch_load_dwordx4 v[72:75], off, off offset:576
	v_fmac_f64_e32 v[76:77], v[118:119], v[234:235]
	v_add_f64 v[0:1], v[0:1], v[76:77]
	s_waitcnt vmcnt(12)
	v_mul_f64 v[76:77], v[120:121], v[22:23]
	v_fmac_f64_e32 v[76:77], v[122:123], v[20:21]
	v_add_f64 v[0:1], v[0:1], v[76:77]
	scratch_load_dwordx4 v[76:79], off, off offset:592
	v_mul_f64 v[82:83], v[134:135], v[82:83]
	v_fma_f64 v[246:247], v[132:133], v[80:81], -v[82:83]
	scratch_load_dwordx4 v[80:83], off, off offset:608
	v_mul_f64 v[86:87], v[138:139], v[86:87]
	v_fma_f64 v[248:249], v[136:137], v[84:85], -v[86:87]
	scratch_load_dwordx4 v[84:87], off, off offset:624
	v_mul_f64 v[90:91], v[142:143], v[90:91]
	s_waitcnt vmcnt(14)
	v_mul_f64 v[132:133], v[124:125], v[26:27]
	v_fma_f64 v[250:251], v[140:141], v[88:89], -v[90:91]
	scratch_load_dwordx4 v[88:91], off, off offset:640
	v_fmac_f64_e32 v[132:133], v[126:127], v[24:25]
	s_waitcnt vmcnt(14)
	v_mul_f64 v[136:137], v[128:129], v[30:31]
	v_mul_f64 v[94:95], v[150:151], v[94:95]
	v_add_f64 v[0:1], v[0:1], v[132:133]
	v_fmac_f64_e32 v[136:137], v[130:131], v[28:29]
	v_fma_f64 v[252:253], v[148:149], v[92:93], -v[94:95]
	v_mul_f64 v[92:93], v[162:163], v[98:99]
	ds_read_b128 v[132:135], v2 offset:1168
	v_add_f64 v[0:1], v[0:1], v[136:137]
	ds_read_b128 v[136:139], v2 offset:1184
	v_fma_f64 v[232:233], v[160:161], v[96:97], -v[92:93]
	scratch_load_dwordx4 v[96:99], off, off offset:656
	scratch_load_dwordx4 v[92:95], off, off offset:672
	v_mul_f64 v[102:103], v[174:175], v[102:103]
	v_fma_f64 v[254:255], v[172:173], v[100:101], -v[102:103]
	scratch_load_dwordx4 v[100:103], off, off offset:688
	v_mul_f64 v[106:107], v[186:187], v[106:107]
	v_fma_f64 v[16:17], v[184:185], v[104:105], -v[106:107]
	scratch_load_dwordx4 v[104:107], off, off offset:704
	s_waitcnt vmcnt(17) lgkmcnt(1)
	v_mul_f64 v[140:141], v[132:133], v[34:35]
	v_fmac_f64_e32 v[140:141], v[134:135], v[32:33]
	v_add_f64 v[0:1], v[0:1], v[140:141]
	ds_read_b128 v[140:143], v2 offset:1200
	v_accvgpr_write_b32 a107, v15
	v_mul_f64 v[6:7], v[198:199], v[146:147]
	v_accvgpr_write_b32 a106, v14
	v_accvgpr_write_b32 a105, v13
	;; [unrolled: 1-line block ×3, first 2 shown]
	v_fma_f64 v[12:13], v[196:197], v[144:145], -v[6:7]
	ds_read_b128 v[144:147], v2 offset:1216
	s_waitcnt vmcnt(16) lgkmcnt(2)
	v_mul_f64 v[148:149], v[136:137], v[38:39]
	v_fmac_f64_e32 v[148:149], v[138:139], v[36:37]
	v_add_f64 v[0:1], v[0:1], v[148:149]
	s_waitcnt vmcnt(15) lgkmcnt(1)
	v_mul_f64 v[6:7], v[140:141], v[42:43]
	ds_read_b128 v[148:151], v2 offset:1232
	v_fmac_f64_e32 v[6:7], v[142:143], v[40:41]
	v_add_f64 v[0:1], v[0:1], v[6:7]
	s_waitcnt vmcnt(14) lgkmcnt(1)
	v_mul_f64 v[6:7], v[144:145], v[46:47]
	v_fmac_f64_e32 v[6:7], v[146:147], v[44:45]
	v_accvgpr_write_b32 a103, v11
	v_add_f64 v[0:1], v[0:1], v[6:7]
	v_mul_f64 v[6:7], v[206:207], v[154:155]
	v_accvgpr_write_b32 a102, v10
	v_accvgpr_write_b32 a101, v9
	;; [unrolled: 1-line block ×3, first 2 shown]
	v_fma_f64 v[10:11], v[204:205], v[152:153], -v[6:7]
	ds_read_b128 v[152:155], v2 offset:1248
	s_waitcnt vmcnt(13) lgkmcnt(1)
	v_mul_f64 v[6:7], v[148:149], v[50:51]
	v_fmac_f64_e32 v[6:7], v[150:151], v[48:49]
	v_add_f64 v[0:1], v[0:1], v[6:7]
	v_mul_f64 v[6:7], v[210:211], v[158:159]
	v_fma_f64 v[8:9], v[208:209], v[156:157], -v[6:7]
	ds_read_b128 v[156:159], v2 offset:1264
	ds_read_b128 v[160:163], v2 offset:1280
	s_waitcnt vmcnt(12) lgkmcnt(2)
	v_mul_f64 v[6:7], v[152:153], v[58:59]
	v_fmac_f64_e32 v[6:7], v[154:155], v[56:57]
	v_add_f64 v[0:1], v[0:1], v[6:7]
	s_waitcnt vmcnt(11) lgkmcnt(1)
	v_mul_f64 v[6:7], v[156:157], v[62:63]
	v_fmac_f64_e32 v[6:7], v[158:159], v[60:61]
	v_add_f64 v[0:1], v[0:1], v[6:7]
	v_mul_f64 v[6:7], v[214:215], v[166:167]
	v_fma_f64 v[14:15], v[212:213], v[164:165], -v[6:7]
	ds_read_b128 v[164:167], v2 offset:1296
	v_mul_f64 v[170:171], v[218:219], v[170:171]
	v_fma_f64 v[4:5], v[216:217], v[168:169], -v[170:171]
	ds_read_b128 v[168:171], v2 offset:1312
	s_waitcnt vmcnt(10) lgkmcnt(2)
	v_mul_f64 v[6:7], v[160:161], v[66:67]
	v_fmac_f64_e32 v[6:7], v[162:163], v[64:65]
	v_add_f64 v[0:1], v[0:1], v[6:7]
	s_waitcnt vmcnt(9) lgkmcnt(1)
	v_mul_f64 v[6:7], v[164:165], v[70:71]
	ds_read_b128 v[172:175], v2 offset:1328
	v_fmac_f64_e32 v[6:7], v[166:167], v[68:69]
	v_add_f64 v[0:1], v[0:1], v[6:7]
	s_waitcnt vmcnt(8) lgkmcnt(1)
	v_mul_f64 v[6:7], v[168:169], v[74:75]
	v_fmac_f64_e32 v[6:7], v[170:171], v[72:73]
	v_add_f64 v[0:1], v[0:1], v[6:7]
	v_mul_f64 v[6:7], v[222:223], v[178:179]
	v_fma_f64 v[18:19], v[220:221], v[176:177], -v[6:7]
	ds_read_b128 v[176:179], v2 offset:1344
	s_waitcnt vmcnt(7) lgkmcnt(1)
	v_mul_f64 v[6:7], v[172:173], v[78:79]
	v_fmac_f64_e32 v[6:7], v[174:175], v[76:77]
	v_add_f64 v[0:1], v[0:1], v[6:7]
	v_mul_f64 v[6:7], v[226:227], v[182:183]
	v_fma_f64 v[6:7], v[224:225], v[180:181], -v[6:7]
	ds_read_b128 v[180:183], v2 offset:1360
	s_waitcnt vmcnt(6) lgkmcnt(1)
	v_mul_f64 v[184:185], v[176:177], v[82:83]
	v_fmac_f64_e32 v[184:185], v[178:179], v[80:81]
	v_add_f64 v[0:1], v[0:1], v[184:185]
	ds_read_b128 v[184:187], v2 offset:1376
	s_waitcnt vmcnt(5) lgkmcnt(1)
	v_mul_f64 v[196:197], v[180:181], v[86:87]
	v_fmac_f64_e32 v[196:197], v[182:183], v[84:85]
	v_add_f64 v[196:197], v[0:1], v[196:197]
	v_mul_f64 v[0:1], v[230:231], v[190:191]
	v_fma_f64 v[0:1], v[228:229], v[188:189], -v[0:1]
	ds_read_b128 v[188:191], v2 offset:1392
	s_waitcnt vmcnt(4) lgkmcnt(1)
	v_mul_f64 v[198:199], v[184:185], v[90:91]
	v_fmac_f64_e32 v[198:199], v[186:187], v[88:89]
	v_mul_f64 v[194:195], v[240:241], v[194:195]
	v_fma_f64 v[238:239], v[238:239], v[192:193], -v[194:195]
	ds_read_b128 v[192:195], v2 offset:1408
	v_add_f64 v[196:197], v[196:197], v[198:199]
	s_waitcnt vmcnt(3) lgkmcnt(1)
	v_mul_f64 v[198:199], v[188:189], v[98:99]
	v_fmac_f64_e32 v[198:199], v[190:191], v[96:97]
	v_add_f64 v[204:205], v[196:197], v[198:199]
	ds_read_b128 v[196:199], v2 offset:1424
	v_mul_f64 v[202:203], v[244:245], v[202:203]
	v_fma_f64 v[242:243], v[242:243], v[200:201], -v[202:203]
	ds_read_b128 v[200:203], v2 offset:1440
	s_waitcnt vmcnt(2) lgkmcnt(2)
	v_mul_f64 v[206:207], v[192:193], v[94:95]
	v_fmac_f64_e32 v[206:207], v[194:195], v[92:93]
	v_add_f64 v[204:205], v[204:205], v[206:207]
	s_waitcnt vmcnt(1) lgkmcnt(1)
	v_mul_f64 v[206:207], v[196:197], v[102:103]
	v_fmac_f64_e32 v[206:207], v[198:199], v[100:101]
	v_add_f64 v[204:205], v[204:205], v[206:207]
	;; [unrolled: 4-line block ×3, first 2 shown]
	scratch_load_dwordx4 v[204:207], off, off offset:720
	ds_read_b128 v[208:211], v2 offset:1456
	ds_read_b128 v[216:219], v2 offset:1472
	ds_read_b128 v[224:227], v2 offset:1488
	s_waitcnt vmcnt(0) lgkmcnt(2)
	v_mul_f64 v[214:215], v[208:209], v[206:207]
	v_fmac_f64_e32 v[214:215], v[210:211], v[204:205]
	v_add_f64 v[220:221], v[212:213], v[214:215]
	scratch_load_dwordx4 v[212:215], off, off offset:736
	s_waitcnt vmcnt(0) lgkmcnt(1)
	v_mul_f64 v[222:223], v[216:217], v[214:215]
	v_fmac_f64_e32 v[222:223], v[218:219], v[212:213]
	v_add_f64 v[228:229], v[220:221], v[222:223]
	scratch_load_dwordx4 v[220:223], off, off offset:752
	s_waitcnt vmcnt(0) lgkmcnt(0)
	v_mul_f64 v[230:231], v[224:225], v[222:223]
	v_fmac_f64_e32 v[230:231], v[226:227], v[220:221]
	v_add_f64 v[244:245], v[228:229], v[230:231]
	v_add_f64 v[228:229], v[246:247], 0
	;; [unrolled: 1-line block ×8, first 2 shown]
	scratch_load_dwordx4 v[228:231], off, off offset:32
	v_add_f64 v[12:13], v[16:17], v[12:13]
	v_add_f64 v[10:11], v[12:13], v[10:11]
	;; [unrolled: 1-line block ×7, first 2 shown]
	v_accvgpr_read_b32 v6, a96
	v_accvgpr_read_b32 v8, a98
	;; [unrolled: 1-line block ×3, first 2 shown]
	v_add_f64 v[0:1], v[4:5], v[0:1]
	v_accvgpr_read_b32 v7, a97
	v_mul_f64 v[4:5], v[54:55], v[8:9]
	v_add_f64 v[0:1], v[0:1], v[238:239]
	v_fma_f64 v[4:5], v[52:53], v[6:7], -v[4:5]
	v_accvgpr_read_b32 v6, a100
	v_add_f64 v[0:1], v[0:1], v[242:243]
	v_accvgpr_read_b32 v8, a102
	v_accvgpr_read_b32 v9, a103
	v_add_f64 v[0:1], v[0:1], v[4:5]
	v_accvgpr_read_b32 v7, a101
	v_mul_f64 v[4:5], v[110:111], v[8:9]
	v_fma_f64 v[4:5], v[108:109], v[6:7], -v[4:5]
	v_accvgpr_read_b32 v6, a104
	v_accvgpr_read_b32 v8, a106
	;; [unrolled: 1-line block ×3, first 2 shown]
	v_add_f64 v[0:1], v[0:1], v[4:5]
	v_accvgpr_read_b32 v7, a105
	v_mul_f64 v[4:5], v[114:115], v[8:9]
	v_fma_f64 v[4:5], v[112:113], v[6:7], -v[4:5]
	v_add_f64 v[0:1], v[0:1], v[4:5]
	v_mul_f64 v[4:5], v[118:119], v[236:237]
	v_fma_f64 v[4:5], v[116:117], v[234:235], -v[4:5]
	v_add_f64 v[0:1], v[0:1], v[4:5]
	v_mul_f64 v[4:5], v[122:123], v[22:23]
	v_fma_f64 v[4:5], v[120:121], v[20:21], -v[4:5]
	v_add_f64 v[0:1], v[0:1], v[4:5]
	v_mul_f64 v[4:5], v[126:127], v[26:27]
	v_fma_f64 v[4:5], v[124:125], v[24:25], -v[4:5]
	v_add_f64 v[0:1], v[0:1], v[4:5]
	v_mul_f64 v[4:5], v[130:131], v[30:31]
	v_fma_f64 v[4:5], v[128:129], v[28:29], -v[4:5]
	v_add_f64 v[0:1], v[0:1], v[4:5]
	v_mul_f64 v[4:5], v[134:135], v[34:35]
	v_fma_f64 v[4:5], v[132:133], v[32:33], -v[4:5]
	v_add_f64 v[0:1], v[0:1], v[4:5]
	v_mul_f64 v[4:5], v[138:139], v[38:39]
	v_fma_f64 v[4:5], v[136:137], v[36:37], -v[4:5]
	v_add_f64 v[0:1], v[0:1], v[4:5]
	v_mul_f64 v[4:5], v[142:143], v[42:43]
	v_fma_f64 v[4:5], v[140:141], v[40:41], -v[4:5]
	v_add_f64 v[0:1], v[0:1], v[4:5]
	v_mul_f64 v[4:5], v[146:147], v[46:47]
	v_fma_f64 v[4:5], v[144:145], v[44:45], -v[4:5]
	v_add_f64 v[0:1], v[0:1], v[4:5]
	v_mul_f64 v[4:5], v[150:151], v[50:51]
	v_fma_f64 v[4:5], v[148:149], v[48:49], -v[4:5]
	v_add_f64 v[0:1], v[0:1], v[4:5]
	v_mul_f64 v[4:5], v[154:155], v[58:59]
	v_fma_f64 v[4:5], v[152:153], v[56:57], -v[4:5]
	v_add_f64 v[0:1], v[0:1], v[4:5]
	v_mul_f64 v[4:5], v[158:159], v[62:63]
	v_fma_f64 v[4:5], v[156:157], v[60:61], -v[4:5]
	v_add_f64 v[0:1], v[0:1], v[4:5]
	v_mul_f64 v[4:5], v[162:163], v[66:67]
	v_fma_f64 v[4:5], v[160:161], v[64:65], -v[4:5]
	v_add_f64 v[0:1], v[0:1], v[4:5]
	v_mul_f64 v[4:5], v[166:167], v[70:71]
	v_fma_f64 v[4:5], v[164:165], v[68:69], -v[4:5]
	v_add_f64 v[0:1], v[0:1], v[4:5]
	v_mul_f64 v[4:5], v[170:171], v[74:75]
	v_fma_f64 v[4:5], v[168:169], v[72:73], -v[4:5]
	v_add_f64 v[0:1], v[0:1], v[4:5]
	v_mul_f64 v[4:5], v[174:175], v[78:79]
	v_fma_f64 v[4:5], v[172:173], v[76:77], -v[4:5]
	v_add_f64 v[0:1], v[0:1], v[4:5]
	v_mul_f64 v[4:5], v[178:179], v[82:83]
	v_fma_f64 v[4:5], v[176:177], v[80:81], -v[4:5]
	v_add_f64 v[0:1], v[0:1], v[4:5]
	v_mul_f64 v[4:5], v[182:183], v[86:87]
	v_fma_f64 v[4:5], v[180:181], v[84:85], -v[4:5]
	v_add_f64 v[0:1], v[0:1], v[4:5]
	v_mul_f64 v[4:5], v[186:187], v[90:91]
	v_fma_f64 v[4:5], v[184:185], v[88:89], -v[4:5]
	v_add_f64 v[0:1], v[0:1], v[4:5]
	v_mul_f64 v[4:5], v[190:191], v[98:99]
	v_fma_f64 v[4:5], v[188:189], v[96:97], -v[4:5]
	v_add_f64 v[0:1], v[0:1], v[4:5]
	v_mul_f64 v[4:5], v[194:195], v[94:95]
	v_fma_f64 v[4:5], v[192:193], v[92:93], -v[4:5]
	v_add_f64 v[0:1], v[0:1], v[4:5]
	v_mul_f64 v[4:5], v[198:199], v[102:103]
	v_fma_f64 v[4:5], v[196:197], v[100:101], -v[4:5]
	v_add_f64 v[0:1], v[0:1], v[4:5]
	v_mul_f64 v[4:5], v[202:203], v[106:107]
	v_fma_f64 v[4:5], v[200:201], v[104:105], -v[4:5]
	v_add_f64 v[0:1], v[0:1], v[4:5]
	v_mul_f64 v[4:5], v[210:211], v[206:207]
	v_fma_f64 v[4:5], v[208:209], v[204:205], -v[4:5]
	v_add_f64 v[0:1], v[0:1], v[4:5]
	v_mul_f64 v[4:5], v[218:219], v[214:215]
	v_fma_f64 v[4:5], v[216:217], v[212:213], -v[4:5]
	v_add_f64 v[0:1], v[0:1], v[4:5]
	v_mul_f64 v[4:5], v[226:227], v[222:223]
	v_fma_f64 v[4:5], v[224:225], v[220:221], -v[4:5]
	v_add_f64 v[0:1], v[0:1], v[4:5]
	s_waitcnt vmcnt(0)
	v_add_f64 v[4:5], v[228:229], -v[0:1]
	v_accvgpr_read_b32 v0, a94
	v_add_f64 v[6:7], v[230:231], -v[244:245]
	v_cmp_ne_u32_e32 vcc, 0, v0
	scratch_store_dwordx4 off, v[4:7], off offset:32
	s_and_saveexec_b64 s[0:1], vcc
	s_cbranch_execz .LBB46_295
; %bb.294:
	scratch_load_dwordx4 v[6:9], off, off offset:16
	v_mov_b32_e32 v3, v2
	v_mov_b32_e32 v4, v2
	;; [unrolled: 1-line block ×3, first 2 shown]
	v_accvgpr_read_b32 v0, a95
	scratch_store_dwordx4 off, v[2:5], off offset:16
	s_waitcnt vmcnt(1)
	ds_write_b128 v0, v[6:9]
.LBB46_295:
	s_or_b64 exec, exec, s[0:1]
	s_waitcnt lgkmcnt(0)
	; wave barrier
	scratch_load_dwordx4 v[80:83], off, off offset:32
	scratch_load_dwordx4 v[84:87], off, off offset:48
	;; [unrolled: 1-line block ×17, first 2 shown]
	ds_read_b128 v[136:139], v2 offset:768
	ds_read_b128 v[132:135], v2 offset:784
	scratch_load_dwordx4 v[4:7], off, off offset:304
	ds_read_b128 v[236:239], v2 offset:800
	ds_read_b128 v[228:231], v2 offset:816
	;; [unrolled: 1-line block ×5, first 2 shown]
	scratch_load_dwordx4 v[8:11], off, off offset:320
	ds_read_b128 v[232:235], v2 offset:880
	ds_read_b128 v[224:227], v2 offset:896
	;; [unrolled: 1-line block ×3, first 2 shown]
	scratch_load_dwordx4 v[12:15], off, off offset:336
	ds_read_b128 v[216:219], v2 offset:928
	ds_read_b128 v[172:175], v2 offset:944
	;; [unrolled: 1-line block ×5, first 2 shown]
	scratch_load_dwordx4 v[16:19], off, off offset:352
	ds_read_b128 v[208:211], v2 offset:1008
	ds_read_b128 v[204:207], v2 offset:1024
	;; [unrolled: 1-line block ×3, first 2 shown]
	scratch_load_dwordx4 v[24:27], off, off offset:368
	scratch_load_dwordx4 v[28:31], off, off offset:384
	scratch_load_dwordx4 v[32:35], off, off offset:400
	scratch_load_dwordx4 v[36:39], off, off offset:416
	scratch_load_dwordx4 v[40:43], off, off offset:432
	scratch_load_dwordx4 v[44:47], off, off offset:448
	scratch_load_dwordx4 v[48:51], off, off offset:464
	scratch_load_dwordx4 v[56:59], off, off offset:480
	scratch_load_dwordx4 v[52:55], off, off offset:496
	ds_read_b128 v[124:127], v2 offset:1120
	ds_read_b128 v[128:131], v2 offset:1136
	s_and_b64 vcc, exec, s[18:19]
	ds_read_b128 v[120:123], v2 offset:1104
	s_waitcnt vmcnt(29) lgkmcnt(14)
	v_mul_f64 v[0:1], v[136:137], v[82:83]
	s_waitcnt vmcnt(28)
	v_mul_f64 v[60:61], v[132:133], v[86:87]
	v_fmac_f64_e32 v[0:1], v[138:139], v[80:81]
	s_waitcnt vmcnt(27)
	v_mul_f64 v[62:63], v[236:237], v[90:91]
	v_fmac_f64_e32 v[60:61], v[134:135], v[84:85]
	v_add_f64 v[0:1], v[0:1], 0
	s_waitcnt vmcnt(26)
	v_mul_f64 v[64:65], v[228:229], v[94:95]
	v_fmac_f64_e32 v[62:63], v[238:239], v[88:89]
	v_add_f64 v[0:1], v[0:1], v[60:61]
	;; [unrolled: 4-line block ×5, first 2 shown]
	s_waitcnt vmcnt(22) lgkmcnt(13)
	v_mul_f64 v[72:73], v[232:233], v[146:147]
	v_fmac_f64_e32 v[70:71], v[150:151], v[104:105]
	v_add_f64 v[0:1], v[0:1], v[68:69]
	s_waitcnt vmcnt(21) lgkmcnt(12)
	v_mul_f64 v[74:75], v[224:225], v[154:155]
	v_fmac_f64_e32 v[72:73], v[234:235], v[144:145]
	v_add_f64 v[0:1], v[0:1], v[70:71]
	;; [unrolled: 4-line block ×9, first 2 shown]
	v_fmac_f64_e32 v[116:117], v[210:211], v[192:193]
	v_add_f64 v[0:1], v[0:1], v[114:115]
	s_waitcnt vmcnt(13) lgkmcnt(4)
	v_mul_f64 v[60:61], v[204:205], v[202:203]
	v_add_f64 v[0:1], v[0:1], v[116:117]
	v_fmac_f64_e32 v[60:61], v[206:207], v[200:201]
	v_add_f64 v[0:1], v[0:1], v[60:61]
	scratch_load_dwordx4 v[60:63], off, off offset:512
	ds_read_b128 v[108:111], v2 offset:1056
	ds_read_b128 v[112:115], v2 offset:1072
	s_waitcnt vmcnt(13) lgkmcnt(5)
	v_mul_f64 v[64:65], v[20:21], v[6:7]
	v_accvgpr_write_b32 a97, v7
	v_fmac_f64_e32 v[64:65], v[22:23], v[4:5]
	v_accvgpr_write_b32 a96, v6
	v_accvgpr_write_b32 a95, v5
	;; [unrolled: 1-line block ×3, first 2 shown]
	s_waitcnt vmcnt(12)
	v_mov_b64_e32 v[4:5], v[8:9]
	v_mov_b64_e32 v[6:7], v[10:11]
	s_waitcnt lgkmcnt(1)
	v_mul_f64 v[68:69], v[108:109], v[6:7]
	ds_read_b128 v[116:119], v2 offset:1088
	v_add_f64 v[0:1], v[0:1], v[64:65]
	v_fmac_f64_e32 v[68:69], v[110:111], v[4:5]
	scratch_load_dwordx4 v[64:67], off, off offset:528
	v_add_f64 v[0:1], v[0:1], v[68:69]
	s_waitcnt vmcnt(12)
	v_mov_b64_e32 v[4:5], v[12:13]
	scratch_load_dwordx4 v[68:71], off, off offset:544
	v_mov_b64_e32 v[6:7], v[14:15]
	s_waitcnt lgkmcnt(1)
	v_mul_f64 v[72:73], v[112:113], v[6:7]
	v_fmac_f64_e32 v[72:73], v[114:115], v[4:5]
	s_waitcnt vmcnt(12) lgkmcnt(0)
	v_mul_f64 v[76:77], v[116:117], v[18:19]
	v_add_f64 v[0:1], v[0:1], v[72:73]
	v_fmac_f64_e32 v[76:77], v[118:119], v[16:17]
	scratch_load_dwordx4 v[72:75], off, off offset:560
	v_add_f64 v[0:1], v[0:1], v[76:77]
	s_waitcnt vmcnt(12)
	v_mul_f64 v[76:77], v[120:121], v[26:27]
	v_fmac_f64_e32 v[76:77], v[122:123], v[24:25]
	v_add_f64 v[0:1], v[0:1], v[76:77]
	scratch_load_dwordx4 v[76:79], off, off offset:576
	v_mul_f64 v[82:83], v[138:139], v[82:83]
	v_fma_f64 v[240:241], v[136:137], v[80:81], -v[82:83]
	scratch_load_dwordx4 v[80:83], off, off offset:592
	v_mul_f64 v[86:87], v[134:135], v[86:87]
	v_fma_f64 v[244:245], v[132:133], v[84:85], -v[86:87]
	;; [unrolled: 3-line block ×4, first 2 shown]
	scratch_load_dwordx4 v[92:95], off, off offset:640
	s_waitcnt vmcnt(16)
	v_mul_f64 v[136:137], v[124:125], v[30:31]
	v_fmac_f64_e32 v[136:137], v[126:127], v[28:29]
	s_waitcnt vmcnt(15)
	v_mul_f64 v[242:243], v[128:129], v[34:35]
	v_add_f64 v[0:1], v[0:1], v[136:137]
	v_fmac_f64_e32 v[242:243], v[130:131], v[32:33]
	v_mul_f64 v[98:99], v[222:223], v[98:99]
	v_add_f64 v[0:1], v[0:1], v[242:243]
	v_fma_f64 v[242:243], v[220:221], v[96:97], -v[98:99]
	scratch_load_dwordx4 v[96:99], off, off offset:656
	v_mul_f64 v[102:103], v[142:143], v[102:103]
	v_fma_f64 v[250:251], v[140:141], v[100:101], -v[102:103]
	scratch_load_dwordx4 v[100:103], off, off offset:672
	v_mul_f64 v[106:107], v[150:151], v[106:107]
	v_fma_f64 v[252:253], v[148:149], v[104:105], -v[106:107]
	scratch_load_dwordx4 v[104:107], off, off offset:688
	ds_read_b128 v[132:135], v2 offset:1152
	ds_read_b128 v[136:139], v2 offset:1168
	;; [unrolled: 1-line block ×3, first 2 shown]
	v_mul_f64 v[146:147], v[234:235], v[146:147]
	v_fma_f64 v[232:233], v[232:233], v[144:145], -v[146:147]
	s_waitcnt vmcnt(17) lgkmcnt(2)
	v_mul_f64 v[228:229], v[132:133], v[38:39]
	v_fmac_f64_e32 v[228:229], v[134:135], v[36:37]
	s_waitcnt vmcnt(16) lgkmcnt(1)
	v_mul_f64 v[220:221], v[136:137], v[42:43]
	v_add_f64 v[0:1], v[0:1], v[228:229]
	v_fmac_f64_e32 v[220:221], v[138:139], v[40:41]
	ds_read_b128 v[144:147], v2 offset:1200
	s_waitcnt vmcnt(15) lgkmcnt(1)
	v_mul_f64 v[148:149], v[140:141], v[46:47]
	v_add_f64 v[0:1], v[0:1], v[220:221]
	v_fmac_f64_e32 v[148:149], v[142:143], v[44:45]
	v_add_f64 v[0:1], v[0:1], v[148:149]
	ds_read_b128 v[148:151], v2 offset:1216
	v_mul_f64 v[154:155], v[226:227], v[154:155]
	v_fma_f64 v[234:235], v[224:225], v[152:153], -v[154:155]
	ds_read_b128 v[152:155], v2 offset:1232
	v_accvgpr_write_b32 a105, v15
	v_mul_f64 v[158:159], v[162:163], v[158:159]
	v_accvgpr_write_b32 a104, v14
	v_accvgpr_write_b32 a103, v13
	;; [unrolled: 1-line block ×3, first 2 shown]
	s_waitcnt vmcnt(14) lgkmcnt(2)
	v_mul_f64 v[220:221], v[144:145], v[50:51]
	v_fma_f64 v[12:13], v[160:161], v[156:157], -v[158:159]
	ds_read_b128 v[156:159], v2 offset:1248
	ds_read_b128 v[160:163], v2 offset:1264
	v_fmac_f64_e32 v[220:221], v[146:147], v[48:49]
	v_add_f64 v[0:1], v[0:1], v[220:221]
	s_waitcnt vmcnt(13) lgkmcnt(3)
	v_mul_f64 v[220:221], v[148:149], v[58:59]
	v_fmac_f64_e32 v[220:221], v[150:151], v[56:57]
	s_waitcnt vmcnt(12) lgkmcnt(2)
	v_mul_f64 v[6:7], v[152:153], v[54:55]
	v_add_f64 v[0:1], v[0:1], v[220:221]
	v_fmac_f64_e32 v[6:7], v[154:155], v[52:53]
	v_add_f64 v[0:1], v[0:1], v[6:7]
	s_waitcnt vmcnt(11) lgkmcnt(1)
	v_mul_f64 v[6:7], v[156:157], v[62:63]
	v_fmac_f64_e32 v[6:7], v[158:159], v[60:61]
	v_accvgpr_write_b32 a101, v11
	v_add_f64 v[0:1], v[0:1], v[6:7]
	v_mul_f64 v[6:7], v[218:219], v[166:167]
	v_accvgpr_write_b32 a100, v10
	v_accvgpr_write_b32 a99, v9
	;; [unrolled: 1-line block ×3, first 2 shown]
	v_fma_f64 v[8:9], v[216:217], v[164:165], -v[6:7]
	ds_read_b128 v[164:167], v2 offset:1280
	s_waitcnt vmcnt(10) lgkmcnt(1)
	v_mul_f64 v[216:217], v[160:161], v[66:67]
	v_mul_f64 v[170:171], v[174:175], v[170:171]
	v_fmac_f64_e32 v[216:217], v[162:163], v[64:65]
	v_fma_f64 v[6:7], v[172:173], v[168:169], -v[170:171]
	ds_read_b128 v[168:171], v2 offset:1296
	s_waitcnt vmcnt(9) lgkmcnt(1)
	v_mul_f64 v[10:11], v[164:165], v[70:71]
	v_add_f64 v[0:1], v[0:1], v[216:217]
	v_fmac_f64_e32 v[10:11], v[166:167], v[68:69]
	v_add_f64 v[0:1], v[0:1], v[10:11]
	ds_read_b128 v[172:175], v2 offset:1312
	v_mul_f64 v[10:11], v[214:215], v[178:179]
	v_fma_f64 v[10:11], v[212:213], v[176:177], -v[10:11]
	ds_read_b128 v[176:179], v2 offset:1328
	v_mul_f64 v[182:183], v[186:187], v[182:183]
	s_waitcnt vmcnt(8) lgkmcnt(2)
	v_mul_f64 v[212:213], v[168:169], v[74:75]
	v_fma_f64 v[4:5], v[184:185], v[180:181], -v[182:183]
	ds_read_b128 v[180:183], v2 offset:1344
	ds_read_b128 v[184:187], v2 offset:1360
	v_fmac_f64_e32 v[212:213], v[170:171], v[72:73]
	v_add_f64 v[0:1], v[0:1], v[212:213]
	s_waitcnt vmcnt(7) lgkmcnt(3)
	v_mul_f64 v[212:213], v[172:173], v[78:79]
	v_fmac_f64_e32 v[212:213], v[174:175], v[76:77]
	s_waitcnt vmcnt(6) lgkmcnt(2)
	v_mul_f64 v[14:15], v[176:177], v[82:83]
	v_add_f64 v[0:1], v[0:1], v[212:213]
	v_fmac_f64_e32 v[14:15], v[178:179], v[80:81]
	v_add_f64 v[0:1], v[0:1], v[14:15]
	s_waitcnt vmcnt(5) lgkmcnt(1)
	v_mul_f64 v[14:15], v[180:181], v[86:87]
	v_fmac_f64_e32 v[14:15], v[182:183], v[84:85]
	v_add_f64 v[0:1], v[0:1], v[14:15]
	v_mul_f64 v[14:15], v[198:199], v[190:191]
	v_fma_f64 v[14:15], v[196:197], v[188:189], -v[14:15]
	ds_read_b128 v[188:191], v2 offset:1376
	v_mul_f64 v[194:195], v[210:211], v[194:195]
	s_waitcnt vmcnt(4) lgkmcnt(1)
	v_mul_f64 v[196:197], v[184:185], v[90:91]
	v_fma_f64 v[192:193], v[208:209], v[192:193], -v[194:195]
	v_fmac_f64_e32 v[196:197], v[186:187], v[88:89]
	v_accvgpr_write_b32 a106, v192
	v_add_f64 v[0:1], v[0:1], v[196:197]
	v_accvgpr_write_b32 a107, v193
	ds_read_b128 v[192:195], v2 offset:1392
	s_waitcnt vmcnt(3) lgkmcnt(1)
	v_mul_f64 v[196:197], v[188:189], v[94:95]
	v_fmac_f64_e32 v[196:197], v[190:191], v[92:93]
	v_add_f64 v[0:1], v[0:1], v[196:197]
	ds_read_b128 v[196:199], v2 offset:1408
	v_mul_f64 v[202:203], v[206:207], v[202:203]
	v_fma_f64 v[254:255], v[204:205], v[200:201], -v[202:203]
	ds_read_b128 v[200:203], v2 offset:1424
	s_waitcnt vmcnt(2) lgkmcnt(2)
	v_mul_f64 v[204:205], v[192:193], v[98:99]
	v_fmac_f64_e32 v[204:205], v[194:195], v[96:97]
	v_add_f64 v[0:1], v[0:1], v[204:205]
	s_waitcnt vmcnt(1) lgkmcnt(1)
	v_mul_f64 v[204:205], v[196:197], v[102:103]
	v_fmac_f64_e32 v[204:205], v[198:199], v[100:101]
	v_add_f64 v[0:1], v[0:1], v[204:205]
	;; [unrolled: 4-line block ×3, first 2 shown]
	scratch_load_dwordx4 v[204:207], off, off offset:704
	ds_read_b128 v[208:211], v2 offset:1440
	ds_read_b128 v[216:219], v2 offset:1456
	;; [unrolled: 1-line block ×3, first 2 shown]
	s_waitcnt vmcnt(0) lgkmcnt(2)
	v_mul_f64 v[212:213], v[208:209], v[206:207]
	v_fmac_f64_e32 v[212:213], v[210:211], v[204:205]
	v_add_f64 v[0:1], v[0:1], v[212:213]
	scratch_load_dwordx4 v[212:215], off, off offset:720
	s_waitcnt vmcnt(0) lgkmcnt(1)
	v_mul_f64 v[220:221], v[216:217], v[214:215]
	v_fmac_f64_e32 v[220:221], v[218:219], v[212:213]
	v_add_f64 v[0:1], v[0:1], v[220:221]
	scratch_load_dwordx4 v[220:223], off, off offset:736
	;; [unrolled: 5-line block ×3, first 2 shown]
	ds_read_b128 v[0:3], v2 offset:1488
	s_waitcnt vmcnt(0) lgkmcnt(0)
	v_mul_f64 v[238:239], v[0:1], v[230:231]
	v_fmac_f64_e32 v[238:239], v[2:3], v[228:229]
	v_add_f64 v[236:237], v[236:237], v[238:239]
	v_add_f64 v[238:239], v[240:241], 0
	;; [unrolled: 1-line block ×11, first 2 shown]
	scratch_load_dwordx4 v[232:235], off, off offset:16
	v_add_f64 v[8:9], v[12:13], v[8:9]
	v_add_f64 v[6:7], v[8:9], v[6:7]
	;; [unrolled: 1-line block ×4, first 2 shown]
	v_accvgpr_read_b32 v8, a94
	v_add_f64 v[240:241], v[4:5], v[14:15]
	v_accvgpr_read_b32 v4, a106
	v_accvgpr_read_b32 v10, a96
	;; [unrolled: 1-line block ×5, first 2 shown]
	v_mul_f64 v[6:7], v[22:23], v[10:11]
	v_add_f64 v[4:5], v[240:241], v[4:5]
	v_fma_f64 v[6:7], v[20:21], v[8:9], -v[6:7]
	v_accvgpr_read_b32 v8, a98
	v_add_f64 v[4:5], v[4:5], v[254:255]
	v_accvgpr_read_b32 v10, a100
	v_accvgpr_read_b32 v11, a101
	v_add_f64 v[4:5], v[4:5], v[6:7]
	v_accvgpr_read_b32 v9, a99
	v_mul_f64 v[6:7], v[110:111], v[10:11]
	v_fma_f64 v[6:7], v[108:109], v[8:9], -v[6:7]
	v_accvgpr_read_b32 v8, a102
	v_accvgpr_read_b32 v10, a104
	;; [unrolled: 1-line block ×3, first 2 shown]
	v_add_f64 v[4:5], v[4:5], v[6:7]
	v_accvgpr_read_b32 v9, a103
	v_mul_f64 v[6:7], v[114:115], v[10:11]
	v_fma_f64 v[6:7], v[112:113], v[8:9], -v[6:7]
	v_add_f64 v[4:5], v[4:5], v[6:7]
	v_mul_f64 v[6:7], v[118:119], v[18:19]
	v_fma_f64 v[6:7], v[116:117], v[16:17], -v[6:7]
	v_add_f64 v[4:5], v[4:5], v[6:7]
	;; [unrolled: 3-line block ×25, first 2 shown]
	v_mul_f64 v[6:7], v[226:227], v[222:223]
	v_fma_f64 v[6:7], v[224:225], v[220:221], -v[6:7]
	v_mul_f64 v[2:3], v[2:3], v[230:231]
	v_add_f64 v[4:5], v[4:5], v[6:7]
	v_fma_f64 v[0:1], v[0:1], v[228:229], -v[2:3]
	v_add_f64 v[0:1], v[4:5], v[0:1]
	s_waitcnt vmcnt(0)
	v_add_f64 v[0:1], v[232:233], -v[0:1]
	v_add_f64 v[2:3], v[234:235], -v[236:237]
	scratch_store_dwordx4 off, v[0:3], off offset:16
	s_cbranch_vccz .LBB46_388
; %bb.296:
	s_nop 0
	v_mov_b32_e32 v0, 0
	global_load_dword v1, v0, s[16:17] offset:180
	s_waitcnt vmcnt(0)
	v_readfirstlane_b32 s0, v1
	s_add_i32 s0, s0, -1
	s_cmp_lg_u32 s0, 45
	s_cbranch_scc0 .LBB46_298
; %bb.297:
	s_lshl_b32 s0, s0, 4
	s_add_i32 s0, s0, 16
	scratch_load_dwordx4 v[2:5], off, s0
	scratch_load_dwordx4 v[6:9], off, s14
	s_waitcnt vmcnt(1)
	scratch_store_dwordx4 off, v[2:5], s14
	s_waitcnt vmcnt(1)
	scratch_store_dwordx4 off, v[6:9], s0
.LBB46_298:
	global_load_dword v0, v0, s[16:17] offset:176
	s_waitcnt vmcnt(0)
	v_readfirstlane_b32 s0, v0
	s_add_i32 s0, s0, -1
	s_cmp_eq_u32 s0, 44
	s_cbranch_scc1 .LBB46_300
; %bb.299:
	s_lshl_b32 s0, s0, 4
	s_add_i32 s0, s0, 16
	scratch_load_dwordx4 v[0:3], off, s0
	scratch_load_dwordx4 v[4:7], off, s22
	s_waitcnt vmcnt(1)
	scratch_store_dwordx4 off, v[0:3], s22
	s_waitcnt vmcnt(1)
	scratch_store_dwordx4 off, v[4:7], s0
.LBB46_300:
	v_mov_b32_e32 v0, 0
	global_load_dword v1, v0, s[16:17] offset:172
	s_waitcnt vmcnt(0)
	v_readfirstlane_b32 s0, v1
	s_add_i32 s0, s0, -1
	s_cmp_eq_u32 s0, 43
	s_cbranch_scc1 .LBB46_302
; %bb.301:
	s_lshl_b32 s0, s0, 4
	s_add_i32 s0, s0, 16
	scratch_load_dwordx4 v[2:5], off, s0
	scratch_load_dwordx4 v[6:9], off, s21
	s_waitcnt vmcnt(1)
	scratch_store_dwordx4 off, v[2:5], s21
	s_waitcnt vmcnt(1)
	scratch_store_dwordx4 off, v[6:9], s0
.LBB46_302:
	global_load_dword v0, v0, s[16:17] offset:168
	s_waitcnt vmcnt(0)
	v_readfirstlane_b32 s0, v0
	s_add_i32 s0, s0, -1
	s_cmp_eq_u32 s0, 42
	s_cbranch_scc1 .LBB46_304
; %bb.303:
	s_lshl_b32 s0, s0, 4
	s_add_i32 s0, s0, 16
	scratch_load_dwordx4 v[0:3], off, s0
	scratch_load_dwordx4 v[4:7], off, s25
	s_waitcnt vmcnt(1)
	scratch_store_dwordx4 off, v[0:3], s25
	s_waitcnt vmcnt(1)
	scratch_store_dwordx4 off, v[4:7], s0
.LBB46_304:
	v_mov_b32_e32 v0, 0
	global_load_dword v1, v0, s[16:17] offset:164
	s_waitcnt vmcnt(0)
	v_readfirstlane_b32 s0, v1
	s_add_i32 s0, s0, -1
	s_cmp_eq_u32 s0, 41
	s_cbranch_scc1 .LBB46_306
; %bb.305:
	s_lshl_b32 s0, s0, 4
	s_add_i32 s0, s0, 16
	scratch_load_dwordx4 v[2:5], off, s0
	scratch_load_dwordx4 v[6:9], off, s24
	s_waitcnt vmcnt(1)
	scratch_store_dwordx4 off, v[2:5], s24
	s_waitcnt vmcnt(1)
	scratch_store_dwordx4 off, v[6:9], s0
.LBB46_306:
	;; [unrolled: 33-line block ×22, first 2 shown]
	global_load_dword v0, v0, s[16:17]
	s_waitcnt vmcnt(0)
	v_readfirstlane_b32 s0, v0
	s_add_i32 s0, s0, -1
	s_cmp_eq_u32 s0, 0
	s_cbranch_scc1 .LBB46_388
; %bb.387:
	s_lshl_b32 s0, s0, 4
	s_add_i32 s0, s0, 16
	scratch_load_dwordx4 v[0:3], off, s0
	scratch_load_dwordx4 v[4:7], off, off offset:16
	s_waitcnt vmcnt(1)
	scratch_store_dwordx4 off, v[0:3], off offset:16
	s_waitcnt vmcnt(1)
	scratch_store_dwordx4 off, v[4:7], s0
.LBB46_388:
	scratch_load_dwordx4 v[0:3], off, off offset:16
	s_nop 0
	scratch_load_dwordx4 v[4:7], off, s23
	scratch_load_dwordx4 v[8:11], off, s12
	;; [unrolled: 1-line block ×7, first 2 shown]
                                        ; kill: killed $sgpr23
                                        ; kill: killed $sgpr62
                                        ; kill: killed $sgpr61
                                        ; kill: killed $sgpr26
                                        ; kill: killed $sgpr20
                                        ; kill: killed $sgpr13
                                        ; kill: killed $sgpr12
	scratch_load_dwordx4 v[32:35], off, s29
	scratch_load_dwordx4 v[36:39], off, s30
	;; [unrolled: 1-line block ×31, first 2 shown]
	v_accvgpr_read_b32 v157, a1
	v_accvgpr_read_b32 v156, a0
	;; [unrolled: 1-line block ×8, first 2 shown]
	s_waitcnt vmcnt(38)
	global_store_dwordx4 v[156:157], v[0:3], off
	scratch_load_dwordx4 v[0:3], off, s27
	s_nop 0
	scratch_load_dwordx4 v[156:159], off, s28
	s_waitcnt vmcnt(40)
	global_store_dwordx4 v[160:161], v[4:7], off
	v_accvgpr_read_b32 v161, a7
	v_accvgpr_read_b32 v160, a6
	;; [unrolled: 1-line block ×4, first 2 shown]
	s_waitcnt vmcnt(40)
	global_store_dwordx4 v[4:5], v[8:11], off
	scratch_load_dwordx4 v[4:7], off, s24
	s_nop 0
	scratch_load_dwordx4 v[8:11], off, s25
	s_waitcnt vmcnt(42)
	global_store_dwordx4 v[160:161], v[12:15], off
	scratch_load_dwordx4 v[12:15], off, s21
	s_nop 0
	scratch_load_dwordx4 v[160:163], off, s22
	;; [unrolled: 5-line block ×3, first 2 shown]
	s_waitcnt vmcnt(46)
	global_store_dwordx4 v[168:169], v[20:23], off
	s_nop 1
	v_accvgpr_read_b32 v21, a13
	v_accvgpr_read_b32 v20, a12
	s_waitcnt vmcnt(46)
	global_store_dwordx4 v[20:21], v[24:27], off
	v_accvgpr_read_b32 v21, a15
	v_accvgpr_read_b32 v20, a14
	s_waitcnt vmcnt(46)
	global_store_dwordx4 v[20:21], v[28:31], off
	;; [unrolled: 4-line block ×34, first 2 shown]
	s_nop 1
	v_accvgpr_read_b32 v0, a80
	v_accvgpr_read_b32 v1, a81
	s_waitcnt vmcnt(45)
	global_store_dwordx4 v[0:1], v[156:159], off
	v_accvgpr_read_b32 v0, a82
	v_accvgpr_read_b32 v1, a83
	s_waitcnt vmcnt(43)
	global_store_dwordx4 v[0:1], v[4:7], off
	;; [unrolled: 4-line block ×7, first 2 shown]
	s_endpgm
	.section	.rodata,"a",@progbits
	.p2align	6, 0x0
	.amdhsa_kernel _ZN9rocsolver6v33100L18getri_kernel_smallILi47E19rocblas_complex_numIdEPS3_EEvT1_iilPiilS6_bb
		.amdhsa_group_segment_fixed_size 1512
		.amdhsa_private_segment_fixed_size 784
		.amdhsa_kernarg_size 60
		.amdhsa_user_sgpr_count 2
		.amdhsa_user_sgpr_dispatch_ptr 0
		.amdhsa_user_sgpr_queue_ptr 0
		.amdhsa_user_sgpr_kernarg_segment_ptr 1
		.amdhsa_user_sgpr_dispatch_id 0
		.amdhsa_user_sgpr_kernarg_preload_length 0
		.amdhsa_user_sgpr_kernarg_preload_offset 0
		.amdhsa_user_sgpr_private_segment_size 0
		.amdhsa_uses_dynamic_stack 0
		.amdhsa_enable_private_segment 1
		.amdhsa_system_sgpr_workgroup_id_x 1
		.amdhsa_system_sgpr_workgroup_id_y 0
		.amdhsa_system_sgpr_workgroup_id_z 0
		.amdhsa_system_sgpr_workgroup_info 0
		.amdhsa_system_vgpr_workitem_id 0
		.amdhsa_next_free_vgpr 364
		.amdhsa_next_free_sgpr 63
		.amdhsa_accum_offset 256
		.amdhsa_reserve_vcc 1
		.amdhsa_float_round_mode_32 0
		.amdhsa_float_round_mode_16_64 0
		.amdhsa_float_denorm_mode_32 3
		.amdhsa_float_denorm_mode_16_64 3
		.amdhsa_dx10_clamp 1
		.amdhsa_ieee_mode 1
		.amdhsa_fp16_overflow 0
		.amdhsa_tg_split 0
		.amdhsa_exception_fp_ieee_invalid_op 0
		.amdhsa_exception_fp_denorm_src 0
		.amdhsa_exception_fp_ieee_div_zero 0
		.amdhsa_exception_fp_ieee_overflow 0
		.amdhsa_exception_fp_ieee_underflow 0
		.amdhsa_exception_fp_ieee_inexact 0
		.amdhsa_exception_int_div_zero 0
	.end_amdhsa_kernel
	.section	.text._ZN9rocsolver6v33100L18getri_kernel_smallILi47E19rocblas_complex_numIdEPS3_EEvT1_iilPiilS6_bb,"axG",@progbits,_ZN9rocsolver6v33100L18getri_kernel_smallILi47E19rocblas_complex_numIdEPS3_EEvT1_iilPiilS6_bb,comdat
.Lfunc_end46:
	.size	_ZN9rocsolver6v33100L18getri_kernel_smallILi47E19rocblas_complex_numIdEPS3_EEvT1_iilPiilS6_bb, .Lfunc_end46-_ZN9rocsolver6v33100L18getri_kernel_smallILi47E19rocblas_complex_numIdEPS3_EEvT1_iilPiilS6_bb
                                        ; -- End function
	.set _ZN9rocsolver6v33100L18getri_kernel_smallILi47E19rocblas_complex_numIdEPS3_EEvT1_iilPiilS6_bb.num_vgpr, 256
	.set _ZN9rocsolver6v33100L18getri_kernel_smallILi47E19rocblas_complex_numIdEPS3_EEvT1_iilPiilS6_bb.num_agpr, 108
	.set _ZN9rocsolver6v33100L18getri_kernel_smallILi47E19rocblas_complex_numIdEPS3_EEvT1_iilPiilS6_bb.numbered_sgpr, 63
	.set _ZN9rocsolver6v33100L18getri_kernel_smallILi47E19rocblas_complex_numIdEPS3_EEvT1_iilPiilS6_bb.num_named_barrier, 0
	.set _ZN9rocsolver6v33100L18getri_kernel_smallILi47E19rocblas_complex_numIdEPS3_EEvT1_iilPiilS6_bb.private_seg_size, 784
	.set _ZN9rocsolver6v33100L18getri_kernel_smallILi47E19rocblas_complex_numIdEPS3_EEvT1_iilPiilS6_bb.uses_vcc, 1
	.set _ZN9rocsolver6v33100L18getri_kernel_smallILi47E19rocblas_complex_numIdEPS3_EEvT1_iilPiilS6_bb.uses_flat_scratch, 0
	.set _ZN9rocsolver6v33100L18getri_kernel_smallILi47E19rocblas_complex_numIdEPS3_EEvT1_iilPiilS6_bb.has_dyn_sized_stack, 0
	.set _ZN9rocsolver6v33100L18getri_kernel_smallILi47E19rocblas_complex_numIdEPS3_EEvT1_iilPiilS6_bb.has_recursion, 0
	.set _ZN9rocsolver6v33100L18getri_kernel_smallILi47E19rocblas_complex_numIdEPS3_EEvT1_iilPiilS6_bb.has_indirect_call, 0
	.section	.AMDGPU.csdata,"",@progbits
; Kernel info:
; codeLenInByte = 94184
; TotalNumSgprs: 69
; NumVgprs: 256
; NumAgprs: 108
; TotalNumVgprs: 364
; ScratchSize: 784
; MemoryBound: 0
; FloatMode: 240
; IeeeMode: 1
; LDSByteSize: 1512 bytes/workgroup (compile time only)
; SGPRBlocks: 8
; VGPRBlocks: 45
; NumSGPRsForWavesPerEU: 69
; NumVGPRsForWavesPerEU: 364
; AccumOffset: 256
; Occupancy: 1
; WaveLimiterHint : 1
; COMPUTE_PGM_RSRC2:SCRATCH_EN: 1
; COMPUTE_PGM_RSRC2:USER_SGPR: 2
; COMPUTE_PGM_RSRC2:TRAP_HANDLER: 0
; COMPUTE_PGM_RSRC2:TGID_X_EN: 1
; COMPUTE_PGM_RSRC2:TGID_Y_EN: 0
; COMPUTE_PGM_RSRC2:TGID_Z_EN: 0
; COMPUTE_PGM_RSRC2:TIDIG_COMP_CNT: 0
; COMPUTE_PGM_RSRC3_GFX90A:ACCUM_OFFSET: 63
; COMPUTE_PGM_RSRC3_GFX90A:TG_SPLIT: 0
	.section	.text._ZN9rocsolver6v33100L18getri_kernel_smallILi48E19rocblas_complex_numIdEPS3_EEvT1_iilPiilS6_bb,"axG",@progbits,_ZN9rocsolver6v33100L18getri_kernel_smallILi48E19rocblas_complex_numIdEPS3_EEvT1_iilPiilS6_bb,comdat
	.globl	_ZN9rocsolver6v33100L18getri_kernel_smallILi48E19rocblas_complex_numIdEPS3_EEvT1_iilPiilS6_bb ; -- Begin function _ZN9rocsolver6v33100L18getri_kernel_smallILi48E19rocblas_complex_numIdEPS3_EEvT1_iilPiilS6_bb
	.p2align	8
	.type	_ZN9rocsolver6v33100L18getri_kernel_smallILi48E19rocblas_complex_numIdEPS3_EEvT1_iilPiilS6_bb,@function
_ZN9rocsolver6v33100L18getri_kernel_smallILi48E19rocblas_complex_numIdEPS3_EEvT1_iilPiilS6_bb: ; @_ZN9rocsolver6v33100L18getri_kernel_smallILi48E19rocblas_complex_numIdEPS3_EEvT1_iilPiilS6_bb
; %bb.0:
	v_mov_b32_e32 v252, v0
	v_cmp_gt_u32_e32 vcc, 48, v252
	s_and_saveexec_b64 s[4:5], vcc
	s_cbranch_execz .LBB47_206
; %bb.1:
	s_load_dword s8, s[0:1], 0x38
	s_load_dwordx4 s[12:15], s[0:1], 0x10
	s_load_dwordx4 s[4:7], s[0:1], 0x28
                                        ; implicit-def: $sgpr16_sgpr17
	s_waitcnt lgkmcnt(0)
	s_bitcmp1_b32 s8, 8
	s_cselect_b64 s[18:19], -1, 0
	s_ashr_i32 s3, s2, 31
	s_bfe_u32 s8, s8, 0x10008
	s_cmp_eq_u32 s8, 0
	s_cbranch_scc1 .LBB47_3
; %bb.2:
	s_load_dword s8, s[0:1], 0x20
	s_mul_i32 s9, s4, s3
	s_mul_hi_u32 s10, s4, s2
	s_mul_i32 s5, s5, s2
	s_add_i32 s10, s10, s9
	s_add_i32 s5, s10, s5
	s_mul_i32 s4, s4, s2
	s_waitcnt lgkmcnt(0)
	s_ashr_i32 s9, s8, 31
	s_lshl_b64 s[4:5], s[4:5], 2
	s_add_u32 s10, s14, s4
	s_addc_u32 s11, s15, s5
	s_lshl_b64 s[4:5], s[8:9], 2
	s_add_u32 s16, s10, s4
	s_addc_u32 s17, s11, s5
.LBB47_3:
	s_load_dwordx4 s[8:11], s[0:1], 0x0
	s_load_dword s4, s[0:1], 0x38
	s_mul_i32 s5, s12, s3
	s_mul_hi_u32 s14, s12, s2
	s_add_i32 s5, s14, s5
	s_waitcnt lgkmcnt(0)
	s_ashr_i32 s1, s10, 31
	s_mov_b32 s0, s10
	s_mul_i32 s10, s13, s2
	s_add_i32 s13, s5, s10
	s_mul_i32 s12, s12, s2
	s_lshl_b64 s[12:13], s[12:13], 4
	s_add_u32 s5, s8, s12
	s_addc_u32 s8, s9, s13
	s_lshl_b64 s[0:1], s[0:1], 4
	s_add_u32 s0, s5, s0
	s_addc_u32 s1, s8, s1
	v_lshlrev_b32_e32 v54, 4, v252
	v_mov_b32_e32 v55, 0
	s_add_i32 s5, s11, s11
	v_lshl_add_u64 v[0:1], s[0:1], 0, v[54:55]
	v_add_u32_e32 v2, s5, v252
	s_ashr_i32 s9, s11, 31
	s_mov_b32 s8, s11
	v_accvgpr_write_b32 a0, v0
	v_ashrrev_i32_e32 v3, 31, v2
	v_accvgpr_write_b32 a1, v1
	v_lshl_add_u64 v[0:1], s[8:9], 4, v[0:1]
	v_lshl_add_u64 v[4:5], v[2:3], 4, s[0:1]
	v_add_u32_e32 v2, s11, v2
	v_accvgpr_write_b32 a3, v1
	v_ashrrev_i32_e32 v3, 31, v2
	global_load_dwordx4 v[30:33], v54, s[0:1]
	global_load_dwordx4 v[34:37], v[0:1], off
	v_accvgpr_write_b32 a2, v0
	v_lshl_add_u64 v[0:1], v[2:3], 4, s[0:1]
	v_add_u32_e32 v2, s11, v2
	v_accvgpr_write_b32 a4, v4
	v_ashrrev_i32_e32 v3, 31, v2
	v_accvgpr_write_b32 a5, v5
	global_load_dwordx4 v[38:41], v[4:5], off
	global_load_dwordx4 v[42:45], v[0:1], off
	v_lshl_add_u64 v[4:5], v[2:3], 4, s[0:1]
	v_add_u32_e32 v2, s11, v2
	v_accvgpr_write_b32 a7, v1
	v_ashrrev_i32_e32 v3, 31, v2
	v_accvgpr_write_b32 a6, v0
	v_lshl_add_u64 v[0:1], v[2:3], 4, s[0:1]
	v_add_u32_e32 v2, s11, v2
	v_accvgpr_write_b32 a9, v5
	v_ashrrev_i32_e32 v3, 31, v2
	v_accvgpr_write_b32 a8, v4
	global_load_dwordx4 v[46:49], v[4:5], off
	global_load_dwordx4 v[50:53], v[0:1], off
	v_lshl_add_u64 v[4:5], v[2:3], 4, s[0:1]
	v_add_u32_e32 v2, s11, v2
	v_accvgpr_write_b32 a11, v1
	v_ashrrev_i32_e32 v3, 31, v2
	v_accvgpr_write_b32 a10, v0
	v_accvgpr_write_b32 a13, v5
	v_lshl_add_u64 v[0:1], v[2:3], 4, s[0:1]
	v_add_u32_e32 v2, s11, v2
	v_accvgpr_write_b32 a12, v4
	global_load_dwordx4 v[56:59], v[4:5], off
	v_ashrrev_i32_e32 v3, 31, v2
	v_add_u32_e32 v4, s11, v2
	v_lshl_add_u64 v[2:3], v[2:3], 4, s[0:1]
	v_ashrrev_i32_e32 v5, 31, v4
	v_accvgpr_write_b32 a15, v1
	global_load_dwordx4 v[60:63], v[0:1], off
	global_load_dwordx4 v[64:67], v[2:3], off
	v_accvgpr_write_b32 a14, v0
	v_lshl_add_u64 v[0:1], v[4:5], 4, s[0:1]
	global_load_dwordx4 v[68:71], v[0:1], off
	v_accvgpr_write_b32 a17, v3
	v_accvgpr_write_b32 a16, v2
	v_add_u32_e32 v2, s11, v4
	v_add_u32_e32 v6, s11, v2
	;; [unrolled: 1-line block ×3, first 2 shown]
	v_ashrrev_i32_e32 v9, 31, v8
	v_add_u32_e32 v14, s11, v8
	v_lshl_add_u64 v[10:11], v[8:9], 4, s[0:1]
	v_add_u32_e32 v16, s11, v14
	v_accvgpr_write_b32 a19, v1
	v_ashrrev_i32_e32 v3, 31, v2
	v_accvgpr_write_b32 a25, v11
	v_ashrrev_i32_e32 v17, 31, v16
	v_add_u32_e32 v22, s11, v16
	v_accvgpr_write_b32 a18, v0
	v_accvgpr_write_b32 a24, v10
	global_load_dwordx4 v[10:13], v[10:11], off
	v_lshl_add_u64 v[0:1], v[2:3], 4, s[0:1]
	v_lshl_add_u64 v[18:19], v[16:17], 4, s[0:1]
	v_add_u32_e32 v24, s11, v22
	v_ashrrev_i32_e32 v7, 31, v6
	v_accvgpr_write_b32 a21, v1
	v_accvgpr_write_b32 a29, v19
	v_ashrrev_i32_e32 v25, 31, v24
	v_accvgpr_write_b32 a20, v0
	global_load_dwordx4 v[2:5], v[0:1], off
	v_accvgpr_write_b32 a28, v18
	global_load_dwordx4 v[18:21], v[18:19], off
	v_lshl_add_u64 v[0:1], v[6:7], 4, s[0:1]
	v_lshl_add_u64 v[26:27], v[24:25], 4, s[0:1]
	v_ashrrev_i32_e32 v15, 31, v14
	v_accvgpr_write_b32 a23, v1
	v_accvgpr_write_b32 a33, v27
	;; [unrolled: 1-line block ×3, first 2 shown]
	global_load_dwordx4 v[6:9], v[0:1], off
	v_accvgpr_write_b32 a32, v26
	global_load_dwordx4 v[26:29], v[26:27], off
	v_lshl_add_u64 v[0:1], v[14:15], 4, s[0:1]
	v_ashrrev_i32_e32 v23, 31, v22
	v_accvgpr_write_b32 a27, v1
	v_add_u32_e32 v72, s11, v24
	v_accvgpr_write_b32 a26, v0
	global_load_dwordx4 v[14:17], v[0:1], off
	v_lshl_add_u64 v[0:1], v[22:23], 4, s[0:1]
	v_add_u32_e32 v74, s11, v72
	global_load_dwordx4 v[22:25], v[0:1], off
	s_waitcnt vmcnt(16)
	scratch_store_dwordx4 off, v[30:33], off offset:16
	s_waitcnt vmcnt(16)
	scratch_store_dwordx4 off, v[34:37], off offset:32
	;; [unrolled: 2-line block ×10, first 2 shown]
	v_add_u32_e32 v38, s11, v74
	v_add_u32_e32 v46, s11, v38
	v_ashrrev_i32_e32 v47, 31, v46
	v_lshl_add_u64 v[42:43], v[46:47], 4, s[0:1]
	v_add_u32_e32 v46, s11, v46
	v_add_u32_e32 v56, s11, v46
	v_ashrrev_i32_e32 v57, 31, v56
	v_lshl_add_u64 v[50:51], v[56:57], 4, s[0:1]
	v_add_u32_e32 v56, s11, v56
	v_ashrrev_i32_e32 v73, 31, v72
	v_accvgpr_write_b32 a31, v1
	v_ashrrev_i32_e32 v75, 31, v74
	v_add_u32_e32 v64, s11, v56
	v_accvgpr_write_b32 a30, v0
	v_lshl_add_u64 v[0:1], v[72:73], 4, s[0:1]
	v_lshl_add_u64 v[72:73], v[74:75], 4, s[0:1]
	v_ashrrev_i32_e32 v65, 31, v64
	v_accvgpr_write_b32 a36, v72
	v_lshl_add_u64 v[60:61], v[64:65], 4, s[0:1]
	v_add_u32_e32 v64, s11, v64
	v_accvgpr_write_b32 a37, v73
	global_load_dwordx4 v[34:37], v[72:73], off
	v_add_u32_e32 v72, s11, v64
	v_ashrrev_i32_e32 v73, 31, v72
	v_lshl_add_u64 v[68:69], v[72:73], 4, s[0:1]
	v_add_u32_e32 v72, s11, v72
	v_add_u32_e32 v80, s11, v72
	v_ashrrev_i32_e32 v81, 31, v80
	v_lshl_add_u64 v[76:77], v[80:81], 4, s[0:1]
	v_add_u32_e32 v80, s11, v80
	v_add_u32_e32 v88, s11, v80
	v_accvgpr_write_b32 a35, v1
	v_ashrrev_i32_e32 v39, 31, v38
	v_accvgpr_write_b32 a40, v42
	v_ashrrev_i32_e32 v89, 31, v88
	v_accvgpr_write_b32 a34, v0
	global_load_dwordx4 v[30:33], v[0:1], off
	v_accvgpr_write_b32 a41, v43
	global_load_dwordx4 v[42:45], v[42:43], off
	v_lshl_add_u64 v[0:1], v[38:39], 4, s[0:1]
	v_lshl_add_u64 v[84:85], v[88:89], 4, s[0:1]
	v_add_u32_e32 v88, s11, v88
	v_accvgpr_write_b32 a39, v1
	v_ashrrev_i32_e32 v47, 31, v46
	v_accvgpr_write_b32 a44, v50
	v_add_u32_e32 v96, s11, v88
	v_accvgpr_write_b32 a38, v0
	global_load_dwordx4 v[38:41], v[0:1], off
	v_accvgpr_write_b32 a45, v51
	global_load_dwordx4 v[50:53], v[50:51], off
	v_lshl_add_u64 v[0:1], v[46:47], 4, s[0:1]
	v_ashrrev_i32_e32 v97, 31, v96
	v_accvgpr_write_b32 a43, v1
	v_ashrrev_i32_e32 v57, 31, v56
	v_accvgpr_write_b32 a48, v60
	v_lshl_add_u64 v[92:93], v[96:97], 4, s[0:1]
	v_add_u32_e32 v96, s11, v96
	v_accvgpr_write_b32 a42, v0
	global_load_dwordx4 v[46:49], v[0:1], off
	v_accvgpr_write_b32 a49, v61
	global_load_dwordx4 v[60:63], v[60:61], off
	v_lshl_add_u64 v[0:1], v[56:57], 4, s[0:1]
	v_add_u32_e32 v104, s11, v96
	v_accvgpr_write_b32 a47, v1
	v_ashrrev_i32_e32 v65, 31, v64
	v_accvgpr_write_b32 a52, v68
	v_ashrrev_i32_e32 v105, 31, v104
	v_accvgpr_write_b32 a46, v0
	global_load_dwordx4 v[56:59], v[0:1], off
	v_accvgpr_write_b32 a53, v69
	global_load_dwordx4 v[68:71], v[68:69], off
	v_lshl_add_u64 v[0:1], v[64:65], 4, s[0:1]
	v_lshl_add_u64 v[100:101], v[104:105], 4, s[0:1]
	v_add_u32_e32 v104, s11, v104
	v_accvgpr_write_b32 a51, v1
	v_ashrrev_i32_e32 v73, 31, v72
	v_accvgpr_write_b32 a56, v76
	v_add_u32_e32 v112, s11, v104
	v_accvgpr_write_b32 a50, v0
	global_load_dwordx4 v[64:67], v[0:1], off
	v_accvgpr_write_b32 a57, v77
	global_load_dwordx4 v[76:79], v[76:77], off
	v_lshl_add_u64 v[0:1], v[72:73], 4, s[0:1]
	v_ashrrev_i32_e32 v113, 31, v112
	v_accvgpr_write_b32 a55, v1
	v_ashrrev_i32_e32 v81, 31, v80
	v_accvgpr_write_b32 a60, v84
	v_lshl_add_u64 v[108:109], v[112:113], 4, s[0:1]
	v_add_u32_e32 v112, s11, v112
	v_accvgpr_write_b32 a54, v0
	global_load_dwordx4 v[72:75], v[0:1], off
	v_accvgpr_write_b32 a61, v85
	global_load_dwordx4 v[84:87], v[84:85], off
	v_lshl_add_u64 v[0:1], v[80:81], 4, s[0:1]
	;; [unrolled: 32-line block ×4, first 2 shown]
	v_add_u32_e32 v152, s11, v144
	v_accvgpr_write_b32 a83, v1
	v_ashrrev_i32_e32 v137, 31, v136
	v_accvgpr_write_b32 a88, v140
	v_ashrrev_i32_e32 v153, 31, v152
	v_accvgpr_write_b32 a82, v0
	global_load_dwordx4 v[128:131], v[0:1], off
	v_accvgpr_write_b32 a89, v141
	global_load_dwordx4 v[140:143], v[140:141], off
	v_lshl_add_u64 v[0:1], v[136:137], 4, s[0:1]
	v_lshl_add_u64 v[148:149], v[152:153], 4, s[0:1]
	v_accvgpr_write_b32 a87, v1
	v_ashrrev_i32_e32 v145, 31, v144
	v_accvgpr_write_b32 a92, v148
	v_accvgpr_write_b32 a86, v0
	global_load_dwordx4 v[136:139], v[0:1], off
	v_accvgpr_write_b32 a93, v149
	global_load_dwordx4 v[148:151], v[148:149], off
	v_lshl_add_u64 v[0:1], v[144:145], 4, s[0:1]
	v_add_u32_e32 v152, s11, v152
	v_accvgpr_write_b32 a91, v1
	v_ashrrev_i32_e32 v153, 31, v152
	v_accvgpr_write_b32 a90, v0
	global_load_dwordx4 v[144:147], v[0:1], off
	v_lshl_add_u64 v[0:1], v[152:153], 4, s[0:1]
	s_movk_i32 s0, 0x50
	s_add_i32 s30, s0, 16
	s_movk_i32 s0, 0x60
	global_load_dwordx4 v[152:155], v[0:1], off
	s_add_i32 s62, s0, 16
	s_movk_i32 s0, 0x70
	s_add_i32 s63, s0, 16
	s_movk_i32 s0, 0x80
	;; [unrolled: 2-line block ×41, first 2 shown]
	v_accvgpr_write_b32 a95, v1
	s_add_i32 s61, s0, 16
	v_accvgpr_write_b32 a94, v0
	s_mov_b32 s29, 32
	s_mov_b32 s26, 48
	;; [unrolled: 1-line block ×3, first 2 shown]
	s_movk_i32 s28, 0x50
	s_bitcmp0_b32 s4, 0
	s_mov_b64 s[4:5], -1
	s_waitcnt vmcnt(46)
	scratch_store_dwordx4 off, v[2:5], off offset:176
	s_waitcnt vmcnt(45)
	scratch_store_dwordx4 off, v[6:9], off offset:192
	scratch_store_dwordx4 off, v[10:13], off offset:208
	s_waitcnt vmcnt(45)
	scratch_store_dwordx4 off, v[14:17], off offset:224
	;; [unrolled: 3-line block ×19, first 2 shown]
	s_cbranch_scc1 .LBB47_204
; %bb.4:
	v_cmp_eq_u32_e64 s[0:1], 0, v252
	s_and_saveexec_b64 s[4:5], s[0:1]
; %bb.5:
	v_mov_b32_e32 v0, 0
	ds_write_b32 v0, v0 offset:1536
; %bb.6:
	s_or_b64 exec, exec, s[4:5]
	s_waitcnt lgkmcnt(0)
	; wave barrier
	scratch_load_dwordx4 v[2:5], v54, off offset:16
	s_waitcnt vmcnt(0)
	v_cmp_eq_f64_e32 vcc, 0, v[2:3]
	v_cmp_eq_f64_e64 s[4:5], 0, v[4:5]
	s_and_b64 s[4:5], vcc, s[4:5]
	s_and_saveexec_b64 s[8:9], s[4:5]
	s_cbranch_execz .LBB47_10
; %bb.7:
	v_mov_b32_e32 v1, 0
	ds_read_b32 v0, v1 offset:1536
	v_add_u32_e32 v2, 1, v252
	s_waitcnt lgkmcnt(0)
	v_readfirstlane_b32 s4, v0
	s_cmp_eq_u32 s4, 0
	s_cselect_b64 s[10:11], -1, 0
	v_cmp_gt_i32_e32 vcc, s4, v2
	s_or_b64 s[10:11], s[10:11], vcc
	s_and_b64 exec, exec, s[10:11]
	s_cbranch_execz .LBB47_10
; %bb.8:
	s_mov_b64 s[10:11], 0
	v_mov_b32_e32 v3, s4
.LBB47_9:                               ; =>This Inner Loop Header: Depth=1
	ds_cmpst_rtn_b32 v3, v1, v3, v2 offset:1536
	s_waitcnt lgkmcnt(0)
	v_cmp_ne_u32_e32 vcc, 0, v3
	v_cmp_le_i32_e64 s[4:5], v3, v2
	s_and_b64 s[4:5], vcc, s[4:5]
	s_and_b64 s[4:5], exec, s[4:5]
	s_or_b64 s[10:11], s[4:5], s[10:11]
	s_andn2_b64 exec, exec, s[10:11]
	s_cbranch_execnz .LBB47_9
.LBB47_10:
	s_or_b64 exec, exec, s[8:9]
	v_mov_b32_e32 v2, 0
	; wave barrier
	ds_read_b32 v1, v2 offset:1536
	s_and_saveexec_b64 s[4:5], s[0:1]
	s_cbranch_execz .LBB47_12
; %bb.11:
	s_lshl_b64 s[8:9], s[2:3], 2
	s_add_u32 s8, s6, s8
	s_addc_u32 s9, s7, s9
	s_waitcnt lgkmcnt(0)
	global_store_dword v2, v1, s[8:9]
.LBB47_12:
	s_or_b64 exec, exec, s[4:5]
	s_waitcnt lgkmcnt(0)
	v_cmp_ne_u32_e32 vcc, 0, v1
	s_mov_b64 s[4:5], 0
	s_cbranch_vccnz .LBB47_204
; %bb.13:
	v_add_u32_e32 v14, 16, v54
	scratch_load_dwordx4 v[2:5], v14, off
                                        ; implicit-def: $vgpr6_vgpr7
                                        ; implicit-def: $vgpr10_vgpr11
	s_waitcnt vmcnt(0)
	v_cmp_ngt_f64_e64 s[4:5], |v[2:3]|, |v[4:5]|
	s_and_saveexec_b64 s[8:9], s[4:5]
	s_xor_b64 s[4:5], exec, s[8:9]
	s_cbranch_execz .LBB47_15
; %bb.14:
	v_div_scale_f64 v[6:7], s[8:9], v[4:5], v[4:5], v[2:3]
	v_rcp_f64_e32 v[8:9], v[6:7]
	v_div_scale_f64 v[10:11], vcc, v[2:3], v[4:5], v[2:3]
	v_fma_f64 v[12:13], -v[6:7], v[8:9], 1.0
	v_fmac_f64_e32 v[8:9], v[8:9], v[12:13]
	v_fma_f64 v[12:13], -v[6:7], v[8:9], 1.0
	v_fmac_f64_e32 v[8:9], v[8:9], v[12:13]
	v_mul_f64 v[12:13], v[10:11], v[8:9]
	v_fma_f64 v[6:7], -v[6:7], v[12:13], v[10:11]
	v_div_fmas_f64 v[6:7], v[6:7], v[8:9], v[12:13]
	v_div_fixup_f64 v[6:7], v[6:7], v[4:5], v[2:3]
	v_fmac_f64_e32 v[4:5], v[2:3], v[6:7]
	v_div_scale_f64 v[2:3], s[8:9], v[4:5], v[4:5], 1.0
	v_rcp_f64_e32 v[8:9], v[2:3]
	s_nop 0
	v_fma_f64 v[10:11], -v[2:3], v[8:9], 1.0
	v_fmac_f64_e32 v[8:9], v[8:9], v[10:11]
	v_fma_f64 v[10:11], -v[2:3], v[8:9], 1.0
	v_fmac_f64_e32 v[8:9], v[8:9], v[10:11]
	v_div_scale_f64 v[10:11], vcc, 1.0, v[4:5], 1.0
	v_mul_f64 v[12:13], v[10:11], v[8:9]
	v_fma_f64 v[2:3], -v[2:3], v[12:13], v[10:11]
	s_nop 1
	v_div_fmas_f64 v[2:3], v[2:3], v[8:9], v[12:13]
	v_div_fixup_f64 v[8:9], v[2:3], v[4:5], 1.0
	v_mul_f64 v[6:7], v[6:7], v[8:9]
	v_xor_b32_e32 v9, 0x80000000, v9
	v_xor_b32_e32 v11, 0x80000000, v7
	v_mov_b32_e32 v10, v6
                                        ; implicit-def: $vgpr2_vgpr3
.LBB47_15:
	s_andn2_saveexec_b64 s[4:5], s[4:5]
	s_cbranch_execz .LBB47_17
; %bb.16:
	v_div_scale_f64 v[6:7], s[8:9], v[2:3], v[2:3], v[4:5]
	v_rcp_f64_e32 v[8:9], v[6:7]
	v_div_scale_f64 v[10:11], vcc, v[4:5], v[2:3], v[4:5]
	v_fma_f64 v[12:13], -v[6:7], v[8:9], 1.0
	v_fmac_f64_e32 v[8:9], v[8:9], v[12:13]
	v_fma_f64 v[12:13], -v[6:7], v[8:9], 1.0
	v_fmac_f64_e32 v[8:9], v[8:9], v[12:13]
	v_mul_f64 v[12:13], v[10:11], v[8:9]
	v_fma_f64 v[6:7], -v[6:7], v[12:13], v[10:11]
	v_div_fmas_f64 v[6:7], v[6:7], v[8:9], v[12:13]
	v_div_fixup_f64 v[8:9], v[6:7], v[2:3], v[4:5]
	v_fmac_f64_e32 v[2:3], v[4:5], v[8:9]
	v_div_scale_f64 v[4:5], s[8:9], v[2:3], v[2:3], 1.0
	v_rcp_f64_e32 v[6:7], v[4:5]
	s_nop 0
	v_fma_f64 v[10:11], -v[4:5], v[6:7], 1.0
	v_fmac_f64_e32 v[6:7], v[6:7], v[10:11]
	v_fma_f64 v[10:11], -v[4:5], v[6:7], 1.0
	v_fmac_f64_e32 v[6:7], v[6:7], v[10:11]
	v_div_scale_f64 v[10:11], vcc, 1.0, v[2:3], 1.0
	v_mul_f64 v[12:13], v[10:11], v[6:7]
	v_fma_f64 v[4:5], -v[4:5], v[12:13], v[10:11]
	s_nop 1
	v_div_fmas_f64 v[4:5], v[4:5], v[6:7], v[12:13]
	v_div_fixup_f64 v[6:7], v[4:5], v[2:3], 1.0
	v_xor_b32_e32 v11, 0x80000000, v7
	v_mov_b32_e32 v10, v6
	v_mul_f64 v[8:9], v[8:9], -v[6:7]
.LBB47_17:
	s_or_b64 exec, exec, s[4:5]
	scratch_store_dwordx4 v14, v[6:9], off
	scratch_load_dwordx4 v[2:5], off, s29
	v_xor_b32_e32 v13, 0x80000000, v9
	v_mov_b32_e32 v12, v8
	v_add_u32_e32 v1, 0x300, v54
	ds_write_b128 v54, v[10:13]
	s_waitcnt vmcnt(0)
	ds_write_b128 v54, v[2:5] offset:768
	s_waitcnt lgkmcnt(0)
	; wave barrier
	s_and_saveexec_b64 s[4:5], s[0:1]
	s_cbranch_execz .LBB47_19
; %bb.18:
	scratch_load_dwordx4 v[2:5], v14, off
	ds_read_b128 v[6:9], v1
	v_mov_b32_e32 v0, 0
	ds_read_b128 v[10:13], v0 offset:16
	s_waitcnt vmcnt(0) lgkmcnt(1)
	v_mul_f64 v[16:17], v[8:9], v[4:5]
	v_mul_f64 v[4:5], v[6:7], v[4:5]
	v_fma_f64 v[6:7], v[6:7], v[2:3], -v[16:17]
	v_fmac_f64_e32 v[4:5], v[8:9], v[2:3]
	v_add_f64 v[2:3], v[6:7], 0
	v_add_f64 v[6:7], v[4:5], 0
	s_waitcnt lgkmcnt(0)
	v_mul_f64 v[8:9], v[6:7], v[12:13]
	v_mul_f64 v[4:5], v[2:3], v[12:13]
	v_fma_f64 v[2:3], v[2:3], v[10:11], -v[8:9]
	v_fmac_f64_e32 v[4:5], v[6:7], v[10:11]
	scratch_store_dwordx4 off, v[2:5], off offset:32
.LBB47_19:
	s_or_b64 exec, exec, s[4:5]
	; wave barrier
	scratch_load_dwordx4 v[2:5], off, s26
	v_cmp_gt_u32_e32 vcc, 2, v252
	s_waitcnt vmcnt(0)
	ds_write_b128 v1, v[2:5]
	s_waitcnt lgkmcnt(0)
	; wave barrier
	s_and_saveexec_b64 s[4:5], vcc
	s_cbranch_execz .LBB47_23
; %bb.20:
	scratch_load_dwordx4 v[2:5], v14, off
	ds_read_b128 v[6:9], v1
	s_waitcnt vmcnt(0) lgkmcnt(0)
	v_mul_f64 v[10:11], v[8:9], v[4:5]
	v_mul_f64 v[12:13], v[6:7], v[4:5]
	v_fma_f64 v[4:5], v[6:7], v[2:3], -v[10:11]
	v_fmac_f64_e32 v[12:13], v[8:9], v[2:3]
	v_add_f64 v[4:5], v[4:5], 0
	v_add_f64 v[2:3], v[12:13], 0
	s_and_saveexec_b64 s[8:9], s[0:1]
	s_cbranch_execz .LBB47_22
; %bb.21:
	scratch_load_dwordx4 v[6:9], off, off offset:32
	v_mov_b32_e32 v0, 0
	ds_read_b128 v[10:13], v0 offset:784
	s_waitcnt vmcnt(0) lgkmcnt(0)
	v_mul_f64 v[14:15], v[10:11], v[8:9]
	v_mul_f64 v[8:9], v[12:13], v[8:9]
	v_fmac_f64_e32 v[14:15], v[12:13], v[6:7]
	v_fma_f64 v[6:7], v[10:11], v[6:7], -v[8:9]
	v_add_f64 v[2:3], v[2:3], v[14:15]
	v_add_f64 v[4:5], v[4:5], v[6:7]
.LBB47_22:
	s_or_b64 exec, exec, s[8:9]
	v_mov_b32_e32 v0, 0
	ds_read_b128 v[6:9], v0 offset:32
	s_waitcnt lgkmcnt(0)
	v_mul_f64 v[12:13], v[2:3], v[8:9]
	v_mul_f64 v[10:11], v[4:5], v[8:9]
	v_fma_f64 v[8:9], v[4:5], v[6:7], -v[12:13]
	v_fmac_f64_e32 v[10:11], v[2:3], v[6:7]
	scratch_store_dwordx4 off, v[8:11], off offset:48
.LBB47_23:
	s_or_b64 exec, exec, s[4:5]
	; wave barrier
	scratch_load_dwordx4 v[2:5], off, s27
	v_cmp_gt_u32_e32 vcc, 3, v252
	v_add_u32_e32 v6, -1, v252
	s_waitcnt vmcnt(0)
	ds_write_b128 v1, v[2:5]
	s_waitcnt lgkmcnt(0)
	; wave barrier
	s_and_saveexec_b64 s[0:1], vcc
	s_cbranch_execz .LBB47_27
; %bb.24:
	v_add_u32_e32 v7, -1, v252
	v_add_u32_e32 v8, 0x300, v54
	v_add_u32_e32 v9, 16, v54
	v_mov_b64_e32 v[2:3], 0
	s_mov_b64 s[4:5], 0
	v_mov_b64_e32 v[4:5], 0
.LBB47_25:                              ; =>This Inner Loop Header: Depth=1
	scratch_load_dwordx4 v[10:13], v9, off
	ds_read_b128 v[14:17], v8
	v_add_u32_e32 v7, 1, v7
	v_cmp_lt_u32_e32 vcc, 1, v7
	v_add_u32_e32 v8, 16, v8
	v_add_u32_e32 v9, 16, v9
	s_or_b64 s[4:5], vcc, s[4:5]
	s_waitcnt vmcnt(0) lgkmcnt(0)
	v_mul_f64 v[18:19], v[16:17], v[12:13]
	v_mul_f64 v[12:13], v[14:15], v[12:13]
	v_fma_f64 v[14:15], v[14:15], v[10:11], -v[18:19]
	v_fmac_f64_e32 v[12:13], v[16:17], v[10:11]
	v_add_f64 v[4:5], v[4:5], v[14:15]
	v_add_f64 v[2:3], v[2:3], v[12:13]
	s_andn2_b64 exec, exec, s[4:5]
	s_cbranch_execnz .LBB47_25
; %bb.26:
	s_or_b64 exec, exec, s[4:5]
	v_mov_b32_e32 v0, 0
	ds_read_b128 v[8:11], v0 offset:48
	s_waitcnt lgkmcnt(0)
	v_mul_f64 v[14:15], v[2:3], v[10:11]
	v_mul_f64 v[12:13], v[4:5], v[10:11]
	v_fma_f64 v[10:11], v[4:5], v[8:9], -v[14:15]
	v_fmac_f64_e32 v[12:13], v[2:3], v[8:9]
	scratch_store_dwordx4 off, v[10:13], off offset:64
.LBB47_27:
	s_or_b64 exec, exec, s[0:1]
	; wave barrier
	scratch_load_dwordx4 v[2:5], off, s28
	v_cmp_gt_u32_e32 vcc, 4, v252
	s_waitcnt vmcnt(0)
	ds_write_b128 v1, v[2:5]
	s_waitcnt lgkmcnt(0)
	; wave barrier
	s_and_saveexec_b64 s[0:1], vcc
	s_cbranch_execz .LBB47_31
; %bb.28:
	v_add_u32_e32 v7, -1, v252
	v_add_u32_e32 v8, 0x300, v54
	v_add_u32_e32 v9, 16, v54
	v_mov_b64_e32 v[2:3], 0
	s_mov_b64 s[4:5], 0
	v_mov_b64_e32 v[4:5], 0
.LBB47_29:                              ; =>This Inner Loop Header: Depth=1
	scratch_load_dwordx4 v[10:13], v9, off
	ds_read_b128 v[14:17], v8
	v_add_u32_e32 v7, 1, v7
	v_cmp_lt_u32_e32 vcc, 2, v7
	v_add_u32_e32 v8, 16, v8
	v_add_u32_e32 v9, 16, v9
	s_or_b64 s[4:5], vcc, s[4:5]
	s_waitcnt vmcnt(0) lgkmcnt(0)
	v_mul_f64 v[18:19], v[16:17], v[12:13]
	v_mul_f64 v[12:13], v[14:15], v[12:13]
	v_fma_f64 v[14:15], v[14:15], v[10:11], -v[18:19]
	v_fmac_f64_e32 v[12:13], v[16:17], v[10:11]
	v_add_f64 v[4:5], v[4:5], v[14:15]
	v_add_f64 v[2:3], v[2:3], v[12:13]
	s_andn2_b64 exec, exec, s[4:5]
	s_cbranch_execnz .LBB47_29
; %bb.30:
	s_or_b64 exec, exec, s[4:5]
	v_mov_b32_e32 v0, 0
	ds_read_b128 v[8:11], v0 offset:64
	s_waitcnt lgkmcnt(0)
	v_mul_f64 v[14:15], v[2:3], v[10:11]
	v_mul_f64 v[12:13], v[4:5], v[10:11]
	v_fma_f64 v[10:11], v[4:5], v[8:9], -v[14:15]
	v_fmac_f64_e32 v[12:13], v[2:3], v[8:9]
	scratch_store_dwordx4 off, v[10:13], off offset:80
.LBB47_31:
	s_or_b64 exec, exec, s[0:1]
	; wave barrier
	scratch_load_dwordx4 v[2:5], off, s30
	v_cmp_gt_u32_e32 vcc, 5, v252
	;; [unrolled: 45-line block ×19, first 2 shown]
	s_waitcnt vmcnt(0)
	ds_write_b128 v1, v[2:5]
	s_waitcnt lgkmcnt(0)
	; wave barrier
	s_and_saveexec_b64 s[0:1], vcc
	s_cbranch_execz .LBB47_103
; %bb.100:
	v_add_u32_e32 v7, -1, v252
	v_add_u32_e32 v8, 0x300, v54
	v_add_u32_e32 v9, 16, v54
	v_mov_b64_e32 v[2:3], 0
	s_mov_b64 s[4:5], 0
	v_mov_b64_e32 v[4:5], 0
.LBB47_101:                             ; =>This Inner Loop Header: Depth=1
	scratch_load_dwordx4 v[10:13], v9, off
	ds_read_b128 v[14:17], v8
	v_add_u32_e32 v7, 1, v7
	v_cmp_lt_u32_e32 vcc, 20, v7
	v_add_u32_e32 v8, 16, v8
	v_add_u32_e32 v9, 16, v9
	s_or_b64 s[4:5], vcc, s[4:5]
	s_waitcnt vmcnt(0) lgkmcnt(0)
	v_mul_f64 v[18:19], v[16:17], v[12:13]
	v_mul_f64 v[12:13], v[14:15], v[12:13]
	v_fma_f64 v[14:15], v[14:15], v[10:11], -v[18:19]
	v_fmac_f64_e32 v[12:13], v[16:17], v[10:11]
	v_add_f64 v[4:5], v[4:5], v[14:15]
	v_add_f64 v[2:3], v[2:3], v[12:13]
	s_andn2_b64 exec, exec, s[4:5]
	s_cbranch_execnz .LBB47_101
; %bb.102:
	s_or_b64 exec, exec, s[4:5]
	v_mov_b32_e32 v0, 0
	ds_read_b128 v[8:11], v0 offset:352
	s_waitcnt lgkmcnt(0)
	v_mul_f64 v[14:15], v[2:3], v[10:11]
	v_mul_f64 v[12:13], v[4:5], v[10:11]
	v_fma_f64 v[10:11], v[4:5], v[8:9], -v[14:15]
	v_fmac_f64_e32 v[12:13], v[2:3], v[8:9]
	scratch_store_dwordx4 off, v[10:13], off offset:368
.LBB47_103:
	s_or_b64 exec, exec, s[0:1]
	; wave barrier
	scratch_load_dwordx4 v[2:5], off, s47
	v_cmp_gt_u32_e32 vcc, 23, v252
	s_waitcnt vmcnt(0)
	ds_write_b128 v1, v[2:5]
	s_waitcnt lgkmcnt(0)
	; wave barrier
	s_and_saveexec_b64 s[0:1], vcc
	s_cbranch_execz .LBB47_107
; %bb.104:
	v_add_u32_e32 v7, -1, v252
	v_add_u32_e32 v8, 0x300, v54
	v_add_u32_e32 v9, 16, v54
	v_mov_b64_e32 v[2:3], 0
	s_mov_b64 s[4:5], 0
	v_mov_b64_e32 v[4:5], 0
.LBB47_105:                             ; =>This Inner Loop Header: Depth=1
	scratch_load_dwordx4 v[10:13], v9, off
	ds_read_b128 v[14:17], v8
	v_add_u32_e32 v7, 1, v7
	v_cmp_lt_u32_e32 vcc, 21, v7
	v_add_u32_e32 v8, 16, v8
	v_add_u32_e32 v9, 16, v9
	s_or_b64 s[4:5], vcc, s[4:5]
	s_waitcnt vmcnt(0) lgkmcnt(0)
	v_mul_f64 v[18:19], v[16:17], v[12:13]
	v_mul_f64 v[12:13], v[14:15], v[12:13]
	v_fma_f64 v[14:15], v[14:15], v[10:11], -v[18:19]
	v_fmac_f64_e32 v[12:13], v[16:17], v[10:11]
	v_add_f64 v[4:5], v[4:5], v[14:15]
	v_add_f64 v[2:3], v[2:3], v[12:13]
	s_andn2_b64 exec, exec, s[4:5]
	s_cbranch_execnz .LBB47_105
; %bb.106:
	s_or_b64 exec, exec, s[4:5]
	v_mov_b32_e32 v0, 0
	ds_read_b128 v[8:11], v0 offset:368
	s_waitcnt lgkmcnt(0)
	v_mul_f64 v[14:15], v[2:3], v[10:11]
	v_mul_f64 v[12:13], v[4:5], v[10:11]
	v_fma_f64 v[10:11], v[4:5], v[8:9], -v[14:15]
	v_fmac_f64_e32 v[12:13], v[2:3], v[8:9]
	scratch_store_dwordx4 off, v[10:13], off offset:384
.LBB47_107:
	s_or_b64 exec, exec, s[0:1]
	; wave barrier
	scratch_load_dwordx4 v[2:5], off, s48
	v_cmp_gt_u32_e32 vcc, 24, v252
	;; [unrolled: 45-line block ×24, first 2 shown]
	s_waitcnt vmcnt(0)
	ds_write_b128 v1, v[2:5]
	s_waitcnt lgkmcnt(0)
	; wave barrier
	s_and_saveexec_b64 s[0:1], vcc
	s_cbranch_execz .LBB47_199
; %bb.196:
	v_add_u32_e32 v7, -1, v252
	v_add_u32_e32 v8, 0x300, v54
	v_add_u32_e32 v9, 16, v54
	v_mov_b64_e32 v[2:3], 0
	s_mov_b64 s[4:5], 0
	v_mov_b64_e32 v[4:5], 0
.LBB47_197:                             ; =>This Inner Loop Header: Depth=1
	scratch_load_dwordx4 v[10:13], v9, off
	ds_read_b128 v[14:17], v8
	v_add_u32_e32 v7, 1, v7
	v_cmp_lt_u32_e32 vcc, 44, v7
	v_add_u32_e32 v8, 16, v8
	v_add_u32_e32 v9, 16, v9
	s_or_b64 s[4:5], vcc, s[4:5]
	s_waitcnt vmcnt(0) lgkmcnt(0)
	v_mul_f64 v[18:19], v[16:17], v[12:13]
	v_mul_f64 v[12:13], v[14:15], v[12:13]
	v_fma_f64 v[14:15], v[14:15], v[10:11], -v[18:19]
	v_fmac_f64_e32 v[12:13], v[16:17], v[10:11]
	v_add_f64 v[4:5], v[4:5], v[14:15]
	v_add_f64 v[2:3], v[2:3], v[12:13]
	s_andn2_b64 exec, exec, s[4:5]
	s_cbranch_execnz .LBB47_197
; %bb.198:
	s_or_b64 exec, exec, s[4:5]
	v_mov_b32_e32 v0, 0
	ds_read_b128 v[8:11], v0 offset:736
	s_waitcnt lgkmcnt(0)
	v_mul_f64 v[14:15], v[2:3], v[10:11]
	v_mul_f64 v[12:13], v[4:5], v[10:11]
	v_fma_f64 v[10:11], v[4:5], v[8:9], -v[14:15]
	v_fmac_f64_e32 v[12:13], v[2:3], v[8:9]
	scratch_store_dwordx4 off, v[10:13], off offset:752
.LBB47_199:
	s_or_b64 exec, exec, s[0:1]
	; wave barrier
	scratch_load_dwordx4 v[2:5], off, s61
	v_cmp_ne_u32_e32 vcc, 47, v252
	s_waitcnt vmcnt(0)
	ds_write_b128 v1, v[2:5]
	s_waitcnt lgkmcnt(0)
	; wave barrier
	s_and_saveexec_b64 s[0:1], vcc
	s_cbranch_execz .LBB47_203
; %bb.200:
	v_add_u32_e32 v1, 0x300, v54
	v_add_u32_e32 v7, 16, v54
	v_mov_b64_e32 v[2:3], 0
	s_mov_b64 s[4:5], 0
	v_mov_b64_e32 v[4:5], 0
.LBB47_201:                             ; =>This Inner Loop Header: Depth=1
	scratch_load_dwordx4 v[8:11], v7, off
	ds_read_b128 v[12:15], v1
	v_add_u32_e32 v6, 1, v6
	v_cmp_lt_u32_e32 vcc, 45, v6
	v_add_u32_e32 v1, 16, v1
	v_add_u32_e32 v7, 16, v7
	s_or_b64 s[4:5], vcc, s[4:5]
	s_waitcnt vmcnt(0) lgkmcnt(0)
	v_mul_f64 v[16:17], v[14:15], v[10:11]
	v_mul_f64 v[10:11], v[12:13], v[10:11]
	v_fma_f64 v[12:13], v[12:13], v[8:9], -v[16:17]
	v_fmac_f64_e32 v[10:11], v[14:15], v[8:9]
	v_add_f64 v[4:5], v[4:5], v[12:13]
	v_add_f64 v[2:3], v[2:3], v[10:11]
	s_andn2_b64 exec, exec, s[4:5]
	s_cbranch_execnz .LBB47_201
; %bb.202:
	s_or_b64 exec, exec, s[4:5]
	v_mov_b32_e32 v0, 0
	ds_read_b128 v[6:9], v0 offset:752
	s_waitcnt lgkmcnt(0)
	v_mul_f64 v[12:13], v[2:3], v[8:9]
	v_mul_f64 v[10:11], v[4:5], v[8:9]
	v_fma_f64 v[8:9], v[4:5], v[6:7], -v[12:13]
	v_fmac_f64_e32 v[10:11], v[2:3], v[6:7]
	scratch_store_dwordx4 off, v[8:11], off offset:768
.LBB47_203:
	s_or_b64 exec, exec, s[0:1]
	s_mov_b64 s[4:5], -1
	; wave barrier
.LBB47_204:
	s_and_b64 vcc, exec, s[4:5]
	s_cbranch_vccz .LBB47_206
; %bb.205:
	s_lshl_b64 s[0:1], s[2:3], 2
	s_add_u32 s0, s6, s0
	s_addc_u32 s1, s7, s1
	v_mov_b32_e32 v0, 0
	global_load_dword v0, v0, s[0:1]
	s_waitcnt vmcnt(0)
	v_cmp_ne_u32_e32 vcc, 0, v0
	s_cbranch_vccz .LBB47_207
.LBB47_206:
	s_endpgm
.LBB47_207:
	v_mov_b32_e32 v0, 0x300
	v_lshl_add_u32 v0, v252, 4, v0
	v_accvgpr_write_b32 a97, v0
	v_cmp_eq_u32_e32 vcc, 47, v252
	s_and_saveexec_b64 s[0:1], vcc
	s_cbranch_execz .LBB47_209
; %bb.208:
	scratch_load_dwordx4 v[2:5], off, s25
	v_mov_b32_e32 v6, 0
	v_mov_b32_e32 v7, v6
	;; [unrolled: 1-line block ×4, first 2 shown]
	v_accvgpr_read_b32 v0, a97
	scratch_store_dwordx4 off, v[6:9], off offset:752
	s_waitcnt vmcnt(1)
	ds_write_b128 v0, v[2:5]
.LBB47_209:
	s_or_b64 exec, exec, s[0:1]
	s_waitcnt lgkmcnt(0)
	; wave barrier
	scratch_load_dwordx4 v[4:7], off, off offset:768
	scratch_load_dwordx4 v[8:11], off, off offset:752
	v_mov_b32_e32 v2, 0
	ds_read_b128 v[12:15], v2 offset:1520
	v_cmp_lt_u32_e32 vcc, 45, v252
	s_waitcnt vmcnt(1) lgkmcnt(0)
	v_mul_f64 v[16:17], v[12:13], v[6:7]
	v_mul_f64 v[6:7], v[14:15], v[6:7]
	v_fmac_f64_e32 v[16:17], v[14:15], v[4:5]
	v_fma_f64 v[4:5], v[12:13], v[4:5], -v[6:7]
	v_add_f64 v[6:7], v[16:17], 0
	v_add_f64 v[4:5], v[4:5], 0
	s_waitcnt vmcnt(0)
	v_add_f64 v[4:5], v[8:9], -v[4:5]
	v_add_f64 v[6:7], v[10:11], -v[6:7]
	scratch_store_dwordx4 off, v[4:7], off offset:752
	s_and_saveexec_b64 s[0:1], vcc
	s_cbranch_execz .LBB47_211
; %bb.210:
	scratch_load_dwordx4 v[6:9], off, s24
	v_mov_b32_e32 v3, v2
	v_mov_b32_e32 v4, v2
	;; [unrolled: 1-line block ×3, first 2 shown]
	v_accvgpr_read_b32 v0, a97
	scratch_store_dwordx4 off, v[2:5], off offset:736
	s_waitcnt vmcnt(1)
	ds_write_b128 v0, v[6:9]
.LBB47_211:
	s_or_b64 exec, exec, s[0:1]
	s_waitcnt lgkmcnt(0)
	; wave barrier
	scratch_load_dwordx4 v[4:7], off, off offset:752
	scratch_load_dwordx4 v[8:11], off, off offset:768
	scratch_load_dwordx4 v[12:15], off, off offset:736
	ds_read_b128 v[16:19], v2 offset:1504
	ds_read_b128 v[20:23], v2 offset:1520
	v_cmp_lt_u32_e32 vcc, 44, v252
	s_waitcnt vmcnt(2) lgkmcnt(1)
	v_mul_f64 v[2:3], v[16:17], v[6:7]
	v_mul_f64 v[6:7], v[18:19], v[6:7]
	s_waitcnt vmcnt(1) lgkmcnt(0)
	v_mul_f64 v[24:25], v[20:21], v[10:11]
	v_mul_f64 v[10:11], v[22:23], v[10:11]
	v_fmac_f64_e32 v[2:3], v[18:19], v[4:5]
	v_fma_f64 v[4:5], v[16:17], v[4:5], -v[6:7]
	v_fmac_f64_e32 v[24:25], v[22:23], v[8:9]
	v_fma_f64 v[6:7], v[20:21], v[8:9], -v[10:11]
	v_add_f64 v[2:3], v[2:3], 0
	v_add_f64 v[4:5], v[4:5], 0
	;; [unrolled: 1-line block ×4, first 2 shown]
	s_waitcnt vmcnt(0)
	v_add_f64 v[2:3], v[12:13], -v[2:3]
	v_add_f64 v[4:5], v[14:15], -v[8:9]
	scratch_store_dwordx4 off, v[2:5], off offset:736
	s_and_saveexec_b64 s[0:1], vcc
	s_cbranch_execz .LBB47_213
; %bb.212:
	scratch_load_dwordx4 v[2:5], off, s23
	v_mov_b32_e32 v6, 0
	v_mov_b32_e32 v7, v6
	;; [unrolled: 1-line block ×4, first 2 shown]
	v_accvgpr_read_b32 v0, a97
	scratch_store_dwordx4 off, v[6:9], off offset:720
	s_waitcnt vmcnt(1)
	ds_write_b128 v0, v[2:5]
.LBB47_213:
	s_or_b64 exec, exec, s[0:1]
	s_waitcnt lgkmcnt(0)
	; wave barrier
	scratch_load_dwordx4 v[4:7], off, off offset:736
	scratch_load_dwordx4 v[8:11], off, off offset:752
	;; [unrolled: 1-line block ×4, first 2 shown]
	v_mov_b32_e32 v2, 0
	ds_read_b128 v[20:23], v2 offset:1488
	ds_read_b128 v[24:27], v2 offset:1504
	;; [unrolled: 1-line block ×3, first 2 shown]
	v_cmp_lt_u32_e32 vcc, 43, v252
	s_waitcnt vmcnt(3) lgkmcnt(2)
	v_mul_f64 v[32:33], v[20:21], v[6:7]
	v_mul_f64 v[6:7], v[22:23], v[6:7]
	s_waitcnt vmcnt(2) lgkmcnt(1)
	v_mul_f64 v[34:35], v[24:25], v[10:11]
	v_mul_f64 v[10:11], v[26:27], v[10:11]
	v_fmac_f64_e32 v[32:33], v[22:23], v[4:5]
	v_fma_f64 v[4:5], v[20:21], v[4:5], -v[6:7]
	s_waitcnt vmcnt(1) lgkmcnt(0)
	v_mul_f64 v[36:37], v[28:29], v[14:15]
	v_mul_f64 v[14:15], v[30:31], v[14:15]
	v_fmac_f64_e32 v[34:35], v[26:27], v[8:9]
	v_fma_f64 v[6:7], v[24:25], v[8:9], -v[10:11]
	v_add_f64 v[10:11], v[32:33], 0
	v_add_f64 v[4:5], v[4:5], 0
	v_fmac_f64_e32 v[36:37], v[30:31], v[12:13]
	v_fma_f64 v[8:9], v[28:29], v[12:13], -v[14:15]
	v_add_f64 v[10:11], v[10:11], v[34:35]
	v_add_f64 v[4:5], v[4:5], v[6:7]
	;; [unrolled: 1-line block ×4, first 2 shown]
	s_waitcnt vmcnt(0)
	v_add_f64 v[4:5], v[16:17], -v[4:5]
	v_add_f64 v[6:7], v[18:19], -v[6:7]
	scratch_store_dwordx4 off, v[4:7], off offset:720
	s_and_saveexec_b64 s[0:1], vcc
	s_cbranch_execz .LBB47_215
; %bb.214:
	scratch_load_dwordx4 v[6:9], off, s22
	v_mov_b32_e32 v3, v2
	v_mov_b32_e32 v4, v2
	;; [unrolled: 1-line block ×3, first 2 shown]
	v_accvgpr_read_b32 v0, a97
	scratch_store_dwordx4 off, v[2:5], off offset:704
	s_waitcnt vmcnt(1)
	ds_write_b128 v0, v[6:9]
.LBB47_215:
	s_or_b64 exec, exec, s[0:1]
	s_waitcnt lgkmcnt(0)
	; wave barrier
	scratch_load_dwordx4 v[4:7], off, off offset:720
	scratch_load_dwordx4 v[8:11], off, off offset:736
	;; [unrolled: 1-line block ×5, first 2 shown]
	ds_read_b128 v[24:27], v2 offset:1472
	ds_read_b128 v[28:31], v2 offset:1488
	;; [unrolled: 1-line block ×4, first 2 shown]
	v_cmp_lt_u32_e32 vcc, 42, v252
	s_waitcnt vmcnt(4) lgkmcnt(3)
	v_mul_f64 v[2:3], v[24:25], v[6:7]
	v_mul_f64 v[6:7], v[26:27], v[6:7]
	s_waitcnt vmcnt(3) lgkmcnt(2)
	v_mul_f64 v[40:41], v[28:29], v[10:11]
	v_mul_f64 v[10:11], v[30:31], v[10:11]
	v_fmac_f64_e32 v[2:3], v[26:27], v[4:5]
	v_fma_f64 v[4:5], v[24:25], v[4:5], -v[6:7]
	s_waitcnt vmcnt(2) lgkmcnt(1)
	v_mul_f64 v[42:43], v[32:33], v[14:15]
	v_mul_f64 v[14:15], v[34:35], v[14:15]
	v_fmac_f64_e32 v[40:41], v[30:31], v[8:9]
	v_fma_f64 v[6:7], v[28:29], v[8:9], -v[10:11]
	v_add_f64 v[2:3], v[2:3], 0
	v_add_f64 v[4:5], v[4:5], 0
	s_waitcnt vmcnt(1) lgkmcnt(0)
	v_mul_f64 v[44:45], v[36:37], v[18:19]
	v_mul_f64 v[18:19], v[38:39], v[18:19]
	v_fmac_f64_e32 v[42:43], v[34:35], v[12:13]
	v_fma_f64 v[8:9], v[32:33], v[12:13], -v[14:15]
	v_add_f64 v[2:3], v[2:3], v[40:41]
	v_add_f64 v[4:5], v[4:5], v[6:7]
	v_fmac_f64_e32 v[44:45], v[38:39], v[16:17]
	v_fma_f64 v[10:11], v[36:37], v[16:17], -v[18:19]
	v_add_f64 v[2:3], v[2:3], v[42:43]
	v_add_f64 v[4:5], v[4:5], v[8:9]
	v_add_f64 v[6:7], v[2:3], v[44:45]
	v_add_f64 v[2:3], v[4:5], v[10:11]
	s_waitcnt vmcnt(0)
	v_add_f64 v[2:3], v[20:21], -v[2:3]
	v_add_f64 v[4:5], v[22:23], -v[6:7]
	scratch_store_dwordx4 off, v[2:5], off offset:704
	s_and_saveexec_b64 s[0:1], vcc
	s_cbranch_execz .LBB47_217
; %bb.216:
	scratch_load_dwordx4 v[2:5], off, s21
	v_mov_b32_e32 v6, 0
	v_mov_b32_e32 v7, v6
	;; [unrolled: 1-line block ×4, first 2 shown]
	v_accvgpr_read_b32 v0, a97
	scratch_store_dwordx4 off, v[6:9], off offset:688
	s_waitcnt vmcnt(1)
	ds_write_b128 v0, v[2:5]
.LBB47_217:
	s_or_b64 exec, exec, s[0:1]
	s_waitcnt lgkmcnt(0)
	; wave barrier
	scratch_load_dwordx4 v[4:7], off, off offset:704
	scratch_load_dwordx4 v[8:11], off, off offset:720
	;; [unrolled: 1-line block ×6, first 2 shown]
	v_mov_b32_e32 v2, 0
	ds_read_b128 v[28:31], v2 offset:1456
	ds_read_b128 v[32:35], v2 offset:1472
	;; [unrolled: 1-line block ×5, first 2 shown]
	v_cmp_lt_u32_e32 vcc, 41, v252
	s_waitcnt vmcnt(5) lgkmcnt(4)
	v_mul_f64 v[48:49], v[28:29], v[6:7]
	v_mul_f64 v[6:7], v[30:31], v[6:7]
	s_waitcnt vmcnt(4) lgkmcnt(3)
	v_mul_f64 v[50:51], v[32:33], v[10:11]
	s_waitcnt vmcnt(3) lgkmcnt(2)
	v_mul_f64 v[52:53], v[36:37], v[14:15]
	v_mul_f64 v[10:11], v[34:35], v[10:11]
	;; [unrolled: 1-line block ×3, first 2 shown]
	v_fmac_f64_e32 v[48:49], v[30:31], v[4:5]
	v_fma_f64 v[4:5], v[28:29], v[4:5], -v[6:7]
	v_fmac_f64_e32 v[50:51], v[34:35], v[8:9]
	v_fma_f64 v[6:7], v[32:33], v[8:9], -v[10:11]
	v_fma_f64 v[8:9], v[36:37], v[12:13], -v[14:15]
	v_add_f64 v[14:15], v[48:49], 0
	v_add_f64 v[4:5], v[4:5], 0
	s_waitcnt vmcnt(2) lgkmcnt(1)
	v_mul_f64 v[54:55], v[40:41], v[18:19]
	v_mul_f64 v[18:19], v[42:43], v[18:19]
	v_fmac_f64_e32 v[52:53], v[38:39], v[12:13]
	v_add_f64 v[14:15], v[14:15], v[50:51]
	v_add_f64 v[4:5], v[4:5], v[6:7]
	s_waitcnt vmcnt(1) lgkmcnt(0)
	v_mul_f64 v[56:57], v[44:45], v[22:23]
	v_mul_f64 v[22:23], v[46:47], v[22:23]
	v_fmac_f64_e32 v[54:55], v[42:43], v[16:17]
	v_fma_f64 v[10:11], v[40:41], v[16:17], -v[18:19]
	v_add_f64 v[6:7], v[14:15], v[52:53]
	v_add_f64 v[4:5], v[4:5], v[8:9]
	v_fmac_f64_e32 v[56:57], v[46:47], v[20:21]
	v_fma_f64 v[12:13], v[44:45], v[20:21], -v[22:23]
	v_add_f64 v[6:7], v[6:7], v[54:55]
	v_add_f64 v[4:5], v[4:5], v[10:11]
	;; [unrolled: 1-line block ×4, first 2 shown]
	s_waitcnt vmcnt(0)
	v_add_f64 v[4:5], v[24:25], -v[4:5]
	v_add_f64 v[6:7], v[26:27], -v[6:7]
	scratch_store_dwordx4 off, v[4:7], off offset:688
	s_and_saveexec_b64 s[0:1], vcc
	s_cbranch_execz .LBB47_219
; %bb.218:
	scratch_load_dwordx4 v[6:9], off, s15
	v_mov_b32_e32 v3, v2
	v_mov_b32_e32 v4, v2
	;; [unrolled: 1-line block ×3, first 2 shown]
	v_accvgpr_read_b32 v0, a97
	scratch_store_dwordx4 off, v[2:5], off offset:672
	s_waitcnt vmcnt(1)
	ds_write_b128 v0, v[6:9]
.LBB47_219:
	s_or_b64 exec, exec, s[0:1]
	s_waitcnt lgkmcnt(0)
	; wave barrier
	scratch_load_dwordx4 v[4:7], off, off offset:688
	scratch_load_dwordx4 v[8:11], off, off offset:704
	;; [unrolled: 1-line block ×7, first 2 shown]
	ds_read_b128 v[32:35], v2 offset:1440
	ds_read_b128 v[36:39], v2 offset:1456
	;; [unrolled: 1-line block ×6, first 2 shown]
	v_cmp_lt_u32_e32 vcc, 40, v252
	s_waitcnt vmcnt(6) lgkmcnt(5)
	v_mul_f64 v[2:3], v[32:33], v[6:7]
	v_mul_f64 v[6:7], v[34:35], v[6:7]
	s_waitcnt vmcnt(5) lgkmcnt(4)
	v_mul_f64 v[56:57], v[36:37], v[10:11]
	v_mul_f64 v[10:11], v[38:39], v[10:11]
	v_fmac_f64_e32 v[2:3], v[34:35], v[4:5]
	v_fma_f64 v[4:5], v[32:33], v[4:5], -v[6:7]
	s_waitcnt vmcnt(4) lgkmcnt(3)
	v_mul_f64 v[58:59], v[40:41], v[14:15]
	v_mul_f64 v[14:15], v[42:43], v[14:15]
	v_fmac_f64_e32 v[56:57], v[38:39], v[8:9]
	v_fma_f64 v[6:7], v[36:37], v[8:9], -v[10:11]
	v_add_f64 v[2:3], v[2:3], 0
	v_add_f64 v[4:5], v[4:5], 0
	s_waitcnt vmcnt(3) lgkmcnt(2)
	v_mul_f64 v[60:61], v[44:45], v[18:19]
	v_mul_f64 v[18:19], v[46:47], v[18:19]
	v_fmac_f64_e32 v[58:59], v[42:43], v[12:13]
	v_fma_f64 v[8:9], v[40:41], v[12:13], -v[14:15]
	v_add_f64 v[2:3], v[2:3], v[56:57]
	v_add_f64 v[4:5], v[4:5], v[6:7]
	;; [unrolled: 7-line block ×4, first 2 shown]
	v_fmac_f64_e32 v[64:65], v[54:55], v[24:25]
	v_fma_f64 v[14:15], v[52:53], v[24:25], -v[26:27]
	v_add_f64 v[2:3], v[2:3], v[62:63]
	v_add_f64 v[4:5], v[4:5], v[12:13]
	;; [unrolled: 1-line block ×4, first 2 shown]
	s_waitcnt vmcnt(0)
	v_add_f64 v[2:3], v[28:29], -v[2:3]
	v_add_f64 v[4:5], v[30:31], -v[6:7]
	scratch_store_dwordx4 off, v[2:5], off offset:672
	s_and_saveexec_b64 s[0:1], vcc
	s_cbranch_execz .LBB47_221
; %bb.220:
	scratch_load_dwordx4 v[2:5], off, s20
	v_mov_b32_e32 v6, 0
	v_mov_b32_e32 v7, v6
	;; [unrolled: 1-line block ×4, first 2 shown]
	v_accvgpr_read_b32 v0, a97
	scratch_store_dwordx4 off, v[6:9], off offset:656
	s_waitcnt vmcnt(1)
	ds_write_b128 v0, v[2:5]
.LBB47_221:
	s_or_b64 exec, exec, s[0:1]
	v_mov_b32_e32 v2, 0
	s_waitcnt lgkmcnt(0)
	; wave barrier
	ds_read_b128 v[4:7], v2 offset:1424
	ds_read_b128 v[8:11], v2 offset:1440
	;; [unrolled: 1-line block ×4, first 2 shown]
	scratch_load_dwordx4 v[20:23], off, off offset:672
	scratch_load_dwordx4 v[40:43], off, off offset:736
	v_cmp_lt_u32_e32 vcc, 39, v252
	scratch_load_dwordx4 v[48:51], off, off offset:752
	scratch_load_dwordx4 v[56:59], off, off offset:768
	s_waitcnt vmcnt(3) lgkmcnt(3)
	v_mul_f64 v[24:25], v[4:5], v[22:23]
	v_fmac_f64_e32 v[24:25], v[6:7], v[20:21]
	v_add_f64 v[28:29], v[24:25], 0
	scratch_load_dwordx4 v[24:27], off, off offset:688
	v_mul_f64 v[6:7], v[6:7], v[22:23]
	v_fma_f64 v[4:5], v[4:5], v[20:21], -v[6:7]
	v_add_f64 v[4:5], v[4:5], 0
	s_waitcnt vmcnt(0) lgkmcnt(2)
	v_mul_f64 v[30:31], v[8:9], v[26:27]
	v_fmac_f64_e32 v[30:31], v[10:11], v[24:25]
	v_add_f64 v[32:33], v[28:29], v[30:31]
	scratch_load_dwordx4 v[28:31], off, off offset:704
	v_mul_f64 v[6:7], v[10:11], v[26:27]
	v_fma_f64 v[6:7], v[8:9], v[24:25], -v[6:7]
	v_add_f64 v[4:5], v[4:5], v[6:7]
	;; [unrolled: 8-line block ×3, first 2 shown]
	s_waitcnt vmcnt(0) lgkmcnt(0)
	v_mul_f64 v[38:39], v[16:17], v[34:35]
	v_fmac_f64_e32 v[38:39], v[18:19], v[32:33]
	v_add_f64 v[44:45], v[36:37], v[38:39]
	ds_read_b128 v[36:39], v2 offset:1488
	v_mul_f64 v[6:7], v[18:19], v[34:35]
	v_fma_f64 v[6:7], v[16:17], v[32:33], -v[6:7]
	v_add_f64 v[4:5], v[4:5], v[6:7]
	s_waitcnt lgkmcnt(0)
	v_mul_f64 v[46:47], v[36:37], v[42:43]
	v_fmac_f64_e32 v[46:47], v[38:39], v[40:41]
	v_add_f64 v[52:53], v[44:45], v[46:47]
	ds_read_b128 v[44:47], v2 offset:1504
	v_mul_f64 v[6:7], v[38:39], v[42:43]
	v_fma_f64 v[6:7], v[36:37], v[40:41], -v[6:7]
	v_add_f64 v[4:5], v[4:5], v[6:7]
	s_waitcnt lgkmcnt(0)
	;; [unrolled: 8-line block ×3, first 2 shown]
	v_mul_f64 v[6:7], v[54:55], v[58:59]
	v_fma_f64 v[6:7], v[52:53], v[56:57], -v[6:7]
	v_add_f64 v[8:9], v[4:5], v[6:7]
	scratch_load_dwordx4 v[4:7], off, off offset:656
	v_mul_f64 v[62:63], v[52:53], v[58:59]
	v_fmac_f64_e32 v[62:63], v[54:55], v[56:57]
	v_add_f64 v[60:61], v[60:61], v[62:63]
	s_waitcnt vmcnt(0)
	v_add_f64 v[4:5], v[4:5], -v[8:9]
	v_add_f64 v[6:7], v[6:7], -v[60:61]
	scratch_store_dwordx4 off, v[4:7], off offset:656
	s_and_saveexec_b64 s[0:1], vcc
	s_cbranch_execz .LBB47_223
; %bb.222:
	scratch_load_dwordx4 v[6:9], off, s14
	v_mov_b32_e32 v3, v2
	v_mov_b32_e32 v4, v2
	;; [unrolled: 1-line block ×3, first 2 shown]
	v_accvgpr_read_b32 v0, a97
	scratch_store_dwordx4 off, v[2:5], off offset:640
	s_waitcnt vmcnt(1)
	ds_write_b128 v0, v[6:9]
.LBB47_223:
	s_or_b64 exec, exec, s[0:1]
	s_waitcnt lgkmcnt(0)
	; wave barrier
	ds_read_b128 v[4:7], v2 offset:1408
	ds_read_b128 v[8:11], v2 offset:1424
	;; [unrolled: 1-line block ×4, first 2 shown]
	scratch_load_dwordx4 v[20:23], off, off offset:656
	scratch_load_dwordx4 v[40:43], off, off offset:720
	v_cmp_lt_u32_e32 vcc, 38, v252
	scratch_load_dwordx4 v[48:51], off, off offset:736
	scratch_load_dwordx4 v[56:59], off, off offset:752
	;; [unrolled: 1-line block ×3, first 2 shown]
	s_waitcnt vmcnt(4) lgkmcnt(3)
	v_mul_f64 v[24:25], v[4:5], v[22:23]
	v_fmac_f64_e32 v[24:25], v[6:7], v[20:21]
	v_add_f64 v[28:29], v[24:25], 0
	scratch_load_dwordx4 v[24:27], off, off offset:672
	s_waitcnt vmcnt(0) lgkmcnt(2)
	v_mul_f64 v[30:31], v[8:9], v[26:27]
	v_fmac_f64_e32 v[30:31], v[10:11], v[24:25]
	v_add_f64 v[32:33], v[28:29], v[30:31]
	scratch_load_dwordx4 v[28:31], off, off offset:688
	;; [unrolled: 5-line block ×3, first 2 shown]
	s_waitcnt vmcnt(0) lgkmcnt(0)
	v_mul_f64 v[38:39], v[16:17], v[34:35]
	v_fmac_f64_e32 v[38:39], v[18:19], v[32:33]
	v_add_f64 v[44:45], v[36:37], v[38:39]
	ds_read_b128 v[36:39], v2 offset:1472
	s_waitcnt lgkmcnt(0)
	v_mul_f64 v[46:47], v[36:37], v[42:43]
	v_fmac_f64_e32 v[46:47], v[38:39], v[40:41]
	v_add_f64 v[52:53], v[44:45], v[46:47]
	ds_read_b128 v[44:47], v2 offset:1488
	s_waitcnt lgkmcnt(0)
	;; [unrolled: 5-line block ×4, first 2 shown]
	v_mul_f64 v[2:3], v[60:61], v[66:67]
	v_fmac_f64_e32 v[2:3], v[62:63], v[64:65]
	v_add_f64 v[68:69], v[68:69], v[2:3]
	v_mul_f64 v[2:3], v[6:7], v[22:23]
	v_fma_f64 v[2:3], v[4:5], v[20:21], -v[2:3]
	v_mul_f64 v[4:5], v[10:11], v[26:27]
	v_add_f64 v[2:3], v[2:3], 0
	v_fma_f64 v[4:5], v[8:9], v[24:25], -v[4:5]
	v_add_f64 v[2:3], v[2:3], v[4:5]
	v_mul_f64 v[4:5], v[14:15], v[30:31]
	v_fma_f64 v[4:5], v[12:13], v[28:29], -v[4:5]
	v_add_f64 v[2:3], v[2:3], v[4:5]
	v_mul_f64 v[4:5], v[18:19], v[34:35]
	;; [unrolled: 3-line block ×6, first 2 shown]
	v_fma_f64 v[4:5], v[60:61], v[64:65], -v[4:5]
	v_add_f64 v[6:7], v[2:3], v[4:5]
	scratch_load_dwordx4 v[2:5], off, off offset:640
	s_waitcnt vmcnt(0)
	v_add_f64 v[2:3], v[2:3], -v[6:7]
	v_add_f64 v[4:5], v[4:5], -v[68:69]
	scratch_store_dwordx4 off, v[2:5], off offset:640
	s_and_saveexec_b64 s[0:1], vcc
	s_cbranch_execz .LBB47_225
; %bb.224:
	scratch_load_dwordx4 v[2:5], off, s13
	v_mov_b32_e32 v6, 0
	v_mov_b32_e32 v7, v6
	;; [unrolled: 1-line block ×4, first 2 shown]
	v_accvgpr_read_b32 v0, a97
	scratch_store_dwordx4 off, v[6:9], off offset:624
	s_waitcnt vmcnt(1)
	ds_write_b128 v0, v[2:5]
.LBB47_225:
	s_or_b64 exec, exec, s[0:1]
	s_waitcnt lgkmcnt(0)
	; wave barrier
	scratch_load_dwordx4 v[4:7], off, off offset:640
	scratch_load_dwordx4 v[8:11], off, off offset:656
	scratch_load_dwordx4 v[12:15], off, off offset:672
	scratch_load_dwordx4 v[16:19], off, off offset:688
	scratch_load_dwordx4 v[20:23], off, off offset:704
	scratch_load_dwordx4 v[24:27], off, off offset:720
	scratch_load_dwordx4 v[28:31], off, off offset:736
	scratch_load_dwordx4 v[32:35], off, off offset:752
	scratch_load_dwordx4 v[36:39], off, off offset:768
	scratch_load_dwordx4 v[40:43], off, off offset:624
	v_mov_b32_e32 v2, 0
	ds_read_b128 v[44:47], v2 offset:1392
	ds_read_b128 v[48:51], v2 offset:1408
	;; [unrolled: 1-line block ×9, first 2 shown]
	v_cmp_lt_u32_e32 vcc, 37, v252
	s_waitcnt vmcnt(9) lgkmcnt(8)
	v_mul_f64 v[80:81], v[44:45], v[6:7]
	v_mul_f64 v[6:7], v[46:47], v[6:7]
	s_waitcnt vmcnt(8) lgkmcnt(7)
	v_mul_f64 v[82:83], v[48:49], v[10:11]
	s_waitcnt vmcnt(7) lgkmcnt(6)
	;; [unrolled: 2-line block ×3, first 2 shown]
	v_mul_f64 v[88:89], v[60:61], v[22:23]
	v_mul_f64 v[10:11], v[50:51], v[10:11]
	;; [unrolled: 1-line block ×4, first 2 shown]
	v_fmac_f64_e32 v[80:81], v[46:47], v[4:5]
	v_fma_f64 v[4:5], v[44:45], v[4:5], -v[6:7]
	v_fmac_f64_e32 v[82:83], v[50:51], v[8:9]
	v_fmac_f64_e32 v[84:85], v[54:55], v[12:13]
	v_fma_f64 v[6:7], v[48:49], v[8:9], -v[10:11]
	v_fma_f64 v[8:9], v[52:53], v[12:13], -v[14:15]
	;; [unrolled: 1-line block ×3, first 2 shown]
	v_add_f64 v[22:23], v[80:81], 0
	v_add_f64 v[4:5], v[4:5], 0
	v_mul_f64 v[86:87], v[56:57], v[18:19]
	v_mul_f64 v[18:19], v[58:59], v[18:19]
	v_add_f64 v[22:23], v[22:23], v[82:83]
	v_add_f64 v[4:5], v[4:5], v[6:7]
	v_fmac_f64_e32 v[86:87], v[58:59], v[16:17]
	v_fma_f64 v[10:11], v[56:57], v[16:17], -v[18:19]
	v_add_f64 v[6:7], v[22:23], v[84:85]
	v_add_f64 v[4:5], v[4:5], v[8:9]
	s_waitcnt vmcnt(4) lgkmcnt(3)
	v_mul_f64 v[90:91], v[64:65], v[26:27]
	v_mul_f64 v[26:27], v[66:67], v[26:27]
	v_fmac_f64_e32 v[88:89], v[62:63], v[20:21]
	v_add_f64 v[6:7], v[6:7], v[86:87]
	v_add_f64 v[4:5], v[4:5], v[10:11]
	s_waitcnt vmcnt(3) lgkmcnt(2)
	v_mul_f64 v[92:93], v[68:69], v[30:31]
	v_mul_f64 v[30:31], v[70:71], v[30:31]
	v_fmac_f64_e32 v[90:91], v[66:67], v[24:25]
	v_fma_f64 v[14:15], v[64:65], v[24:25], -v[26:27]
	v_add_f64 v[6:7], v[6:7], v[88:89]
	v_add_f64 v[4:5], v[4:5], v[12:13]
	s_waitcnt vmcnt(2) lgkmcnt(1)
	v_mul_f64 v[94:95], v[72:73], v[34:35]
	v_mul_f64 v[34:35], v[74:75], v[34:35]
	v_fmac_f64_e32 v[92:93], v[70:71], v[28:29]
	v_fma_f64 v[16:17], v[68:69], v[28:29], -v[30:31]
	;; [unrolled: 7-line block ×3, first 2 shown]
	v_add_f64 v[6:7], v[6:7], v[92:93]
	v_add_f64 v[4:5], v[4:5], v[16:17]
	v_fmac_f64_e32 v[96:97], v[78:79], v[36:37]
	v_fma_f64 v[20:21], v[76:77], v[36:37], -v[38:39]
	v_add_f64 v[6:7], v[6:7], v[94:95]
	v_add_f64 v[4:5], v[4:5], v[18:19]
	;; [unrolled: 1-line block ×4, first 2 shown]
	s_waitcnt vmcnt(0)
	v_add_f64 v[4:5], v[40:41], -v[4:5]
	v_add_f64 v[6:7], v[42:43], -v[6:7]
	scratch_store_dwordx4 off, v[4:7], off offset:624
	s_and_saveexec_b64 s[0:1], vcc
	s_cbranch_execz .LBB47_227
; %bb.226:
	scratch_load_dwordx4 v[6:9], off, s12
	v_mov_b32_e32 v3, v2
	v_mov_b32_e32 v4, v2
	;; [unrolled: 1-line block ×3, first 2 shown]
	v_accvgpr_read_b32 v0, a97
	scratch_store_dwordx4 off, v[2:5], off offset:608
	s_waitcnt vmcnt(1)
	ds_write_b128 v0, v[6:9]
.LBB47_227:
	s_or_b64 exec, exec, s[0:1]
	s_waitcnt lgkmcnt(0)
	; wave barrier
	scratch_load_dwordx4 v[4:7], off, off offset:624
	scratch_load_dwordx4 v[8:11], off, off offset:640
	;; [unrolled: 1-line block ×11, first 2 shown]
	ds_read_b128 v[48:51], v2 offset:1376
	ds_read_b128 v[52:55], v2 offset:1392
	;; [unrolled: 1-line block ×10, first 2 shown]
	v_cmp_lt_u32_e32 vcc, 36, v252
	s_waitcnt vmcnt(10) lgkmcnt(9)
	v_mul_f64 v[2:3], v[48:49], v[6:7]
	v_mul_f64 v[6:7], v[50:51], v[6:7]
	s_waitcnt vmcnt(9) lgkmcnt(8)
	v_mul_f64 v[88:89], v[52:53], v[10:11]
	v_mul_f64 v[10:11], v[54:55], v[10:11]
	v_fmac_f64_e32 v[2:3], v[50:51], v[4:5]
	v_fma_f64 v[4:5], v[48:49], v[4:5], -v[6:7]
	s_waitcnt vmcnt(8) lgkmcnt(7)
	v_mul_f64 v[90:91], v[56:57], v[14:15]
	v_mul_f64 v[14:15], v[58:59], v[14:15]
	v_fmac_f64_e32 v[88:89], v[54:55], v[8:9]
	v_fma_f64 v[6:7], v[52:53], v[8:9], -v[10:11]
	v_add_f64 v[2:3], v[2:3], 0
	v_add_f64 v[4:5], v[4:5], 0
	s_waitcnt vmcnt(7) lgkmcnt(6)
	v_mul_f64 v[92:93], v[60:61], v[18:19]
	v_mul_f64 v[18:19], v[62:63], v[18:19]
	v_fmac_f64_e32 v[90:91], v[58:59], v[12:13]
	v_fma_f64 v[8:9], v[56:57], v[12:13], -v[14:15]
	v_add_f64 v[2:3], v[2:3], v[88:89]
	v_add_f64 v[4:5], v[4:5], v[6:7]
	;; [unrolled: 7-line block ×8, first 2 shown]
	v_fmac_f64_e32 v[104:105], v[86:87], v[40:41]
	v_fma_f64 v[22:23], v[84:85], v[40:41], -v[42:43]
	v_add_f64 v[2:3], v[2:3], v[102:103]
	v_add_f64 v[4:5], v[4:5], v[20:21]
	;; [unrolled: 1-line block ×4, first 2 shown]
	s_waitcnt vmcnt(0)
	v_add_f64 v[2:3], v[44:45], -v[2:3]
	v_add_f64 v[4:5], v[46:47], -v[6:7]
	scratch_store_dwordx4 off, v[2:5], off offset:608
	s_and_saveexec_b64 s[0:1], vcc
	s_cbranch_execz .LBB47_229
; %bb.228:
	scratch_load_dwordx4 v[2:5], off, s60
	v_mov_b32_e32 v6, 0
	v_mov_b32_e32 v7, v6
	;; [unrolled: 1-line block ×4, first 2 shown]
	v_accvgpr_read_b32 v0, a97
	scratch_store_dwordx4 off, v[6:9], off offset:592
	s_waitcnt vmcnt(1)
	ds_write_b128 v0, v[2:5]
.LBB47_229:
	s_or_b64 exec, exec, s[0:1]
	s_waitcnt lgkmcnt(0)
	; wave barrier
	scratch_load_dwordx4 v[4:7], off, off offset:608
	scratch_load_dwordx4 v[8:11], off, off offset:624
	;; [unrolled: 1-line block ×12, first 2 shown]
	v_mov_b32_e32 v2, 0
	ds_read_b128 v[52:55], v2 offset:1360
	ds_read_b128 v[56:59], v2 offset:1376
	;; [unrolled: 1-line block ×11, first 2 shown]
	v_cmp_lt_u32_e32 vcc, 35, v252
	s_waitcnt vmcnt(11) lgkmcnt(10)
	v_mul_f64 v[96:97], v[52:53], v[6:7]
	v_mul_f64 v[6:7], v[54:55], v[6:7]
	s_waitcnt vmcnt(10) lgkmcnt(9)
	v_mul_f64 v[98:99], v[56:57], v[10:11]
	s_waitcnt vmcnt(9) lgkmcnt(8)
	v_mul_f64 v[100:101], v[60:61], v[14:15]
	v_mul_f64 v[10:11], v[58:59], v[10:11]
	s_waitcnt vmcnt(6) lgkmcnt(5)
	v_mul_f64 v[106:107], v[72:73], v[26:27]
	v_mul_f64 v[14:15], v[62:63], v[14:15]
	;; [unrolled: 1-line block ×3, first 2 shown]
	v_fmac_f64_e32 v[96:97], v[54:55], v[4:5]
	v_fma_f64 v[4:5], v[52:53], v[4:5], -v[6:7]
	v_fmac_f64_e32 v[98:99], v[58:59], v[8:9]
	v_fma_f64 v[6:7], v[56:57], v[8:9], -v[10:11]
	v_fma_f64 v[8:9], v[60:61], v[12:13], -v[14:15]
	;; [unrolled: 1-line block ×3, first 2 shown]
	v_add_f64 v[26:27], v[96:97], 0
	v_add_f64 v[4:5], v[4:5], 0
	v_mul_f64 v[102:103], v[64:65], v[18:19]
	v_mul_f64 v[18:19], v[66:67], v[18:19]
	v_fmac_f64_e32 v[100:101], v[62:63], v[12:13]
	v_add_f64 v[26:27], v[26:27], v[98:99]
	v_add_f64 v[4:5], v[4:5], v[6:7]
	v_mul_f64 v[104:105], v[68:69], v[22:23]
	v_mul_f64 v[22:23], v[70:71], v[22:23]
	v_fmac_f64_e32 v[102:103], v[66:67], v[16:17]
	v_fma_f64 v[10:11], v[64:65], v[16:17], -v[18:19]
	v_add_f64 v[6:7], v[26:27], v[100:101]
	v_add_f64 v[4:5], v[4:5], v[8:9]
	v_fmac_f64_e32 v[104:105], v[70:71], v[20:21]
	v_fma_f64 v[12:13], v[68:69], v[20:21], -v[22:23]
	v_add_f64 v[6:7], v[6:7], v[102:103]
	v_add_f64 v[4:5], v[4:5], v[10:11]
	s_waitcnt vmcnt(5) lgkmcnt(4)
	v_mul_f64 v[108:109], v[76:77], v[30:31]
	v_mul_f64 v[30:31], v[78:79], v[30:31]
	v_fmac_f64_e32 v[106:107], v[74:75], v[24:25]
	v_add_f64 v[6:7], v[6:7], v[104:105]
	v_add_f64 v[4:5], v[4:5], v[12:13]
	s_waitcnt vmcnt(4) lgkmcnt(3)
	v_mul_f64 v[110:111], v[80:81], v[34:35]
	v_mul_f64 v[34:35], v[82:83], v[34:35]
	v_fmac_f64_e32 v[108:109], v[78:79], v[28:29]
	v_fma_f64 v[16:17], v[76:77], v[28:29], -v[30:31]
	v_add_f64 v[6:7], v[6:7], v[106:107]
	v_add_f64 v[4:5], v[4:5], v[14:15]
	s_waitcnt vmcnt(3) lgkmcnt(2)
	v_mul_f64 v[112:113], v[84:85], v[38:39]
	v_mul_f64 v[38:39], v[86:87], v[38:39]
	v_fmac_f64_e32 v[110:111], v[82:83], v[32:33]
	v_fma_f64 v[18:19], v[80:81], v[32:33], -v[34:35]
	;; [unrolled: 7-line block ×4, first 2 shown]
	v_add_f64 v[6:7], v[6:7], v[112:113]
	v_add_f64 v[4:5], v[4:5], v[20:21]
	v_fmac_f64_e32 v[116:117], v[94:95], v[44:45]
	v_fma_f64 v[24:25], v[92:93], v[44:45], -v[46:47]
	v_add_f64 v[6:7], v[6:7], v[114:115]
	v_add_f64 v[4:5], v[4:5], v[22:23]
	;; [unrolled: 1-line block ×4, first 2 shown]
	s_waitcnt vmcnt(0)
	v_add_f64 v[4:5], v[48:49], -v[4:5]
	v_add_f64 v[6:7], v[50:51], -v[6:7]
	scratch_store_dwordx4 off, v[4:7], off offset:592
	s_and_saveexec_b64 s[0:1], vcc
	s_cbranch_execz .LBB47_231
; %bb.230:
	scratch_load_dwordx4 v[6:9], off, s59
	v_mov_b32_e32 v3, v2
	v_mov_b32_e32 v4, v2
	;; [unrolled: 1-line block ×3, first 2 shown]
	v_accvgpr_read_b32 v0, a97
	scratch_store_dwordx4 off, v[2:5], off offset:576
	s_waitcnt vmcnt(1)
	ds_write_b128 v0, v[6:9]
.LBB47_231:
	s_or_b64 exec, exec, s[0:1]
	s_waitcnt lgkmcnt(0)
	; wave barrier
	scratch_load_dwordx4 v[4:7], off, off offset:592
	scratch_load_dwordx4 v[8:11], off, off offset:608
	;; [unrolled: 1-line block ×12, first 2 shown]
	ds_read_b128 v[52:55], v2 offset:1344
	ds_read_b128 v[56:59], v2 offset:1360
	;; [unrolled: 1-line block ×4, first 2 shown]
	scratch_load_dwordx4 v[68:71], off, off offset:576
	ds_read_b128 v[72:75], v2 offset:1408
	ds_read_b128 v[76:79], v2 offset:1424
	;; [unrolled: 1-line block ×8, first 2 shown]
	v_cmp_lt_u32_e32 vcc, 34, v252
	s_waitcnt vmcnt(12) lgkmcnt(11)
	v_mul_f64 v[2:3], v[52:53], v[6:7]
	s_waitcnt vmcnt(11) lgkmcnt(10)
	v_mul_f64 v[104:105], v[56:57], v[10:11]
	v_fmac_f64_e32 v[2:3], v[54:55], v[4:5]
	s_waitcnt vmcnt(10) lgkmcnt(9)
	v_mul_f64 v[106:107], v[60:61], v[14:15]
	v_mul_f64 v[6:7], v[54:55], v[6:7]
	v_fmac_f64_e32 v[104:105], v[58:59], v[8:9]
	v_add_f64 v[2:3], v[2:3], 0
	s_waitcnt vmcnt(9) lgkmcnt(8)
	v_mul_f64 v[108:109], v[64:65], v[18:19]
	v_mul_f64 v[10:11], v[58:59], v[10:11]
	v_fmac_f64_e32 v[106:107], v[62:63], v[12:13]
	v_fma_f64 v[4:5], v[52:53], v[4:5], -v[6:7]
	v_add_f64 v[2:3], v[2:3], v[104:105]
	s_waitcnt vmcnt(8) lgkmcnt(7)
	v_mul_f64 v[110:111], v[72:73], v[22:23]
	v_mul_f64 v[14:15], v[62:63], v[14:15]
	v_fmac_f64_e32 v[108:109], v[66:67], v[16:17]
	v_fma_f64 v[6:7], v[56:57], v[8:9], -v[10:11]
	v_add_f64 v[4:5], v[4:5], 0
	v_add_f64 v[2:3], v[2:3], v[106:107]
	s_waitcnt vmcnt(7) lgkmcnt(6)
	v_mul_f64 v[112:113], v[76:77], v[26:27]
	v_mul_f64 v[18:19], v[66:67], v[18:19]
	v_fmac_f64_e32 v[110:111], v[74:75], v[20:21]
	v_fma_f64 v[8:9], v[60:61], v[12:13], -v[14:15]
	v_add_f64 v[4:5], v[4:5], v[6:7]
	;; [unrolled: 7-line block ×8, first 2 shown]
	v_add_f64 v[2:3], v[2:3], v[120:121]
	v_mul_f64 v[46:47], v[98:99], v[46:47]
	v_fmac_f64_e32 v[124:125], v[102:103], v[48:49]
	v_fma_f64 v[22:23], v[92:93], v[40:41], -v[42:43]
	v_add_f64 v[4:5], v[4:5], v[20:21]
	v_add_f64 v[2:3], v[2:3], v[122:123]
	;; [unrolled: 1-line block ×4, first 2 shown]
	v_fma_f64 v[2:3], v[96:97], v[44:45], -v[46:47]
	v_add_f64 v[2:3], v[4:5], v[2:3]
	v_mul_f64 v[4:5], v[102:103], v[50:51]
	v_fma_f64 v[4:5], v[100:101], v[48:49], -v[4:5]
	v_add_f64 v[2:3], v[2:3], v[4:5]
	s_waitcnt vmcnt(0)
	v_add_f64 v[2:3], v[68:69], -v[2:3]
	v_add_f64 v[4:5], v[70:71], -v[6:7]
	scratch_store_dwordx4 off, v[2:5], off offset:576
	s_and_saveexec_b64 s[0:1], vcc
	s_cbranch_execz .LBB47_233
; %bb.232:
	scratch_load_dwordx4 v[2:5], off, s58
	v_mov_b32_e32 v6, 0
	v_mov_b32_e32 v7, v6
	;; [unrolled: 1-line block ×4, first 2 shown]
	v_accvgpr_read_b32 v0, a97
	scratch_store_dwordx4 off, v[6:9], off offset:560
	s_waitcnt vmcnt(1)
	ds_write_b128 v0, v[2:5]
.LBB47_233:
	s_or_b64 exec, exec, s[0:1]
	s_waitcnt lgkmcnt(0)
	; wave barrier
	scratch_load_dwordx4 v[4:7], off, off offset:576
	scratch_load_dwordx4 v[8:11], off, off offset:592
	;; [unrolled: 1-line block ×14, first 2 shown]
	v_mov_b32_e32 v2, 0
	ds_read_b128 v[60:63], v2 offset:1328
	ds_read_b128 v[64:67], v2 offset:1344
	;; [unrolled: 1-line block ×13, first 2 shown]
	v_cmp_lt_u32_e32 vcc, 33, v252
	s_waitcnt vmcnt(13) lgkmcnt(12)
	v_mul_f64 v[112:113], v[60:61], v[6:7]
	v_mul_f64 v[6:7], v[62:63], v[6:7]
	s_waitcnt vmcnt(12) lgkmcnt(11)
	v_mul_f64 v[114:115], v[64:65], v[10:11]
	v_mul_f64 v[10:11], v[66:67], v[10:11]
	v_fmac_f64_e32 v[112:113], v[62:63], v[4:5]
	v_fma_f64 v[4:5], v[60:61], v[4:5], -v[6:7]
	s_waitcnt vmcnt(11) lgkmcnt(10)
	v_mul_f64 v[116:117], v[68:69], v[14:15]
	v_mul_f64 v[14:15], v[70:71], v[14:15]
	v_fma_f64 v[6:7], v[64:65], v[8:9], -v[10:11]
	v_add_f64 v[4:5], v[4:5], 0
	s_waitcnt vmcnt(10) lgkmcnt(9)
	v_mul_f64 v[118:119], v[72:73], v[18:19]
	v_mul_f64 v[18:19], v[74:75], v[18:19]
	v_fmac_f64_e32 v[114:115], v[66:67], v[8:9]
	v_fma_f64 v[8:9], v[68:69], v[12:13], -v[14:15]
	v_add_f64 v[4:5], v[4:5], v[6:7]
	s_waitcnt vmcnt(9) lgkmcnt(8)
	v_mul_f64 v[120:121], v[76:77], v[22:23]
	v_mul_f64 v[22:23], v[78:79], v[22:23]
	v_fma_f64 v[10:11], v[72:73], v[16:17], -v[18:19]
	v_add_f64 v[4:5], v[4:5], v[8:9]
	s_waitcnt vmcnt(8) lgkmcnt(7)
	v_mul_f64 v[122:123], v[80:81], v[26:27]
	v_mul_f64 v[26:27], v[82:83], v[26:27]
	v_fmac_f64_e32 v[116:117], v[70:71], v[12:13]
	v_fma_f64 v[12:13], v[76:77], v[20:21], -v[22:23]
	v_add_f64 v[22:23], v[112:113], 0
	v_add_f64 v[4:5], v[4:5], v[10:11]
	s_waitcnt vmcnt(7) lgkmcnt(6)
	v_mul_f64 v[124:125], v[84:85], v[30:31]
	v_mul_f64 v[30:31], v[86:87], v[30:31]
	v_fma_f64 v[14:15], v[80:81], v[24:25], -v[26:27]
	v_add_f64 v[22:23], v[22:23], v[114:115]
	v_add_f64 v[4:5], v[4:5], v[12:13]
	s_waitcnt vmcnt(6) lgkmcnt(5)
	v_mul_f64 v[126:127], v[88:89], v[34:35]
	v_mul_f64 v[34:35], v[90:91], v[34:35]
	v_fmac_f64_e32 v[118:119], v[74:75], v[16:17]
	v_fma_f64 v[16:17], v[84:85], v[28:29], -v[30:31]
	v_add_f64 v[6:7], v[22:23], v[116:117]
	v_add_f64 v[4:5], v[4:5], v[14:15]
	s_waitcnt vmcnt(5) lgkmcnt(4)
	v_mul_f64 v[128:129], v[92:93], v[38:39]
	v_mul_f64 v[38:39], v[94:95], v[38:39]
	v_fmac_f64_e32 v[120:121], v[78:79], v[20:21]
	v_fma_f64 v[18:19], v[88:89], v[32:33], -v[34:35]
	v_add_f64 v[6:7], v[6:7], v[118:119]
	v_add_f64 v[4:5], v[4:5], v[16:17]
	v_fmac_f64_e32 v[122:123], v[82:83], v[24:25]
	v_fma_f64 v[20:21], v[92:93], v[36:37], -v[38:39]
	v_add_f64 v[6:7], v[6:7], v[120:121]
	v_add_f64 v[4:5], v[4:5], v[18:19]
	s_waitcnt vmcnt(4) lgkmcnt(3)
	v_mul_f64 v[8:9], v[98:99], v[42:43]
	v_fmac_f64_e32 v[124:125], v[86:87], v[28:29]
	v_add_f64 v[6:7], v[6:7], v[122:123]
	v_add_f64 v[4:5], v[4:5], v[20:21]
	v_fma_f64 v[8:9], v[96:97], v[40:41], -v[8:9]
	v_fmac_f64_e32 v[126:127], v[90:91], v[32:33]
	v_add_f64 v[6:7], v[6:7], v[124:125]
	v_add_f64 v[4:5], v[4:5], v[8:9]
	s_waitcnt vmcnt(3) lgkmcnt(2)
	v_mul_f64 v[8:9], v[102:103], v[46:47]
	v_mul_f64 v[130:131], v[96:97], v[42:43]
	v_fmac_f64_e32 v[128:129], v[94:95], v[36:37]
	v_add_f64 v[6:7], v[6:7], v[126:127]
	v_fma_f64 v[8:9], v[100:101], v[44:45], -v[8:9]
	v_mul_f64 v[132:133], v[100:101], v[46:47]
	v_fmac_f64_e32 v[130:131], v[98:99], v[40:41]
	v_add_f64 v[6:7], v[6:7], v[128:129]
	v_add_f64 v[4:5], v[4:5], v[8:9]
	s_waitcnt vmcnt(2) lgkmcnt(1)
	v_mul_f64 v[8:9], v[106:107], v[50:51]
	v_mul_f64 v[134:135], v[104:105], v[50:51]
	v_fmac_f64_e32 v[132:133], v[102:103], v[44:45]
	v_add_f64 v[6:7], v[6:7], v[130:131]
	v_fma_f64 v[8:9], v[104:105], v[48:49], -v[8:9]
	s_waitcnt vmcnt(1) lgkmcnt(0)
	v_mul_f64 v[136:137], v[108:109], v[54:55]
	v_fmac_f64_e32 v[134:135], v[106:107], v[48:49]
	v_add_f64 v[6:7], v[6:7], v[132:133]
	v_add_f64 v[4:5], v[4:5], v[8:9]
	v_mul_f64 v[8:9], v[110:111], v[54:55]
	v_fmac_f64_e32 v[136:137], v[110:111], v[52:53]
	v_add_f64 v[6:7], v[6:7], v[134:135]
	v_fma_f64 v[8:9], v[108:109], v[52:53], -v[8:9]
	v_add_f64 v[6:7], v[6:7], v[136:137]
	v_add_f64 v[4:5], v[4:5], v[8:9]
	s_waitcnt vmcnt(0)
	v_add_f64 v[4:5], v[56:57], -v[4:5]
	v_add_f64 v[6:7], v[58:59], -v[6:7]
	scratch_store_dwordx4 off, v[4:7], off offset:560
	s_and_saveexec_b64 s[0:1], vcc
	s_cbranch_execz .LBB47_235
; %bb.234:
	scratch_load_dwordx4 v[6:9], off, s57
	v_mov_b32_e32 v3, v2
	v_mov_b32_e32 v4, v2
	;; [unrolled: 1-line block ×3, first 2 shown]
	v_accvgpr_read_b32 v0, a97
	scratch_store_dwordx4 off, v[2:5], off offset:544
	s_waitcnt vmcnt(1)
	ds_write_b128 v0, v[6:9]
.LBB47_235:
	s_or_b64 exec, exec, s[0:1]
	s_waitcnt lgkmcnt(0)
	; wave barrier
	scratch_load_dwordx4 v[4:7], off, off offset:560
	scratch_load_dwordx4 v[8:11], off, off offset:576
	;; [unrolled: 1-line block ×14, first 2 shown]
	ds_read_b128 v[60:63], v2 offset:1312
	ds_read_b128 v[64:67], v2 offset:1328
	;; [unrolled: 1-line block ×14, first 2 shown]
	scratch_load_dwordx4 v[116:119], off, off offset:544
	v_cmp_lt_u32_e32 vcc, 32, v252
	s_waitcnt vmcnt(14) lgkmcnt(13)
	v_mul_f64 v[2:3], v[60:61], v[6:7]
	s_waitcnt vmcnt(13) lgkmcnt(12)
	v_mul_f64 v[120:121], v[64:65], v[10:11]
	v_fmac_f64_e32 v[2:3], v[62:63], v[4:5]
	s_waitcnt vmcnt(12) lgkmcnt(11)
	v_mul_f64 v[122:123], v[68:69], v[14:15]
	v_fmac_f64_e32 v[120:121], v[66:67], v[8:9]
	v_add_f64 v[2:3], v[2:3], 0
	s_waitcnt vmcnt(11) lgkmcnt(10)
	v_mul_f64 v[124:125], v[72:73], v[18:19]
	v_fmac_f64_e32 v[122:123], v[70:71], v[12:13]
	v_add_f64 v[2:3], v[2:3], v[120:121]
	;; [unrolled: 4-line block ×4, first 2 shown]
	s_waitcnt vmcnt(8) lgkmcnt(7)
	v_mul_f64 v[130:131], v[84:85], v[30:31]
	v_mul_f64 v[6:7], v[62:63], v[6:7]
	v_fmac_f64_e32 v[128:129], v[82:83], v[24:25]
	v_add_f64 v[2:3], v[2:3], v[126:127]
	s_waitcnt vmcnt(7) lgkmcnt(6)
	v_mul_f64 v[132:133], v[88:89], v[34:35]
	v_mul_f64 v[10:11], v[66:67], v[10:11]
	v_fmac_f64_e32 v[130:131], v[86:87], v[28:29]
	v_fma_f64 v[4:5], v[60:61], v[4:5], -v[6:7]
	v_add_f64 v[2:3], v[2:3], v[128:129]
	s_waitcnt vmcnt(6) lgkmcnt(5)
	v_mul_f64 v[134:135], v[92:93], v[38:39]
	v_mul_f64 v[14:15], v[70:71], v[14:15]
	v_fmac_f64_e32 v[132:133], v[90:91], v[32:33]
	v_fma_f64 v[6:7], v[64:65], v[8:9], -v[10:11]
	v_add_f64 v[4:5], v[4:5], 0
	v_add_f64 v[2:3], v[2:3], v[130:131]
	s_waitcnt vmcnt(5) lgkmcnt(4)
	v_mul_f64 v[136:137], v[96:97], v[42:43]
	v_mul_f64 v[18:19], v[74:75], v[18:19]
	v_fmac_f64_e32 v[134:135], v[94:95], v[36:37]
	v_fma_f64 v[8:9], v[68:69], v[12:13], -v[14:15]
	v_add_f64 v[4:5], v[4:5], v[6:7]
	;; [unrolled: 7-line block ×6, first 2 shown]
	v_add_f64 v[2:3], v[2:3], v[140:141]
	v_fmac_f64_e32 v[144:145], v[114:115], v[56:57]
	v_fma_f64 v[18:19], v[88:89], v[32:33], -v[34:35]
	v_add_f64 v[4:5], v[4:5], v[16:17]
	v_add_f64 v[2:3], v[2:3], v[142:143]
	;; [unrolled: 1-line block ×4, first 2 shown]
	v_mul_f64 v[4:5], v[94:95], v[38:39]
	v_fma_f64 v[4:5], v[92:93], v[36:37], -v[4:5]
	v_add_f64 v[2:3], v[2:3], v[4:5]
	v_mul_f64 v[4:5], v[98:99], v[42:43]
	v_fma_f64 v[4:5], v[96:97], v[40:41], -v[4:5]
	v_add_f64 v[2:3], v[2:3], v[4:5]
	;; [unrolled: 3-line block ×6, first 2 shown]
	s_waitcnt vmcnt(0)
	v_add_f64 v[2:3], v[116:117], -v[2:3]
	v_add_f64 v[4:5], v[118:119], -v[6:7]
	scratch_store_dwordx4 off, v[2:5], off offset:544
	s_and_saveexec_b64 s[0:1], vcc
	s_cbranch_execz .LBB47_237
; %bb.236:
	scratch_load_dwordx4 v[2:5], off, s56
	v_mov_b32_e32 v6, 0
	v_mov_b32_e32 v7, v6
	v_mov_b32_e32 v8, v6
	v_mov_b32_e32 v9, v6
	v_accvgpr_read_b32 v0, a97
	scratch_store_dwordx4 off, v[6:9], off offset:528
	s_waitcnt vmcnt(1)
	ds_write_b128 v0, v[2:5]
.LBB47_237:
	s_or_b64 exec, exec, s[0:1]
	s_waitcnt lgkmcnt(0)
	; wave barrier
	scratch_load_dwordx4 v[4:7], off, off offset:544
	scratch_load_dwordx4 v[8:11], off, off offset:560
	;; [unrolled: 1-line block ×16, first 2 shown]
	v_mov_b32_e32 v2, 0
	ds_read_b128 v[68:71], v2 offset:1296
	ds_read_b128 v[72:75], v2 offset:1312
	;; [unrolled: 1-line block ×15, first 2 shown]
	v_cmp_lt_u32_e32 vcc, 31, v252
	s_waitcnt vmcnt(15) lgkmcnt(14)
	v_mul_f64 v[128:129], v[68:69], v[6:7]
	v_mul_f64 v[6:7], v[70:71], v[6:7]
	s_waitcnt vmcnt(14) lgkmcnt(13)
	v_mul_f64 v[130:131], v[72:73], v[10:11]
	v_mul_f64 v[10:11], v[74:75], v[10:11]
	v_fmac_f64_e32 v[128:129], v[70:71], v[4:5]
	v_fma_f64 v[4:5], v[68:69], v[4:5], -v[6:7]
	s_waitcnt vmcnt(13) lgkmcnt(12)
	v_mul_f64 v[132:133], v[76:77], v[14:15]
	v_mul_f64 v[14:15], v[78:79], v[14:15]
	v_fma_f64 v[6:7], v[72:73], v[8:9], -v[10:11]
	v_add_f64 v[4:5], v[4:5], 0
	s_waitcnt vmcnt(12) lgkmcnt(11)
	v_mul_f64 v[134:135], v[80:81], v[18:19]
	v_mul_f64 v[18:19], v[82:83], v[18:19]
	v_fmac_f64_e32 v[130:131], v[74:75], v[8:9]
	v_fma_f64 v[8:9], v[76:77], v[12:13], -v[14:15]
	v_add_f64 v[4:5], v[4:5], v[6:7]
	s_waitcnt vmcnt(11) lgkmcnt(10)
	v_mul_f64 v[136:137], v[84:85], v[22:23]
	v_mul_f64 v[22:23], v[86:87], v[22:23]
	v_fma_f64 v[10:11], v[80:81], v[16:17], -v[18:19]
	v_add_f64 v[4:5], v[4:5], v[8:9]
	s_waitcnt vmcnt(10) lgkmcnt(9)
	v_mul_f64 v[138:139], v[88:89], v[26:27]
	v_mul_f64 v[26:27], v[90:91], v[26:27]
	v_fmac_f64_e32 v[132:133], v[78:79], v[12:13]
	v_fma_f64 v[12:13], v[84:85], v[20:21], -v[22:23]
	v_add_f64 v[4:5], v[4:5], v[10:11]
	v_fma_f64 v[14:15], v[88:89], v[24:25], -v[26:27]
	v_add_f64 v[4:5], v[4:5], v[12:13]
	s_waitcnt vmcnt(9) lgkmcnt(8)
	v_mul_f64 v[8:9], v[94:95], v[30:31]
	v_add_f64 v[4:5], v[4:5], v[14:15]
	v_fma_f64 v[8:9], v[92:93], v[28:29], -v[8:9]
	v_add_f64 v[4:5], v[4:5], v[8:9]
	s_waitcnt vmcnt(8) lgkmcnt(7)
	v_mul_f64 v[8:9], v[98:99], v[34:35]
	v_fma_f64 v[8:9], v[96:97], v[32:33], -v[8:9]
	v_fmac_f64_e32 v[134:135], v[82:83], v[16:17]
	v_add_f64 v[16:17], v[128:129], 0
	v_add_f64 v[4:5], v[4:5], v[8:9]
	s_waitcnt vmcnt(7) lgkmcnt(6)
	v_mul_f64 v[8:9], v[102:103], v[38:39]
	v_add_f64 v[16:17], v[16:17], v[130:131]
	v_fma_f64 v[8:9], v[100:101], v[36:37], -v[8:9]
	v_add_f64 v[6:7], v[16:17], v[132:133]
	v_add_f64 v[4:5], v[4:5], v[8:9]
	s_waitcnt vmcnt(6) lgkmcnt(5)
	v_mul_f64 v[8:9], v[106:107], v[42:43]
	v_fmac_f64_e32 v[136:137], v[86:87], v[20:21]
	v_add_f64 v[6:7], v[6:7], v[134:135]
	v_fma_f64 v[8:9], v[104:105], v[40:41], -v[8:9]
	v_mul_f64 v[140:141], v[92:93], v[30:31]
	v_fmac_f64_e32 v[138:139], v[90:91], v[24:25]
	v_add_f64 v[6:7], v[6:7], v[136:137]
	v_add_f64 v[4:5], v[4:5], v[8:9]
	s_waitcnt vmcnt(5) lgkmcnt(4)
	v_mul_f64 v[8:9], v[110:111], v[46:47]
	v_mul_f64 v[142:143], v[96:97], v[34:35]
	v_fmac_f64_e32 v[140:141], v[94:95], v[28:29]
	v_add_f64 v[6:7], v[6:7], v[138:139]
	v_fma_f64 v[8:9], v[108:109], v[44:45], -v[8:9]
	v_mul_f64 v[144:145], v[100:101], v[38:39]
	v_fmac_f64_e32 v[142:143], v[98:99], v[32:33]
	v_add_f64 v[6:7], v[6:7], v[140:141]
	v_add_f64 v[4:5], v[4:5], v[8:9]
	s_waitcnt vmcnt(4) lgkmcnt(3)
	v_mul_f64 v[8:9], v[114:115], v[50:51]
	;; [unrolled: 10-line block ×4, first 2 shown]
	v_mul_f64 v[154:155], v[120:121], v[58:59]
	v_fmac_f64_e32 v[152:153], v[118:119], v[52:53]
	v_add_f64 v[6:7], v[6:7], v[150:151]
	v_fma_f64 v[8:9], v[120:121], v[56:57], -v[8:9]
	s_waitcnt vmcnt(1) lgkmcnt(0)
	v_mul_f64 v[156:157], v[124:125], v[62:63]
	v_fmac_f64_e32 v[154:155], v[122:123], v[56:57]
	v_add_f64 v[6:7], v[6:7], v[152:153]
	v_add_f64 v[4:5], v[4:5], v[8:9]
	v_mul_f64 v[8:9], v[126:127], v[62:63]
	v_fmac_f64_e32 v[156:157], v[126:127], v[60:61]
	v_add_f64 v[6:7], v[6:7], v[154:155]
	v_fma_f64 v[8:9], v[124:125], v[60:61], -v[8:9]
	v_add_f64 v[6:7], v[6:7], v[156:157]
	v_add_f64 v[4:5], v[4:5], v[8:9]
	s_waitcnt vmcnt(0)
	v_add_f64 v[4:5], v[64:65], -v[4:5]
	v_add_f64 v[6:7], v[66:67], -v[6:7]
	scratch_store_dwordx4 off, v[4:7], off offset:528
	s_and_saveexec_b64 s[0:1], vcc
	s_cbranch_execz .LBB47_239
; %bb.238:
	scratch_load_dwordx4 v[6:9], off, s55
	v_mov_b32_e32 v3, v2
	v_mov_b32_e32 v4, v2
	;; [unrolled: 1-line block ×3, first 2 shown]
	v_accvgpr_read_b32 v0, a97
	scratch_store_dwordx4 off, v[2:5], off offset:512
	s_waitcnt vmcnt(1)
	ds_write_b128 v0, v[6:9]
.LBB47_239:
	s_or_b64 exec, exec, s[0:1]
	s_waitcnt lgkmcnt(0)
	; wave barrier
	ds_read_b128 v[16:19], v2 offset:1280
	ds_read_b128 v[12:15], v2 offset:1296
	;; [unrolled: 1-line block ×4, first 2 shown]
	scratch_load_dwordx4 v[20:23], off, off offset:528
	scratch_load_dwordx4 v[40:43], off, off offset:592
	;; [unrolled: 1-line block ×10, first 2 shown]
	v_cmp_lt_u32_e32 vcc, 30, v252
	scratch_load_dwordx4 v[48:51], off, off offset:608
	scratch_load_dwordx4 v[56:59], off, off offset:624
	;; [unrolled: 1-line block ×3, first 2 shown]
	s_waitcnt vmcnt(12) lgkmcnt(3)
	v_mul_f64 v[24:25], v[16:17], v[22:23]
	v_fmac_f64_e32 v[24:25], v[18:19], v[20:21]
	v_add_f64 v[28:29], v[24:25], 0
	scratch_load_dwordx4 v[24:27], off, off offset:544
	s_waitcnt vmcnt(0) lgkmcnt(2)
	v_mul_f64 v[30:31], v[12:13], v[26:27]
	v_fmac_f64_e32 v[30:31], v[14:15], v[24:25]
	v_add_f64 v[32:33], v[28:29], v[30:31]
	scratch_load_dwordx4 v[28:31], off, off offset:560
	v_mul_f64 v[14:15], v[14:15], v[26:27]
	v_fma_f64 v[12:13], v[12:13], v[24:25], -v[14:15]
	s_waitcnt vmcnt(0) lgkmcnt(1)
	v_mul_f64 v[34:35], v[8:9], v[30:31]
	v_fmac_f64_e32 v[34:35], v[10:11], v[28:29]
	v_add_f64 v[36:37], v[32:33], v[34:35]
	scratch_load_dwordx4 v[32:35], off, off offset:576
	v_mul_f64 v[10:11], v[10:11], v[30:31]
	v_fma_f64 v[8:9], v[8:9], v[28:29], -v[10:11]
	s_waitcnt vmcnt(0) lgkmcnt(0)
	v_mul_f64 v[38:39], v[4:5], v[34:35]
	v_fmac_f64_e32 v[38:39], v[6:7], v[32:33]
	v_add_f64 v[44:45], v[36:37], v[38:39]
	ds_read_b128 v[36:39], v2 offset:1344
	v_mul_f64 v[6:7], v[6:7], v[34:35]
	v_fma_f64 v[4:5], v[4:5], v[32:33], -v[6:7]
	s_waitcnt lgkmcnt(0)
	v_mul_f64 v[46:47], v[36:37], v[42:43]
	v_fmac_f64_e32 v[46:47], v[38:39], v[40:41]
	v_add_f64 v[52:53], v[44:45], v[46:47]
	ds_read_b128 v[44:47], v2 offset:1360
	s_waitcnt lgkmcnt(0)
	v_mul_f64 v[54:55], v[44:45], v[50:51]
	v_fmac_f64_e32 v[54:55], v[46:47], v[48:49]
	v_add_f64 v[60:61], v[52:53], v[54:55]
	ds_read_b128 v[52:55], v2 offset:1376
	;; [unrolled: 5-line block ×11, first 2 shown]
	s_waitcnt lgkmcnt(0)
	v_mul_f64 v[2:3], v[126:127], v[132:133]
	v_fmac_f64_e32 v[2:3], v[128:129], v[130:131]
	v_add_f64 v[64:65], v[64:65], v[2:3]
	v_mul_f64 v[2:3], v[18:19], v[22:23]
	v_fma_f64 v[2:3], v[16:17], v[20:21], -v[2:3]
	v_add_f64 v[2:3], v[2:3], 0
	v_add_f64 v[2:3], v[2:3], v[12:13]
	;; [unrolled: 1-line block ×4, first 2 shown]
	v_mul_f64 v[4:5], v[38:39], v[42:43]
	v_fma_f64 v[4:5], v[36:37], v[40:41], -v[4:5]
	v_add_f64 v[2:3], v[2:3], v[4:5]
	v_mul_f64 v[4:5], v[46:47], v[50:51]
	v_fma_f64 v[4:5], v[44:45], v[48:49], -v[4:5]
	v_add_f64 v[2:3], v[2:3], v[4:5]
	;; [unrolled: 3-line block ×12, first 2 shown]
	scratch_load_dwordx4 v[2:5], off, off offset:512
	s_waitcnt vmcnt(0)
	v_add_f64 v[2:3], v[2:3], -v[6:7]
	v_add_f64 v[4:5], v[4:5], -v[64:65]
	scratch_store_dwordx4 off, v[2:5], off offset:512
	s_and_saveexec_b64 s[0:1], vcc
	s_cbranch_execz .LBB47_241
; %bb.240:
	scratch_load_dwordx4 v[2:5], off, s54
	v_mov_b32_e32 v6, 0
	v_mov_b32_e32 v7, v6
	;; [unrolled: 1-line block ×4, first 2 shown]
	v_accvgpr_read_b32 v0, a97
	scratch_store_dwordx4 off, v[6:9], off offset:496
	s_waitcnt vmcnt(1)
	ds_write_b128 v0, v[2:5]
.LBB47_241:
	s_or_b64 exec, exec, s[0:1]
	v_mov_b32_e32 v2, 0
	s_waitcnt lgkmcnt(0)
	; wave barrier
	ds_read_b128 v[16:19], v2 offset:1264
	ds_read_b128 v[12:15], v2 offset:1280
	;; [unrolled: 1-line block ×4, first 2 shown]
	scratch_load_dwordx4 v[20:23], off, off offset:512
	scratch_load_dwordx4 v[40:43], off, off offset:576
	;; [unrolled: 1-line block ×11, first 2 shown]
	v_cmp_lt_u32_e32 vcc, 29, v252
	scratch_load_dwordx4 v[48:51], off, off offset:592
	scratch_load_dwordx4 v[56:59], off, off offset:608
	;; [unrolled: 1-line block ×3, first 2 shown]
	s_waitcnt vmcnt(13) lgkmcnt(3)
	v_mul_f64 v[24:25], v[16:17], v[22:23]
	v_fmac_f64_e32 v[24:25], v[18:19], v[20:21]
	v_add_f64 v[28:29], v[24:25], 0
	scratch_load_dwordx4 v[24:27], off, off offset:528
	v_mul_f64 v[18:19], v[18:19], v[22:23]
	v_fma_f64 v[16:17], v[16:17], v[20:21], -v[18:19]
	v_add_f64 v[16:17], v[16:17], 0
	s_waitcnt vmcnt(0) lgkmcnt(2)
	v_mul_f64 v[30:31], v[12:13], v[26:27]
	v_fmac_f64_e32 v[30:31], v[14:15], v[24:25]
	v_add_f64 v[32:33], v[28:29], v[30:31]
	scratch_load_dwordx4 v[28:31], off, off offset:544
	v_mul_f64 v[14:15], v[14:15], v[26:27]
	v_fma_f64 v[12:13], v[12:13], v[24:25], -v[14:15]
	v_add_f64 v[12:13], v[16:17], v[12:13]
	;; [unrolled: 8-line block ×3, first 2 shown]
	s_waitcnt vmcnt(0) lgkmcnt(0)
	v_mul_f64 v[38:39], v[4:5], v[34:35]
	v_fmac_f64_e32 v[38:39], v[6:7], v[32:33]
	v_add_f64 v[44:45], v[36:37], v[38:39]
	ds_read_b128 v[36:39], v2 offset:1328
	v_mul_f64 v[6:7], v[6:7], v[34:35]
	v_fma_f64 v[4:5], v[4:5], v[32:33], -v[6:7]
	v_add_f64 v[4:5], v[8:9], v[4:5]
	s_waitcnt lgkmcnt(0)
	v_mul_f64 v[46:47], v[36:37], v[42:43]
	v_fmac_f64_e32 v[46:47], v[38:39], v[40:41]
	v_add_f64 v[52:53], v[44:45], v[46:47]
	ds_read_b128 v[44:47], v2 offset:1344
	v_mul_f64 v[6:7], v[38:39], v[42:43]
	v_fma_f64 v[6:7], v[36:37], v[40:41], -v[6:7]
	v_add_f64 v[4:5], v[4:5], v[6:7]
	s_waitcnt lgkmcnt(0)
	;; [unrolled: 8-line block ×13, first 2 shown]
	v_mul_f64 v[6:7], v[136:137], v[140:141]
	v_fma_f64 v[6:7], v[134:135], v[138:139], -v[6:7]
	v_add_f64 v[8:9], v[4:5], v[6:7]
	scratch_load_dwordx4 v[4:7], off, off offset:496
	v_mul_f64 v[142:143], v[134:135], v[140:141]
	v_fmac_f64_e32 v[142:143], v[136:137], v[138:139]
	v_add_f64 v[72:73], v[72:73], v[142:143]
	s_waitcnt vmcnt(0)
	v_add_f64 v[4:5], v[4:5], -v[8:9]
	v_add_f64 v[6:7], v[6:7], -v[72:73]
	scratch_store_dwordx4 off, v[4:7], off offset:496
	s_and_saveexec_b64 s[0:1], vcc
	s_cbranch_execz .LBB47_243
; %bb.242:
	scratch_load_dwordx4 v[6:9], off, s53
	v_mov_b32_e32 v3, v2
	v_mov_b32_e32 v4, v2
	;; [unrolled: 1-line block ×3, first 2 shown]
	v_accvgpr_read_b32 v0, a97
	scratch_store_dwordx4 off, v[2:5], off offset:480
	s_waitcnt vmcnt(1)
	ds_write_b128 v0, v[6:9]
.LBB47_243:
	s_or_b64 exec, exec, s[0:1]
	s_waitcnt lgkmcnt(0)
	; wave barrier
	ds_read_b128 v[16:19], v2 offset:1248
	ds_read_b128 v[12:15], v2 offset:1264
	;; [unrolled: 1-line block ×4, first 2 shown]
	scratch_load_dwordx4 v[20:23], off, off offset:496
	scratch_load_dwordx4 v[40:43], off, off offset:560
	;; [unrolled: 1-line block ×12, first 2 shown]
	v_cmp_lt_u32_e32 vcc, 28, v252
	scratch_load_dwordx4 v[48:51], off, off offset:576
	scratch_load_dwordx4 v[56:59], off, off offset:592
	;; [unrolled: 1-line block ×3, first 2 shown]
	s_waitcnt vmcnt(14) lgkmcnt(3)
	v_mul_f64 v[24:25], v[16:17], v[22:23]
	v_fmac_f64_e32 v[24:25], v[18:19], v[20:21]
	v_add_f64 v[28:29], v[24:25], 0
	scratch_load_dwordx4 v[24:27], off, off offset:512
	s_waitcnt vmcnt(0) lgkmcnt(2)
	v_mul_f64 v[30:31], v[12:13], v[26:27]
	v_fmac_f64_e32 v[30:31], v[14:15], v[24:25]
	v_add_f64 v[32:33], v[28:29], v[30:31]
	scratch_load_dwordx4 v[28:31], off, off offset:528
	v_mul_f64 v[14:15], v[14:15], v[26:27]
	v_fma_f64 v[12:13], v[12:13], v[24:25], -v[14:15]
	s_waitcnt vmcnt(0) lgkmcnt(1)
	v_mul_f64 v[34:35], v[8:9], v[30:31]
	v_fmac_f64_e32 v[34:35], v[10:11], v[28:29]
	v_add_f64 v[36:37], v[32:33], v[34:35]
	scratch_load_dwordx4 v[32:35], off, off offset:544
	v_mul_f64 v[10:11], v[10:11], v[30:31]
	v_fma_f64 v[8:9], v[8:9], v[28:29], -v[10:11]
	s_waitcnt vmcnt(0) lgkmcnt(0)
	v_mul_f64 v[38:39], v[4:5], v[34:35]
	v_fmac_f64_e32 v[38:39], v[6:7], v[32:33]
	v_add_f64 v[44:45], v[36:37], v[38:39]
	ds_read_b128 v[36:39], v2 offset:1312
	v_mul_f64 v[6:7], v[6:7], v[34:35]
	v_fma_f64 v[4:5], v[4:5], v[32:33], -v[6:7]
	s_waitcnt lgkmcnt(0)
	v_mul_f64 v[46:47], v[36:37], v[42:43]
	v_fmac_f64_e32 v[46:47], v[38:39], v[40:41]
	v_add_f64 v[52:53], v[44:45], v[46:47]
	ds_read_b128 v[44:47], v2 offset:1328
	s_waitcnt lgkmcnt(0)
	v_mul_f64 v[54:55], v[44:45], v[50:51]
	v_fmac_f64_e32 v[54:55], v[46:47], v[48:49]
	v_add_f64 v[60:61], v[52:53], v[54:55]
	ds_read_b128 v[52:55], v2 offset:1344
	;; [unrolled: 5-line block ×13, first 2 shown]
	s_waitcnt lgkmcnt(0)
	v_mul_f64 v[2:3], v[142:143], v[148:149]
	v_fmac_f64_e32 v[2:3], v[144:145], v[146:147]
	v_add_f64 v[80:81], v[80:81], v[2:3]
	v_mul_f64 v[2:3], v[18:19], v[22:23]
	v_fma_f64 v[2:3], v[16:17], v[20:21], -v[2:3]
	v_add_f64 v[2:3], v[2:3], 0
	v_add_f64 v[2:3], v[2:3], v[12:13]
	;; [unrolled: 1-line block ×4, first 2 shown]
	v_mul_f64 v[4:5], v[38:39], v[42:43]
	v_fma_f64 v[4:5], v[36:37], v[40:41], -v[4:5]
	v_add_f64 v[2:3], v[2:3], v[4:5]
	v_mul_f64 v[4:5], v[46:47], v[50:51]
	v_fma_f64 v[4:5], v[44:45], v[48:49], -v[4:5]
	v_add_f64 v[2:3], v[2:3], v[4:5]
	;; [unrolled: 3-line block ×14, first 2 shown]
	scratch_load_dwordx4 v[2:5], off, off offset:480
	s_waitcnt vmcnt(0)
	v_add_f64 v[2:3], v[2:3], -v[6:7]
	v_add_f64 v[4:5], v[4:5], -v[80:81]
	scratch_store_dwordx4 off, v[2:5], off offset:480
	s_and_saveexec_b64 s[0:1], vcc
	s_cbranch_execz .LBB47_245
; %bb.244:
	scratch_load_dwordx4 v[2:5], off, s52
	v_mov_b32_e32 v6, 0
	v_mov_b32_e32 v7, v6
	;; [unrolled: 1-line block ×4, first 2 shown]
	v_accvgpr_read_b32 v0, a97
	scratch_store_dwordx4 off, v[6:9], off offset:464
	s_waitcnt vmcnt(1)
	ds_write_b128 v0, v[2:5]
.LBB47_245:
	s_or_b64 exec, exec, s[0:1]
	v_mov_b32_e32 v2, 0
	s_waitcnt lgkmcnt(0)
	; wave barrier
	ds_read_b128 v[16:19], v2 offset:1232
	ds_read_b128 v[12:15], v2 offset:1248
	;; [unrolled: 1-line block ×4, first 2 shown]
	scratch_load_dwordx4 v[20:23], off, off offset:480
	scratch_load_dwordx4 v[40:43], off, off offset:544
	;; [unrolled: 1-line block ×13, first 2 shown]
	v_cmp_lt_u32_e32 vcc, 27, v252
	scratch_load_dwordx4 v[48:51], off, off offset:560
	scratch_load_dwordx4 v[56:59], off, off offset:576
	scratch_load_dwordx4 v[64:67], off, off offset:592
	s_waitcnt vmcnt(15) lgkmcnt(3)
	v_mul_f64 v[24:25], v[16:17], v[22:23]
	v_fmac_f64_e32 v[24:25], v[18:19], v[20:21]
	v_add_f64 v[28:29], v[24:25], 0
	scratch_load_dwordx4 v[24:27], off, off offset:496
	v_mul_f64 v[18:19], v[18:19], v[22:23]
	v_fma_f64 v[16:17], v[16:17], v[20:21], -v[18:19]
	v_add_f64 v[16:17], v[16:17], 0
	s_waitcnt vmcnt(0) lgkmcnt(2)
	v_mul_f64 v[30:31], v[12:13], v[26:27]
	v_fmac_f64_e32 v[30:31], v[14:15], v[24:25]
	v_add_f64 v[32:33], v[28:29], v[30:31]
	scratch_load_dwordx4 v[28:31], off, off offset:512
	v_mul_f64 v[14:15], v[14:15], v[26:27]
	v_fma_f64 v[12:13], v[12:13], v[24:25], -v[14:15]
	v_add_f64 v[12:13], v[16:17], v[12:13]
	s_waitcnt vmcnt(0) lgkmcnt(1)
	v_mul_f64 v[34:35], v[8:9], v[30:31]
	v_fmac_f64_e32 v[34:35], v[10:11], v[28:29]
	v_add_f64 v[36:37], v[32:33], v[34:35]
	scratch_load_dwordx4 v[32:35], off, off offset:528
	v_mul_f64 v[10:11], v[10:11], v[30:31]
	v_fma_f64 v[8:9], v[8:9], v[28:29], -v[10:11]
	v_add_f64 v[8:9], v[12:13], v[8:9]
	s_waitcnt vmcnt(0) lgkmcnt(0)
	v_mul_f64 v[38:39], v[4:5], v[34:35]
	v_fmac_f64_e32 v[38:39], v[6:7], v[32:33]
	v_add_f64 v[44:45], v[36:37], v[38:39]
	ds_read_b128 v[36:39], v2 offset:1296
	v_mul_f64 v[6:7], v[6:7], v[34:35]
	v_fma_f64 v[4:5], v[4:5], v[32:33], -v[6:7]
	v_add_f64 v[4:5], v[8:9], v[4:5]
	s_waitcnt lgkmcnt(0)
	v_mul_f64 v[46:47], v[36:37], v[42:43]
	v_fmac_f64_e32 v[46:47], v[38:39], v[40:41]
	v_add_f64 v[52:53], v[44:45], v[46:47]
	ds_read_b128 v[44:47], v2 offset:1312
	v_mul_f64 v[6:7], v[38:39], v[42:43]
	v_fma_f64 v[6:7], v[36:37], v[40:41], -v[6:7]
	v_add_f64 v[4:5], v[4:5], v[6:7]
	s_waitcnt lgkmcnt(0)
	;; [unrolled: 8-line block ×15, first 2 shown]
	v_mul_f64 v[6:7], v[152:153], v[156:157]
	v_fma_f64 v[6:7], v[150:151], v[154:155], -v[6:7]
	v_add_f64 v[8:9], v[4:5], v[6:7]
	scratch_load_dwordx4 v[4:7], off, off offset:464
	v_mul_f64 v[158:159], v[150:151], v[156:157]
	v_fmac_f64_e32 v[158:159], v[152:153], v[154:155]
	v_add_f64 v[88:89], v[88:89], v[158:159]
	s_waitcnt vmcnt(0)
	v_add_f64 v[4:5], v[4:5], -v[8:9]
	v_add_f64 v[6:7], v[6:7], -v[88:89]
	scratch_store_dwordx4 off, v[4:7], off offset:464
	s_and_saveexec_b64 s[0:1], vcc
	s_cbranch_execz .LBB47_247
; %bb.246:
	scratch_load_dwordx4 v[6:9], off, s51
	v_mov_b32_e32 v3, v2
	v_mov_b32_e32 v4, v2
	;; [unrolled: 1-line block ×3, first 2 shown]
	v_accvgpr_read_b32 v0, a97
	scratch_store_dwordx4 off, v[2:5], off offset:448
	s_waitcnt vmcnt(1)
	ds_write_b128 v0, v[6:9]
.LBB47_247:
	s_or_b64 exec, exec, s[0:1]
	s_waitcnt lgkmcnt(0)
	; wave barrier
	ds_read_b128 v[16:19], v2 offset:1216
	ds_read_b128 v[12:15], v2 offset:1232
	;; [unrolled: 1-line block ×4, first 2 shown]
	scratch_load_dwordx4 v[20:23], off, off offset:464
	scratch_load_dwordx4 v[40:43], off, off offset:528
	scratch_load_dwordx4 v[72:75], off, off offset:592
	scratch_load_dwordx4 v[80:83], off, off offset:608
	scratch_load_dwordx4 v[88:91], off, off offset:624
	scratch_load_dwordx4 v[98:101], off, off offset:640
	scratch_load_dwordx4 v[106:109], off, off offset:656
	scratch_load_dwordx4 v[114:117], off, off offset:672
	scratch_load_dwordx4 v[122:125], off, off offset:688
	scratch_load_dwordx4 v[130:133], off, off offset:704
	scratch_load_dwordx4 v[138:141], off, off offset:720
	scratch_load_dwordx4 v[146:149], off, off offset:736
	scratch_load_dwordx4 v[154:157], off, off offset:752
	scratch_load_dwordx4 v[162:165], off, off offset:768
	v_cmp_lt_u32_e32 vcc, 26, v252
	scratch_load_dwordx4 v[48:51], off, off offset:544
	scratch_load_dwordx4 v[56:59], off, off offset:560
	scratch_load_dwordx4 v[64:67], off, off offset:576
	s_waitcnt vmcnt(16) lgkmcnt(3)
	v_mul_f64 v[24:25], v[16:17], v[22:23]
	v_fmac_f64_e32 v[24:25], v[18:19], v[20:21]
	v_add_f64 v[28:29], v[24:25], 0
	scratch_load_dwordx4 v[24:27], off, off offset:480
	s_waitcnt vmcnt(0) lgkmcnt(2)
	v_mul_f64 v[30:31], v[12:13], v[26:27]
	v_fmac_f64_e32 v[30:31], v[14:15], v[24:25]
	v_add_f64 v[32:33], v[28:29], v[30:31]
	scratch_load_dwordx4 v[28:31], off, off offset:496
	v_mul_f64 v[14:15], v[14:15], v[26:27]
	v_fma_f64 v[12:13], v[12:13], v[24:25], -v[14:15]
	s_waitcnt vmcnt(0) lgkmcnt(1)
	v_mul_f64 v[34:35], v[8:9], v[30:31]
	v_fmac_f64_e32 v[34:35], v[10:11], v[28:29]
	v_add_f64 v[36:37], v[32:33], v[34:35]
	scratch_load_dwordx4 v[32:35], off, off offset:512
	v_mul_f64 v[10:11], v[10:11], v[30:31]
	v_fma_f64 v[8:9], v[8:9], v[28:29], -v[10:11]
	s_waitcnt vmcnt(0) lgkmcnt(0)
	v_mul_f64 v[38:39], v[4:5], v[34:35]
	v_fmac_f64_e32 v[38:39], v[6:7], v[32:33]
	v_add_f64 v[44:45], v[36:37], v[38:39]
	ds_read_b128 v[36:39], v2 offset:1280
	v_mul_f64 v[6:7], v[6:7], v[34:35]
	v_fma_f64 v[4:5], v[4:5], v[32:33], -v[6:7]
	s_waitcnt lgkmcnt(0)
	v_mul_f64 v[46:47], v[36:37], v[42:43]
	v_fmac_f64_e32 v[46:47], v[38:39], v[40:41]
	v_add_f64 v[52:53], v[44:45], v[46:47]
	ds_read_b128 v[44:47], v2 offset:1296
	s_waitcnt lgkmcnt(0)
	v_mul_f64 v[54:55], v[44:45], v[50:51]
	v_fmac_f64_e32 v[54:55], v[46:47], v[48:49]
	v_add_f64 v[60:61], v[52:53], v[54:55]
	ds_read_b128 v[52:55], v2 offset:1312
	;; [unrolled: 5-line block ×15, first 2 shown]
	s_waitcnt lgkmcnt(0)
	v_mul_f64 v[2:3], v[158:159], v[164:165]
	v_fmac_f64_e32 v[2:3], v[160:161], v[162:163]
	v_add_f64 v[96:97], v[96:97], v[2:3]
	v_mul_f64 v[2:3], v[18:19], v[22:23]
	v_fma_f64 v[2:3], v[16:17], v[20:21], -v[2:3]
	v_add_f64 v[2:3], v[2:3], 0
	v_add_f64 v[2:3], v[2:3], v[12:13]
	;; [unrolled: 1-line block ×4, first 2 shown]
	v_mul_f64 v[4:5], v[38:39], v[42:43]
	v_fma_f64 v[4:5], v[36:37], v[40:41], -v[4:5]
	v_add_f64 v[2:3], v[2:3], v[4:5]
	v_mul_f64 v[4:5], v[46:47], v[50:51]
	v_fma_f64 v[4:5], v[44:45], v[48:49], -v[4:5]
	v_add_f64 v[2:3], v[2:3], v[4:5]
	;; [unrolled: 3-line block ×16, first 2 shown]
	scratch_load_dwordx4 v[2:5], off, off offset:448
	s_waitcnt vmcnt(0)
	v_add_f64 v[2:3], v[2:3], -v[6:7]
	v_add_f64 v[4:5], v[4:5], -v[96:97]
	scratch_store_dwordx4 off, v[2:5], off offset:448
	s_and_saveexec_b64 s[0:1], vcc
	s_cbranch_execz .LBB47_249
; %bb.248:
	scratch_load_dwordx4 v[2:5], off, s50
	v_mov_b32_e32 v6, 0
	v_mov_b32_e32 v7, v6
	;; [unrolled: 1-line block ×4, first 2 shown]
	v_accvgpr_read_b32 v0, a97
	scratch_store_dwordx4 off, v[6:9], off offset:432
	s_waitcnt vmcnt(1)
	ds_write_b128 v0, v[2:5]
.LBB47_249:
	s_or_b64 exec, exec, s[0:1]
	v_mov_b32_e32 v2, 0
	s_waitcnt lgkmcnt(0)
	; wave barrier
	ds_read_b128 v[16:19], v2 offset:1200
	ds_read_b128 v[12:15], v2 offset:1216
	;; [unrolled: 1-line block ×4, first 2 shown]
	scratch_load_dwordx4 v[20:23], off, off offset:448
	scratch_load_dwordx4 v[40:43], off, off offset:512
	;; [unrolled: 1-line block ×15, first 2 shown]
	v_cmp_lt_u32_e32 vcc, 25, v252
	scratch_load_dwordx4 v[48:51], off, off offset:528
	scratch_load_dwordx4 v[56:59], off, off offset:544
	;; [unrolled: 1-line block ×3, first 2 shown]
	s_waitcnt vmcnt(17) lgkmcnt(3)
	v_mul_f64 v[24:25], v[16:17], v[22:23]
	v_fmac_f64_e32 v[24:25], v[18:19], v[20:21]
	v_add_f64 v[28:29], v[24:25], 0
	scratch_load_dwordx4 v[24:27], off, off offset:464
	v_mul_f64 v[18:19], v[18:19], v[22:23]
	v_fma_f64 v[16:17], v[16:17], v[20:21], -v[18:19]
	v_add_f64 v[16:17], v[16:17], 0
	s_waitcnt vmcnt(0) lgkmcnt(2)
	v_mul_f64 v[30:31], v[12:13], v[26:27]
	v_fmac_f64_e32 v[30:31], v[14:15], v[24:25]
	v_add_f64 v[32:33], v[28:29], v[30:31]
	scratch_load_dwordx4 v[28:31], off, off offset:480
	v_mul_f64 v[14:15], v[14:15], v[26:27]
	v_fma_f64 v[12:13], v[12:13], v[24:25], -v[14:15]
	v_add_f64 v[12:13], v[16:17], v[12:13]
	;; [unrolled: 8-line block ×3, first 2 shown]
	s_waitcnt vmcnt(0) lgkmcnt(0)
	v_mul_f64 v[38:39], v[4:5], v[34:35]
	v_fmac_f64_e32 v[38:39], v[6:7], v[32:33]
	v_add_f64 v[44:45], v[36:37], v[38:39]
	ds_read_b128 v[36:39], v2 offset:1264
	v_mul_f64 v[6:7], v[6:7], v[34:35]
	v_fma_f64 v[4:5], v[4:5], v[32:33], -v[6:7]
	v_add_f64 v[4:5], v[8:9], v[4:5]
	s_waitcnt lgkmcnt(0)
	v_mul_f64 v[46:47], v[36:37], v[42:43]
	v_fmac_f64_e32 v[46:47], v[38:39], v[40:41]
	v_add_f64 v[52:53], v[44:45], v[46:47]
	ds_read_b128 v[44:47], v2 offset:1280
	v_mul_f64 v[6:7], v[38:39], v[42:43]
	v_fma_f64 v[6:7], v[36:37], v[40:41], -v[6:7]
	v_add_f64 v[4:5], v[4:5], v[6:7]
	s_waitcnt lgkmcnt(0)
	;; [unrolled: 8-line block ×17, first 2 shown]
	v_mul_f64 v[6:7], v[168:169], v[172:173]
	v_fma_f64 v[6:7], v[166:167], v[170:171], -v[6:7]
	v_add_f64 v[8:9], v[4:5], v[6:7]
	scratch_load_dwordx4 v[4:7], off, off offset:432
	v_mul_f64 v[174:175], v[166:167], v[172:173]
	v_fmac_f64_e32 v[174:175], v[168:169], v[170:171]
	v_add_f64 v[104:105], v[104:105], v[174:175]
	s_waitcnt vmcnt(0)
	v_add_f64 v[4:5], v[4:5], -v[8:9]
	v_add_f64 v[6:7], v[6:7], -v[104:105]
	scratch_store_dwordx4 off, v[4:7], off offset:432
	s_and_saveexec_b64 s[0:1], vcc
	s_cbranch_execz .LBB47_251
; %bb.250:
	scratch_load_dwordx4 v[6:9], off, s49
	v_mov_b32_e32 v3, v2
	v_mov_b32_e32 v4, v2
	v_mov_b32_e32 v5, v2
	v_accvgpr_read_b32 v0, a97
	scratch_store_dwordx4 off, v[2:5], off offset:416
	s_waitcnt vmcnt(1)
	ds_write_b128 v0, v[6:9]
.LBB47_251:
	s_or_b64 exec, exec, s[0:1]
	s_waitcnt lgkmcnt(0)
	; wave barrier
	ds_read_b128 v[16:19], v2 offset:1184
	ds_read_b128 v[12:15], v2 offset:1200
	;; [unrolled: 1-line block ×4, first 2 shown]
	scratch_load_dwordx4 v[20:23], off, off offset:432
	scratch_load_dwordx4 v[40:43], off, off offset:496
	;; [unrolled: 1-line block ×16, first 2 shown]
	v_cmp_lt_u32_e32 vcc, 24, v252
	scratch_load_dwordx4 v[48:51], off, off offset:512
	scratch_load_dwordx4 v[56:59], off, off offset:528
	scratch_load_dwordx4 v[64:67], off, off offset:544
	s_waitcnt vmcnt(18) lgkmcnt(3)
	v_mul_f64 v[24:25], v[16:17], v[22:23]
	v_fmac_f64_e32 v[24:25], v[18:19], v[20:21]
	v_add_f64 v[28:29], v[24:25], 0
	scratch_load_dwordx4 v[24:27], off, off offset:448
	s_waitcnt vmcnt(0) lgkmcnt(2)
	v_mul_f64 v[30:31], v[12:13], v[26:27]
	v_fmac_f64_e32 v[30:31], v[14:15], v[24:25]
	v_add_f64 v[32:33], v[28:29], v[30:31]
	scratch_load_dwordx4 v[28:31], off, off offset:464
	v_mul_f64 v[14:15], v[14:15], v[26:27]
	v_fma_f64 v[12:13], v[12:13], v[24:25], -v[14:15]
	s_waitcnt vmcnt(0) lgkmcnt(1)
	v_mul_f64 v[34:35], v[8:9], v[30:31]
	v_fmac_f64_e32 v[34:35], v[10:11], v[28:29]
	v_add_f64 v[36:37], v[32:33], v[34:35]
	scratch_load_dwordx4 v[32:35], off, off offset:480
	v_mul_f64 v[10:11], v[10:11], v[30:31]
	v_fma_f64 v[8:9], v[8:9], v[28:29], -v[10:11]
	s_waitcnt vmcnt(0) lgkmcnt(0)
	v_mul_f64 v[38:39], v[4:5], v[34:35]
	v_fmac_f64_e32 v[38:39], v[6:7], v[32:33]
	v_add_f64 v[44:45], v[36:37], v[38:39]
	ds_read_b128 v[36:39], v2 offset:1248
	v_mul_f64 v[6:7], v[6:7], v[34:35]
	v_fma_f64 v[4:5], v[4:5], v[32:33], -v[6:7]
	s_waitcnt lgkmcnt(0)
	v_mul_f64 v[46:47], v[36:37], v[42:43]
	v_fmac_f64_e32 v[46:47], v[38:39], v[40:41]
	v_add_f64 v[52:53], v[44:45], v[46:47]
	ds_read_b128 v[44:47], v2 offset:1264
	s_waitcnt lgkmcnt(0)
	v_mul_f64 v[54:55], v[44:45], v[50:51]
	v_fmac_f64_e32 v[54:55], v[46:47], v[48:49]
	v_add_f64 v[60:61], v[52:53], v[54:55]
	ds_read_b128 v[52:55], v2 offset:1280
	;; [unrolled: 5-line block ×17, first 2 shown]
	s_waitcnt lgkmcnt(0)
	v_mul_f64 v[2:3], v[174:175], v[180:181]
	v_fmac_f64_e32 v[2:3], v[176:177], v[178:179]
	v_add_f64 v[120:121], v[120:121], v[2:3]
	v_mul_f64 v[2:3], v[18:19], v[22:23]
	v_fma_f64 v[2:3], v[16:17], v[20:21], -v[2:3]
	v_add_f64 v[2:3], v[2:3], 0
	v_add_f64 v[2:3], v[2:3], v[12:13]
	;; [unrolled: 1-line block ×4, first 2 shown]
	v_mul_f64 v[4:5], v[38:39], v[42:43]
	v_fma_f64 v[4:5], v[36:37], v[40:41], -v[4:5]
	v_add_f64 v[2:3], v[2:3], v[4:5]
	v_mul_f64 v[4:5], v[46:47], v[50:51]
	v_fma_f64 v[4:5], v[44:45], v[48:49], -v[4:5]
	v_add_f64 v[2:3], v[2:3], v[4:5]
	;; [unrolled: 3-line block ×18, first 2 shown]
	scratch_load_dwordx4 v[2:5], off, off offset:416
	s_waitcnt vmcnt(0)
	v_add_f64 v[2:3], v[2:3], -v[6:7]
	v_add_f64 v[4:5], v[4:5], -v[120:121]
	scratch_store_dwordx4 off, v[2:5], off offset:416
	s_and_saveexec_b64 s[0:1], vcc
	s_cbranch_execz .LBB47_253
; %bb.252:
	scratch_load_dwordx4 v[2:5], off, s48
	v_mov_b32_e32 v6, 0
	v_mov_b32_e32 v7, v6
	;; [unrolled: 1-line block ×4, first 2 shown]
	v_accvgpr_read_b32 v0, a97
	scratch_store_dwordx4 off, v[6:9], off offset:400
	s_waitcnt vmcnt(1)
	ds_write_b128 v0, v[2:5]
.LBB47_253:
	s_or_b64 exec, exec, s[0:1]
	v_mov_b32_e32 v2, 0
	s_waitcnt lgkmcnt(0)
	; wave barrier
	ds_read_b128 v[16:19], v2 offset:1168
	ds_read_b128 v[12:15], v2 offset:1184
	;; [unrolled: 1-line block ×4, first 2 shown]
	scratch_load_dwordx4 v[20:23], off, off offset:416
	scratch_load_dwordx4 v[40:43], off, off offset:480
	;; [unrolled: 1-line block ×17, first 2 shown]
	v_cmp_lt_u32_e32 vcc, 23, v252
	scratch_load_dwordx4 v[48:51], off, off offset:496
	scratch_load_dwordx4 v[56:59], off, off offset:512
	;; [unrolled: 1-line block ×3, first 2 shown]
	s_waitcnt vmcnt(19) lgkmcnt(3)
	v_mul_f64 v[24:25], v[16:17], v[22:23]
	v_fmac_f64_e32 v[24:25], v[18:19], v[20:21]
	v_add_f64 v[28:29], v[24:25], 0
	scratch_load_dwordx4 v[24:27], off, off offset:432
	v_mul_f64 v[18:19], v[18:19], v[22:23]
	v_fma_f64 v[16:17], v[16:17], v[20:21], -v[18:19]
	v_add_f64 v[16:17], v[16:17], 0
	s_waitcnt vmcnt(0) lgkmcnt(2)
	v_mul_f64 v[30:31], v[12:13], v[26:27]
	v_fmac_f64_e32 v[30:31], v[14:15], v[24:25]
	v_add_f64 v[32:33], v[28:29], v[30:31]
	scratch_load_dwordx4 v[28:31], off, off offset:448
	v_mul_f64 v[14:15], v[14:15], v[26:27]
	v_fma_f64 v[12:13], v[12:13], v[24:25], -v[14:15]
	v_add_f64 v[12:13], v[16:17], v[12:13]
	;; [unrolled: 8-line block ×3, first 2 shown]
	s_waitcnt vmcnt(0) lgkmcnt(0)
	v_mul_f64 v[38:39], v[4:5], v[34:35]
	v_fmac_f64_e32 v[38:39], v[6:7], v[32:33]
	v_add_f64 v[44:45], v[36:37], v[38:39]
	ds_read_b128 v[36:39], v2 offset:1232
	v_mul_f64 v[6:7], v[6:7], v[34:35]
	v_fma_f64 v[4:5], v[4:5], v[32:33], -v[6:7]
	v_add_f64 v[4:5], v[8:9], v[4:5]
	s_waitcnt lgkmcnt(0)
	v_mul_f64 v[46:47], v[36:37], v[42:43]
	v_fmac_f64_e32 v[46:47], v[38:39], v[40:41]
	v_add_f64 v[52:53], v[44:45], v[46:47]
	ds_read_b128 v[44:47], v2 offset:1248
	v_mul_f64 v[6:7], v[38:39], v[42:43]
	v_fma_f64 v[6:7], v[36:37], v[40:41], -v[6:7]
	v_add_f64 v[4:5], v[4:5], v[6:7]
	s_waitcnt lgkmcnt(0)
	;; [unrolled: 8-line block ×19, first 2 shown]
	v_mul_f64 v[6:7], v[184:185], v[188:189]
	v_fma_f64 v[6:7], v[182:183], v[186:187], -v[6:7]
	v_add_f64 v[8:9], v[4:5], v[6:7]
	scratch_load_dwordx4 v[4:7], off, off offset:400
	v_mul_f64 v[190:191], v[182:183], v[188:189]
	v_fmac_f64_e32 v[190:191], v[184:185], v[186:187]
	v_add_f64 v[128:129], v[128:129], v[190:191]
	s_waitcnt vmcnt(0)
	v_add_f64 v[4:5], v[4:5], -v[8:9]
	v_add_f64 v[6:7], v[6:7], -v[128:129]
	scratch_store_dwordx4 off, v[4:7], off offset:400
	s_and_saveexec_b64 s[0:1], vcc
	s_cbranch_execz .LBB47_255
; %bb.254:
	scratch_load_dwordx4 v[6:9], off, s47
	v_mov_b32_e32 v3, v2
	v_mov_b32_e32 v4, v2
	;; [unrolled: 1-line block ×3, first 2 shown]
	v_accvgpr_read_b32 v0, a97
	scratch_store_dwordx4 off, v[2:5], off offset:384
	s_waitcnt vmcnt(1)
	ds_write_b128 v0, v[6:9]
.LBB47_255:
	s_or_b64 exec, exec, s[0:1]
	s_waitcnt lgkmcnt(0)
	; wave barrier
	ds_read_b128 v[16:19], v2 offset:1152
	ds_read_b128 v[12:15], v2 offset:1168
	;; [unrolled: 1-line block ×4, first 2 shown]
	scratch_load_dwordx4 v[20:23], off, off offset:400
	scratch_load_dwordx4 v[40:43], off, off offset:464
	;; [unrolled: 1-line block ×18, first 2 shown]
	v_cmp_lt_u32_e32 vcc, 22, v252
	scratch_load_dwordx4 v[48:51], off, off offset:480
	scratch_load_dwordx4 v[56:59], off, off offset:496
	;; [unrolled: 1-line block ×3, first 2 shown]
	s_waitcnt vmcnt(20) lgkmcnt(3)
	v_mul_f64 v[24:25], v[16:17], v[22:23]
	v_fmac_f64_e32 v[24:25], v[18:19], v[20:21]
	v_add_f64 v[28:29], v[24:25], 0
	scratch_load_dwordx4 v[24:27], off, off offset:416
	s_waitcnt vmcnt(0) lgkmcnt(2)
	v_mul_f64 v[30:31], v[12:13], v[26:27]
	v_fmac_f64_e32 v[30:31], v[14:15], v[24:25]
	v_add_f64 v[32:33], v[28:29], v[30:31]
	scratch_load_dwordx4 v[28:31], off, off offset:432
	v_mul_f64 v[14:15], v[14:15], v[26:27]
	v_fma_f64 v[12:13], v[12:13], v[24:25], -v[14:15]
	s_waitcnt vmcnt(0) lgkmcnt(1)
	v_mul_f64 v[34:35], v[8:9], v[30:31]
	v_fmac_f64_e32 v[34:35], v[10:11], v[28:29]
	v_add_f64 v[36:37], v[32:33], v[34:35]
	scratch_load_dwordx4 v[32:35], off, off offset:448
	v_mul_f64 v[10:11], v[10:11], v[30:31]
	v_fma_f64 v[8:9], v[8:9], v[28:29], -v[10:11]
	s_waitcnt vmcnt(0) lgkmcnt(0)
	v_mul_f64 v[38:39], v[4:5], v[34:35]
	v_fmac_f64_e32 v[38:39], v[6:7], v[32:33]
	v_add_f64 v[44:45], v[36:37], v[38:39]
	ds_read_b128 v[36:39], v2 offset:1216
	v_mul_f64 v[6:7], v[6:7], v[34:35]
	v_fma_f64 v[4:5], v[4:5], v[32:33], -v[6:7]
	s_waitcnt lgkmcnt(0)
	v_mul_f64 v[46:47], v[36:37], v[42:43]
	v_fmac_f64_e32 v[46:47], v[38:39], v[40:41]
	v_add_f64 v[52:53], v[44:45], v[46:47]
	ds_read_b128 v[44:47], v2 offset:1232
	s_waitcnt lgkmcnt(0)
	v_mul_f64 v[54:55], v[44:45], v[50:51]
	v_fmac_f64_e32 v[54:55], v[46:47], v[48:49]
	v_add_f64 v[60:61], v[52:53], v[54:55]
	ds_read_b128 v[52:55], v2 offset:1248
	;; [unrolled: 5-line block ×19, first 2 shown]
	s_waitcnt lgkmcnt(0)
	v_mul_f64 v[2:3], v[190:191], v[196:197]
	v_fmac_f64_e32 v[2:3], v[192:193], v[194:195]
	v_add_f64 v[148:149], v[148:149], v[2:3]
	v_mul_f64 v[2:3], v[18:19], v[22:23]
	v_fma_f64 v[2:3], v[16:17], v[20:21], -v[2:3]
	v_add_f64 v[2:3], v[2:3], 0
	v_add_f64 v[2:3], v[2:3], v[12:13]
	;; [unrolled: 1-line block ×4, first 2 shown]
	v_mul_f64 v[4:5], v[38:39], v[42:43]
	v_fma_f64 v[4:5], v[36:37], v[40:41], -v[4:5]
	v_add_f64 v[2:3], v[2:3], v[4:5]
	v_mul_f64 v[4:5], v[46:47], v[50:51]
	v_fma_f64 v[4:5], v[44:45], v[48:49], -v[4:5]
	v_add_f64 v[2:3], v[2:3], v[4:5]
	;; [unrolled: 3-line block ×20, first 2 shown]
	scratch_load_dwordx4 v[2:5], off, off offset:384
	s_waitcnt vmcnt(0)
	v_add_f64 v[2:3], v[2:3], -v[6:7]
	v_add_f64 v[4:5], v[4:5], -v[148:149]
	scratch_store_dwordx4 off, v[2:5], off offset:384
	s_and_saveexec_b64 s[0:1], vcc
	s_cbranch_execz .LBB47_257
; %bb.256:
	scratch_load_dwordx4 v[2:5], off, s46
	v_mov_b32_e32 v6, 0
	v_mov_b32_e32 v7, v6
	;; [unrolled: 1-line block ×4, first 2 shown]
	v_accvgpr_read_b32 v0, a97
	scratch_store_dwordx4 off, v[6:9], off offset:368
	s_waitcnt vmcnt(1)
	ds_write_b128 v0, v[2:5]
.LBB47_257:
	s_or_b64 exec, exec, s[0:1]
	v_mov_b32_e32 v2, 0
	s_waitcnt lgkmcnt(0)
	; wave barrier
	ds_read_b128 v[16:19], v2 offset:1136
	ds_read_b128 v[12:15], v2 offset:1152
	;; [unrolled: 1-line block ×4, first 2 shown]
	scratch_load_dwordx4 v[20:23], off, off offset:384
	scratch_load_dwordx4 v[40:43], off, off offset:448
	;; [unrolled: 1-line block ×19, first 2 shown]
	v_cmp_lt_u32_e32 vcc, 21, v252
	scratch_load_dwordx4 v[48:51], off, off offset:464
	scratch_load_dwordx4 v[56:59], off, off offset:480
	;; [unrolled: 1-line block ×3, first 2 shown]
	s_waitcnt vmcnt(21) lgkmcnt(3)
	v_mul_f64 v[24:25], v[16:17], v[22:23]
	v_fmac_f64_e32 v[24:25], v[18:19], v[20:21]
	v_add_f64 v[28:29], v[24:25], 0
	scratch_load_dwordx4 v[24:27], off, off offset:400
	v_mul_f64 v[18:19], v[18:19], v[22:23]
	v_fma_f64 v[16:17], v[16:17], v[20:21], -v[18:19]
	v_add_f64 v[16:17], v[16:17], 0
	s_waitcnt vmcnt(0) lgkmcnt(2)
	v_mul_f64 v[30:31], v[12:13], v[26:27]
	v_fmac_f64_e32 v[30:31], v[14:15], v[24:25]
	v_add_f64 v[32:33], v[28:29], v[30:31]
	scratch_load_dwordx4 v[28:31], off, off offset:416
	v_mul_f64 v[14:15], v[14:15], v[26:27]
	v_fma_f64 v[12:13], v[12:13], v[24:25], -v[14:15]
	v_add_f64 v[12:13], v[16:17], v[12:13]
	;; [unrolled: 8-line block ×3, first 2 shown]
	s_waitcnt vmcnt(0) lgkmcnt(0)
	v_mul_f64 v[38:39], v[4:5], v[34:35]
	v_fmac_f64_e32 v[38:39], v[6:7], v[32:33]
	v_add_f64 v[44:45], v[36:37], v[38:39]
	ds_read_b128 v[36:39], v2 offset:1200
	v_mul_f64 v[6:7], v[6:7], v[34:35]
	v_fma_f64 v[4:5], v[4:5], v[32:33], -v[6:7]
	v_add_f64 v[4:5], v[8:9], v[4:5]
	s_waitcnt lgkmcnt(0)
	v_mul_f64 v[46:47], v[36:37], v[42:43]
	v_fmac_f64_e32 v[46:47], v[38:39], v[40:41]
	v_add_f64 v[52:53], v[44:45], v[46:47]
	ds_read_b128 v[44:47], v2 offset:1216
	v_mul_f64 v[6:7], v[38:39], v[42:43]
	v_fma_f64 v[6:7], v[36:37], v[40:41], -v[6:7]
	v_add_f64 v[4:5], v[4:5], v[6:7]
	s_waitcnt lgkmcnt(0)
	;; [unrolled: 8-line block ×21, first 2 shown]
	v_mul_f64 v[6:7], v[200:201], v[204:205]
	v_fma_f64 v[6:7], v[198:199], v[202:203], -v[6:7]
	v_add_f64 v[8:9], v[4:5], v[6:7]
	scratch_load_dwordx4 v[4:7], off, off offset:368
	v_mul_f64 v[206:207], v[198:199], v[204:205]
	v_fmac_f64_e32 v[206:207], v[200:201], v[202:203]
	v_add_f64 v[144:145], v[144:145], v[206:207]
	s_waitcnt vmcnt(0)
	v_add_f64 v[4:5], v[4:5], -v[8:9]
	v_add_f64 v[6:7], v[6:7], -v[144:145]
	scratch_store_dwordx4 off, v[4:7], off offset:368
	s_and_saveexec_b64 s[0:1], vcc
	s_cbranch_execz .LBB47_259
; %bb.258:
	scratch_load_dwordx4 v[6:9], off, s45
	v_mov_b32_e32 v3, v2
	v_mov_b32_e32 v4, v2
	v_mov_b32_e32 v5, v2
	v_accvgpr_read_b32 v0, a97
	scratch_store_dwordx4 off, v[2:5], off offset:352
	s_waitcnt vmcnt(1)
	ds_write_b128 v0, v[6:9]
.LBB47_259:
	s_or_b64 exec, exec, s[0:1]
	s_waitcnt lgkmcnt(0)
	; wave barrier
	ds_read_b128 v[16:19], v2 offset:1120
	ds_read_b128 v[12:15], v2 offset:1136
	;; [unrolled: 1-line block ×4, first 2 shown]
	scratch_load_dwordx4 v[20:23], off, off offset:368
	scratch_load_dwordx4 v[40:43], off, off offset:432
	;; [unrolled: 1-line block ×20, first 2 shown]
	v_cmp_lt_u32_e32 vcc, 20, v252
	scratch_load_dwordx4 v[48:51], off, off offset:448
	scratch_load_dwordx4 v[56:59], off, off offset:464
	;; [unrolled: 1-line block ×3, first 2 shown]
	s_waitcnt vmcnt(22) lgkmcnt(3)
	v_mul_f64 v[24:25], v[16:17], v[22:23]
	v_fmac_f64_e32 v[24:25], v[18:19], v[20:21]
	v_add_f64 v[28:29], v[24:25], 0
	scratch_load_dwordx4 v[24:27], off, off offset:384
	s_waitcnt vmcnt(0) lgkmcnt(2)
	v_mul_f64 v[30:31], v[12:13], v[26:27]
	v_fmac_f64_e32 v[30:31], v[14:15], v[24:25]
	v_add_f64 v[32:33], v[28:29], v[30:31]
	scratch_load_dwordx4 v[28:31], off, off offset:400
	v_mul_f64 v[14:15], v[14:15], v[26:27]
	v_fma_f64 v[12:13], v[12:13], v[24:25], -v[14:15]
	s_waitcnt vmcnt(0) lgkmcnt(1)
	v_mul_f64 v[34:35], v[8:9], v[30:31]
	v_fmac_f64_e32 v[34:35], v[10:11], v[28:29]
	v_add_f64 v[36:37], v[32:33], v[34:35]
	scratch_load_dwordx4 v[32:35], off, off offset:416
	v_mul_f64 v[10:11], v[10:11], v[30:31]
	v_fma_f64 v[8:9], v[8:9], v[28:29], -v[10:11]
	s_waitcnt vmcnt(0) lgkmcnt(0)
	v_mul_f64 v[38:39], v[4:5], v[34:35]
	v_fmac_f64_e32 v[38:39], v[6:7], v[32:33]
	v_add_f64 v[44:45], v[36:37], v[38:39]
	ds_read_b128 v[36:39], v2 offset:1184
	v_mul_f64 v[6:7], v[6:7], v[34:35]
	v_fma_f64 v[4:5], v[4:5], v[32:33], -v[6:7]
	s_waitcnt lgkmcnt(0)
	v_mul_f64 v[46:47], v[36:37], v[42:43]
	v_fmac_f64_e32 v[46:47], v[38:39], v[40:41]
	v_add_f64 v[52:53], v[44:45], v[46:47]
	ds_read_b128 v[44:47], v2 offset:1200
	s_waitcnt lgkmcnt(0)
	v_mul_f64 v[54:55], v[44:45], v[50:51]
	v_fmac_f64_e32 v[54:55], v[46:47], v[48:49]
	v_add_f64 v[60:61], v[52:53], v[54:55]
	ds_read_b128 v[52:55], v2 offset:1216
	;; [unrolled: 5-line block ×21, first 2 shown]
	s_waitcnt lgkmcnt(0)
	v_mul_f64 v[2:3], v[206:207], v[212:213]
	v_fmac_f64_e32 v[2:3], v[208:209], v[210:211]
	v_add_f64 v[168:169], v[168:169], v[2:3]
	v_mul_f64 v[2:3], v[18:19], v[22:23]
	v_fma_f64 v[2:3], v[16:17], v[20:21], -v[2:3]
	v_add_f64 v[2:3], v[2:3], 0
	v_add_f64 v[2:3], v[2:3], v[12:13]
	;; [unrolled: 1-line block ×4, first 2 shown]
	v_mul_f64 v[4:5], v[38:39], v[42:43]
	v_fma_f64 v[4:5], v[36:37], v[40:41], -v[4:5]
	v_add_f64 v[2:3], v[2:3], v[4:5]
	v_mul_f64 v[4:5], v[46:47], v[50:51]
	v_fma_f64 v[4:5], v[44:45], v[48:49], -v[4:5]
	v_add_f64 v[2:3], v[2:3], v[4:5]
	;; [unrolled: 3-line block ×22, first 2 shown]
	scratch_load_dwordx4 v[2:5], off, off offset:352
	s_waitcnt vmcnt(0)
	v_add_f64 v[2:3], v[2:3], -v[6:7]
	v_add_f64 v[4:5], v[4:5], -v[168:169]
	scratch_store_dwordx4 off, v[2:5], off offset:352
	s_and_saveexec_b64 s[0:1], vcc
	s_cbranch_execz .LBB47_261
; %bb.260:
	scratch_load_dwordx4 v[2:5], off, s44
	v_mov_b32_e32 v6, 0
	v_mov_b32_e32 v7, v6
	;; [unrolled: 1-line block ×4, first 2 shown]
	v_accvgpr_read_b32 v0, a97
	scratch_store_dwordx4 off, v[6:9], off offset:336
	s_waitcnt vmcnt(1)
	ds_write_b128 v0, v[2:5]
.LBB47_261:
	s_or_b64 exec, exec, s[0:1]
	v_mov_b32_e32 v2, 0
	s_waitcnt lgkmcnt(0)
	; wave barrier
	ds_read_b128 v[16:19], v2 offset:1104
	ds_read_b128 v[12:15], v2 offset:1120
	;; [unrolled: 1-line block ×4, first 2 shown]
	scratch_load_dwordx4 v[20:23], off, off offset:352
	scratch_load_dwordx4 v[40:43], off, off offset:416
	;; [unrolled: 1-line block ×21, first 2 shown]
	v_cmp_lt_u32_e32 vcc, 19, v252
	scratch_load_dwordx4 v[48:51], off, off offset:432
	scratch_load_dwordx4 v[56:59], off, off offset:448
	;; [unrolled: 1-line block ×3, first 2 shown]
	s_waitcnt vmcnt(23) lgkmcnt(3)
	v_mul_f64 v[24:25], v[16:17], v[22:23]
	v_fmac_f64_e32 v[24:25], v[18:19], v[20:21]
	v_add_f64 v[28:29], v[24:25], 0
	scratch_load_dwordx4 v[24:27], off, off offset:368
	v_mul_f64 v[18:19], v[18:19], v[22:23]
	v_fma_f64 v[16:17], v[16:17], v[20:21], -v[18:19]
	v_add_f64 v[16:17], v[16:17], 0
	s_waitcnt vmcnt(0) lgkmcnt(2)
	v_mul_f64 v[30:31], v[12:13], v[26:27]
	v_fmac_f64_e32 v[30:31], v[14:15], v[24:25]
	v_add_f64 v[32:33], v[28:29], v[30:31]
	scratch_load_dwordx4 v[28:31], off, off offset:384
	v_mul_f64 v[14:15], v[14:15], v[26:27]
	v_fma_f64 v[12:13], v[12:13], v[24:25], -v[14:15]
	v_add_f64 v[12:13], v[16:17], v[12:13]
	;; [unrolled: 8-line block ×3, first 2 shown]
	s_waitcnt vmcnt(0) lgkmcnt(0)
	v_mul_f64 v[38:39], v[4:5], v[34:35]
	v_fmac_f64_e32 v[38:39], v[6:7], v[32:33]
	v_add_f64 v[44:45], v[36:37], v[38:39]
	ds_read_b128 v[36:39], v2 offset:1168
	v_mul_f64 v[6:7], v[6:7], v[34:35]
	v_fma_f64 v[4:5], v[4:5], v[32:33], -v[6:7]
	v_add_f64 v[4:5], v[8:9], v[4:5]
	s_waitcnt lgkmcnt(0)
	v_mul_f64 v[46:47], v[36:37], v[42:43]
	v_fmac_f64_e32 v[46:47], v[38:39], v[40:41]
	v_add_f64 v[52:53], v[44:45], v[46:47]
	ds_read_b128 v[44:47], v2 offset:1184
	v_mul_f64 v[6:7], v[38:39], v[42:43]
	v_fma_f64 v[6:7], v[36:37], v[40:41], -v[6:7]
	v_add_f64 v[4:5], v[4:5], v[6:7]
	s_waitcnt lgkmcnt(0)
	;; [unrolled: 8-line block ×23, first 2 shown]
	v_mul_f64 v[6:7], v[216:217], v[220:221]
	v_fma_f64 v[6:7], v[214:215], v[218:219], -v[6:7]
	v_add_f64 v[8:9], v[4:5], v[6:7]
	scratch_load_dwordx4 v[4:7], off, off offset:336
	v_mul_f64 v[222:223], v[214:215], v[220:221]
	v_fmac_f64_e32 v[222:223], v[216:217], v[218:219]
	v_add_f64 v[160:161], v[160:161], v[222:223]
	s_waitcnt vmcnt(0)
	v_add_f64 v[4:5], v[4:5], -v[8:9]
	v_add_f64 v[6:7], v[6:7], -v[160:161]
	scratch_store_dwordx4 off, v[4:7], off offset:336
	s_and_saveexec_b64 s[0:1], vcc
	s_cbranch_execz .LBB47_263
; %bb.262:
	scratch_load_dwordx4 v[6:9], off, s43
	v_mov_b32_e32 v3, v2
	v_mov_b32_e32 v4, v2
	;; [unrolled: 1-line block ×3, first 2 shown]
	v_accvgpr_read_b32 v0, a97
	scratch_store_dwordx4 off, v[2:5], off offset:320
	s_waitcnt vmcnt(1)
	ds_write_b128 v0, v[6:9]
.LBB47_263:
	s_or_b64 exec, exec, s[0:1]
	s_waitcnt lgkmcnt(0)
	; wave barrier
	ds_read_b128 v[16:19], v2 offset:1088
	ds_read_b128 v[12:15], v2 offset:1104
	;; [unrolled: 1-line block ×4, first 2 shown]
	scratch_load_dwordx4 v[20:23], off, off offset:336
	scratch_load_dwordx4 v[40:43], off, off offset:400
	;; [unrolled: 1-line block ×22, first 2 shown]
	v_cmp_lt_u32_e32 vcc, 18, v252
	scratch_load_dwordx4 v[48:51], off, off offset:416
	scratch_load_dwordx4 v[56:59], off, off offset:432
	;; [unrolled: 1-line block ×3, first 2 shown]
	s_waitcnt vmcnt(24) lgkmcnt(3)
	v_mul_f64 v[24:25], v[16:17], v[22:23]
	v_fmac_f64_e32 v[24:25], v[18:19], v[20:21]
	v_add_f64 v[28:29], v[24:25], 0
	scratch_load_dwordx4 v[24:27], off, off offset:352
	s_waitcnt vmcnt(0) lgkmcnt(2)
	v_mul_f64 v[30:31], v[12:13], v[26:27]
	v_fmac_f64_e32 v[30:31], v[14:15], v[24:25]
	v_add_f64 v[32:33], v[28:29], v[30:31]
	scratch_load_dwordx4 v[28:31], off, off offset:368
	v_mul_f64 v[14:15], v[14:15], v[26:27]
	v_fma_f64 v[12:13], v[12:13], v[24:25], -v[14:15]
	s_waitcnt vmcnt(0) lgkmcnt(1)
	v_mul_f64 v[34:35], v[8:9], v[30:31]
	v_fmac_f64_e32 v[34:35], v[10:11], v[28:29]
	v_add_f64 v[36:37], v[32:33], v[34:35]
	scratch_load_dwordx4 v[32:35], off, off offset:384
	v_mul_f64 v[10:11], v[10:11], v[30:31]
	v_fma_f64 v[8:9], v[8:9], v[28:29], -v[10:11]
	s_waitcnt vmcnt(0) lgkmcnt(0)
	v_mul_f64 v[38:39], v[4:5], v[34:35]
	v_fmac_f64_e32 v[38:39], v[6:7], v[32:33]
	v_add_f64 v[44:45], v[36:37], v[38:39]
	ds_read_b128 v[36:39], v2 offset:1152
	v_mul_f64 v[6:7], v[6:7], v[34:35]
	v_fma_f64 v[4:5], v[4:5], v[32:33], -v[6:7]
	s_waitcnt lgkmcnt(0)
	v_mul_f64 v[46:47], v[36:37], v[42:43]
	v_fmac_f64_e32 v[46:47], v[38:39], v[40:41]
	v_add_f64 v[52:53], v[44:45], v[46:47]
	ds_read_b128 v[44:47], v2 offset:1168
	s_waitcnt lgkmcnt(0)
	v_mul_f64 v[54:55], v[44:45], v[50:51]
	v_fmac_f64_e32 v[54:55], v[46:47], v[48:49]
	v_add_f64 v[60:61], v[52:53], v[54:55]
	ds_read_b128 v[52:55], v2 offset:1184
	;; [unrolled: 5-line block ×23, first 2 shown]
	s_waitcnt lgkmcnt(0)
	v_mul_f64 v[2:3], v[222:223], v[228:229]
	v_fmac_f64_e32 v[2:3], v[224:225], v[226:227]
	v_add_f64 v[176:177], v[176:177], v[2:3]
	v_mul_f64 v[2:3], v[18:19], v[22:23]
	v_fma_f64 v[2:3], v[16:17], v[20:21], -v[2:3]
	v_add_f64 v[2:3], v[2:3], 0
	v_add_f64 v[2:3], v[2:3], v[12:13]
	;; [unrolled: 1-line block ×4, first 2 shown]
	v_mul_f64 v[4:5], v[38:39], v[42:43]
	v_fma_f64 v[4:5], v[36:37], v[40:41], -v[4:5]
	v_add_f64 v[2:3], v[2:3], v[4:5]
	v_mul_f64 v[4:5], v[46:47], v[50:51]
	v_fma_f64 v[4:5], v[44:45], v[48:49], -v[4:5]
	v_add_f64 v[2:3], v[2:3], v[4:5]
	;; [unrolled: 3-line block ×24, first 2 shown]
	scratch_load_dwordx4 v[2:5], off, off offset:320
	s_waitcnt vmcnt(0)
	v_add_f64 v[2:3], v[2:3], -v[6:7]
	v_add_f64 v[4:5], v[4:5], -v[176:177]
	scratch_store_dwordx4 off, v[2:5], off offset:320
	s_and_saveexec_b64 s[0:1], vcc
	s_cbranch_execz .LBB47_265
; %bb.264:
	scratch_load_dwordx4 v[2:5], off, s42
	v_mov_b32_e32 v6, 0
	v_mov_b32_e32 v7, v6
	;; [unrolled: 1-line block ×4, first 2 shown]
	v_accvgpr_read_b32 v0, a97
	scratch_store_dwordx4 off, v[6:9], off offset:304
	s_waitcnt vmcnt(1)
	ds_write_b128 v0, v[2:5]
.LBB47_265:
	s_or_b64 exec, exec, s[0:1]
	v_mov_b32_e32 v2, 0
	s_waitcnt lgkmcnt(0)
	; wave barrier
	ds_read_b128 v[16:19], v2 offset:1072
	ds_read_b128 v[12:15], v2 offset:1088
	;; [unrolled: 1-line block ×4, first 2 shown]
	scratch_load_dwordx4 v[20:23], off, off offset:320
	scratch_load_dwordx4 v[40:43], off, off offset:384
	;; [unrolled: 1-line block ×23, first 2 shown]
	v_cmp_lt_u32_e32 vcc, 17, v252
	scratch_load_dwordx4 v[48:51], off, off offset:400
	scratch_load_dwordx4 v[56:59], off, off offset:416
	;; [unrolled: 1-line block ×3, first 2 shown]
	s_waitcnt vmcnt(25) lgkmcnt(3)
	v_mul_f64 v[24:25], v[16:17], v[22:23]
	v_fmac_f64_e32 v[24:25], v[18:19], v[20:21]
	v_add_f64 v[28:29], v[24:25], 0
	scratch_load_dwordx4 v[24:27], off, off offset:336
	v_mul_f64 v[18:19], v[18:19], v[22:23]
	v_fma_f64 v[16:17], v[16:17], v[20:21], -v[18:19]
	v_add_f64 v[16:17], v[16:17], 0
	s_waitcnt vmcnt(0) lgkmcnt(2)
	v_mul_f64 v[30:31], v[12:13], v[26:27]
	v_fmac_f64_e32 v[30:31], v[14:15], v[24:25]
	v_add_f64 v[32:33], v[28:29], v[30:31]
	scratch_load_dwordx4 v[28:31], off, off offset:352
	v_mul_f64 v[14:15], v[14:15], v[26:27]
	v_fma_f64 v[12:13], v[12:13], v[24:25], -v[14:15]
	v_add_f64 v[12:13], v[16:17], v[12:13]
	;; [unrolled: 8-line block ×3, first 2 shown]
	s_waitcnt vmcnt(0) lgkmcnt(0)
	v_mul_f64 v[38:39], v[4:5], v[34:35]
	v_fmac_f64_e32 v[38:39], v[6:7], v[32:33]
	v_add_f64 v[44:45], v[36:37], v[38:39]
	ds_read_b128 v[36:39], v2 offset:1136
	v_mul_f64 v[6:7], v[6:7], v[34:35]
	v_fma_f64 v[4:5], v[4:5], v[32:33], -v[6:7]
	v_add_f64 v[4:5], v[8:9], v[4:5]
	s_waitcnt lgkmcnt(0)
	v_mul_f64 v[46:47], v[36:37], v[42:43]
	v_fmac_f64_e32 v[46:47], v[38:39], v[40:41]
	v_add_f64 v[52:53], v[44:45], v[46:47]
	ds_read_b128 v[44:47], v2 offset:1152
	v_mul_f64 v[6:7], v[38:39], v[42:43]
	v_fma_f64 v[6:7], v[36:37], v[40:41], -v[6:7]
	v_add_f64 v[4:5], v[4:5], v[6:7]
	s_waitcnt lgkmcnt(0)
	;; [unrolled: 8-line block ×25, first 2 shown]
	v_mul_f64 v[6:7], v[232:233], v[236:237]
	v_fma_f64 v[6:7], v[230:231], v[234:235], -v[6:7]
	v_add_f64 v[8:9], v[4:5], v[6:7]
	scratch_load_dwordx4 v[4:7], off, off offset:304
	v_mul_f64 v[238:239], v[230:231], v[236:237]
	v_fmac_f64_e32 v[238:239], v[232:233], v[234:235]
	v_add_f64 v[176:177], v[176:177], v[238:239]
	s_waitcnt vmcnt(0)
	v_add_f64 v[4:5], v[4:5], -v[8:9]
	v_add_f64 v[6:7], v[6:7], -v[176:177]
	scratch_store_dwordx4 off, v[4:7], off offset:304
	s_and_saveexec_b64 s[0:1], vcc
	s_cbranch_execz .LBB47_267
; %bb.266:
	scratch_load_dwordx4 v[6:9], off, s41
	v_mov_b32_e32 v3, v2
	v_mov_b32_e32 v4, v2
	;; [unrolled: 1-line block ×3, first 2 shown]
	v_accvgpr_read_b32 v0, a97
	scratch_store_dwordx4 off, v[2:5], off offset:288
	s_waitcnt vmcnt(1)
	ds_write_b128 v0, v[6:9]
.LBB47_267:
	s_or_b64 exec, exec, s[0:1]
	s_waitcnt lgkmcnt(0)
	; wave barrier
	ds_read_b128 v[16:19], v2 offset:1056
	ds_read_b128 v[12:15], v2 offset:1072
	;; [unrolled: 1-line block ×4, first 2 shown]
	scratch_load_dwordx4 v[20:23], off, off offset:304
	scratch_load_dwordx4 v[40:43], off, off offset:368
	;; [unrolled: 1-line block ×24, first 2 shown]
	v_cmp_lt_u32_e32 vcc, 16, v252
	scratch_load_dwordx4 v[48:51], off, off offset:384
	scratch_load_dwordx4 v[56:59], off, off offset:400
	;; [unrolled: 1-line block ×3, first 2 shown]
	s_waitcnt vmcnt(26) lgkmcnt(3)
	v_mul_f64 v[24:25], v[16:17], v[22:23]
	v_fmac_f64_e32 v[24:25], v[18:19], v[20:21]
	v_add_f64 v[28:29], v[24:25], 0
	scratch_load_dwordx4 v[24:27], off, off offset:320
	s_waitcnt vmcnt(0) lgkmcnt(2)
	v_mul_f64 v[30:31], v[12:13], v[26:27]
	v_fmac_f64_e32 v[30:31], v[14:15], v[24:25]
	v_add_f64 v[32:33], v[28:29], v[30:31]
	scratch_load_dwordx4 v[28:31], off, off offset:336
	v_mul_f64 v[14:15], v[14:15], v[26:27]
	v_fma_f64 v[12:13], v[12:13], v[24:25], -v[14:15]
	s_waitcnt vmcnt(0) lgkmcnt(1)
	v_mul_f64 v[34:35], v[8:9], v[30:31]
	v_fmac_f64_e32 v[34:35], v[10:11], v[28:29]
	v_add_f64 v[36:37], v[32:33], v[34:35]
	scratch_load_dwordx4 v[32:35], off, off offset:352
	v_mul_f64 v[10:11], v[10:11], v[30:31]
	v_fma_f64 v[8:9], v[8:9], v[28:29], -v[10:11]
	s_waitcnt vmcnt(0) lgkmcnt(0)
	v_mul_f64 v[38:39], v[4:5], v[34:35]
	v_fmac_f64_e32 v[38:39], v[6:7], v[32:33]
	v_add_f64 v[44:45], v[36:37], v[38:39]
	ds_read_b128 v[36:39], v2 offset:1120
	v_mul_f64 v[6:7], v[6:7], v[34:35]
	v_fma_f64 v[4:5], v[4:5], v[32:33], -v[6:7]
	s_waitcnt lgkmcnt(0)
	v_mul_f64 v[46:47], v[36:37], v[42:43]
	v_fmac_f64_e32 v[46:47], v[38:39], v[40:41]
	v_add_f64 v[52:53], v[44:45], v[46:47]
	ds_read_b128 v[44:47], v2 offset:1136
	s_waitcnt lgkmcnt(0)
	v_mul_f64 v[54:55], v[44:45], v[50:51]
	v_fmac_f64_e32 v[54:55], v[46:47], v[48:49]
	v_add_f64 v[60:61], v[52:53], v[54:55]
	ds_read_b128 v[52:55], v2 offset:1152
	s_waitcnt lgkmcnt(0)
	v_mul_f64 v[62:63], v[52:53], v[58:59]
	v_fmac_f64_e32 v[62:63], v[54:55], v[56:57]
	v_add_f64 v[68:69], v[60:61], v[62:63]
	ds_read_b128 v[60:63], v2 offset:1168
	s_waitcnt lgkmcnt(0)
	v_mul_f64 v[70:71], v[60:61], v[66:67]
	v_fmac_f64_e32 v[70:71], v[62:63], v[64:65]
	v_add_f64 v[76:77], v[68:69], v[70:71]
	ds_read_b128 v[68:71], v2 offset:1184
	s_waitcnt lgkmcnt(0)
	v_mul_f64 v[78:79], v[68:69], v[74:75]
	v_fmac_f64_e32 v[78:79], v[70:71], v[72:73]
	v_add_f64 v[84:85], v[76:77], v[78:79]
	ds_read_b128 v[76:79], v2 offset:1200
	s_waitcnt lgkmcnt(0)
	v_mul_f64 v[86:87], v[76:77], v[82:83]
	v_fmac_f64_e32 v[86:87], v[78:79], v[80:81]
	v_add_f64 v[92:93], v[84:85], v[86:87]
	ds_read_b128 v[84:87], v2 offset:1216
	s_waitcnt lgkmcnt(0)
	v_mul_f64 v[94:95], v[84:85], v[90:91]
	v_fmac_f64_e32 v[94:95], v[86:87], v[88:89]
	v_add_f64 v[100:101], v[92:93], v[94:95]
	ds_read_b128 v[92:95], v2 offset:1232
	s_waitcnt lgkmcnt(0)
	v_mul_f64 v[102:103], v[92:93], v[98:99]
	v_fmac_f64_e32 v[102:103], v[94:95], v[96:97]
	v_add_f64 v[108:109], v[100:101], v[102:103]
	ds_read_b128 v[100:103], v2 offset:1248
	s_waitcnt lgkmcnt(0)
	v_mul_f64 v[110:111], v[100:101], v[106:107]
	v_fmac_f64_e32 v[110:111], v[102:103], v[104:105]
	v_add_f64 v[116:117], v[108:109], v[110:111]
	ds_read_b128 v[108:111], v2 offset:1264
	s_waitcnt lgkmcnt(0)
	v_mul_f64 v[118:119], v[108:109], v[114:115]
	v_fmac_f64_e32 v[118:119], v[110:111], v[112:113]
	v_add_f64 v[124:125], v[116:117], v[118:119]
	ds_read_b128 v[116:119], v2 offset:1280
	s_waitcnt lgkmcnt(0)
	v_mul_f64 v[126:127], v[116:117], v[122:123]
	v_fmac_f64_e32 v[126:127], v[118:119], v[120:121]
	v_add_f64 v[132:133], v[124:125], v[126:127]
	ds_read_b128 v[124:127], v2 offset:1296
	s_waitcnt lgkmcnt(0)
	v_mul_f64 v[134:135], v[124:125], v[130:131]
	v_fmac_f64_e32 v[134:135], v[126:127], v[128:129]
	v_add_f64 v[140:141], v[132:133], v[134:135]
	ds_read_b128 v[132:135], v2 offset:1312
	s_waitcnt lgkmcnt(0)
	v_mul_f64 v[142:143], v[132:133], v[138:139]
	v_fmac_f64_e32 v[142:143], v[134:135], v[136:137]
	v_add_f64 v[148:149], v[140:141], v[142:143]
	ds_read_b128 v[140:143], v2 offset:1328
	s_waitcnt lgkmcnt(0)
	v_mul_f64 v[150:151], v[140:141], v[146:147]
	v_fmac_f64_e32 v[150:151], v[142:143], v[144:145]
	v_add_f64 v[156:157], v[148:149], v[150:151]
	ds_read_b128 v[148:151], v2 offset:1344
	s_waitcnt lgkmcnt(0)
	v_mul_f64 v[158:159], v[148:149], v[154:155]
	v_fmac_f64_e32 v[158:159], v[150:151], v[152:153]
	v_add_f64 v[164:165], v[156:157], v[158:159]
	ds_read_b128 v[156:159], v2 offset:1360
	s_waitcnt lgkmcnt(0)
	v_mul_f64 v[166:167], v[156:157], v[162:163]
	v_fmac_f64_e32 v[166:167], v[158:159], v[160:161]
	v_add_f64 v[172:173], v[164:165], v[166:167]
	ds_read_b128 v[164:167], v2 offset:1376
	s_waitcnt lgkmcnt(0)
	v_mul_f64 v[174:175], v[164:165], v[170:171]
	v_fmac_f64_e32 v[174:175], v[166:167], v[168:169]
	v_add_f64 v[180:181], v[172:173], v[174:175]
	ds_read_b128 v[172:175], v2 offset:1392
	s_waitcnt lgkmcnt(0)
	v_mul_f64 v[182:183], v[172:173], v[178:179]
	v_fmac_f64_e32 v[182:183], v[174:175], v[176:177]
	v_add_f64 v[184:185], v[180:181], v[182:183]
	ds_read_b128 v[180:183], v2 offset:1408
	s_waitcnt lgkmcnt(0)
	v_mul_f64 v[190:191], v[180:181], v[188:189]
	v_fmac_f64_e32 v[190:191], v[182:183], v[186:187]
	v_add_f64 v[184:185], v[184:185], v[190:191]
	ds_read_b128 v[190:193], v2 offset:1424
	s_waitcnt lgkmcnt(0)
	v_mul_f64 v[198:199], v[190:191], v[196:197]
	v_fmac_f64_e32 v[198:199], v[192:193], v[194:195]
	v_add_f64 v[184:185], v[184:185], v[198:199]
	ds_read_b128 v[198:201], v2 offset:1440
	s_waitcnt lgkmcnt(0)
	v_mul_f64 v[206:207], v[198:199], v[204:205]
	v_fmac_f64_e32 v[206:207], v[200:201], v[202:203]
	v_add_f64 v[184:185], v[184:185], v[206:207]
	ds_read_b128 v[206:209], v2 offset:1456
	s_waitcnt lgkmcnt(0)
	v_mul_f64 v[214:215], v[206:207], v[212:213]
	v_fmac_f64_e32 v[214:215], v[208:209], v[210:211]
	v_add_f64 v[184:185], v[184:185], v[214:215]
	ds_read_b128 v[214:217], v2 offset:1472
	s_waitcnt lgkmcnt(0)
	v_mul_f64 v[222:223], v[214:215], v[220:221]
	v_fmac_f64_e32 v[222:223], v[216:217], v[218:219]
	v_add_f64 v[184:185], v[184:185], v[222:223]
	ds_read_b128 v[222:225], v2 offset:1488
	s_waitcnt lgkmcnt(0)
	v_mul_f64 v[230:231], v[222:223], v[228:229]
	v_fmac_f64_e32 v[230:231], v[224:225], v[226:227]
	v_add_f64 v[184:185], v[184:185], v[230:231]
	ds_read_b128 v[230:233], v2 offset:1504
	s_waitcnt lgkmcnt(0)
	v_mul_f64 v[238:239], v[230:231], v[236:237]
	v_fmac_f64_e32 v[238:239], v[232:233], v[234:235]
	v_add_f64 v[184:185], v[184:185], v[238:239]
	ds_read_b128 v[238:241], v2 offset:1520
	s_waitcnt lgkmcnt(0)
	v_mul_f64 v[2:3], v[238:239], v[244:245]
	v_fmac_f64_e32 v[2:3], v[240:241], v[242:243]
	v_add_f64 v[184:185], v[184:185], v[2:3]
	v_mul_f64 v[2:3], v[18:19], v[22:23]
	v_fma_f64 v[2:3], v[16:17], v[20:21], -v[2:3]
	v_add_f64 v[2:3], v[2:3], 0
	v_add_f64 v[2:3], v[2:3], v[12:13]
	;; [unrolled: 1-line block ×4, first 2 shown]
	v_mul_f64 v[4:5], v[38:39], v[42:43]
	v_fma_f64 v[4:5], v[36:37], v[40:41], -v[4:5]
	v_add_f64 v[2:3], v[2:3], v[4:5]
	v_mul_f64 v[4:5], v[46:47], v[50:51]
	v_fma_f64 v[4:5], v[44:45], v[48:49], -v[4:5]
	v_add_f64 v[2:3], v[2:3], v[4:5]
	;; [unrolled: 3-line block ×26, first 2 shown]
	scratch_load_dwordx4 v[2:5], off, off offset:288
	s_waitcnt vmcnt(0)
	v_add_f64 v[2:3], v[2:3], -v[6:7]
	v_add_f64 v[4:5], v[4:5], -v[184:185]
	scratch_store_dwordx4 off, v[2:5], off offset:288
	s_and_saveexec_b64 s[0:1], vcc
	s_cbranch_execz .LBB47_269
; %bb.268:
	scratch_load_dwordx4 v[2:5], off, s40
	v_mov_b32_e32 v6, 0
	v_mov_b32_e32 v7, v6
	;; [unrolled: 1-line block ×4, first 2 shown]
	v_accvgpr_read_b32 v0, a97
	scratch_store_dwordx4 off, v[6:9], off offset:272
	s_waitcnt vmcnt(1)
	ds_write_b128 v0, v[2:5]
.LBB47_269:
	s_or_b64 exec, exec, s[0:1]
	s_waitcnt lgkmcnt(0)
	; wave barrier
	scratch_load_dwordx4 v[16:19], off, off offset:288
	scratch_load_dwordx4 v[12:15], off, off offset:304
	;; [unrolled: 1-line block ×32, first 2 shown]
	v_mov_b32_e32 v2, 0
	ds_read_b128 v[132:135], v2 offset:1040
	ds_read_b128 v[136:139], v2 offset:1056
	;; [unrolled: 1-line block ×17, first 2 shown]
	v_cmp_lt_u32_e32 vcc, 15, v252
	s_waitcnt vmcnt(31) lgkmcnt(14)
	v_mul_f64 v[200:201], v[132:133], v[18:19]
	s_waitcnt vmcnt(30)
	v_mul_f64 v[202:203], v[136:137], v[14:15]
	v_fmac_f64_e32 v[200:201], v[134:135], v[16:17]
	s_waitcnt vmcnt(29)
	v_mul_f64 v[204:205], v[140:141], v[10:11]
	v_fmac_f64_e32 v[202:203], v[138:139], v[12:13]
	v_add_f64 v[200:201], v[200:201], 0
	s_waitcnt vmcnt(28) lgkmcnt(13)
	v_mul_f64 v[206:207], v[144:145], v[6:7]
	v_fmac_f64_e32 v[204:205], v[142:143], v[8:9]
	v_add_f64 v[200:201], v[200:201], v[202:203]
	s_waitcnt vmcnt(27) lgkmcnt(12)
	;; [unrolled: 4-line block ×12, first 2 shown]
	v_mul_f64 v[228:229], v[188:189], v[62:63]
	v_fmac_f64_e32 v[226:227], v[186:187], v[56:57]
	v_add_f64 v[200:201], v[200:201], v[224:225]
	v_fmac_f64_e32 v[228:229], v[190:191], v[60:61]
	v_add_f64 v[200:201], v[200:201], v[226:227]
	s_waitcnt vmcnt(16) lgkmcnt(1)
	v_mul_f64 v[202:203], v[192:193], v[66:67]
	v_add_f64 v[200:201], v[200:201], v[228:229]
	v_fmac_f64_e32 v[202:203], v[194:195], v[64:65]
	s_waitcnt vmcnt(15) lgkmcnt(0)
	v_mul_f64 v[206:207], v[196:197], v[70:71]
	v_add_f64 v[204:205], v[200:201], v[202:203]
	ds_read_b128 v[200:203], v2 offset:1312
	v_fmac_f64_e32 v[206:207], v[198:199], v[68:69]
	v_add_f64 v[208:209], v[204:205], v[206:207]
	ds_read_b128 v[204:207], v2 offset:1328
	v_mul_f64 v[18:19], v[134:135], v[18:19]
	s_waitcnt vmcnt(14) lgkmcnt(1)
	v_mul_f64 v[210:211], v[200:201], v[74:75]
	v_fmac_f64_e32 v[210:211], v[202:203], v[72:73]
	v_add_f64 v[212:213], v[208:209], v[210:211]
	s_waitcnt vmcnt(13) lgkmcnt(0)
	v_mul_f64 v[214:215], v[204:205], v[78:79]
	ds_read_b128 v[208:211], v2 offset:1344
	v_fmac_f64_e32 v[214:215], v[206:207], v[76:77]
	v_add_f64 v[216:217], v[212:213], v[214:215]
	ds_read_b128 v[212:215], v2 offset:1360
	v_fma_f64 v[242:243], v[132:133], v[16:17], -v[18:19]
	s_waitcnt vmcnt(12) lgkmcnt(1)
	v_mul_f64 v[218:219], v[208:209], v[82:83]
	v_fmac_f64_e32 v[218:219], v[210:211], v[80:81]
	v_add_f64 v[220:221], v[216:217], v[218:219]
	s_waitcnt vmcnt(11) lgkmcnt(0)
	v_mul_f64 v[222:223], v[212:213], v[86:87]
	ds_read_b128 v[216:219], v2 offset:1376
	v_fmac_f64_e32 v[222:223], v[214:215], v[84:85]
	v_add_f64 v[224:225], v[220:221], v[222:223]
	ds_read_b128 v[220:223], v2 offset:1392
	ds_read_b128 v[16:19], v2 offset:1472
	s_waitcnt vmcnt(10) lgkmcnt(2)
	v_mul_f64 v[226:227], v[216:217], v[90:91]
	v_fmac_f64_e32 v[226:227], v[218:219], v[88:89]
	v_add_f64 v[228:229], v[224:225], v[226:227]
	s_waitcnt vmcnt(9) lgkmcnt(1)
	v_mul_f64 v[230:231], v[220:221], v[94:95]
	ds_read_b128 v[224:227], v2 offset:1408
	v_fmac_f64_e32 v[230:231], v[222:223], v[92:93]
	v_add_f64 v[232:233], v[228:229], v[230:231]
	ds_read_b128 v[228:231], v2 offset:1424
	v_mul_f64 v[14:15], v[138:139], v[14:15]
	s_waitcnt vmcnt(8) lgkmcnt(1)
	v_mul_f64 v[234:235], v[224:225], v[98:99]
	v_fmac_f64_e32 v[234:235], v[226:227], v[96:97]
	v_add_f64 v[236:237], v[232:233], v[234:235]
	s_waitcnt vmcnt(7) lgkmcnt(0)
	v_mul_f64 v[238:239], v[228:229], v[102:103]
	ds_read_b128 v[232:235], v2 offset:1440
	v_fmac_f64_e32 v[238:239], v[230:231], v[100:101]
	v_add_f64 v[240:241], v[236:237], v[238:239]
	ds_read_b128 v[236:239], v2 offset:1456
	v_fma_f64 v[136:137], v[136:137], v[12:13], -v[14:15]
	s_waitcnt vmcnt(6) lgkmcnt(1)
	v_mul_f64 v[132:133], v[232:233], v[106:107]
	v_fmac_f64_e32 v[132:133], v[234:235], v[104:105]
	v_add_f64 v[132:133], v[240:241], v[132:133]
	s_waitcnt vmcnt(5) lgkmcnt(0)
	v_mul_f64 v[134:135], v[236:237], v[110:111]
	v_fmac_f64_e32 v[134:135], v[238:239], v[108:109]
	v_add_f64 v[132:133], v[132:133], v[134:135]
	ds_read_b128 v[12:15], v2 offset:1488
	s_waitcnt vmcnt(4)
	v_mul_f64 v[134:135], v[16:17], v[114:115]
	v_fmac_f64_e32 v[134:135], v[18:19], v[112:113]
	v_add_f64 v[138:139], v[132:133], v[134:135]
	ds_read_b128 v[132:135], v2 offset:1504
	v_mul_f64 v[10:11], v[142:143], v[10:11]
	v_fma_f64 v[140:141], v[140:141], v[8:9], -v[10:11]
	ds_read_b128 v[8:11], v2 offset:1520
	s_waitcnt vmcnt(3) lgkmcnt(2)
	v_mul_f64 v[142:143], v[12:13], v[118:119]
	v_fmac_f64_e32 v[142:143], v[14:15], v[116:117]
	v_add_f64 v[138:139], v[138:139], v[142:143]
	s_waitcnt vmcnt(2) lgkmcnt(1)
	v_mul_f64 v[142:143], v[132:133], v[122:123]
	v_fmac_f64_e32 v[142:143], v[134:135], v[120:121]
	v_add_f64 v[138:139], v[138:139], v[142:143]
	;; [unrolled: 4-line block ×3, first 2 shown]
	v_add_f64 v[142:143], v[242:243], 0
	v_add_f64 v[136:137], v[142:143], v[136:137]
	v_mul_f64 v[6:7], v[146:147], v[6:7]
	v_add_f64 v[136:137], v[136:137], v[140:141]
	v_fma_f64 v[4:5], v[144:145], v[4:5], -v[6:7]
	v_mul_f64 v[6:7], v[150:151], v[22:23]
	v_add_f64 v[4:5], v[136:137], v[4:5]
	v_fma_f64 v[6:7], v[148:149], v[20:21], -v[6:7]
	v_add_f64 v[4:5], v[4:5], v[6:7]
	v_mul_f64 v[6:7], v[154:155], v[26:27]
	v_fma_f64 v[6:7], v[152:153], v[24:25], -v[6:7]
	v_add_f64 v[4:5], v[4:5], v[6:7]
	v_mul_f64 v[6:7], v[158:159], v[30:31]
	;; [unrolled: 3-line block ×26, first 2 shown]
	v_fma_f64 v[6:7], v[8:9], v[124:125], -v[6:7]
	v_add_f64 v[4:5], v[4:5], v[6:7]
	s_waitcnt vmcnt(0)
	v_add_f64 v[4:5], v[128:129], -v[4:5]
	v_add_f64 v[6:7], v[130:131], -v[138:139]
	scratch_store_dwordx4 off, v[4:7], off offset:272
	s_and_saveexec_b64 s[0:1], vcc
	s_cbranch_execz .LBB47_271
; %bb.270:
	scratch_load_dwordx4 v[6:9], off, s39
	v_mov_b32_e32 v3, v2
	v_mov_b32_e32 v4, v2
	;; [unrolled: 1-line block ×3, first 2 shown]
	v_accvgpr_read_b32 v0, a97
	scratch_store_dwordx4 off, v[2:5], off offset:256
	s_waitcnt vmcnt(1)
	ds_write_b128 v0, v[6:9]
.LBB47_271:
	s_or_b64 exec, exec, s[0:1]
	s_waitcnt lgkmcnt(0)
	; wave barrier
	scratch_load_dwordx4 v[140:143], off, off offset:272
	scratch_load_dwordx4 v[148:151], off, off offset:288
	;; [unrolled: 1-line block ×16, first 2 shown]
	ds_read_b128 v[188:191], v2 offset:1024
	ds_read_b128 v[184:187], v2 offset:1040
	scratch_load_dwordx4 v[56:59], off, off offset:528
	ds_read_b128 v[192:195], v2 offset:1056
	ds_read_b128 v[68:71], v2 offset:1072
	scratch_load_dwordx4 v[60:63], off, off offset:544
	ds_read_b128 v[88:91], v2 offset:1088
	ds_read_b128 v[84:87], v2 offset:1104
	;; [unrolled: 1-line block ×4, first 2 shown]
	scratch_load_dwordx4 v[64:67], off, off offset:560
	ds_read_b128 v[100:103], v2 offset:1152
	ds_read_b128 v[96:99], v2 offset:1168
	scratch_load_dwordx4 v[72:75], off, off offset:576
	ds_read_b128 v[116:119], v2 offset:1184
	ds_read_b128 v[112:115], v2 offset:1200
	;; [unrolled: 1-line block ×4, first 2 shown]
	scratch_load_dwordx4 v[92:95], off, off offset:592
	ds_read_b128 v[132:135], v2 offset:1248
	ds_read_b128 v[128:131], v2 offset:1264
	;; [unrolled: 1-line block ×3, first 2 shown]
	scratch_load_dwordx4 v[120:123], off, off offset:608
	scratch_load_dwordx4 v[136:139], off, off offset:624
	scratch_load_dwordx4 v[144:147], off, off offset:640
	scratch_load_dwordx4 v[156:159], off, off offset:656
	scratch_load_dwordx4 v[160:163], off, off offset:672
	scratch_load_dwordx4 v[164:167], off, off offset:688
	scratch_load_dwordx4 v[168:171], off, off offset:704
	scratch_load_dwordx4 v[172:175], off, off offset:720
	scratch_load_dwordx4 v[176:179], off, off offset:736
	scratch_load_dwordx4 v[180:183], off, off offset:752
	scratch_load_dwordx4 v[196:199], off, off offset:768
	v_cmp_lt_u32_e32 vcc, 14, v252
	s_waitcnt vmcnt(31) lgkmcnt(14)
	v_mul_f64 v[200:201], v[188:189], v[142:143]
	s_waitcnt vmcnt(30)
	v_mul_f64 v[202:203], v[184:185], v[150:151]
	v_fmac_f64_e32 v[200:201], v[190:191], v[140:141]
	s_waitcnt vmcnt(29)
	v_mul_f64 v[204:205], v[192:193], v[154:155]
	v_fmac_f64_e32 v[202:203], v[186:187], v[148:149]
	v_add_f64 v[200:201], v[200:201], 0
	s_waitcnt vmcnt(28) lgkmcnt(13)
	v_mul_f64 v[206:207], v[68:69], v[6:7]
	v_fmac_f64_e32 v[204:205], v[194:195], v[152:153]
	v_add_f64 v[200:201], v[200:201], v[202:203]
	s_waitcnt vmcnt(27) lgkmcnt(12)
	;; [unrolled: 4-line block ×13, first 2 shown]
	v_mul_f64 v[230:231], v[128:129], v[54:55]
	v_fmac_f64_e32 v[228:229], v[134:135], v[48:49]
	v_add_f64 v[200:201], v[200:201], v[226:227]
	v_add_f64 v[200:201], v[200:201], v[228:229]
	v_fmac_f64_e32 v[230:231], v[130:131], v[52:53]
	v_add_f64 v[204:205], v[200:201], v[230:231]
	ds_read_b128 v[200:203], v2 offset:1296
	s_waitcnt vmcnt(15) lgkmcnt(1)
	v_mul_f64 v[206:207], v[124:125], v[58:59]
	v_fmac_f64_e32 v[206:207], v[126:127], v[56:57]
	v_add_f64 v[208:209], v[204:205], v[206:207]
	ds_read_b128 v[204:207], v2 offset:1312
	s_waitcnt vmcnt(14) lgkmcnt(1)
	v_mul_f64 v[210:211], v[200:201], v[62:63]
	;; [unrolled: 5-line block ×10, first 2 shown]
	v_fmac_f64_e32 v[242:243], v[234:235], v[160:161]
	v_mul_f64 v[142:143], v[190:191], v[142:143]
	v_add_f64 v[242:243], v[240:241], v[242:243]
	v_fma_f64 v[240:241], v[188:189], v[140:141], -v[142:143]
	ds_read_b128 v[140:143], v2 offset:1456
	s_waitcnt vmcnt(5) lgkmcnt(1)
	v_mul_f64 v[188:189], v[236:237], v[166:167]
	v_fmac_f64_e32 v[188:189], v[238:239], v[164:165]
	v_mul_f64 v[150:151], v[186:187], v[150:151]
	v_add_f64 v[188:189], v[242:243], v[188:189]
	v_fma_f64 v[242:243], v[184:185], v[148:149], -v[150:151]
	ds_read_b128 v[148:151], v2 offset:1472
	s_waitcnt vmcnt(4) lgkmcnt(1)
	v_mul_f64 v[184:185], v[140:141], v[170:171]
	v_fmac_f64_e32 v[184:185], v[142:143], v[168:169]
	v_add_f64 v[188:189], v[188:189], v[184:185]
	ds_read_b128 v[184:187], v2 offset:1488
	v_mul_f64 v[154:155], v[194:195], v[154:155]
	s_waitcnt vmcnt(3) lgkmcnt(1)
	v_mul_f64 v[190:191], v[148:149], v[174:175]
	v_fma_f64 v[246:247], v[192:193], v[152:153], -v[154:155]
	ds_read_b128 v[152:155], v2 offset:1504
	v_fmac_f64_e32 v[190:191], v[150:151], v[172:173]
	v_add_f64 v[244:245], v[188:189], v[190:191]
	ds_read_b128 v[188:191], v2 offset:1520
	s_waitcnt vmcnt(2) lgkmcnt(2)
	v_mul_f64 v[192:193], v[184:185], v[178:179]
	v_fmac_f64_e32 v[192:193], v[186:187], v[176:177]
	v_add_f64 v[2:3], v[244:245], v[192:193]
	s_waitcnt vmcnt(1) lgkmcnt(1)
	v_mul_f64 v[192:193], v[152:153], v[182:183]
	v_fmac_f64_e32 v[192:193], v[154:155], v[180:181]
	v_add_f64 v[2:3], v[2:3], v[192:193]
	;; [unrolled: 4-line block ×3, first 2 shown]
	scratch_load_dwordx4 v[192:195], off, off offset:256
	v_add_f64 v[240:241], v[240:241], 0
	v_add_f64 v[240:241], v[240:241], v[242:243]
	v_mul_f64 v[6:7], v[70:71], v[6:7]
	v_add_f64 v[240:241], v[240:241], v[246:247]
	v_fma_f64 v[4:5], v[68:69], v[4:5], -v[6:7]
	v_mul_f64 v[6:7], v[90:91], v[10:11]
	v_add_f64 v[4:5], v[240:241], v[4:5]
	v_fma_f64 v[6:7], v[88:89], v[8:9], -v[6:7]
	v_add_f64 v[4:5], v[4:5], v[6:7]
	v_mul_f64 v[6:7], v[86:87], v[14:15]
	v_fma_f64 v[6:7], v[84:85], v[12:13], -v[6:7]
	v_add_f64 v[4:5], v[4:5], v[6:7]
	v_mul_f64 v[6:7], v[82:83], v[18:19]
	;; [unrolled: 3-line block ×27, first 2 shown]
	v_fma_f64 v[6:7], v[188:189], v[196:197], -v[6:7]
	v_add_f64 v[4:5], v[4:5], v[6:7]
	s_waitcnt vmcnt(0)
	v_add_f64 v[4:5], v[192:193], -v[4:5]
	v_add_f64 v[6:7], v[194:195], -v[2:3]
	scratch_store_dwordx4 off, v[4:7], off offset:256
	s_and_saveexec_b64 s[0:1], vcc
	s_cbranch_execz .LBB47_273
; %bb.272:
	scratch_load_dwordx4 v[2:5], off, s38
	v_mov_b32_e32 v6, 0
	v_mov_b32_e32 v7, v6
	;; [unrolled: 1-line block ×4, first 2 shown]
	v_accvgpr_read_b32 v0, a97
	scratch_store_dwordx4 off, v[6:9], off offset:240
	s_waitcnt vmcnt(1)
	ds_write_b128 v0, v[2:5]
.LBB47_273:
	s_or_b64 exec, exec, s[0:1]
	s_waitcnt lgkmcnt(0)
	; wave barrier
	scratch_load_dwordx4 v[108:111], off, off offset:256
	scratch_load_dwordx4 v[116:119], off, off offset:272
	;; [unrolled: 1-line block ×33, first 2 shown]
	v_mov_b32_e32 v2, 0
	ds_read_b128 v[220:223], v2 offset:1008
	ds_read_b128 v[224:227], v2 offset:1024
	;; [unrolled: 1-line block ×16, first 2 shown]
	v_cmp_lt_u32_e32 vcc, 13, v252
	s_waitcnt vmcnt(32) lgkmcnt(14)
	v_mul_f64 v[180:181], v[220:221], v[110:111]
	s_waitcnt vmcnt(31)
	v_mul_f64 v[182:183], v[224:225], v[118:119]
	v_fmac_f64_e32 v[180:181], v[222:223], v[108:109]
	s_waitcnt vmcnt(30) lgkmcnt(13)
	v_mul_f64 v[184:185], v[234:235], v[122:123]
	v_fmac_f64_e32 v[182:183], v[226:227], v[116:117]
	v_add_f64 v[180:181], v[180:181], 0
	s_waitcnt vmcnt(29) lgkmcnt(12)
	v_mul_f64 v[186:187], v[238:239], v[126:127]
	v_fmac_f64_e32 v[184:185], v[236:237], v[120:121]
	v_add_f64 v[180:181], v[180:181], v[182:183]
	;; [unrolled: 4-line block ×13, first 2 shown]
	v_fmac_f64_e32 v[208:209], v[142:143], v[40:41]
	v_add_f64 v[180:181], v[180:181], v[206:207]
	v_add_f64 v[184:185], v[180:181], v[208:209]
	ds_read_b128 v[180:183], v2 offset:1264
	s_waitcnt vmcnt(17) lgkmcnt(1)
	v_mul_f64 v[186:187], v[136:137], v[46:47]
	v_fmac_f64_e32 v[186:187], v[138:139], v[44:45]
	v_add_f64 v[188:189], v[184:185], v[186:187]
	ds_read_b128 v[184:187], v2 offset:1280
	s_waitcnt vmcnt(16) lgkmcnt(1)
	v_mul_f64 v[190:191], v[180:181], v[50:51]
	v_fmac_f64_e32 v[190:191], v[182:183], v[48:49]
	v_add_f64 v[192:193], v[188:189], v[190:191]
	ds_read_b128 v[188:191], v2 offset:1296
	s_waitcnt vmcnt(15) lgkmcnt(1)
	v_mul_f64 v[194:195], v[184:185], v[54:55]
	v_fmac_f64_e32 v[194:195], v[186:187], v[52:53]
	v_add_f64 v[196:197], v[192:193], v[194:195]
	ds_read_b128 v[192:195], v2 offset:1312
	s_waitcnt vmcnt(14) lgkmcnt(1)
	v_mul_f64 v[198:199], v[188:189], v[58:59]
	v_fmac_f64_e32 v[198:199], v[190:191], v[56:57]
	v_add_f64 v[200:201], v[196:197], v[198:199]
	ds_read_b128 v[196:199], v2 offset:1328
	s_waitcnt vmcnt(13) lgkmcnt(1)
	v_mul_f64 v[202:203], v[192:193], v[62:63]
	v_fmac_f64_e32 v[202:203], v[194:195], v[60:61]
	v_add_f64 v[204:205], v[200:201], v[202:203]
	ds_read_b128 v[200:203], v2 offset:1344
	s_waitcnt vmcnt(12) lgkmcnt(1)
	v_mul_f64 v[206:207], v[196:197], v[66:67]
	v_fmac_f64_e32 v[206:207], v[198:199], v[64:65]
	v_add_f64 v[208:209], v[204:205], v[206:207]
	ds_read_b128 v[204:207], v2 offset:1360
	s_waitcnt vmcnt(11) lgkmcnt(1)
	v_mul_f64 v[210:211], v[200:201], v[70:71]
	v_fmac_f64_e32 v[210:211], v[202:203], v[68:69]
	v_add_f64 v[212:213], v[208:209], v[210:211]
	ds_read_b128 v[208:211], v2 offset:1376
	s_waitcnt vmcnt(10) lgkmcnt(1)
	v_mul_f64 v[214:215], v[204:205], v[74:75]
	v_fmac_f64_e32 v[214:215], v[206:207], v[72:73]
	v_add_f64 v[216:217], v[212:213], v[214:215]
	ds_read_b128 v[212:215], v2 offset:1392
	s_waitcnt vmcnt(9) lgkmcnt(1)
	v_mul_f64 v[218:219], v[208:209], v[78:79]
	v_fmac_f64_e32 v[218:219], v[210:211], v[76:77]
	v_add_f64 v[228:229], v[216:217], v[218:219]
	ds_read_b128 v[216:219], v2 offset:1408
	s_waitcnt vmcnt(8) lgkmcnt(1)
	v_mul_f64 v[230:231], v[212:213], v[82:83]
	v_fmac_f64_e32 v[230:231], v[214:215], v[80:81]
	v_mul_f64 v[110:111], v[222:223], v[110:111]
	v_add_f64 v[228:229], v[228:229], v[230:231]
	v_fma_f64 v[230:231], v[220:221], v[108:109], -v[110:111]
	ds_read_b128 v[108:111], v2 offset:1424
	s_waitcnt vmcnt(7) lgkmcnt(1)
	v_mul_f64 v[220:221], v[216:217], v[86:87]
	v_mul_f64 v[118:119], v[226:227], v[118:119]
	v_fmac_f64_e32 v[220:221], v[218:219], v[84:85]
	v_fma_f64 v[232:233], v[224:225], v[116:117], -v[118:119]
	ds_read_b128 v[116:119], v2 offset:1440
	s_waitcnt vmcnt(6) lgkmcnt(1)
	v_mul_f64 v[222:223], v[108:109], v[90:91]
	v_add_f64 v[220:221], v[228:229], v[220:221]
	v_fmac_f64_e32 v[222:223], v[110:111], v[88:89]
	v_add_f64 v[224:225], v[220:221], v[222:223]
	ds_read_b128 v[220:223], v2 offset:1456
	v_mul_f64 v[122:123], v[236:237], v[122:123]
	v_fma_f64 v[234:235], v[234:235], v[120:121], -v[122:123]
	ds_read_b128 v[120:123], v2 offset:1472
	s_waitcnt vmcnt(5) lgkmcnt(2)
	v_mul_f64 v[226:227], v[116:117], v[94:95]
	v_fmac_f64_e32 v[226:227], v[118:119], v[92:93]
	v_mul_f64 v[126:127], v[240:241], v[126:127]
	v_add_f64 v[224:225], v[224:225], v[226:227]
	s_waitcnt vmcnt(4) lgkmcnt(1)
	v_mul_f64 v[226:227], v[220:221], v[98:99]
	v_fma_f64 v[236:237], v[238:239], v[124:125], -v[126:127]
	ds_read_b128 v[124:127], v2 offset:1488
	v_fmac_f64_e32 v[226:227], v[222:223], v[96:97]
	v_add_f64 v[228:229], v[224:225], v[226:227]
	s_waitcnt vmcnt(3) lgkmcnt(1)
	v_mul_f64 v[238:239], v[120:121], v[102:103]
	ds_read_b128 v[224:227], v2 offset:1504
	v_fmac_f64_e32 v[238:239], v[122:123], v[100:101]
	v_mul_f64 v[130:131], v[244:245], v[130:131]
	v_add_f64 v[228:229], v[228:229], v[238:239]
	v_fma_f64 v[238:239], v[242:243], v[128:129], -v[130:131]
	ds_read_b128 v[128:131], v2 offset:1520
	s_waitcnt vmcnt(2) lgkmcnt(2)
	v_mul_f64 v[240:241], v[124:125], v[106:107]
	v_fmac_f64_e32 v[240:241], v[126:127], v[104:105]
	v_add_f64 v[228:229], v[228:229], v[240:241]
	s_waitcnt vmcnt(1) lgkmcnt(1)
	v_mul_f64 v[240:241], v[224:225], v[114:115]
	v_fmac_f64_e32 v[240:241], v[226:227], v[112:113]
	v_add_f64 v[228:229], v[228:229], v[240:241]
	;; [unrolled: 4-line block ×3, first 2 shown]
	scratch_load_dwordx4 v[240:243], off, off offset:240
	v_add_f64 v[230:231], v[230:231], 0
	v_add_f64 v[230:231], v[230:231], v[232:233]
	;; [unrolled: 1-line block ×4, first 2 shown]
	v_mul_f64 v[6:7], v[178:179], v[6:7]
	v_add_f64 v[230:231], v[230:231], v[238:239]
	v_fma_f64 v[4:5], v[176:177], v[4:5], -v[6:7]
	v_mul_f64 v[6:7], v[174:175], v[10:11]
	v_add_f64 v[4:5], v[230:231], v[4:5]
	v_fma_f64 v[6:7], v[172:173], v[8:9], -v[6:7]
	v_add_f64 v[4:5], v[4:5], v[6:7]
	v_mul_f64 v[6:7], v[170:171], v[14:15]
	v_fma_f64 v[6:7], v[168:169], v[12:13], -v[6:7]
	v_add_f64 v[4:5], v[4:5], v[6:7]
	v_mul_f64 v[6:7], v[166:167], v[18:19]
	;; [unrolled: 3-line block ×26, first 2 shown]
	v_fma_f64 v[6:7], v[128:129], v[132:133], -v[6:7]
	v_add_f64 v[4:5], v[4:5], v[6:7]
	s_waitcnt vmcnt(0)
	v_add_f64 v[4:5], v[240:241], -v[4:5]
	v_add_f64 v[6:7], v[242:243], -v[228:229]
	scratch_store_dwordx4 off, v[4:7], off offset:240
	s_and_saveexec_b64 s[0:1], vcc
	s_cbranch_execz .LBB47_275
; %bb.274:
	scratch_load_dwordx4 v[6:9], off, s37
	v_mov_b32_e32 v3, v2
	v_mov_b32_e32 v4, v2
	;; [unrolled: 1-line block ×3, first 2 shown]
	v_accvgpr_read_b32 v0, a97
	scratch_store_dwordx4 off, v[2:5], off offset:224
	s_waitcnt vmcnt(1)
	ds_write_b128 v0, v[6:9]
.LBB47_275:
	s_or_b64 exec, exec, s[0:1]
	s_waitcnt lgkmcnt(0)
	; wave barrier
	scratch_load_dwordx4 v[144:147], off, off offset:240
	scratch_load_dwordx4 v[152:155], off, off offset:256
	;; [unrolled: 1-line block ×16, first 2 shown]
	ds_read_b128 v[196:199], v2 offset:992
	ds_read_b128 v[188:191], v2 offset:1008
	ds_read_b128 v[180:183], v2 offset:1024
	scratch_load_dwordx4 v[48:51], off, off offset:496
	ds_read_b128 v[192:195], v2 offset:1040
	ds_read_b128 v[184:187], v2 offset:1056
	ds_read_b128 v[64:67], v2 offset:1072
	scratch_load_dwordx4 v[52:55], off, off offset:512
	;; [unrolled: 4-line block ×5, first 2 shown]
	ds_read_b128 v[116:119], v2 offset:1232
	ds_read_b128 v[112:115], v2 offset:1248
	scratch_load_dwordx4 v[108:111], off, off offset:576
	scratch_load_dwordx4 v[120:123], off, off offset:592
	;; [unrolled: 1-line block ×12, first 2 shown]
	v_cmp_lt_u32_e32 vcc, 12, v252
	s_waitcnt vmcnt(32) lgkmcnt(14)
	v_mul_f64 v[204:205], v[196:197], v[146:147]
	s_waitcnt vmcnt(31)
	v_mul_f64 v[206:207], v[188:189], v[154:155]
	v_fmac_f64_e32 v[204:205], v[198:199], v[144:145]
	s_waitcnt vmcnt(30)
	v_mul_f64 v[208:209], v[180:181], v[158:159]
	v_fmac_f64_e32 v[206:207], v[190:191], v[152:153]
	v_add_f64 v[204:205], v[204:205], 0
	s_waitcnt vmcnt(29) lgkmcnt(13)
	v_mul_f64 v[210:211], v[192:193], v[162:163]
	v_fmac_f64_e32 v[208:209], v[182:183], v[156:157]
	v_add_f64 v[204:205], v[204:205], v[206:207]
	s_waitcnt vmcnt(28) lgkmcnt(12)
	;; [unrolled: 4-line block ×12, first 2 shown]
	v_mul_f64 v[232:233], v[96:97], v[42:43]
	v_fmac_f64_e32 v[230:231], v[102:103], v[36:37]
	v_add_f64 v[204:205], v[204:205], v[228:229]
	v_fmac_f64_e32 v[232:233], v[98:99], v[40:41]
	v_add_f64 v[204:205], v[204:205], v[230:231]
	s_waitcnt vmcnt(17) lgkmcnt(1)
	v_mul_f64 v[206:207], v[116:117], v[46:47]
	v_add_f64 v[204:205], v[204:205], v[232:233]
	v_fmac_f64_e32 v[206:207], v[118:119], v[44:45]
	s_waitcnt vmcnt(16) lgkmcnt(0)
	v_mul_f64 v[210:211], v[112:113], v[50:51]
	v_add_f64 v[208:209], v[204:205], v[206:207]
	ds_read_b128 v[204:207], v2 offset:1264
	v_fmac_f64_e32 v[210:211], v[114:115], v[48:49]
	v_add_f64 v[212:213], v[208:209], v[210:211]
	ds_read_b128 v[208:211], v2 offset:1280
	v_mul_f64 v[146:147], v[198:199], v[146:147]
	s_waitcnt vmcnt(15) lgkmcnt(1)
	v_mul_f64 v[214:215], v[204:205], v[54:55]
	v_fmac_f64_e32 v[214:215], v[206:207], v[52:53]
	v_add_f64 v[216:217], v[212:213], v[214:215]
	s_waitcnt vmcnt(14) lgkmcnt(0)
	v_mul_f64 v[218:219], v[208:209], v[58:59]
	ds_read_b128 v[212:215], v2 offset:1296
	v_fmac_f64_e32 v[218:219], v[210:211], v[56:57]
	v_add_f64 v[220:221], v[216:217], v[218:219]
	ds_read_b128 v[216:219], v2 offset:1312
	v_mul_f64 v[154:155], v[190:191], v[154:155]
	s_waitcnt vmcnt(13) lgkmcnt(1)
	v_mul_f64 v[222:223], v[212:213], v[62:63]
	v_fmac_f64_e32 v[222:223], v[214:215], v[60:61]
	v_add_f64 v[224:225], v[220:221], v[222:223]
	s_waitcnt vmcnt(12) lgkmcnt(0)
	v_mul_f64 v[226:227], v[216:217], v[94:95]
	ds_read_b128 v[220:223], v2 offset:1328
	v_fmac_f64_e32 v[226:227], v[218:219], v[92:93]
	v_add_f64 v[228:229], v[224:225], v[226:227]
	ds_read_b128 v[224:227], v2 offset:1344
	v_fma_f64 v[244:245], v[188:189], v[152:153], -v[154:155]
	s_waitcnt vmcnt(11) lgkmcnt(1)
	v_mul_f64 v[230:231], v[220:221], v[110:111]
	v_fmac_f64_e32 v[230:231], v[222:223], v[108:109]
	v_add_f64 v[232:233], v[228:229], v[230:231]
	s_waitcnt vmcnt(10) lgkmcnt(0)
	v_mul_f64 v[234:235], v[224:225], v[122:123]
	ds_read_b128 v[228:231], v2 offset:1360
	v_fmac_f64_e32 v[234:235], v[226:227], v[120:121]
	v_add_f64 v[236:237], v[232:233], v[234:235]
	ds_read_b128 v[232:235], v2 offset:1376
	ds_read_b128 v[152:155], v2 offset:1424
	s_waitcnt vmcnt(9) lgkmcnt(2)
	v_mul_f64 v[238:239], v[228:229], v[126:127]
	v_fmac_f64_e32 v[238:239], v[230:231], v[124:125]
	v_add_f64 v[240:241], v[236:237], v[238:239]
	s_waitcnt vmcnt(8) lgkmcnt(1)
	v_mul_f64 v[242:243], v[232:233], v[130:131]
	ds_read_b128 v[236:239], v2 offset:1392
	v_fmac_f64_e32 v[242:243], v[234:235], v[128:129]
	v_add_f64 v[240:241], v[240:241], v[242:243]
	v_fma_f64 v[242:243], v[196:197], v[144:145], -v[146:147]
	ds_read_b128 v[144:147], v2 offset:1408
	s_waitcnt vmcnt(7) lgkmcnt(1)
	v_mul_f64 v[196:197], v[236:237], v[134:135]
	v_fmac_f64_e32 v[196:197], v[238:239], v[132:133]
	v_add_f64 v[188:189], v[240:241], v[196:197]
	v_mul_f64 v[158:159], v[182:183], v[158:159]
	s_waitcnt vmcnt(6) lgkmcnt(0)
	v_mul_f64 v[190:191], v[144:145], v[138:139]
	v_fmac_f64_e32 v[190:191], v[146:147], v[136:137]
	v_add_f64 v[196:197], v[188:189], v[190:191]
	ds_read_b128 v[188:191], v2 offset:1440
	v_fma_f64 v[240:241], v[180:181], v[156:157], -v[158:159]
	ds_read_b128 v[156:159], v2 offset:1456
	s_waitcnt vmcnt(5)
	v_mul_f64 v[198:199], v[152:153], v[142:143]
	v_fmac_f64_e32 v[198:199], v[154:155], v[140:141]
	s_waitcnt vmcnt(4) lgkmcnt(1)
	v_mul_f64 v[180:181], v[188:189], v[150:151]
	v_add_f64 v[196:197], v[196:197], v[198:199]
	v_fmac_f64_e32 v[180:181], v[190:191], v[148:149]
	v_mul_f64 v[162:163], v[194:195], v[162:163]
	v_add_f64 v[198:199], v[196:197], v[180:181]
	v_fma_f64 v[196:197], v[192:193], v[160:161], -v[162:163]
	ds_read_b128 v[160:163], v2 offset:1472
	s_waitcnt vmcnt(3) lgkmcnt(1)
	v_mul_f64 v[192:193], v[156:157], v[166:167]
	ds_read_b128 v[180:183], v2 offset:1488
	v_fmac_f64_e32 v[192:193], v[158:159], v[164:165]
	v_mul_f64 v[170:171], v[186:187], v[170:171]
	v_add_f64 v[192:193], v[198:199], v[192:193]
	v_fma_f64 v[198:199], v[184:185], v[168:169], -v[170:171]
	ds_read_b128 v[168:171], v2 offset:1504
	s_waitcnt vmcnt(2) lgkmcnt(2)
	v_mul_f64 v[184:185], v[160:161], v[174:175]
	v_fmac_f64_e32 v[184:185], v[162:163], v[172:173]
	s_waitcnt vmcnt(1) lgkmcnt(1)
	v_mul_f64 v[186:187], v[180:181], v[178:179]
	v_add_f64 v[184:185], v[192:193], v[184:185]
	v_fmac_f64_e32 v[186:187], v[182:183], v[176:177]
	v_add_f64 v[184:185], v[184:185], v[186:187]
	s_waitcnt vmcnt(0) lgkmcnt(0)
	v_mul_f64 v[186:187], v[168:169], v[202:203]
	v_fmac_f64_e32 v[186:187], v[170:171], v[200:201]
	v_add_f64 v[246:247], v[184:185], v[186:187]
	scratch_load_dwordx4 v[184:187], off, off offset:768
	v_add_f64 v[242:243], v[242:243], 0
	v_add_f64 v[242:243], v[242:243], v[244:245]
	;; [unrolled: 1-line block ×3, first 2 shown]
	scratch_load_dwordx4 v[242:245], off, off offset:224
	v_add_f64 v[196:197], v[240:241], v[196:197]
	v_mul_f64 v[6:7], v[66:67], v[6:7]
	v_add_f64 v[196:197], v[196:197], v[198:199]
	v_fma_f64 v[4:5], v[64:65], v[4:5], -v[6:7]
	v_mul_f64 v[6:7], v[78:79], v[10:11]
	v_add_f64 v[4:5], v[196:197], v[4:5]
	v_fma_f64 v[6:7], v[76:77], v[8:9], -v[6:7]
	v_add_f64 v[4:5], v[4:5], v[6:7]
	v_mul_f64 v[6:7], v[74:75], v[14:15]
	v_fma_f64 v[6:7], v[72:73], v[12:13], -v[6:7]
	v_add_f64 v[4:5], v[4:5], v[6:7]
	v_mul_f64 v[6:7], v[70:71], v[18:19]
	;; [unrolled: 3-line block ×24, first 2 shown]
	ds_read_b128 v[192:195], v2 offset:1520
	v_fma_f64 v[6:7], v[160:161], v[172:173], -v[6:7]
	v_add_f64 v[4:5], v[4:5], v[6:7]
	v_mul_f64 v[6:7], v[182:183], v[178:179]
	v_fma_f64 v[6:7], v[180:181], v[176:177], -v[6:7]
	v_add_f64 v[4:5], v[4:5], v[6:7]
	v_mul_f64 v[6:7], v[170:171], v[202:203]
	v_fma_f64 v[6:7], v[168:169], v[200:201], -v[6:7]
	s_waitcnt vmcnt(1) lgkmcnt(0)
	v_mul_f64 v[2:3], v[192:193], v[186:187]
	v_add_f64 v[4:5], v[4:5], v[6:7]
	v_mul_f64 v[6:7], v[194:195], v[186:187]
	v_fmac_f64_e32 v[2:3], v[194:195], v[184:185]
	v_fma_f64 v[6:7], v[192:193], v[184:185], -v[6:7]
	v_add_f64 v[2:3], v[246:247], v[2:3]
	v_add_f64 v[4:5], v[4:5], v[6:7]
	s_waitcnt vmcnt(0)
	v_add_f64 v[4:5], v[242:243], -v[4:5]
	v_add_f64 v[6:7], v[244:245], -v[2:3]
	scratch_store_dwordx4 off, v[4:7], off offset:224
	s_and_saveexec_b64 s[0:1], vcc
	s_cbranch_execz .LBB47_277
; %bb.276:
	scratch_load_dwordx4 v[2:5], off, s36
	v_mov_b32_e32 v6, 0
	v_mov_b32_e32 v7, v6
	;; [unrolled: 1-line block ×4, first 2 shown]
	v_accvgpr_read_b32 v0, a97
	scratch_store_dwordx4 off, v[6:9], off offset:208
	s_waitcnt vmcnt(1)
	ds_write_b128 v0, v[2:5]
.LBB47_277:
	s_or_b64 exec, exec, s[0:1]
	s_waitcnt lgkmcnt(0)
	; wave barrier
	scratch_load_dwordx4 v[184:187], off, off offset:224
	scratch_load_dwordx4 v[188:191], off, off offset:240
	;; [unrolled: 1-line block ×32, first 2 shown]
	v_mov_b32_e32 v2, 0
	ds_read_b128 v[192:195], v2 offset:976
	ds_read_b128 v[204:207], v2 offset:992
	;; [unrolled: 1-line block ×16, first 2 shown]
	v_cmp_lt_u32_e32 vcc, 11, v252
	s_waitcnt vmcnt(31) lgkmcnt(14)
	v_mul_f64 v[104:105], v[192:193], v[186:187]
	s_waitcnt vmcnt(30)
	v_mul_f64 v[106:107], v[204:205], v[190:191]
	v_fmac_f64_e32 v[104:105], v[194:195], v[184:185]
	s_waitcnt vmcnt(29) lgkmcnt(13)
	v_mul_f64 v[112:113], v[216:217], v[198:199]
	v_fmac_f64_e32 v[106:107], v[206:207], v[188:189]
	v_add_f64 v[104:105], v[104:105], 0
	s_waitcnt vmcnt(28) lgkmcnt(12)
	v_mul_f64 v[114:115], v[224:225], v[202:203]
	v_fmac_f64_e32 v[112:113], v[218:219], v[196:197]
	v_add_f64 v[104:105], v[104:105], v[106:107]
	;; [unrolled: 4-line block ×10, first 2 shown]
	ds_read_b128 v[152:155], v2 offset:1232
	ds_read_b128 v[156:159], v2 offset:1248
	s_waitcnt vmcnt(19) lgkmcnt(5)
	v_mul_f64 v[164:165], v[124:125], v[26:27]
	v_fmac_f64_e32 v[162:163], v[134:135], v[20:21]
	v_add_f64 v[104:105], v[104:105], v[160:161]
	s_waitcnt vmcnt(18) lgkmcnt(4)
	v_mul_f64 v[166:167], v[120:121], v[30:31]
	v_fmac_f64_e32 v[164:165], v[126:127], v[24:25]
	v_add_f64 v[104:105], v[104:105], v[162:163]
	;; [unrolled: 4-line block ×4, first 2 shown]
	v_add_f64 v[112:113], v[104:105], v[168:169]
	v_fmac_f64_e32 v[170:171], v[110:111], v[36:37]
	scratch_load_dwordx4 v[104:107], off, off offset:736
	s_waitcnt vmcnt(16) lgkmcnt(1)
	v_mul_f64 v[114:115], v[152:153], v[42:43]
	v_add_f64 v[112:113], v[112:113], v[170:171]
	v_fmac_f64_e32 v[114:115], v[154:155], v[40:41]
	v_add_f64 v[128:129], v[112:113], v[114:115]
	scratch_load_dwordx4 v[112:115], off, off offset:752
	s_waitcnt vmcnt(16) lgkmcnt(0)
	v_mul_f64 v[130:131], v[156:157], v[46:47]
	v_fmac_f64_e32 v[130:131], v[158:159], v[44:45]
	v_add_f64 v[168:169], v[128:129], v[130:131]
	scratch_load_dwordx4 v[128:131], off, off offset:768
	ds_read_b128 v[160:163], v2 offset:1264
	ds_read_b128 v[164:167], v2 offset:1280
	v_mul_f64 v[186:187], v[194:195], v[186:187]
	v_fma_f64 v[246:247], v[192:193], v[184:185], -v[186:187]
	ds_read_b128 v[184:187], v2 offset:1360
	s_waitcnt vmcnt(16) lgkmcnt(2)
	v_mul_f64 v[170:171], v[160:161], v[50:51]
	v_fmac_f64_e32 v[170:171], v[162:163], v[48:49]
	s_waitcnt vmcnt(15) lgkmcnt(1)
	v_mul_f64 v[174:175], v[164:165], v[54:55]
	v_add_f64 v[172:173], v[168:169], v[170:171]
	ds_read_b128 v[168:171], v2 offset:1296
	v_fmac_f64_e32 v[174:175], v[166:167], v[52:53]
	v_add_f64 v[176:177], v[172:173], v[174:175]
	ds_read_b128 v[172:175], v2 offset:1312
	v_mul_f64 v[190:191], v[206:207], v[190:191]
	s_waitcnt vmcnt(14) lgkmcnt(1)
	v_mul_f64 v[178:179], v[168:169], v[58:59]
	v_fmac_f64_e32 v[178:179], v[170:171], v[56:57]
	v_add_f64 v[180:181], v[176:177], v[178:179]
	s_waitcnt vmcnt(13) lgkmcnt(0)
	v_mul_f64 v[182:183], v[172:173], v[62:63]
	ds_read_b128 v[176:179], v2 offset:1328
	v_fmac_f64_e32 v[182:183], v[174:175], v[60:61]
	v_add_f64 v[232:233], v[180:181], v[182:183]
	ds_read_b128 v[180:183], v2 offset:1344
	v_fma_f64 v[248:249], v[204:205], v[188:189], -v[190:191]
	s_waitcnt vmcnt(12) lgkmcnt(1)
	v_mul_f64 v[234:235], v[176:177], v[66:67]
	v_fmac_f64_e32 v[234:235], v[178:179], v[64:65]
	v_add_f64 v[232:233], v[232:233], v[234:235]
	s_waitcnt vmcnt(11) lgkmcnt(0)
	v_mul_f64 v[192:193], v[180:181], v[70:71]
	v_fmac_f64_e32 v[192:193], v[182:183], v[68:69]
	ds_read_b128 v[188:191], v2 offset:1376
	s_waitcnt vmcnt(10)
	v_mul_f64 v[194:195], v[184:185], v[74:75]
	v_add_f64 v[192:193], v[232:233], v[192:193]
	v_fmac_f64_e32 v[194:195], v[186:187], v[72:73]
	v_add_f64 v[204:205], v[192:193], v[194:195]
	ds_read_b128 v[192:195], v2 offset:1392
	v_mul_f64 v[198:199], v[218:219], v[198:199]
	v_fma_f64 v[250:251], v[216:217], v[196:197], -v[198:199]
	ds_read_b128 v[196:199], v2 offset:1408
	s_waitcnt vmcnt(9) lgkmcnt(2)
	v_mul_f64 v[206:207], v[188:189], v[78:79]
	v_fmac_f64_e32 v[206:207], v[190:191], v[76:77]
	v_add_f64 v[204:205], v[204:205], v[206:207]
	s_waitcnt vmcnt(8) lgkmcnt(1)
	v_mul_f64 v[206:207], v[192:193], v[82:83]
	v_fmac_f64_e32 v[206:207], v[194:195], v[80:81]
	v_mul_f64 v[202:203], v[226:227], v[202:203]
	v_add_f64 v[204:205], v[204:205], v[206:207]
	v_fma_f64 v[234:235], v[224:225], v[200:201], -v[202:203]
	ds_read_b128 v[200:203], v2 offset:1424
	s_waitcnt vmcnt(7) lgkmcnt(1)
	v_mul_f64 v[206:207], v[196:197], v[86:87]
	v_fmac_f64_e32 v[206:207], v[198:199], v[84:85]
	v_add_f64 v[216:217], v[204:205], v[206:207]
	ds_read_b128 v[204:207], v2 offset:1440
	v_mul_f64 v[210:211], v[230:231], v[210:211]
	v_fma_f64 v[236:237], v[228:229], v[208:209], -v[210:211]
	ds_read_b128 v[208:211], v2 offset:1456
	s_waitcnt vmcnt(6) lgkmcnt(2)
	v_mul_f64 v[218:219], v[200:201], v[90:91]
	v_fmac_f64_e32 v[218:219], v[202:203], v[88:89]
	v_add_f64 v[216:217], v[216:217], v[218:219]
	s_waitcnt vmcnt(5) lgkmcnt(1)
	v_mul_f64 v[218:219], v[204:205], v[94:95]
	v_fmac_f64_e32 v[218:219], v[206:207], v[92:93]
	v_mul_f64 v[214:215], v[240:241], v[214:215]
	v_fma_f64 v[238:239], v[238:239], v[212:213], -v[214:215]
	ds_read_b128 v[212:215], v2 offset:1472
	v_add_f64 v[216:217], v[216:217], v[218:219]
	s_waitcnt vmcnt(4) lgkmcnt(1)
	v_mul_f64 v[218:219], v[208:209], v[102:103]
	v_fmac_f64_e32 v[218:219], v[210:211], v[100:101]
	v_add_f64 v[224:225], v[216:217], v[218:219]
	ds_read_b128 v[216:219], v2 offset:1488
	v_mul_f64 v[222:223], v[244:245], v[222:223]
	v_fma_f64 v[240:241], v[242:243], v[220:221], -v[222:223]
	ds_read_b128 v[220:223], v2 offset:1504
	s_waitcnt vmcnt(3) lgkmcnt(2)
	v_mul_f64 v[226:227], v[212:213], v[98:99]
	v_fmac_f64_e32 v[226:227], v[214:215], v[96:97]
	v_add_f64 v[224:225], v[224:225], v[226:227]
	s_waitcnt vmcnt(2) lgkmcnt(1)
	v_mul_f64 v[226:227], v[216:217], v[106:107]
	v_fmac_f64_e32 v[226:227], v[218:219], v[104:105]
	v_add_f64 v[224:225], v[224:225], v[226:227]
	;; [unrolled: 4-line block ×3, first 2 shown]
	ds_read_b128 v[224:227], v2 offset:1520
	v_mul_f64 v[6:7], v[150:151], v[6:7]
	v_fma_f64 v[4:5], v[148:149], v[4:5], -v[6:7]
	v_mul_f64 v[6:7], v[146:147], v[10:11]
	v_fma_f64 v[6:7], v[144:145], v[8:9], -v[6:7]
	s_waitcnt vmcnt(0) lgkmcnt(0)
	v_mul_f64 v[230:231], v[224:225], v[130:131]
	v_fmac_f64_e32 v[230:231], v[226:227], v[128:129]
	v_add_f64 v[232:233], v[228:229], v[230:231]
	v_add_f64 v[228:229], v[246:247], 0
	;; [unrolled: 1-line block ×4, first 2 shown]
	scratch_load_dwordx4 v[228:231], off, off offset:208
	v_add_f64 v[234:235], v[242:243], v[234:235]
	v_add_f64 v[234:235], v[234:235], v[236:237]
	;; [unrolled: 1-line block ×6, first 2 shown]
	v_mul_f64 v[6:7], v[142:143], v[14:15]
	v_fma_f64 v[6:7], v[140:141], v[12:13], -v[6:7]
	v_add_f64 v[4:5], v[4:5], v[6:7]
	v_mul_f64 v[6:7], v[138:139], v[18:19]
	v_fma_f64 v[6:7], v[136:137], v[16:17], -v[6:7]
	v_add_f64 v[4:5], v[4:5], v[6:7]
	;; [unrolled: 3-line block ×26, first 2 shown]
	s_waitcnt vmcnt(0)
	v_add_f64 v[4:5], v[228:229], -v[4:5]
	v_add_f64 v[6:7], v[230:231], -v[232:233]
	scratch_store_dwordx4 off, v[4:7], off offset:208
	s_and_saveexec_b64 s[0:1], vcc
	s_cbranch_execz .LBB47_279
; %bb.278:
	scratch_load_dwordx4 v[6:9], off, s35
	v_mov_b32_e32 v3, v2
	v_mov_b32_e32 v4, v2
	;; [unrolled: 1-line block ×3, first 2 shown]
	v_accvgpr_read_b32 v0, a97
	scratch_store_dwordx4 off, v[2:5], off offset:192
	s_waitcnt vmcnt(1)
	ds_write_b128 v0, v[6:9]
.LBB47_279:
	s_or_b64 exec, exec, s[0:1]
	s_waitcnt lgkmcnt(0)
	; wave barrier
	scratch_load_dwordx4 v[140:143], off, off offset:208
	scratch_load_dwordx4 v[144:147], off, off offset:224
	;; [unrolled: 1-line block ×16, first 2 shown]
	ds_read_b128 v[208:211], v2 offset:960
	ds_read_b128 v[200:203], v2 offset:976
	;; [unrolled: 1-line block ×3, first 2 shown]
	scratch_load_dwordx4 v[40:43], off, off offset:464
	ds_read_b128 v[204:207], v2 offset:1008
	ds_read_b128 v[192:195], v2 offset:1024
	ds_read_b128 v[184:187], v2 offset:1040
	scratch_load_dwordx4 v[44:47], off, off offset:480
	ds_read_b128 v[196:199], v2 offset:1056
	ds_read_b128 v[64:67], v2 offset:1072
	ds_read_b128 v[60:63], v2 offset:1088
	ds_read_b128 v[52:55], v2 offset:1104
	scratch_load_dwordx4 v[48:51], off, off offset:496
	ds_read_b128 v[72:75], v2 offset:1120
	ds_read_b128 v[68:71], v2 offset:1136
	scratch_load_dwordx4 v[56:59], off, off offset:512
	ds_read_b128 v[92:95], v2 offset:1152
	ds_read_b128 v[88:91], v2 offset:1168
	;; [unrolled: 1-line block ×4, first 2 shown]
	scratch_load_dwordx4 v[76:79], off, off offset:528
	scratch_load_dwordx4 v[96:99], off, off offset:544
	;; [unrolled: 1-line block ×12, first 2 shown]
	ds_read_b128 v[168:171], v2 offset:1216
	v_accvgpr_write_b32 a96, v252
	v_cmp_lt_u32_e32 vcc, 10, v252
	s_waitcnt vmcnt(31) lgkmcnt(14)
	v_mul_f64 v[172:173], v[208:209], v[142:143]
	s_waitcnt vmcnt(30)
	v_mul_f64 v[174:175], v[200:201], v[146:147]
	v_fmac_f64_e32 v[172:173], v[210:211], v[140:141]
	s_waitcnt vmcnt(29)
	v_mul_f64 v[176:177], v[188:189], v[150:151]
	v_fmac_f64_e32 v[174:175], v[202:203], v[144:145]
	v_add_f64 v[172:173], v[172:173], 0
	s_waitcnt vmcnt(28) lgkmcnt(13)
	v_mul_f64 v[178:179], v[204:205], v[154:155]
	v_fmac_f64_e32 v[176:177], v[190:191], v[148:149]
	v_add_f64 v[172:173], v[172:173], v[174:175]
	s_waitcnt vmcnt(27) lgkmcnt(12)
	;; [unrolled: 4-line block ×10, first 2 shown]
	v_mul_f64 v[224:225], v[92:93], v[26:27]
	v_fmac_f64_e32 v[222:223], v[70:71], v[20:21]
	v_add_f64 v[172:173], v[172:173], v[220:221]
	ds_read_b128 v[212:215], v2 offset:1232
	s_waitcnt vmcnt(18) lgkmcnt(4)
	v_mul_f64 v[226:227], v[88:89], v[30:31]
	v_fmac_f64_e32 v[224:225], v[94:95], v[24:25]
	v_add_f64 v[172:173], v[172:173], v[222:223]
	ds_read_b128 v[216:219], v2 offset:1248
	ds_read_b128 v[220:223], v2 offset:1264
	s_waitcnt vmcnt(17) lgkmcnt(5)
	v_mul_f64 v[228:229], v[84:85], v[34:35]
	v_fmac_f64_e32 v[226:227], v[90:91], v[28:29]
	v_add_f64 v[172:173], v[172:173], v[224:225]
	s_waitcnt vmcnt(16) lgkmcnt(4)
	v_mul_f64 v[230:231], v[80:81], v[38:39]
	v_fmac_f64_e32 v[228:229], v[86:87], v[32:33]
	v_add_f64 v[172:173], v[172:173], v[226:227]
	v_add_f64 v[176:177], v[172:173], v[228:229]
	v_fmac_f64_e32 v[230:231], v[82:83], v[36:37]
	s_waitcnt vmcnt(15) lgkmcnt(3)
	v_mul_f64 v[178:179], v[168:169], v[42:43]
	v_add_f64 v[176:177], v[176:177], v[230:231]
	v_fmac_f64_e32 v[178:179], v[170:171], v[40:41]
	s_waitcnt vmcnt(14) lgkmcnt(2)
	v_mul_f64 v[182:183], v[212:213], v[46:47]
	v_add_f64 v[180:181], v[176:177], v[178:179]
	v_fmac_f64_e32 v[182:183], v[214:215], v[44:45]
	s_waitcnt vmcnt(13) lgkmcnt(1)
	v_mul_f64 v[226:227], v[216:217], v[50:51]
	v_add_f64 v[224:225], v[180:181], v[182:183]
	v_fmac_f64_e32 v[226:227], v[218:219], v[48:49]
	v_add_f64 v[228:229], v[224:225], v[226:227]
	ds_read_b128 v[224:227], v2 offset:1280
	s_waitcnt vmcnt(12) lgkmcnt(1)
	v_mul_f64 v[230:231], v[220:221], v[58:59]
	v_fmac_f64_e32 v[230:231], v[222:223], v[56:57]
	v_add_f64 v[232:233], v[228:229], v[230:231]
	ds_read_b128 v[228:231], v2 offset:1296
	s_waitcnt vmcnt(11) lgkmcnt(1)
	v_mul_f64 v[234:235], v[224:225], v[78:79]
	;; [unrolled: 5-line block ×4, first 2 shown]
	v_fmac_f64_e32 v[242:243], v[234:235], v[100:101]
	v_mul_f64 v[142:143], v[210:211], v[142:143]
	v_add_f64 v[240:241], v[240:241], v[242:243]
	v_fma_f64 v[242:243], v[208:209], v[140:141], -v[142:143]
	ds_read_b128 v[140:143], v2 offset:1344
	s_waitcnt vmcnt(8) lgkmcnt(1)
	v_mul_f64 v[208:209], v[236:237], v[106:107]
	v_fmac_f64_e32 v[208:209], v[238:239], v[104:105]
	v_mul_f64 v[146:147], v[202:203], v[146:147]
	v_add_f64 v[208:209], v[240:241], v[208:209]
	v_fma_f64 v[240:241], v[200:201], v[144:145], -v[146:147]
	ds_read_b128 v[144:147], v2 offset:1360
	s_waitcnt vmcnt(7) lgkmcnt(1)
	v_mul_f64 v[200:201], v[140:141], v[110:111]
	scratch_load_dwordx4 v[172:175], off, off offset:720
	v_fmac_f64_e32 v[200:201], v[142:143], v[108:109]
	v_add_f64 v[208:209], v[208:209], v[200:201]
	ds_read_b128 v[200:203], v2 offset:1376
	v_mul_f64 v[150:151], v[190:191], v[150:151]
	scratch_load_dwordx4 v[176:179], off, off offset:736
	scratch_load_dwordx4 v[180:183], off, off offset:752
	v_fma_f64 v[244:245], v[188:189], v[148:149], -v[150:151]
	ds_read_b128 v[148:151], v2 offset:1392
	s_waitcnt vmcnt(9) lgkmcnt(2)
	v_mul_f64 v[210:211], v[144:145], v[114:115]
	v_fmac_f64_e32 v[210:211], v[146:147], v[112:113]
	s_waitcnt vmcnt(8) lgkmcnt(1)
	v_mul_f64 v[188:189], v[200:201], v[118:119]
	v_add_f64 v[208:209], v[208:209], v[210:211]
	v_fmac_f64_e32 v[188:189], v[202:203], v[116:117]
	v_mul_f64 v[154:155], v[206:207], v[154:155]
	s_waitcnt vmcnt(7) lgkmcnt(0)
	v_mul_f64 v[190:191], v[148:149], v[122:123]
	v_add_f64 v[188:189], v[208:209], v[188:189]
	v_fma_f64 v[246:247], v[204:205], v[152:153], -v[154:155]
	ds_read_b128 v[152:155], v2 offset:1408
	v_fmac_f64_e32 v[190:191], v[150:151], v[120:121]
	v_add_f64 v[204:205], v[188:189], v[190:191]
	ds_read_b128 v[188:191], v2 offset:1424
	v_mul_f64 v[158:159], v[194:195], v[158:159]
	s_waitcnt vmcnt(6) lgkmcnt(1)
	v_mul_f64 v[206:207], v[152:153], v[126:127]
	v_fmac_f64_e32 v[206:207], v[154:155], v[124:125]
	v_fma_f64 v[248:249], v[192:193], v[156:157], -v[158:159]
	s_waitcnt vmcnt(5) lgkmcnt(0)
	v_mul_f64 v[192:193], v[188:189], v[130:131]
	v_add_f64 v[204:205], v[204:205], v[206:207]
	v_fmac_f64_e32 v[192:193], v[190:191], v[128:129]
	v_mul_f64 v[162:163], v[186:187], v[162:163]
	v_fma_f64 v[208:209], v[184:185], v[160:161], -v[162:163]
	v_add_f64 v[184:185], v[204:205], v[192:193]
	scratch_load_dwordx4 v[204:207], off, off offset:768
	v_add_f64 v[242:243], v[242:243], 0
	v_add_f64 v[240:241], v[242:243], v[240:241]
	;; [unrolled: 1-line block ×3, first 2 shown]
	scratch_load_dwordx4 v[242:245], off, off offset:192
	v_add_f64 v[240:241], v[240:241], v[246:247]
	v_mul_f64 v[166:167], v[198:199], v[166:167]
	v_add_f64 v[240:241], v[240:241], v[248:249]
	v_fma_f64 v[210:211], v[196:197], v[164:165], -v[166:167]
	v_add_f64 v[208:209], v[240:241], v[208:209]
	v_mul_f64 v[6:7], v[66:67], v[6:7]
	v_add_f64 v[208:209], v[208:209], v[210:211]
	v_fma_f64 v[4:5], v[64:65], v[4:5], -v[6:7]
	v_mul_f64 v[6:7], v[62:63], v[10:11]
	v_add_f64 v[4:5], v[208:209], v[4:5]
	v_fma_f64 v[6:7], v[60:61], v[8:9], -v[6:7]
	v_add_f64 v[4:5], v[4:5], v[6:7]
	v_mul_f64 v[6:7], v[54:55], v[14:15]
	v_fma_f64 v[6:7], v[52:53], v[12:13], -v[6:7]
	v_add_f64 v[4:5], v[4:5], v[6:7]
	v_mul_f64 v[6:7], v[74:75], v[18:19]
	;; [unrolled: 3-line block ×12, first 2 shown]
	v_fma_f64 v[6:7], v[224:225], v[76:77], -v[6:7]
	ds_read_b128 v[156:159], v2 offset:1440
	ds_read_b128 v[160:163], v2 offset:1456
	v_add_f64 v[4:5], v[4:5], v[6:7]
	v_mul_f64 v[6:7], v[230:231], v[98:99]
	v_fma_f64 v[6:7], v[228:229], v[96:97], -v[6:7]
	v_add_f64 v[4:5], v[4:5], v[6:7]
	v_mul_f64 v[6:7], v[234:235], v[102:103]
	v_fma_f64 v[6:7], v[232:233], v[100:101], -v[6:7]
	v_add_f64 v[4:5], v[4:5], v[6:7]
	v_mul_f64 v[6:7], v[238:239], v[106:107]
	s_waitcnt vmcnt(6) lgkmcnt(1)
	v_mul_f64 v[186:187], v[156:157], v[138:139]
	v_fma_f64 v[6:7], v[236:237], v[104:105], -v[6:7]
	v_fmac_f64_e32 v[186:187], v[158:159], v[136:137]
	v_add_f64 v[4:5], v[4:5], v[6:7]
	v_mul_f64 v[6:7], v[142:143], v[110:111]
	v_add_f64 v[192:193], v[184:185], v[186:187]
	ds_read_b128 v[184:187], v2 offset:1472
	ds_read_b128 v[164:167], v2 offset:1488
	v_fma_f64 v[6:7], v[140:141], v[108:109], -v[6:7]
	v_add_f64 v[4:5], v[4:5], v[6:7]
	v_mul_f64 v[6:7], v[146:147], v[114:115]
	v_fma_f64 v[6:7], v[144:145], v[112:113], -v[6:7]
	s_waitcnt vmcnt(5) lgkmcnt(2)
	v_mul_f64 v[194:195], v[160:161], v[134:135]
	v_add_f64 v[4:5], v[4:5], v[6:7]
	v_mul_f64 v[6:7], v[202:203], v[118:119]
	v_fmac_f64_e32 v[194:195], v[162:163], v[132:133]
	v_fma_f64 v[6:7], v[200:201], v[116:117], -v[6:7]
	v_add_f64 v[192:193], v[192:193], v[194:195]
	s_waitcnt vmcnt(4) lgkmcnt(1)
	v_mul_f64 v[194:195], v[184:185], v[174:175]
	v_add_f64 v[4:5], v[4:5], v[6:7]
	v_mul_f64 v[6:7], v[150:151], v[122:123]
	v_fmac_f64_e32 v[194:195], v[186:187], v[172:173]
	v_fma_f64 v[6:7], v[148:149], v[120:121], -v[6:7]
	v_add_f64 v[192:193], v[192:193], v[194:195]
	;; [unrolled: 7-line block ×3, first 2 shown]
	ds_read_b128 v[192:195], v2 offset:1504
	v_add_f64 v[4:5], v[4:5], v[6:7]
	v_mul_f64 v[6:7], v[190:191], v[130:131]
	v_fma_f64 v[6:7], v[188:189], v[128:129], -v[6:7]
	v_add_f64 v[4:5], v[4:5], v[6:7]
	v_mul_f64 v[6:7], v[158:159], v[138:139]
	v_fma_f64 v[6:7], v[156:157], v[136:137], -v[6:7]
	v_add_f64 v[4:5], v[4:5], v[6:7]
	v_mul_f64 v[6:7], v[162:163], v[134:135]
	s_waitcnt vmcnt(2) lgkmcnt(0)
	v_mul_f64 v[198:199], v[192:193], v[182:183]
	v_fma_f64 v[6:7], v[160:161], v[132:133], -v[6:7]
	v_fmac_f64_e32 v[198:199], v[194:195], v[180:181]
	v_add_f64 v[4:5], v[4:5], v[6:7]
	v_mul_f64 v[6:7], v[186:187], v[174:175]
	v_add_f64 v[250:251], v[196:197], v[198:199]
	ds_read_b128 v[196:199], v2 offset:1520
	v_fma_f64 v[6:7], v[184:185], v[172:173], -v[6:7]
	v_add_f64 v[4:5], v[4:5], v[6:7]
	v_mul_f64 v[6:7], v[166:167], v[178:179]
	v_fma_f64 v[6:7], v[164:165], v[176:177], -v[6:7]
	v_add_f64 v[4:5], v[4:5], v[6:7]
	v_mul_f64 v[6:7], v[194:195], v[182:183]
	v_fma_f64 v[6:7], v[192:193], v[180:181], -v[6:7]
	s_waitcnt vmcnt(1) lgkmcnt(0)
	v_mul_f64 v[2:3], v[196:197], v[206:207]
	v_add_f64 v[4:5], v[4:5], v[6:7]
	v_mul_f64 v[6:7], v[198:199], v[206:207]
	v_fmac_f64_e32 v[2:3], v[198:199], v[204:205]
	v_fma_f64 v[6:7], v[196:197], v[204:205], -v[6:7]
	v_add_f64 v[2:3], v[250:251], v[2:3]
	v_add_f64 v[4:5], v[4:5], v[6:7]
	s_waitcnt vmcnt(0)
	v_add_f64 v[4:5], v[242:243], -v[4:5]
	v_add_f64 v[6:7], v[244:245], -v[2:3]
	scratch_store_dwordx4 off, v[4:7], off offset:192
	s_and_saveexec_b64 s[0:1], vcc
	s_cbranch_execz .LBB47_281
; %bb.280:
	scratch_load_dwordx4 v[2:5], off, s34
	v_mov_b32_e32 v6, 0
	v_mov_b32_e32 v7, v6
	;; [unrolled: 1-line block ×4, first 2 shown]
	v_accvgpr_read_b32 v0, a97
	scratch_store_dwordx4 off, v[6:9], off offset:176
	s_waitcnt vmcnt(1)
	ds_write_b128 v0, v[2:5]
.LBB47_281:
	s_or_b64 exec, exec, s[0:1]
	s_waitcnt lgkmcnt(0)
	; wave barrier
	scratch_load_dwordx4 v[168:171], off, off offset:192
	scratch_load_dwordx4 v[172:175], off, off offset:208
	;; [unrolled: 1-line block ×32, first 2 shown]
	v_mov_b32_e32 v2, 0
	ds_read_b128 v[176:179], v2 offset:944
	ds_read_b128 v[188:191], v2 offset:960
	;; [unrolled: 1-line block ×17, first 2 shown]
	v_accvgpr_read_b32 v0, a96
	v_cmp_lt_u32_e32 vcc, 9, v0
	s_waitcnt vmcnt(31) lgkmcnt(14)
	v_mul_f64 v[104:105], v[176:177], v[170:171]
	s_waitcnt vmcnt(30)
	v_mul_f64 v[106:107], v[188:189], v[174:175]
	v_fmac_f64_e32 v[104:105], v[178:179], v[168:169]
	s_waitcnt vmcnt(29)
	v_mul_f64 v[108:109], v[200:201], v[182:183]
	v_fmac_f64_e32 v[106:107], v[190:191], v[172:173]
	v_add_f64 v[104:105], v[104:105], 0
	s_waitcnt vmcnt(28) lgkmcnt(13)
	v_mul_f64 v[110:111], v[212:213], v[186:187]
	v_fmac_f64_e32 v[108:109], v[202:203], v[180:181]
	v_add_f64 v[104:105], v[104:105], v[106:107]
	s_waitcnt vmcnt(27) lgkmcnt(12)
	;; [unrolled: 4-line block ×12, first 2 shown]
	v_mul_f64 v[156:157], v[112:113], v[26:27]
	v_fmac_f64_e32 v[154:155], v[118:119], v[20:21]
	v_add_f64 v[104:105], v[104:105], v[152:153]
	v_fmac_f64_e32 v[156:157], v[114:115], v[24:25]
	v_add_f64 v[104:105], v[104:105], v[154:155]
	s_waitcnt vmcnt(16) lgkmcnt(1)
	v_mul_f64 v[106:107], v[100:101], v[30:31]
	v_add_f64 v[104:105], v[104:105], v[156:157]
	v_fmac_f64_e32 v[106:107], v[102:103], v[28:29]
	v_add_f64 v[108:109], v[104:105], v[106:107]
	ds_read_b128 v[144:147], v2 offset:1216
	ds_read_b128 v[148:151], v2 offset:1232
	scratch_load_dwordx4 v[104:107], off, off offset:704
	s_waitcnt vmcnt(16) lgkmcnt(2)
	v_mul_f64 v[110:111], v[96:97], v[34:35]
	v_fmac_f64_e32 v[110:111], v[98:99], v[32:33]
	v_add_f64 v[120:121], v[108:109], v[110:111]
	scratch_load_dwordx4 v[108:111], off, off offset:720
	s_waitcnt vmcnt(16) lgkmcnt(1)
	v_mul_f64 v[122:123], v[144:145], v[38:39]
	v_fmac_f64_e32 v[122:123], v[146:147], v[36:37]
	v_add_f64 v[132:133], v[120:121], v[122:123]
	s_waitcnt vmcnt(15) lgkmcnt(0)
	v_mul_f64 v[134:135], v[148:149], v[42:43]
	scratch_load_dwordx4 v[120:123], off, off offset:736
	v_fmac_f64_e32 v[134:135], v[150:151], v[40:41]
	v_add_f64 v[160:161], v[132:133], v[134:135]
	scratch_load_dwordx4 v[132:135], off, off offset:752
	ds_read_b128 v[152:155], v2 offset:1248
	ds_read_b128 v[156:159], v2 offset:1264
	v_mul_f64 v[170:171], v[178:179], v[170:171]
	v_fma_f64 v[246:247], v[176:177], v[168:169], -v[170:171]
	ds_read_b128 v[168:171], v2 offset:1312
	s_waitcnt vmcnt(16) lgkmcnt(2)
	v_mul_f64 v[162:163], v[152:153], v[46:47]
	v_fmac_f64_e32 v[162:163], v[154:155], v[44:45]
	s_waitcnt vmcnt(15) lgkmcnt(1)
	v_mul_f64 v[166:167], v[156:157], v[50:51]
	v_add_f64 v[164:165], v[160:161], v[162:163]
	ds_read_b128 v[160:163], v2 offset:1280
	v_fmac_f64_e32 v[166:167], v[158:159], v[48:49]
	v_add_f64 v[232:233], v[164:165], v[166:167]
	ds_read_b128 v[164:167], v2 offset:1296
	v_mul_f64 v[174:175], v[190:191], v[174:175]
	s_waitcnt vmcnt(14) lgkmcnt(1)
	v_mul_f64 v[234:235], v[160:161], v[54:55]
	v_fmac_f64_e32 v[234:235], v[162:163], v[52:53]
	v_add_f64 v[232:233], v[232:233], v[234:235]
	s_waitcnt vmcnt(13) lgkmcnt(0)
	v_mul_f64 v[176:177], v[164:165], v[58:59]
	v_fmac_f64_e32 v[176:177], v[166:167], v[56:57]
	v_fma_f64 v[248:249], v[188:189], v[172:173], -v[174:175]
	ds_read_b128 v[172:175], v2 offset:1328
	s_waitcnt vmcnt(12)
	v_mul_f64 v[178:179], v[168:169], v[62:63]
	v_add_f64 v[176:177], v[232:233], v[176:177]
	v_fmac_f64_e32 v[178:179], v[170:171], v[60:61]
	v_add_f64 v[188:189], v[176:177], v[178:179]
	ds_read_b128 v[176:179], v2 offset:1344
	v_mul_f64 v[182:183], v[202:203], v[182:183]
	v_fma_f64 v[250:251], v[200:201], v[180:181], -v[182:183]
	ds_read_b128 v[180:183], v2 offset:1360
	s_waitcnt vmcnt(11) lgkmcnt(2)
	v_mul_f64 v[190:191], v[172:173], v[66:67]
	v_fmac_f64_e32 v[190:191], v[174:175], v[64:65]
	v_add_f64 v[188:189], v[188:189], v[190:191]
	s_waitcnt vmcnt(10) lgkmcnt(1)
	v_mul_f64 v[190:191], v[176:177], v[70:71]
	v_fmac_f64_e32 v[190:191], v[178:179], v[68:69]
	v_mul_f64 v[186:187], v[214:215], v[186:187]
	v_fma_f64 v[252:253], v[212:213], v[184:185], -v[186:187]
	ds_read_b128 v[184:187], v2 offset:1376
	v_add_f64 v[188:189], v[188:189], v[190:191]
	s_waitcnt vmcnt(9) lgkmcnt(1)
	v_mul_f64 v[190:191], v[180:181], v[74:75]
	v_fmac_f64_e32 v[190:191], v[182:183], v[72:73]
	v_add_f64 v[200:201], v[188:189], v[190:191]
	ds_read_b128 v[188:191], v2 offset:1392
	v_mul_f64 v[194:195], v[222:223], v[194:195]
	v_fma_f64 v[254:255], v[220:221], v[192:193], -v[194:195]
	ds_read_b128 v[192:195], v2 offset:1408
	s_waitcnt vmcnt(8) lgkmcnt(2)
	v_mul_f64 v[202:203], v[184:185], v[78:79]
	v_fmac_f64_e32 v[202:203], v[186:187], v[76:77]
	v_add_f64 v[200:201], v[200:201], v[202:203]
	s_waitcnt vmcnt(7) lgkmcnt(1)
	v_mul_f64 v[202:203], v[188:189], v[82:83]
	v_fmac_f64_e32 v[202:203], v[190:191], v[80:81]
	v_mul_f64 v[198:199], v[226:227], v[198:199]
	v_add_f64 v[200:201], v[200:201], v[202:203]
	v_fma_f64 v[234:235], v[224:225], v[196:197], -v[198:199]
	ds_read_b128 v[196:199], v2 offset:1424
	s_waitcnt vmcnt(6) lgkmcnt(1)
	v_mul_f64 v[202:203], v[192:193], v[86:87]
	v_fmac_f64_e32 v[202:203], v[194:195], v[84:85]
	v_add_f64 v[212:213], v[200:201], v[202:203]
	ds_read_b128 v[200:203], v2 offset:1440
	v_mul_f64 v[206:207], v[230:231], v[206:207]
	v_fma_f64 v[236:237], v[228:229], v[204:205], -v[206:207]
	ds_read_b128 v[204:207], v2 offset:1456
	s_waitcnt vmcnt(5) lgkmcnt(2)
	v_mul_f64 v[214:215], v[196:197], v[94:95]
	v_fmac_f64_e32 v[214:215], v[198:199], v[92:93]
	v_add_f64 v[212:213], v[212:213], v[214:215]
	s_waitcnt vmcnt(4) lgkmcnt(1)
	v_mul_f64 v[214:215], v[200:201], v[90:91]
	v_fmac_f64_e32 v[214:215], v[202:203], v[88:89]
	v_mul_f64 v[210:211], v[240:241], v[210:211]
	v_fma_f64 v[238:239], v[238:239], v[208:209], -v[210:211]
	ds_read_b128 v[208:211], v2 offset:1472
	v_add_f64 v[212:213], v[212:213], v[214:215]
	s_waitcnt vmcnt(3) lgkmcnt(1)
	v_mul_f64 v[214:215], v[204:205], v[106:107]
	v_fmac_f64_e32 v[214:215], v[206:207], v[104:105]
	v_add_f64 v[220:221], v[212:213], v[214:215]
	ds_read_b128 v[212:215], v2 offset:1488
	v_mul_f64 v[218:219], v[244:245], v[218:219]
	v_fma_f64 v[240:241], v[242:243], v[216:217], -v[218:219]
	ds_read_b128 v[216:219], v2 offset:1504
	ds_read_b128 v[224:227], v2 offset:1520
	s_waitcnt vmcnt(2) lgkmcnt(3)
	v_mul_f64 v[222:223], v[208:209], v[110:111]
	v_fmac_f64_e32 v[222:223], v[210:211], v[108:109]
	v_add_f64 v[220:221], v[220:221], v[222:223]
	s_waitcnt vmcnt(1) lgkmcnt(2)
	v_mul_f64 v[222:223], v[212:213], v[122:123]
	v_fmac_f64_e32 v[222:223], v[214:215], v[120:121]
	v_add_f64 v[220:221], v[220:221], v[222:223]
	;; [unrolled: 4-line block ×3, first 2 shown]
	scratch_load_dwordx4 v[220:223], off, off offset:768
	v_mul_f64 v[6:7], v[142:143], v[6:7]
	v_fma_f64 v[4:5], v[140:141], v[4:5], -v[6:7]
	v_mul_f64 v[6:7], v[138:139], v[10:11]
	v_fma_f64 v[6:7], v[136:137], v[8:9], -v[6:7]
	s_waitcnt vmcnt(0) lgkmcnt(0)
	v_mul_f64 v[230:231], v[224:225], v[222:223]
	v_fmac_f64_e32 v[230:231], v[226:227], v[220:221]
	v_add_f64 v[232:233], v[228:229], v[230:231]
	v_add_f64 v[228:229], v[246:247], 0
	;; [unrolled: 1-line block ×6, first 2 shown]
	scratch_load_dwordx4 v[228:231], off, off offset:176
	v_add_f64 v[234:235], v[242:243], v[234:235]
	v_add_f64 v[234:235], v[234:235], v[236:237]
	;; [unrolled: 1-line block ×6, first 2 shown]
	v_mul_f64 v[6:7], v[130:131], v[14:15]
	v_fma_f64 v[6:7], v[128:129], v[12:13], -v[6:7]
	v_add_f64 v[4:5], v[4:5], v[6:7]
	v_mul_f64 v[6:7], v[126:127], v[18:19]
	v_fma_f64 v[6:7], v[124:125], v[16:17], -v[6:7]
	v_add_f64 v[4:5], v[4:5], v[6:7]
	v_mul_f64 v[6:7], v[118:119], v[22:23]
	v_fma_f64 v[6:7], v[116:117], v[20:21], -v[6:7]
	v_add_f64 v[4:5], v[4:5], v[6:7]
	v_mul_f64 v[6:7], v[114:115], v[26:27]
	v_fma_f64 v[6:7], v[112:113], v[24:25], -v[6:7]
	v_add_f64 v[4:5], v[4:5], v[6:7]
	v_mul_f64 v[6:7], v[102:103], v[30:31]
	v_fma_f64 v[6:7], v[100:101], v[28:29], -v[6:7]
	v_add_f64 v[4:5], v[4:5], v[6:7]
	v_mul_f64 v[6:7], v[98:99], v[34:35]
	v_fma_f64 v[6:7], v[96:97], v[32:33], -v[6:7]
	v_add_f64 v[4:5], v[4:5], v[6:7]
	v_mul_f64 v[6:7], v[146:147], v[38:39]
	v_fma_f64 v[6:7], v[144:145], v[36:37], -v[6:7]
	v_add_f64 v[4:5], v[4:5], v[6:7]
	v_mul_f64 v[6:7], v[150:151], v[42:43]
	v_fma_f64 v[6:7], v[148:149], v[40:41], -v[6:7]
	v_add_f64 v[4:5], v[4:5], v[6:7]
	v_mul_f64 v[6:7], v[154:155], v[46:47]
	v_fma_f64 v[6:7], v[152:153], v[44:45], -v[6:7]
	v_add_f64 v[4:5], v[4:5], v[6:7]
	v_mul_f64 v[6:7], v[158:159], v[50:51]
	v_fma_f64 v[6:7], v[156:157], v[48:49], -v[6:7]
	v_add_f64 v[4:5], v[4:5], v[6:7]
	v_mul_f64 v[6:7], v[162:163], v[54:55]
	v_fma_f64 v[6:7], v[160:161], v[52:53], -v[6:7]
	v_add_f64 v[4:5], v[4:5], v[6:7]
	v_mul_f64 v[6:7], v[166:167], v[58:59]
	v_fma_f64 v[6:7], v[164:165], v[56:57], -v[6:7]
	v_add_f64 v[4:5], v[4:5], v[6:7]
	v_mul_f64 v[6:7], v[170:171], v[62:63]
	v_fma_f64 v[6:7], v[168:169], v[60:61], -v[6:7]
	v_add_f64 v[4:5], v[4:5], v[6:7]
	v_mul_f64 v[6:7], v[174:175], v[66:67]
	v_fma_f64 v[6:7], v[172:173], v[64:65], -v[6:7]
	v_add_f64 v[4:5], v[4:5], v[6:7]
	v_mul_f64 v[6:7], v[178:179], v[70:71]
	v_fma_f64 v[6:7], v[176:177], v[68:69], -v[6:7]
	v_add_f64 v[4:5], v[4:5], v[6:7]
	v_mul_f64 v[6:7], v[182:183], v[74:75]
	v_fma_f64 v[6:7], v[180:181], v[72:73], -v[6:7]
	v_add_f64 v[4:5], v[4:5], v[6:7]
	v_mul_f64 v[6:7], v[186:187], v[78:79]
	v_fma_f64 v[6:7], v[184:185], v[76:77], -v[6:7]
	v_add_f64 v[4:5], v[4:5], v[6:7]
	v_mul_f64 v[6:7], v[190:191], v[82:83]
	v_fma_f64 v[6:7], v[188:189], v[80:81], -v[6:7]
	v_add_f64 v[4:5], v[4:5], v[6:7]
	v_mul_f64 v[6:7], v[194:195], v[86:87]
	v_fma_f64 v[6:7], v[192:193], v[84:85], -v[6:7]
	v_add_f64 v[4:5], v[4:5], v[6:7]
	v_mul_f64 v[6:7], v[198:199], v[94:95]
	v_fma_f64 v[6:7], v[196:197], v[92:93], -v[6:7]
	v_add_f64 v[4:5], v[4:5], v[6:7]
	v_mul_f64 v[6:7], v[202:203], v[90:91]
	v_fma_f64 v[6:7], v[200:201], v[88:89], -v[6:7]
	v_add_f64 v[4:5], v[4:5], v[6:7]
	v_mul_f64 v[6:7], v[206:207], v[106:107]
	v_fma_f64 v[6:7], v[204:205], v[104:105], -v[6:7]
	v_add_f64 v[4:5], v[4:5], v[6:7]
	v_mul_f64 v[6:7], v[210:211], v[110:111]
	v_fma_f64 v[6:7], v[208:209], v[108:109], -v[6:7]
	v_add_f64 v[4:5], v[4:5], v[6:7]
	v_mul_f64 v[6:7], v[214:215], v[122:123]
	v_fma_f64 v[6:7], v[212:213], v[120:121], -v[6:7]
	v_add_f64 v[4:5], v[4:5], v[6:7]
	v_mul_f64 v[6:7], v[218:219], v[134:135]
	v_fma_f64 v[6:7], v[216:217], v[132:133], -v[6:7]
	v_add_f64 v[4:5], v[4:5], v[6:7]
	v_mul_f64 v[6:7], v[226:227], v[222:223]
	v_fma_f64 v[6:7], v[224:225], v[220:221], -v[6:7]
	v_add_f64 v[4:5], v[4:5], v[6:7]
	s_waitcnt vmcnt(0)
	v_add_f64 v[4:5], v[228:229], -v[4:5]
	v_add_f64 v[6:7], v[230:231], -v[232:233]
	scratch_store_dwordx4 off, v[4:7], off offset:176
	s_and_saveexec_b64 s[0:1], vcc
	s_cbranch_execz .LBB47_283
; %bb.282:
	scratch_load_dwordx4 v[6:9], off, s33
	v_mov_b32_e32 v3, v2
	v_mov_b32_e32 v4, v2
	;; [unrolled: 1-line block ×3, first 2 shown]
	v_accvgpr_read_b32 v0, a97
	scratch_store_dwordx4 off, v[2:5], off offset:160
	s_waitcnt vmcnt(1)
	ds_write_b128 v0, v[6:9]
.LBB47_283:
	s_or_b64 exec, exec, s[0:1]
	s_waitcnt lgkmcnt(0)
	; wave barrier
	scratch_load_dwordx4 v[168:171], off, off offset:176
	scratch_load_dwordx4 v[172:175], off, off offset:192
	;; [unrolled: 1-line block ×16, first 2 shown]
	ds_read_b128 v[232:235], v2 offset:928
	ds_read_b128 v[176:179], v2 offset:944
	scratch_load_dwordx4 v[32:35], off, off offset:432
	ds_read_b128 v[236:239], v2 offset:960
	ds_read_b128 v[188:191], v2 offset:976
	;; [unrolled: 1-line block ×5, first 2 shown]
	scratch_load_dwordx4 v[36:39], off, off offset:448
	ds_read_b128 v[224:227], v2 offset:1040
	ds_read_b128 v[220:223], v2 offset:1056
	;; [unrolled: 1-line block ×3, first 2 shown]
	scratch_load_dwordx4 v[40:43], off, off offset:464
	ds_read_b128 v[64:67], v2 offset:1088
	ds_read_b128 v[60:63], v2 offset:1104
	;; [unrolled: 1-line block ×4, first 2 shown]
	scratch_load_dwordx4 v[48:51], off, off offset:480
	ds_read_b128 v[80:83], v2 offset:1152
	ds_read_b128 v[72:75], v2 offset:1168
	;; [unrolled: 1-line block ×3, first 2 shown]
	scratch_load_dwordx4 v[76:79], off, off offset:496
	scratch_load_dwordx4 v[84:87], off, off offset:512
	;; [unrolled: 1-line block ×12, first 2 shown]
	v_accvgpr_read_b32 v0, a96
	v_cmp_lt_u32_e32 vcc, 8, v0
	s_waitcnt vmcnt(31) lgkmcnt(14)
	v_mul_f64 v[128:129], v[232:233], v[170:171]
	s_waitcnt vmcnt(30)
	v_mul_f64 v[130:131], v[176:177], v[174:175]
	v_fmac_f64_e32 v[128:129], v[234:235], v[168:169]
	s_waitcnt vmcnt(29)
	v_mul_f64 v[132:133], v[236:237], v[182:183]
	v_fmac_f64_e32 v[130:131], v[178:179], v[172:173]
	v_add_f64 v[128:129], v[128:129], 0
	s_waitcnt vmcnt(28) lgkmcnt(13)
	v_mul_f64 v[134:135], v[188:189], v[186:187]
	v_fmac_f64_e32 v[132:133], v[238:239], v[180:181]
	v_add_f64 v[128:129], v[128:129], v[130:131]
	s_waitcnt vmcnt(27) lgkmcnt(12)
	;; [unrolled: 4-line block ×13, first 2 shown]
	v_mul_f64 v[158:159], v[72:73], v[30:31]
	v_fmac_f64_e32 v[156:157], v[82:83], v[24:25]
	v_add_f64 v[128:129], v[128:129], v[154:155]
	v_add_f64 v[128:129], v[128:129], v[156:157]
	v_fmac_f64_e32 v[158:159], v[74:75], v[28:29]
	v_add_f64 v[132:133], v[128:129], v[158:159]
	ds_read_b128 v[144:147], v2 offset:1200
	ds_read_b128 v[148:151], v2 offset:1216
	scratch_load_dwordx4 v[128:131], off, off offset:688
	s_waitcnt vmcnt(16) lgkmcnt(2)
	v_mul_f64 v[134:135], v[68:69], v[34:35]
	v_fmac_f64_e32 v[134:135], v[70:71], v[32:33]
	s_waitcnt vmcnt(15) lgkmcnt(1)
	v_mul_f64 v[138:139], v[144:145], v[38:39]
	v_add_f64 v[136:137], v[132:133], v[134:135]
	scratch_load_dwordx4 v[132:135], off, off offset:704
	v_fmac_f64_e32 v[138:139], v[146:147], v[36:37]
	v_add_f64 v[140:141], v[136:137], v[138:139]
	s_waitcnt vmcnt(15) lgkmcnt(0)
	v_mul_f64 v[142:143], v[148:149], v[42:43]
	scratch_load_dwordx4 v[136:139], off, off offset:720
	v_fmac_f64_e32 v[142:143], v[150:151], v[40:41]
	v_add_f64 v[160:161], v[140:141], v[142:143]
	scratch_load_dwordx4 v[140:143], off, off offset:736
	ds_read_b128 v[152:155], v2 offset:1232
	ds_read_b128 v[156:159], v2 offset:1248
	v_mul_f64 v[170:171], v[234:235], v[170:171]
	v_fma_f64 v[244:245], v[232:233], v[168:169], -v[170:171]
	ds_read_b128 v[168:171], v2 offset:1296
	s_waitcnt vmcnt(16) lgkmcnt(2)
	v_mul_f64 v[162:163], v[152:153], v[50:51]
	v_fmac_f64_e32 v[162:163], v[154:155], v[48:49]
	s_waitcnt vmcnt(15) lgkmcnt(1)
	v_mul_f64 v[166:167], v[156:157], v[78:79]
	v_add_f64 v[164:165], v[160:161], v[162:163]
	ds_read_b128 v[160:163], v2 offset:1264
	v_fmac_f64_e32 v[166:167], v[158:159], v[76:77]
	v_add_f64 v[240:241], v[164:165], v[166:167]
	ds_read_b128 v[164:167], v2 offset:1280
	v_mul_f64 v[174:175], v[178:179], v[174:175]
	s_waitcnt vmcnt(14) lgkmcnt(1)
	v_mul_f64 v[242:243], v[160:161], v[86:87]
	v_fmac_f64_e32 v[242:243], v[162:163], v[84:85]
	v_add_f64 v[240:241], v[240:241], v[242:243]
	s_waitcnt vmcnt(13) lgkmcnt(0)
	v_mul_f64 v[232:233], v[164:165], v[90:91]
	v_fmac_f64_e32 v[232:233], v[166:167], v[88:89]
	v_fma_f64 v[246:247], v[176:177], v[172:173], -v[174:175]
	ds_read_b128 v[172:175], v2 offset:1312
	s_waitcnt vmcnt(12)
	v_mul_f64 v[176:177], v[168:169], v[94:95]
	v_add_f64 v[232:233], v[240:241], v[232:233]
	v_fmac_f64_e32 v[176:177], v[170:171], v[92:93]
	v_add_f64 v[232:233], v[232:233], v[176:177]
	ds_read_b128 v[176:179], v2 offset:1328
	v_mul_f64 v[182:183], v[238:239], v[182:183]
	v_fma_f64 v[236:237], v[236:237], v[180:181], -v[182:183]
	ds_read_b128 v[180:183], v2 offset:1344
	s_waitcnt vmcnt(11) lgkmcnt(2)
	v_mul_f64 v[234:235], v[172:173], v[98:99]
	v_fmac_f64_e32 v[234:235], v[174:175], v[96:97]
	v_add_f64 v[232:233], v[232:233], v[234:235]
	s_waitcnt vmcnt(10) lgkmcnt(1)
	v_mul_f64 v[234:235], v[176:177], v[102:103]
	v_fmac_f64_e32 v[234:235], v[178:179], v[100:101]
	v_mul_f64 v[186:187], v[190:191], v[186:187]
	s_waitcnt vmcnt(9) lgkmcnt(0)
	v_mul_f64 v[190:191], v[180:181], v[106:107]
	v_fma_f64 v[238:239], v[188:189], v[184:185], -v[186:187]
	ds_read_b128 v[184:187], v2 offset:1360
	v_add_f64 v[188:189], v[232:233], v[234:235]
	v_fmac_f64_e32 v[190:191], v[182:183], v[104:105]
	v_add_f64 v[232:233], v[188:189], v[190:191]
	ds_read_b128 v[188:191], v2 offset:1376
	v_mul_f64 v[194:195], v[230:231], v[194:195]
	v_fma_f64 v[248:249], v[228:229], v[192:193], -v[194:195]
	ds_read_b128 v[192:195], v2 offset:1392
	s_waitcnt vmcnt(8) lgkmcnt(2)
	v_mul_f64 v[234:235], v[184:185], v[110:111]
	v_fmac_f64_e32 v[234:235], v[186:187], v[108:109]
	s_waitcnt vmcnt(7) lgkmcnt(1)
	v_mul_f64 v[228:229], v[188:189], v[114:115]
	v_mul_f64 v[198:199], v[202:203], v[198:199]
	v_add_f64 v[232:233], v[232:233], v[234:235]
	v_fmac_f64_e32 v[228:229], v[190:191], v[112:113]
	v_fma_f64 v[250:251], v[200:201], v[196:197], -v[198:199]
	ds_read_b128 v[196:199], v2 offset:1408
	s_waitcnt vmcnt(6) lgkmcnt(1)
	v_mul_f64 v[200:201], v[192:193], v[118:119]
	v_add_f64 v[228:229], v[232:233], v[228:229]
	v_fmac_f64_e32 v[200:201], v[194:195], v[116:117]
	v_add_f64 v[228:229], v[228:229], v[200:201]
	ds_read_b128 v[200:203], v2 offset:1424
	v_mul_f64 v[206:207], v[214:215], v[206:207]
	v_add_f64 v[244:245], v[244:245], 0
	v_fma_f64 v[252:253], v[212:213], v[204:205], -v[206:207]
	ds_read_b128 v[204:207], v2 offset:1440
	v_add_f64 v[244:245], v[244:245], v[246:247]
	v_add_f64 v[236:237], v[244:245], v[236:237]
	;; [unrolled: 1-line block ×3, first 2 shown]
	s_waitcnt vmcnt(5) lgkmcnt(2)
	v_mul_f64 v[230:231], v[196:197], v[126:127]
	v_add_f64 v[236:237], v[236:237], v[248:249]
	v_fmac_f64_e32 v[230:231], v[198:199], v[124:125]
	s_waitcnt vmcnt(4) lgkmcnt(1)
	v_mul_f64 v[212:213], v[200:201], v[122:123]
	v_add_f64 v[236:237], v[236:237], v[250:251]
	v_add_f64 v[228:229], v[228:229], v[230:231]
	v_fmac_f64_e32 v[212:213], v[202:203], v[120:121]
	v_mul_f64 v[210:211], v[226:227], v[210:211]
	v_add_f64 v[244:245], v[236:237], v[252:253]
	scratch_load_dwordx4 v[236:239], off, off offset:160
	s_waitcnt vmcnt(4) lgkmcnt(0)
	v_mul_f64 v[214:215], v[204:205], v[130:131]
	v_fma_f64 v[240:241], v[224:225], v[208:209], -v[210:211]
	ds_read_b128 v[208:211], v2 offset:1456
	v_add_f64 v[212:213], v[228:229], v[212:213]
	v_fmac_f64_e32 v[214:215], v[206:207], v[128:129]
	v_add_f64 v[224:225], v[212:213], v[214:215]
	ds_read_b128 v[212:215], v2 offset:1472
	v_mul_f64 v[218:219], v[222:223], v[218:219]
	v_fma_f64 v[242:243], v[220:221], v[216:217], -v[218:219]
	ds_read_b128 v[216:219], v2 offset:1488
	s_waitcnt vmcnt(3) lgkmcnt(2)
	v_mul_f64 v[220:221], v[208:209], v[134:135]
	v_fmac_f64_e32 v[220:221], v[210:211], v[132:133]
	s_waitcnt vmcnt(2) lgkmcnt(1)
	v_mul_f64 v[222:223], v[212:213], v[138:139]
	v_add_f64 v[220:221], v[224:225], v[220:221]
	v_fmac_f64_e32 v[222:223], v[214:215], v[136:137]
	v_add_f64 v[220:221], v[220:221], v[222:223]
	ds_read_b128 v[224:227], v2 offset:1504
	scratch_load_dwordx4 v[232:235], off, off offset:768
	s_waitcnt vmcnt(2) lgkmcnt(1)
	v_mul_f64 v[222:223], v[216:217], v[142:143]
	v_fmac_f64_e32 v[222:223], v[218:219], v[140:141]
	v_add_f64 v[228:229], v[220:221], v[222:223]
	scratch_load_dwordx4 v[220:223], off, off offset:752
	v_add_f64 v[240:241], v[244:245], v[240:241]
	v_mul_f64 v[6:7], v[46:47], v[6:7]
	v_add_f64 v[240:241], v[240:241], v[242:243]
	v_fma_f64 v[4:5], v[44:45], v[4:5], -v[6:7]
	v_mul_f64 v[6:7], v[66:67], v[10:11]
	v_add_f64 v[4:5], v[240:241], v[4:5]
	v_fma_f64 v[6:7], v[64:65], v[8:9], -v[6:7]
	v_add_f64 v[4:5], v[4:5], v[6:7]
	v_mul_f64 v[6:7], v[62:63], v[14:15]
	v_fma_f64 v[6:7], v[60:61], v[12:13], -v[6:7]
	v_add_f64 v[4:5], v[4:5], v[6:7]
	v_mul_f64 v[6:7], v[58:59], v[18:19]
	;; [unrolled: 3-line block ×24, first 2 shown]
	v_fma_f64 v[6:7], v[212:213], v[136:137], -v[6:7]
	s_waitcnt vmcnt(0) lgkmcnt(0)
	v_mul_f64 v[230:231], v[224:225], v[222:223]
	v_fmac_f64_e32 v[230:231], v[226:227], v[220:221]
	v_add_f64 v[254:255], v[228:229], v[230:231]
	ds_read_b128 v[228:231], v2 offset:1520
	v_add_f64 v[4:5], v[4:5], v[6:7]
	v_mul_f64 v[6:7], v[218:219], v[142:143]
	v_fma_f64 v[6:7], v[216:217], v[140:141], -v[6:7]
	v_add_f64 v[4:5], v[4:5], v[6:7]
	v_mul_f64 v[6:7], v[226:227], v[222:223]
	v_fma_f64 v[6:7], v[224:225], v[220:221], -v[6:7]
	s_waitcnt lgkmcnt(0)
	v_mul_f64 v[2:3], v[228:229], v[234:235]
	v_add_f64 v[4:5], v[4:5], v[6:7]
	v_mul_f64 v[6:7], v[230:231], v[234:235]
	v_fmac_f64_e32 v[2:3], v[230:231], v[232:233]
	v_fma_f64 v[6:7], v[228:229], v[232:233], -v[6:7]
	v_add_f64 v[2:3], v[254:255], v[2:3]
	v_add_f64 v[4:5], v[4:5], v[6:7]
	v_add_f64 v[4:5], v[236:237], -v[4:5]
	v_add_f64 v[6:7], v[238:239], -v[2:3]
	scratch_store_dwordx4 off, v[4:7], off offset:160
	s_and_saveexec_b64 s[0:1], vcc
	s_cbranch_execz .LBB47_285
; %bb.284:
	scratch_load_dwordx4 v[2:5], off, s31
	v_mov_b32_e32 v6, 0
	v_mov_b32_e32 v7, v6
	;; [unrolled: 1-line block ×4, first 2 shown]
	v_accvgpr_read_b32 v0, a97
	scratch_store_dwordx4 off, v[6:9], off offset:144
	s_waitcnt vmcnt(1)
	ds_write_b128 v0, v[2:5]
.LBB47_285:
	s_or_b64 exec, exec, s[0:1]
	s_waitcnt lgkmcnt(0)
	; wave barrier
	scratch_load_dwordx4 v[80:83], off, off offset:160
	scratch_load_dwordx4 v[84:87], off, off offset:176
	;; [unrolled: 1-line block ×31, first 2 shown]
	v_mov_b32_e32 v2, 0
	ds_read_b128 v[196:199], v2 offset:912
	ds_read_b128 v[200:203], v2 offset:928
	;; [unrolled: 1-line block ×20, first 2 shown]
	s_waitcnt vmcnt(30) lgkmcnt(14)
	v_mul_f64 v[140:141], v[196:197], v[82:83]
	s_waitcnt vmcnt(29)
	v_mul_f64 v[142:143], v[200:201], v[86:87]
	v_fmac_f64_e32 v[140:141], v[198:199], v[80:81]
	s_waitcnt vmcnt(28)
	v_mul_f64 v[152:153], v[204:205], v[90:91]
	v_fmac_f64_e32 v[142:143], v[202:203], v[84:85]
	v_add_f64 v[140:141], v[140:141], 0
	s_waitcnt vmcnt(27)
	v_mul_f64 v[154:155], v[208:209], v[94:95]
	v_fmac_f64_e32 v[152:153], v[206:207], v[88:89]
	v_add_f64 v[140:141], v[140:141], v[142:143]
	;; [unrolled: 4-line block ×4, first 2 shown]
	s_waitcnt vmcnt(24) lgkmcnt(13)
	v_mul_f64 v[164:165], v[220:221], v[106:107]
	v_fmac_f64_e32 v[162:163], v[218:219], v[100:101]
	v_add_f64 v[140:141], v[140:141], v[160:161]
	s_waitcnt vmcnt(23) lgkmcnt(12)
	v_mul_f64 v[166:167], v[224:225], v[110:111]
	v_fmac_f64_e32 v[164:165], v[222:223], v[104:105]
	v_add_f64 v[140:141], v[140:141], v[162:163]
	;; [unrolled: 4-line block ×8, first 2 shown]
	v_fmac_f64_e32 v[178:179], v[146:147], v[12:13]
	v_add_f64 v[140:141], v[140:141], v[176:177]
	v_add_f64 v[140:141], v[140:141], v[178:179]
	ds_read_b128 v[176:179], v2 offset:1184
	s_waitcnt vmcnt(16) lgkmcnt(6)
	v_mul_f64 v[180:181], v[136:137], v[18:19]
	s_waitcnt vmcnt(15) lgkmcnt(5)
	v_mul_f64 v[182:183], v[132:133], v[22:23]
	v_fmac_f64_e32 v[180:181], v[138:139], v[16:17]
	v_add_f64 v[152:153], v[140:141], v[180:181]
	v_fmac_f64_e32 v[182:183], v[134:135], v[20:21]
	scratch_load_dwordx4 v[140:143], off, off offset:656
	s_waitcnt vmcnt(15) lgkmcnt(4)
	v_mul_f64 v[154:155], v[128:129], v[26:27]
	v_add_f64 v[152:153], v[152:153], v[182:183]
	v_fmac_f64_e32 v[154:155], v[130:131], v[24:25]
	v_add_f64 v[160:161], v[152:153], v[154:155]
	ds_read_b128 v[180:183], v2 offset:1200
	s_waitcnt vmcnt(14) lgkmcnt(1)
	v_mul_f64 v[162:163], v[176:177], v[30:31]
	scratch_load_dwordx4 v[152:155], off, off offset:672
	v_fmac_f64_e32 v[162:163], v[178:179], v[28:29]
	v_add_f64 v[164:165], v[160:161], v[162:163]
	scratch_load_dwordx4 v[160:163], off, off offset:688
	s_waitcnt vmcnt(15) lgkmcnt(0)
	v_mul_f64 v[166:167], v[180:181], v[34:35]
	v_fmac_f64_e32 v[166:167], v[182:183], v[32:33]
	v_add_f64 v[168:169], v[164:165], v[166:167]
	s_waitcnt vmcnt(14)
	v_mul_f64 v[170:171], v[184:185], v[38:39]
	scratch_load_dwordx4 v[164:167], off, off offset:704
	v_fmac_f64_e32 v[170:171], v[186:187], v[36:37]
	v_add_f64 v[168:169], v[168:169], v[170:171]
	s_waitcnt vmcnt(14)
	v_mul_f64 v[170:171], v[188:189], v[42:43]
	scratch_load_dwordx4 v[172:175], off, off offset:720
	v_fmac_f64_e32 v[170:171], v[190:191], v[40:41]
	v_add_f64 v[232:233], v[168:169], v[170:171]
	scratch_load_dwordx4 v[168:171], off, off offset:736
	v_mul_f64 v[82:83], v[198:199], v[82:83]
	v_fma_f64 v[246:247], v[196:197], v[80:81], -v[82:83]
	ds_read_b128 v[196:199], v2 offset:1264
	s_waitcnt vmcnt(15)
	v_mul_f64 v[80:81], v[192:193], v[46:47]
	v_fmac_f64_e32 v[80:81], v[194:195], v[44:45]
	v_add_f64 v[232:233], v[232:233], v[80:81]
	v_mul_f64 v[80:81], v[202:203], v[86:87]
	v_fma_f64 v[248:249], v[200:201], v[84:85], -v[80:81]
	scratch_load_dwordx4 v[80:83], off, off offset:752
	ds_read_b128 v[84:87], v2 offset:1280
	v_mul_f64 v[90:91], v[206:207], v[90:91]
	v_fma_f64 v[250:251], v[204:205], v[88:89], -v[90:91]
	ds_read_b128 v[88:91], v2 offset:1296
	s_waitcnt vmcnt(15) lgkmcnt(2)
	v_mul_f64 v[200:201], v[196:197], v[50:51]
	v_fmac_f64_e32 v[200:201], v[198:199], v[48:49]
	s_waitcnt vmcnt(14) lgkmcnt(1)
	v_mul_f64 v[202:203], v[84:85], v[54:55]
	v_add_f64 v[200:201], v[232:233], v[200:201]
	v_fmac_f64_e32 v[202:203], v[86:87], v[52:53]
	v_mul_f64 v[94:95], v[210:211], v[94:95]
	v_fma_f64 v[252:253], v[208:209], v[92:93], -v[94:95]
	ds_read_b128 v[92:95], v2 offset:1312
	v_add_f64 v[200:201], v[200:201], v[202:203]
	s_waitcnt vmcnt(13) lgkmcnt(1)
	v_mul_f64 v[202:203], v[88:89], v[58:59]
	v_fmac_f64_e32 v[202:203], v[90:91], v[56:57]
	v_add_f64 v[204:205], v[200:201], v[202:203]
	ds_read_b128 v[200:203], v2 offset:1328
	v_mul_f64 v[98:99], v[214:215], v[98:99]
	v_fma_f64 v[254:255], v[212:213], v[96:97], -v[98:99]
	ds_read_b128 v[96:99], v2 offset:1344
	s_waitcnt vmcnt(12) lgkmcnt(2)
	v_mul_f64 v[206:207], v[92:93], v[62:63]
	v_fmac_f64_e32 v[206:207], v[94:95], v[60:61]
	v_add_f64 v[204:205], v[204:205], v[206:207]
	s_waitcnt vmcnt(11) lgkmcnt(1)
	v_mul_f64 v[206:207], v[200:201], v[66:67]
	v_fmac_f64_e32 v[206:207], v[202:203], v[64:65]
	v_mul_f64 v[102:103], v[218:219], v[102:103]
	v_add_f64 v[204:205], v[204:205], v[206:207]
	v_fma_f64 v[232:233], v[216:217], v[100:101], -v[102:103]
	ds_read_b128 v[100:103], v2 offset:1360
	s_waitcnt vmcnt(10) lgkmcnt(1)
	v_mul_f64 v[206:207], v[96:97], v[70:71]
	v_fmac_f64_e32 v[206:207], v[98:99], v[68:69]
	v_add_f64 v[208:209], v[204:205], v[206:207]
	ds_read_b128 v[204:207], v2 offset:1376
	v_mul_f64 v[106:107], v[222:223], v[106:107]
	v_fma_f64 v[0:1], v[220:221], v[104:105], -v[106:107]
	ds_read_b128 v[104:107], v2 offset:1392
	s_waitcnt vmcnt(9) lgkmcnt(2)
	v_mul_f64 v[210:211], v[100:101], v[74:75]
	v_fmac_f64_e32 v[210:211], v[102:103], v[72:73]
	v_add_f64 v[208:209], v[208:209], v[210:211]
	s_waitcnt vmcnt(8) lgkmcnt(1)
	v_mul_f64 v[210:211], v[204:205], v[78:79]
	v_fmac_f64_e32 v[210:211], v[206:207], v[76:77]
	v_mul_f64 v[110:111], v[226:227], v[110:111]
	v_fma_f64 v[234:235], v[224:225], v[108:109], -v[110:111]
	ds_read_b128 v[108:111], v2 offset:1408
	v_add_f64 v[208:209], v[208:209], v[210:211]
	s_waitcnt vmcnt(7) lgkmcnt(1)
	v_mul_f64 v[210:211], v[104:105], v[126:127]
	v_fmac_f64_e32 v[210:211], v[106:107], v[124:125]
	v_add_f64 v[212:213], v[208:209], v[210:211]
	ds_read_b128 v[208:211], v2 offset:1424
	v_mul_f64 v[114:115], v[230:231], v[114:115]
	v_fma_f64 v[236:237], v[228:229], v[112:113], -v[114:115]
	ds_read_b128 v[112:115], v2 offset:1440
	s_waitcnt vmcnt(6) lgkmcnt(2)
	v_mul_f64 v[214:215], v[108:109], v[142:143]
	v_fmac_f64_e32 v[214:215], v[110:111], v[140:141]
	v_add_f64 v[212:213], v[212:213], v[214:215]
	s_waitcnt vmcnt(5) lgkmcnt(1)
	v_mul_f64 v[214:215], v[208:209], v[154:155]
	v_fmac_f64_e32 v[214:215], v[210:211], v[152:153]
	v_mul_f64 v[118:119], v[240:241], v[118:119]
	v_add_f64 v[212:213], v[212:213], v[214:215]
	v_fma_f64 v[238:239], v[238:239], v[116:117], -v[118:119]
	ds_read_b128 v[116:119], v2 offset:1456
	s_waitcnt vmcnt(4) lgkmcnt(1)
	v_mul_f64 v[214:215], v[112:113], v[162:163]
	v_fmac_f64_e32 v[214:215], v[114:115], v[160:161]
	v_add_f64 v[216:217], v[212:213], v[214:215]
	ds_read_b128 v[212:215], v2 offset:1472
	v_mul_f64 v[122:123], v[244:245], v[122:123]
	v_fma_f64 v[240:241], v[242:243], v[120:121], -v[122:123]
	ds_read_b128 v[120:123], v2 offset:1488
	s_waitcnt vmcnt(3) lgkmcnt(2)
	v_mul_f64 v[218:219], v[116:117], v[166:167]
	v_fmac_f64_e32 v[218:219], v[118:119], v[164:165]
	v_add_f64 v[216:217], v[216:217], v[218:219]
	s_waitcnt vmcnt(2) lgkmcnt(1)
	v_mul_f64 v[218:219], v[212:213], v[174:175]
	v_fmac_f64_e32 v[218:219], v[214:215], v[172:173]
	v_add_f64 v[216:217], v[216:217], v[218:219]
	;; [unrolled: 4-line block ×3, first 2 shown]
	ds_read_b128 v[216:219], v2 offset:1504
	ds_read_b128 v[224:227], v2 offset:1520
	v_mul_f64 v[6:7], v[158:159], v[6:7]
	v_fma_f64 v[4:5], v[156:157], v[4:5], -v[6:7]
	s_waitcnt vmcnt(0) lgkmcnt(1)
	v_mul_f64 v[222:223], v[216:217], v[82:83]
	v_fmac_f64_e32 v[222:223], v[218:219], v[80:81]
	v_add_f64 v[228:229], v[220:221], v[222:223]
	scratch_load_dwordx4 v[220:223], off, off offset:768
	s_waitcnt vmcnt(0) lgkmcnt(0)
	v_mul_f64 v[230:231], v[224:225], v[222:223]
	v_fmac_f64_e32 v[230:231], v[226:227], v[220:221]
	v_add_f64 v[244:245], v[228:229], v[230:231]
	v_add_f64 v[228:229], v[246:247], 0
	;; [unrolled: 1-line block ×8, first 2 shown]
	scratch_load_dwordx4 v[228:231], off, off offset:144
	v_add_f64 v[0:1], v[242:243], v[234:235]
	v_add_f64 v[0:1], v[0:1], v[236:237]
	;; [unrolled: 1-line block ×5, first 2 shown]
	v_mul_f64 v[4:5], v[150:151], v[10:11]
	v_fma_f64 v[4:5], v[148:149], v[8:9], -v[4:5]
	v_add_f64 v[0:1], v[0:1], v[4:5]
	v_mul_f64 v[4:5], v[146:147], v[14:15]
	v_fma_f64 v[4:5], v[144:145], v[12:13], -v[4:5]
	v_add_f64 v[0:1], v[0:1], v[4:5]
	;; [unrolled: 3-line block ×27, first 2 shown]
	s_waitcnt vmcnt(0)
	v_add_f64 v[4:5], v[228:229], -v[0:1]
	v_accvgpr_read_b32 v0, a96
	v_add_f64 v[6:7], v[230:231], -v[244:245]
	v_cmp_lt_u32_e32 vcc, 7, v0
	scratch_store_dwordx4 off, v[4:7], off offset:144
	s_and_saveexec_b64 s[0:1], vcc
	s_cbranch_execz .LBB47_287
; %bb.286:
	scratch_load_dwordx4 v[6:9], off, s63
	v_mov_b32_e32 v3, v2
	v_mov_b32_e32 v4, v2
	;; [unrolled: 1-line block ×3, first 2 shown]
	v_accvgpr_read_b32 v0, a97
	scratch_store_dwordx4 off, v[2:5], off offset:128
	s_waitcnt vmcnt(1)
	ds_write_b128 v0, v[6:9]
.LBB47_287:
	s_or_b64 exec, exec, s[0:1]
	s_waitcnt lgkmcnt(0)
	; wave barrier
	scratch_load_dwordx4 v[132:135], off, off offset:144
	scratch_load_dwordx4 v[160:163], off, off offset:160
	;; [unrolled: 1-line block ×16, first 2 shown]
	ds_read_b128 v[156:159], v2 offset:896
	ds_read_b128 v[172:175], v2 offset:912
	scratch_load_dwordx4 v[24:27], off, off offset:400
	ds_read_b128 v[232:235], v2 offset:928
	ds_read_b128 v[228:231], v2 offset:944
	scratch_load_dwordx4 v[28:31], off, off offset:416
	ds_read_b128 v[236:239], v2 offset:960
	ds_read_b128 v[184:187], v2 offset:976
	;; [unrolled: 1-line block ×5, first 2 shown]
	scratch_load_dwordx4 v[32:35], off, off offset:432
	ds_read_b128 v[220:223], v2 offset:1040
	ds_read_b128 v[216:219], v2 offset:1056
	;; [unrolled: 1-line block ×3, first 2 shown]
	scratch_load_dwordx4 v[36:39], off, off offset:448
	ds_read_b128 v[64:67], v2 offset:1088
	ds_read_b128 v[60:63], v2 offset:1104
	;; [unrolled: 1-line block ×5, first 2 shown]
	scratch_load_dwordx4 v[52:55], off, off offset:464
	scratch_load_dwordx4 v[68:71], off, off offset:480
	;; [unrolled: 1-line block ×11, first 2 shown]
	ds_read_b128 v[144:147], v2 offset:1200
	ds_read_b128 v[148:151], v2 offset:1216
	ds_read_b128 v[152:155], v2 offset:1232
	s_waitcnt vmcnt(30) lgkmcnt(14)
	v_mul_f64 v[0:1], v[156:157], v[134:135]
	s_waitcnt vmcnt(29)
	v_mul_f64 v[108:109], v[172:173], v[162:163]
	v_fmac_f64_e32 v[0:1], v[158:159], v[132:133]
	s_waitcnt vmcnt(28)
	v_mul_f64 v[110:111], v[232:233], v[166:167]
	v_fmac_f64_e32 v[108:109], v[174:175], v[160:161]
	v_add_f64 v[0:1], v[0:1], 0
	s_waitcnt vmcnt(27)
	v_mul_f64 v[112:113], v[228:229], v[170:171]
	v_fmac_f64_e32 v[110:111], v[234:235], v[164:165]
	v_add_f64 v[0:1], v[0:1], v[108:109]
	;; [unrolled: 4-line block ×4, first 2 shown]
	s_waitcnt vmcnt(24) lgkmcnt(13)
	v_mul_f64 v[118:119], v[224:225], v[190:191]
	v_fmac_f64_e32 v[116:117], v[186:187], v[180:181]
	v_add_f64 v[0:1], v[0:1], v[114:115]
	s_waitcnt vmcnt(23) lgkmcnt(12)
	v_mul_f64 v[120:121], v[196:197], v[194:195]
	v_fmac_f64_e32 v[118:119], v[226:227], v[188:189]
	v_add_f64 v[0:1], v[0:1], v[116:117]
	;; [unrolled: 4-line block ×9, first 2 shown]
	v_fmac_f64_e32 v[138:139], v[58:59], v[16:17]
	v_add_f64 v[0:1], v[0:1], v[136:137]
	v_add_f64 v[0:1], v[0:1], v[138:139]
	ds_read_b128 v[136:139], v2 offset:1168
	s_waitcnt vmcnt(15) lgkmcnt(5)
	v_mul_f64 v[140:141], v[48:49], v[22:23]
	v_fmac_f64_e32 v[140:141], v[50:51], v[20:21]
	s_waitcnt vmcnt(14) lgkmcnt(4)
	v_mul_f64 v[112:113], v[44:45], v[26:27]
	scratch_load_dwordx4 v[108:111], off, off offset:640
	v_add_f64 v[0:1], v[0:1], v[140:141]
	v_fmac_f64_e32 v[112:113], v[46:47], v[24:25]
	v_add_f64 v[0:1], v[0:1], v[112:113]
	scratch_load_dwordx4 v[112:115], off, off offset:656
	ds_read_b128 v[140:143], v2 offset:1184
	s_waitcnt vmcnt(15) lgkmcnt(1)
	v_mul_f64 v[116:117], v[136:137], v[30:31]
	v_fmac_f64_e32 v[116:117], v[138:139], v[28:29]
	v_add_f64 v[0:1], v[0:1], v[116:117]
	scratch_load_dwordx4 v[116:119], off, off offset:672
	s_waitcnt vmcnt(15) lgkmcnt(0)
	v_mul_f64 v[120:121], v[140:141], v[34:35]
	v_fmac_f64_e32 v[120:121], v[142:143], v[32:33]
	s_waitcnt vmcnt(14)
	v_mul_f64 v[124:125], v[144:145], v[38:39]
	v_add_f64 v[0:1], v[0:1], v[120:121]
	scratch_load_dwordx4 v[120:123], off, off offset:688
	v_fmac_f64_e32 v[124:125], v[146:147], v[36:37]
	v_add_f64 v[0:1], v[0:1], v[124:125]
	s_waitcnt vmcnt(14)
	v_mul_f64 v[124:125], v[148:149], v[54:55]
	scratch_load_dwordx4 v[128:131], off, off offset:704
	v_fmac_f64_e32 v[124:125], v[150:151], v[52:53]
	v_add_f64 v[0:1], v[0:1], v[124:125]
	scratch_load_dwordx4 v[124:127], off, off offset:720
	v_mul_f64 v[134:135], v[158:159], v[134:135]
	v_fma_f64 v[244:245], v[156:157], v[132:133], -v[134:135]
	ds_read_b128 v[156:159], v2 offset:1248
	s_waitcnt vmcnt(15)
	v_mul_f64 v[132:133], v[152:153], v[70:71]
	v_fmac_f64_e32 v[132:133], v[154:155], v[68:69]
	v_add_f64 v[0:1], v[0:1], v[132:133]
	v_mul_f64 v[132:133], v[174:175], v[162:163]
	v_fma_f64 v[246:247], v[172:173], v[160:161], -v[132:133]
	scratch_load_dwordx4 v[132:135], off, off offset:736
	ds_read_b128 v[160:163], v2 offset:1264
	v_mul_f64 v[166:167], v[234:235], v[166:167]
	v_fma_f64 v[248:249], v[232:233], v[164:165], -v[166:167]
	ds_read_b128 v[164:167], v2 offset:1280
	s_waitcnt vmcnt(15) lgkmcnt(2)
	v_mul_f64 v[172:173], v[156:157], v[74:75]
	v_fmac_f64_e32 v[172:173], v[158:159], v[72:73]
	v_add_f64 v[0:1], v[0:1], v[172:173]
	s_waitcnt vmcnt(14) lgkmcnt(1)
	v_mul_f64 v[172:173], v[160:161], v[78:79]
	v_fmac_f64_e32 v[172:173], v[162:163], v[76:77]
	v_mul_f64 v[170:171], v[230:231], v[170:171]
	v_fma_f64 v[250:251], v[228:229], v[168:169], -v[170:171]
	ds_read_b128 v[168:171], v2 offset:1296
	v_add_f64 v[0:1], v[0:1], v[172:173]
	s_waitcnt vmcnt(13) lgkmcnt(1)
	v_mul_f64 v[172:173], v[164:165], v[82:83]
	v_fmac_f64_e32 v[172:173], v[166:167], v[80:81]
	v_add_f64 v[0:1], v[0:1], v[172:173]
	ds_read_b128 v[172:175], v2 offset:1312
	v_mul_f64 v[178:179], v[238:239], v[178:179]
	v_fma_f64 v[236:237], v[236:237], v[176:177], -v[178:179]
	ds_read_b128 v[176:179], v2 offset:1328
	s_waitcnt vmcnt(12) lgkmcnt(2)
	v_mul_f64 v[228:229], v[168:169], v[86:87]
	v_fmac_f64_e32 v[228:229], v[170:171], v[84:85]
	v_add_f64 v[0:1], v[0:1], v[228:229]
	s_waitcnt vmcnt(11) lgkmcnt(1)
	v_mul_f64 v[228:229], v[172:173], v[90:91]
	v_mul_f64 v[182:183], v[186:187], v[182:183]
	v_fmac_f64_e32 v[228:229], v[174:175], v[88:89]
	v_fma_f64 v[238:239], v[184:185], v[180:181], -v[182:183]
	ds_read_b128 v[180:183], v2 offset:1344
	s_waitcnt vmcnt(10) lgkmcnt(1)
	v_mul_f64 v[184:185], v[176:177], v[94:95]
	v_add_f64 v[0:1], v[0:1], v[228:229]
	v_fmac_f64_e32 v[184:185], v[178:179], v[92:93]
	v_add_f64 v[0:1], v[0:1], v[184:185]
	ds_read_b128 v[184:187], v2 offset:1360
	v_mul_f64 v[190:191], v[226:227], v[190:191]
	v_fma_f64 v[252:253], v[224:225], v[188:189], -v[190:191]
	ds_read_b128 v[188:191], v2 offset:1376
	s_waitcnt vmcnt(9) lgkmcnt(2)
	v_mul_f64 v[228:229], v[180:181], v[98:99]
	v_fmac_f64_e32 v[228:229], v[182:183], v[96:97]
	s_waitcnt vmcnt(8) lgkmcnt(1)
	v_mul_f64 v[224:225], v[184:185], v[102:103]
	v_mul_f64 v[194:195], v[198:199], v[194:195]
	v_add_f64 v[0:1], v[0:1], v[228:229]
	v_fmac_f64_e32 v[224:225], v[186:187], v[100:101]
	v_fma_f64 v[254:255], v[196:197], v[192:193], -v[194:195]
	s_waitcnt vmcnt(7) lgkmcnt(0)
	v_mul_f64 v[196:197], v[188:189], v[106:107]
	ds_read_b128 v[192:195], v2 offset:1392
	v_add_f64 v[0:1], v[0:1], v[224:225]
	v_fmac_f64_e32 v[196:197], v[190:191], v[104:105]
	v_add_f64 v[0:1], v[0:1], v[196:197]
	ds_read_b128 v[196:199], v2 offset:1408
	v_mul_f64 v[202:203], v[210:211], v[202:203]
	v_fma_f64 v[240:241], v[208:209], v[200:201], -v[202:203]
	ds_read_b128 v[200:203], v2 offset:1424
	s_waitcnt vmcnt(6) lgkmcnt(2)
	v_mul_f64 v[224:225], v[192:193], v[110:111]
	v_fmac_f64_e32 v[224:225], v[194:195], v[108:109]
	s_waitcnt vmcnt(5) lgkmcnt(1)
	v_mul_f64 v[208:209], v[196:197], v[114:115]
	v_add_f64 v[0:1], v[0:1], v[224:225]
	v_fmac_f64_e32 v[208:209], v[198:199], v[112:113]
	v_add_f64 v[208:209], v[0:1], v[208:209]
	v_mul_f64 v[0:1], v[222:223], v[206:207]
	v_fma_f64 v[0:1], v[220:221], v[204:205], -v[0:1]
	ds_read_b128 v[204:207], v2 offset:1440
	s_waitcnt vmcnt(4) lgkmcnt(1)
	v_mul_f64 v[210:211], v[200:201], v[118:119]
	v_fmac_f64_e32 v[210:211], v[202:203], v[116:117]
	v_add_f64 v[220:221], v[208:209], v[210:211]
	ds_read_b128 v[208:211], v2 offset:1456
	v_mul_f64 v[214:215], v[218:219], v[214:215]
	v_fma_f64 v[242:243], v[216:217], v[212:213], -v[214:215]
	ds_read_b128 v[212:215], v2 offset:1472
	s_waitcnt vmcnt(3) lgkmcnt(2)
	v_mul_f64 v[216:217], v[204:205], v[122:123]
	v_fmac_f64_e32 v[216:217], v[206:207], v[120:121]
	s_waitcnt vmcnt(2) lgkmcnt(1)
	v_mul_f64 v[218:219], v[208:209], v[130:131]
	v_add_f64 v[216:217], v[220:221], v[216:217]
	v_fmac_f64_e32 v[218:219], v[210:211], v[128:129]
	v_add_f64 v[216:217], v[216:217], v[218:219]
	s_waitcnt vmcnt(1) lgkmcnt(0)
	v_mul_f64 v[218:219], v[212:213], v[126:127]
	v_fmac_f64_e32 v[218:219], v[214:215], v[124:125]
	v_add_f64 v[220:221], v[216:217], v[218:219]
	ds_read_b128 v[216:219], v2 offset:1488
	ds_read_b128 v[224:227], v2 offset:1504
	scratch_load_dwordx4 v[232:235], off, off offset:768
	v_accvgpr_write_b32 a99, v1
	v_accvgpr_write_b32 a98, v0
	s_waitcnt vmcnt(1) lgkmcnt(1)
	v_mul_f64 v[222:223], v[216:217], v[134:135]
	v_fmac_f64_e32 v[222:223], v[218:219], v[132:133]
	v_add_f64 v[228:229], v[220:221], v[222:223]
	scratch_load_dwordx4 v[220:223], off, off offset:752
	v_mul_f64 v[6:7], v[42:43], v[6:7]
	v_fma_f64 v[4:5], v[40:41], v[4:5], -v[6:7]
	s_waitcnt vmcnt(0) lgkmcnt(0)
	v_mul_f64 v[230:231], v[224:225], v[222:223]
	v_fmac_f64_e32 v[230:231], v[226:227], v[220:221]
	v_add_f64 v[0:1], v[228:229], v[230:231]
	ds_read_b128 v[228:231], v2 offset:1520
	s_waitcnt lgkmcnt(0)
	v_mul_f64 v[2:3], v[228:229], v[234:235]
	v_fmac_f64_e32 v[2:3], v[230:231], v[232:233]
	v_add_f64 v[2:3], v[0:1], v[2:3]
	v_add_f64 v[0:1], v[244:245], 0
	;; [unrolled: 1-line block ×7, first 2 shown]
	scratch_load_dwordx4 v[236:239], off, off offset:128
	v_add_f64 v[0:1], v[0:1], v[252:253]
	v_add_f64 v[0:1], v[0:1], v[254:255]
	;; [unrolled: 1-line block ×3, first 2 shown]
	v_accvgpr_read_b32 v0, a98
	v_accvgpr_read_b32 v1, a99
	v_add_f64 v[0:1], v[244:245], v[0:1]
	v_add_f64 v[0:1], v[0:1], v[242:243]
	;; [unrolled: 1-line block ×3, first 2 shown]
	v_mul_f64 v[4:5], v[66:67], v[10:11]
	v_fma_f64 v[4:5], v[64:65], v[8:9], -v[4:5]
	v_add_f64 v[0:1], v[0:1], v[4:5]
	v_mul_f64 v[4:5], v[62:63], v[14:15]
	v_fma_f64 v[4:5], v[60:61], v[12:13], -v[4:5]
	v_add_f64 v[0:1], v[0:1], v[4:5]
	;; [unrolled: 3-line block ×28, first 2 shown]
	s_waitcnt vmcnt(0)
	v_add_f64 v[4:5], v[236:237], -v[0:1]
	v_accvgpr_read_b32 v0, a96
	v_add_f64 v[6:7], v[238:239], -v[2:3]
	v_cmp_lt_u32_e32 vcc, 6, v0
	scratch_store_dwordx4 off, v[4:7], off offset:128
	s_and_saveexec_b64 s[0:1], vcc
	s_cbranch_execz .LBB47_289
; %bb.288:
	scratch_load_dwordx4 v[2:5], off, s62
	v_mov_b32_e32 v6, 0
	v_mov_b32_e32 v7, v6
	v_mov_b32_e32 v8, v6
	v_mov_b32_e32 v9, v6
	v_accvgpr_read_b32 v0, a97
	scratch_store_dwordx4 off, v[6:9], off offset:112
	s_waitcnt vmcnt(1)
	ds_write_b128 v0, v[2:5]
.LBB47_289:
	s_or_b64 exec, exec, s[0:1]
	s_waitcnt lgkmcnt(0)
	; wave barrier
	scratch_load_dwordx4 v[112:115], off, off offset:128
	scratch_load_dwordx4 v[116:119], off, off offset:144
	;; [unrolled: 1-line block ×30, first 2 shown]
	v_mov_b32_e32 v2, 0
	ds_read_b128 v[144:147], v2 offset:880
	ds_read_b128 v[156:159], v2 offset:896
	;; [unrolled: 1-line block ×20, first 2 shown]
	s_waitcnt vmcnt(29) lgkmcnt(14)
	v_mul_f64 v[0:1], v[144:145], v[114:115]
	s_waitcnt vmcnt(28)
	v_mul_f64 v[88:89], v[156:157], v[118:119]
	v_fmac_f64_e32 v[0:1], v[146:147], v[112:113]
	s_waitcnt vmcnt(27)
	v_mul_f64 v[90:91], v[168:169], v[122:123]
	v_fmac_f64_e32 v[88:89], v[158:159], v[116:117]
	v_add_f64 v[0:1], v[0:1], 0
	s_waitcnt vmcnt(26)
	v_mul_f64 v[92:93], v[180:181], v[154:155]
	v_fmac_f64_e32 v[90:91], v[170:171], v[120:121]
	v_add_f64 v[0:1], v[0:1], v[88:89]
	;; [unrolled: 4-line block ×4, first 2 shown]
	s_waitcnt vmcnt(23) lgkmcnt(13)
	v_mul_f64 v[98:99], v[212:213], v[174:175]
	v_fmac_f64_e32 v[96:97], v[206:207], v[164:165]
	v_add_f64 v[0:1], v[0:1], v[94:95]
	s_waitcnt vmcnt(22) lgkmcnt(12)
	v_mul_f64 v[100:101], v[216:217], v[178:179]
	v_fmac_f64_e32 v[98:99], v[214:215], v[172:173]
	v_add_f64 v[0:1], v[0:1], v[96:97]
	s_waitcnt vmcnt(21) lgkmcnt(11)
	v_mul_f64 v[102:103], v[220:221], v[186:187]
	v_fmac_f64_e32 v[100:101], v[218:219], v[176:177]
	v_add_f64 v[0:1], v[0:1], v[98:99]
	s_waitcnt vmcnt(20) lgkmcnt(10)
	v_mul_f64 v[104:105], v[224:225], v[190:191]
	v_fmac_f64_e32 v[102:103], v[222:223], v[184:185]
	v_add_f64 v[0:1], v[0:1], v[100:101]
	s_waitcnt vmcnt(19) lgkmcnt(9)
	v_mul_f64 v[106:107], v[228:229], v[198:199]
	v_fmac_f64_e32 v[104:105], v[226:227], v[188:189]
	v_add_f64 v[0:1], v[0:1], v[102:103]
	s_waitcnt vmcnt(18) lgkmcnt(8)
	v_mul_f64 v[108:109], v[238:239], v[202:203]
	v_fmac_f64_e32 v[106:107], v[230:231], v[196:197]
	v_add_f64 v[0:1], v[0:1], v[104:105]
	s_waitcnt vmcnt(17) lgkmcnt(7)
	v_mul_f64 v[110:111], v[242:243], v[210:211]
	v_fmac_f64_e32 v[108:109], v[240:241], v[200:201]
	v_add_f64 v[0:1], v[0:1], v[106:107]
	s_waitcnt vmcnt(16) lgkmcnt(6)
	v_mul_f64 v[124:125], v[84:85], v[6:7]
	v_fmac_f64_e32 v[110:111], v[244:245], v[208:209]
	v_add_f64 v[0:1], v[0:1], v[108:109]
	s_waitcnt vmcnt(15) lgkmcnt(5)
	v_mul_f64 v[126:127], v[80:81], v[236:237]
	v_fmac_f64_e32 v[124:125], v[86:87], v[4:5]
	v_add_f64 v[0:1], v[0:1], v[110:111]
	v_fmac_f64_e32 v[126:127], v[82:83], v[234:235]
	v_add_f64 v[0:1], v[0:1], v[124:125]
	scratch_load_dwordx4 v[88:91], off, off offset:608
	s_waitcnt vmcnt(15) lgkmcnt(4)
	v_mul_f64 v[128:129], v[76:77], v[14:15]
	v_add_f64 v[0:1], v[0:1], v[126:127]
	ds_read_b128 v[124:127], v2 offset:1152
	v_fmac_f64_e32 v[128:129], v[78:79], v[12:13]
	v_add_f64 v[0:1], v[0:1], v[128:129]
	ds_read_b128 v[128:131], v2 offset:1168
	s_waitcnt vmcnt(14) lgkmcnt(5)
	v_mul_f64 v[92:93], v[72:73], v[18:19]
	v_fmac_f64_e32 v[92:93], v[74:75], v[16:17]
	v_add_f64 v[0:1], v[0:1], v[92:93]
	s_waitcnt vmcnt(13) lgkmcnt(1)
	v_mul_f64 v[96:97], v[124:125], v[22:23]
	scratch_load_dwordx4 v[92:95], off, off offset:624
	v_fmac_f64_e32 v[96:97], v[126:127], v[20:21]
	v_add_f64 v[0:1], v[0:1], v[96:97]
	s_waitcnt vmcnt(13) lgkmcnt(0)
	v_mul_f64 v[100:101], v[128:129], v[26:27]
	scratch_load_dwordx4 v[96:99], off, off offset:640
	v_fmac_f64_e32 v[100:101], v[130:131], v[24:25]
	v_add_f64 v[0:1], v[0:1], v[100:101]
	scratch_load_dwordx4 v[100:103], off, off offset:656
	s_waitcnt vmcnt(14)
	v_mul_f64 v[104:105], v[132:133], v[30:31]
	v_fmac_f64_e32 v[104:105], v[134:135], v[28:29]
	v_add_f64 v[0:1], v[0:1], v[104:105]
	s_waitcnt vmcnt(13)
	v_mul_f64 v[104:105], v[136:137], v[34:35]
	v_fmac_f64_e32 v[104:105], v[138:139], v[32:33]
	v_add_f64 v[0:1], v[0:1], v[104:105]
	scratch_load_dwordx4 v[104:107], off, off offset:672
	s_waitcnt vmcnt(13)
	v_mul_f64 v[108:109], v[140:141], v[38:39]
	v_fmac_f64_e32 v[108:109], v[142:143], v[36:37]
	v_add_f64 v[0:1], v[0:1], v[108:109]
	scratch_load_dwordx4 v[108:111], off, off offset:688
	v_mul_f64 v[114:115], v[146:147], v[114:115]
	v_fma_f64 v[246:247], v[144:145], v[112:113], -v[114:115]
	v_mul_f64 v[112:113], v[158:159], v[118:119]
	ds_read_b128 v[148:151], v2 offset:1232
	ds_read_b128 v[144:147], v2 offset:1248
	v_fma_f64 v[248:249], v[156:157], v[116:117], -v[112:113]
	scratch_load_dwordx4 v[116:119], off, off offset:704
	scratch_load_dwordx4 v[112:115], off, off offset:720
	v_mul_f64 v[122:123], v[170:171], v[122:123]
	v_fma_f64 v[250:251], v[168:169], v[120:121], -v[122:123]
	scratch_load_dwordx4 v[120:123], off, off offset:736
	s_waitcnt vmcnt(16) lgkmcnt(1)
	v_mul_f64 v[156:157], v[148:149], v[42:43]
	v_fmac_f64_e32 v[156:157], v[150:151], v[40:41]
	v_mul_f64 v[154:155], v[182:183], v[154:155]
	v_add_f64 v[0:1], v[0:1], v[156:157]
	v_fma_f64 v[252:253], v[180:181], v[152:153], -v[154:155]
	ds_read_b128 v[152:155], v2 offset:1264
	s_waitcnt vmcnt(15) lgkmcnt(1)
	v_mul_f64 v[156:157], v[144:145], v[46:47]
	v_fmac_f64_e32 v[156:157], v[146:147], v[44:45]
	v_add_f64 v[0:1], v[0:1], v[156:157]
	ds_read_b128 v[156:159], v2 offset:1280
	v_mul_f64 v[162:163], v[194:195], v[162:163]
	v_fma_f64 v[254:255], v[192:193], v[160:161], -v[162:163]
	ds_read_b128 v[160:163], v2 offset:1296
	s_waitcnt vmcnt(14) lgkmcnt(2)
	v_mul_f64 v[168:169], v[152:153], v[50:51]
	v_fmac_f64_e32 v[168:169], v[154:155], v[48:49]
	v_add_f64 v[0:1], v[0:1], v[168:169]
	s_waitcnt vmcnt(13) lgkmcnt(1)
	v_mul_f64 v[168:169], v[156:157], v[54:55]
	v_fmac_f64_e32 v[168:169], v[158:159], v[52:53]
	v_mul_f64 v[166:167], v[206:207], v[166:167]
	v_add_f64 v[0:1], v[0:1], v[168:169]
	v_fma_f64 v[232:233], v[204:205], v[164:165], -v[166:167]
	ds_read_b128 v[164:167], v2 offset:1312
	s_waitcnt vmcnt(12) lgkmcnt(1)
	v_mul_f64 v[168:169], v[160:161], v[58:59]
	v_fmac_f64_e32 v[168:169], v[162:163], v[56:57]
	v_add_f64 v[0:1], v[0:1], v[168:169]
	ds_read_b128 v[168:171], v2 offset:1328
	v_accvgpr_write_b32 a101, v7
	v_accvgpr_write_b32 a100, v6
	;; [unrolled: 1-line block ×4, first 2 shown]
	s_waitcnt vmcnt(11) lgkmcnt(1)
	v_mul_f64 v[6:7], v[164:165], v[62:63]
	v_mul_f64 v[174:175], v[214:215], v[174:175]
	v_fmac_f64_e32 v[6:7], v[166:167], v[60:61]
	v_fma_f64 v[8:9], v[212:213], v[172:173], -v[174:175]
	ds_read_b128 v[172:175], v2 offset:1344
	v_add_f64 v[0:1], v[0:1], v[6:7]
	s_waitcnt vmcnt(10) lgkmcnt(1)
	v_mul_f64 v[6:7], v[168:169], v[66:67]
	v_fmac_f64_e32 v[6:7], v[170:171], v[64:65]
	v_add_f64 v[0:1], v[0:1], v[6:7]
	v_mul_f64 v[6:7], v[218:219], v[178:179]
	v_fma_f64 v[4:5], v[216:217], v[176:177], -v[6:7]
	ds_read_b128 v[176:179], v2 offset:1360
	ds_read_b128 v[180:183], v2 offset:1376
	s_waitcnt vmcnt(9) lgkmcnt(2)
	v_mul_f64 v[6:7], v[172:173], v[70:71]
	v_fmac_f64_e32 v[6:7], v[174:175], v[68:69]
	v_add_f64 v[0:1], v[0:1], v[6:7]
	s_waitcnt vmcnt(8) lgkmcnt(1)
	v_mul_f64 v[6:7], v[176:177], v[90:91]
	v_fmac_f64_e32 v[6:7], v[178:179], v[88:89]
	v_add_f64 v[0:1], v[0:1], v[6:7]
	v_mul_f64 v[6:7], v[222:223], v[186:187]
	v_fma_f64 v[10:11], v[220:221], v[184:185], -v[6:7]
	ds_read_b128 v[184:187], v2 offset:1392
	v_mul_f64 v[6:7], v[226:227], v[190:191]
	v_fma_f64 v[6:7], v[224:225], v[188:189], -v[6:7]
	ds_read_b128 v[188:191], v2 offset:1408
	s_waitcnt vmcnt(7) lgkmcnt(2)
	v_mul_f64 v[192:193], v[180:181], v[94:95]
	v_fmac_f64_e32 v[192:193], v[182:183], v[92:93]
	v_add_f64 v[0:1], v[0:1], v[192:193]
	s_waitcnt vmcnt(6) lgkmcnt(1)
	v_mul_f64 v[192:193], v[184:185], v[98:99]
	v_fmac_f64_e32 v[192:193], v[186:187], v[96:97]
	v_add_f64 v[0:1], v[0:1], v[192:193]
	s_waitcnt vmcnt(5) lgkmcnt(0)
	v_mul_f64 v[204:205], v[188:189], v[102:103]
	ds_read_b128 v[192:195], v2 offset:1424
	v_fmac_f64_e32 v[204:205], v[190:191], v[100:101]
	v_add_f64 v[204:205], v[0:1], v[204:205]
	v_mul_f64 v[0:1], v[230:231], v[198:199]
	v_fma_f64 v[0:1], v[228:229], v[196:197], -v[0:1]
	ds_read_b128 v[196:199], v2 offset:1440
	v_mul_f64 v[202:203], v[240:241], v[202:203]
	s_waitcnt vmcnt(4) lgkmcnt(1)
	v_mul_f64 v[206:207], v[192:193], v[106:107]
	v_fma_f64 v[238:239], v[238:239], v[200:201], -v[202:203]
	ds_read_b128 v[200:203], v2 offset:1456
	v_fmac_f64_e32 v[206:207], v[194:195], v[104:105]
	v_add_f64 v[212:213], v[204:205], v[206:207]
	ds_read_b128 v[204:207], v2 offset:1472
	s_waitcnt vmcnt(3) lgkmcnt(2)
	v_mul_f64 v[214:215], v[196:197], v[110:111]
	v_mul_f64 v[210:211], v[244:245], v[210:211]
	v_fmac_f64_e32 v[214:215], v[198:199], v[108:109]
	v_fma_f64 v[240:241], v[242:243], v[208:209], -v[210:211]
	ds_read_b128 v[208:211], v2 offset:1488
	ds_read_b128 v[216:219], v2 offset:1504
	v_add_f64 v[212:213], v[212:213], v[214:215]
	s_waitcnt vmcnt(2) lgkmcnt(3)
	v_mul_f64 v[214:215], v[200:201], v[118:119]
	v_fmac_f64_e32 v[214:215], v[202:203], v[116:117]
	v_add_f64 v[212:213], v[212:213], v[214:215]
	s_waitcnt vmcnt(1) lgkmcnt(2)
	v_mul_f64 v[214:215], v[204:205], v[114:115]
	v_fmac_f64_e32 v[214:215], v[206:207], v[112:113]
	;; [unrolled: 4-line block ×3, first 2 shown]
	v_add_f64 v[220:221], v[212:213], v[214:215]
	scratch_load_dwordx4 v[212:215], off, off offset:752
	ds_read_b128 v[224:227], v2 offset:1520
	s_waitcnt vmcnt(0) lgkmcnt(1)
	v_mul_f64 v[222:223], v[216:217], v[214:215]
	v_fmac_f64_e32 v[222:223], v[218:219], v[212:213]
	v_add_f64 v[228:229], v[220:221], v[222:223]
	scratch_load_dwordx4 v[220:223], off, off offset:768
	s_waitcnt vmcnt(0) lgkmcnt(0)
	v_mul_f64 v[230:231], v[224:225], v[222:223]
	v_fmac_f64_e32 v[230:231], v[226:227], v[220:221]
	v_add_f64 v[244:245], v[228:229], v[230:231]
	v_add_f64 v[228:229], v[246:247], 0
	;; [unrolled: 1-line block ×8, first 2 shown]
	scratch_load_dwordx4 v[228:231], off, off offset:112
	v_add_f64 v[4:5], v[8:9], v[4:5]
	v_add_f64 v[242:243], v[4:5], v[10:11]
	;; [unrolled: 1-line block ×3, first 2 shown]
	v_accvgpr_read_b32 v6, a98
	v_add_f64 v[0:1], v[4:5], v[0:1]
	v_accvgpr_read_b32 v8, a100
	v_accvgpr_read_b32 v9, a101
	v_add_f64 v[0:1], v[0:1], v[238:239]
	v_accvgpr_read_b32 v7, a99
	v_mul_f64 v[4:5], v[86:87], v[8:9]
	v_add_f64 v[0:1], v[0:1], v[240:241]
	v_fma_f64 v[4:5], v[84:85], v[6:7], -v[4:5]
	v_add_f64 v[0:1], v[0:1], v[4:5]
	v_mul_f64 v[4:5], v[82:83], v[236:237]
	v_fma_f64 v[4:5], v[80:81], v[234:235], -v[4:5]
	v_add_f64 v[0:1], v[0:1], v[4:5]
	v_mul_f64 v[4:5], v[78:79], v[14:15]
	;; [unrolled: 3-line block ×27, first 2 shown]
	v_fma_f64 v[4:5], v[224:225], v[220:221], -v[4:5]
	v_add_f64 v[0:1], v[0:1], v[4:5]
	s_waitcnt vmcnt(0)
	v_add_f64 v[4:5], v[228:229], -v[0:1]
	v_accvgpr_read_b32 v0, a96
	v_add_f64 v[6:7], v[230:231], -v[244:245]
	v_cmp_lt_u32_e32 vcc, 5, v0
	scratch_store_dwordx4 off, v[4:7], off offset:112
	s_and_saveexec_b64 s[0:1], vcc
	s_cbranch_execz .LBB47_291
; %bb.290:
	scratch_load_dwordx4 v[6:9], off, s30
	v_mov_b32_e32 v3, v2
	v_mov_b32_e32 v4, v2
	;; [unrolled: 1-line block ×3, first 2 shown]
	v_accvgpr_read_b32 v0, a97
	scratch_store_dwordx4 off, v[2:5], off offset:96
	s_waitcnt vmcnt(1)
	ds_write_b128 v0, v[6:9]
.LBB47_291:
	s_or_b64 exec, exec, s[0:1]
	s_waitcnt lgkmcnt(0)
	; wave barrier
	scratch_load_dwordx4 v[88:91], off, off offset:112
	scratch_load_dwordx4 v[92:95], off, off offset:128
	;; [unrolled: 1-line block ×17, first 2 shown]
	ds_read_b128 v[212:215], v2 offset:864
	ds_read_b128 v[204:207], v2 offset:880
	;; [unrolled: 1-line block ×3, first 2 shown]
	scratch_load_dwordx4 v[20:23], off, off offset:384
	ds_read_b128 v[216:219], v2 offset:912
	ds_read_b128 v[208:211], v2 offset:928
	;; [unrolled: 1-line block ×5, first 2 shown]
	scratch_load_dwordx4 v[24:27], off, off offset:400
	ds_read_b128 v[180:183], v2 offset:992
	ds_read_b128 v[160:163], v2 offset:1008
	;; [unrolled: 1-line block ×3, first 2 shown]
	scratch_load_dwordx4 v[28:31], off, off offset:416
	ds_read_b128 v[172:175], v2 offset:1040
	ds_read_b128 v[148:151], v2 offset:1056
	;; [unrolled: 1-line block ×5, first 2 shown]
	scratch_load_dwordx4 v[36:39], off, off offset:432
	ds_read_b128 v[48:51], v2 offset:1120
	scratch_load_dwordx4 v[52:55], off, off offset:448
	scratch_load_dwordx4 v[56:59], off, off offset:464
	;; [unrolled: 1-line block ×9, first 2 shown]
	ds_read_b128 v[140:143], v2 offset:1136
	ds_read_b128 v[232:235], v2 offset:1200
	;; [unrolled: 1-line block ×3, first 2 shown]
	s_waitcnt vmcnt(29) lgkmcnt(14)
	v_mul_f64 v[0:1], v[212:213], v[90:91]
	s_waitcnt vmcnt(28)
	v_mul_f64 v[152:153], v[204:205], v[94:95]
	v_fmac_f64_e32 v[0:1], v[214:215], v[88:89]
	s_waitcnt vmcnt(27)
	v_mul_f64 v[154:155], v[196:197], v[98:99]
	v_fmac_f64_e32 v[152:153], v[206:207], v[92:93]
	v_add_f64 v[0:1], v[0:1], 0
	s_waitcnt vmcnt(26)
	v_mul_f64 v[164:165], v[216:217], v[102:103]
	v_fmac_f64_e32 v[154:155], v[198:199], v[96:97]
	v_add_f64 v[0:1], v[0:1], v[152:153]
	;; [unrolled: 4-line block ×4, first 2 shown]
	s_waitcnt vmcnt(23) lgkmcnt(13)
	v_mul_f64 v[170:171], v[184:185], v[114:115]
	v_fmac_f64_e32 v[168:169], v[202:203], v[108:109]
	v_add_f64 v[0:1], v[0:1], v[166:167]
	s_waitcnt vmcnt(22) lgkmcnt(12)
	v_mul_f64 v[176:177], v[156:157], v[118:119]
	v_fmac_f64_e32 v[170:171], v[186:187], v[112:113]
	v_add_f64 v[0:1], v[0:1], v[168:169]
	s_waitcnt vmcnt(21) lgkmcnt(11)
	v_mul_f64 v[178:179], v[180:181], v[122:123]
	v_fmac_f64_e32 v[176:177], v[158:159], v[116:117]
	v_add_f64 v[0:1], v[0:1], v[170:171]
	s_waitcnt vmcnt(20) lgkmcnt(10)
	v_mul_f64 v[188:189], v[160:161], v[126:127]
	v_fmac_f64_e32 v[178:179], v[182:183], v[120:121]
	v_add_f64 v[0:1], v[0:1], v[176:177]
	s_waitcnt vmcnt(19) lgkmcnt(9)
	v_mul_f64 v[190:191], v[144:145], v[130:131]
	v_fmac_f64_e32 v[188:189], v[162:163], v[124:125]
	v_add_f64 v[0:1], v[0:1], v[178:179]
	s_waitcnt vmcnt(18) lgkmcnt(8)
	v_mul_f64 v[192:193], v[172:173], v[134:135]
	v_fmac_f64_e32 v[190:191], v[146:147], v[128:129]
	v_add_f64 v[0:1], v[0:1], v[188:189]
	s_waitcnt vmcnt(17) lgkmcnt(7)
	v_mul_f64 v[194:195], v[148:149], v[138:139]
	v_fmac_f64_e32 v[192:193], v[174:175], v[132:133]
	v_add_f64 v[0:1], v[0:1], v[190:191]
	s_waitcnt vmcnt(16) lgkmcnt(6)
	v_mul_f64 v[220:221], v[44:45], v[6:7]
	v_fmac_f64_e32 v[194:195], v[150:151], v[136:137]
	v_add_f64 v[0:1], v[0:1], v[192:193]
	s_waitcnt vmcnt(15) lgkmcnt(5)
	v_mul_f64 v[222:223], v[40:41], v[10:11]
	v_fmac_f64_e32 v[220:221], v[46:47], v[4:5]
	v_add_f64 v[0:1], v[0:1], v[194:195]
	s_waitcnt vmcnt(14) lgkmcnt(4)
	v_mul_f64 v[224:225], v[32:33], v[14:15]
	v_fmac_f64_e32 v[222:223], v[42:43], v[8:9]
	v_add_f64 v[0:1], v[0:1], v[220:221]
	v_fmac_f64_e32 v[224:225], v[34:35], v[12:13]
	v_add_f64 v[0:1], v[0:1], v[222:223]
	ds_read_b128 v[220:223], v2 offset:1152
	v_add_f64 v[0:1], v[0:1], v[224:225]
	ds_read_b128 v[224:227], v2 offset:1168
	s_waitcnt vmcnt(13) lgkmcnt(5)
	v_mul_f64 v[164:165], v[48:49], v[18:19]
	scratch_load_dwordx4 v[152:155], off, off offset:592
	v_fmac_f64_e32 v[164:165], v[50:51], v[16:17]
	s_waitcnt vmcnt(13) lgkmcnt(4)
	v_mul_f64 v[168:169], v[140:141], v[22:23]
	v_add_f64 v[0:1], v[0:1], v[164:165]
	v_fmac_f64_e32 v[168:169], v[142:143], v[20:21]
	scratch_load_dwordx4 v[164:167], off, off offset:608
	v_add_f64 v[0:1], v[0:1], v[168:169]
	s_waitcnt vmcnt(13) lgkmcnt(1)
	v_mul_f64 v[176:177], v[220:221], v[26:27]
	scratch_load_dwordx4 v[168:171], off, off offset:624
	v_fmac_f64_e32 v[176:177], v[222:223], v[24:25]
	s_waitcnt vmcnt(13) lgkmcnt(0)
	v_mul_f64 v[188:189], v[224:225], v[30:31]
	v_add_f64 v[0:1], v[0:1], v[176:177]
	scratch_load_dwordx4 v[176:179], off, off offset:640
	v_fmac_f64_e32 v[188:189], v[226:227], v[28:29]
	v_add_f64 v[0:1], v[0:1], v[188:189]
	s_waitcnt vmcnt(13)
	v_mul_f64 v[188:189], v[228:229], v[38:39]
	v_fmac_f64_e32 v[188:189], v[230:231], v[36:37]
	v_add_f64 v[0:1], v[0:1], v[188:189]
	scratch_load_dwordx4 v[188:191], off, off offset:656
	s_waitcnt vmcnt(13)
	v_mul_f64 v[192:193], v[232:233], v[54:55]
	v_fmac_f64_e32 v[192:193], v[234:235], v[52:53]
	v_mul_f64 v[90:91], v[214:215], v[90:91]
	v_add_f64 v[0:1], v[0:1], v[192:193]
	scratch_load_dwordx4 v[192:195], off, off offset:672
	v_fma_f64 v[244:245], v[212:213], v[88:89], -v[90:91]
	v_mul_f64 v[88:89], v[206:207], v[94:95]
	ds_read_b128 v[236:239], v2 offset:1216
	ds_read_b128 v[212:215], v2 offset:1232
	v_fma_f64 v[246:247], v[204:205], v[92:93], -v[88:89]
	scratch_load_dwordx4 v[92:95], off, off offset:688
	scratch_load_dwordx4 v[88:91], off, off offset:704
	v_mul_f64 v[98:99], v[198:199], v[98:99]
	v_fma_f64 v[248:249], v[196:197], v[96:97], -v[98:99]
	scratch_load_dwordx4 v[96:99], off, off offset:720
	s_waitcnt vmcnt(16) lgkmcnt(1)
	v_mul_f64 v[204:205], v[236:237], v[58:59]
	v_mul_f64 v[102:103], v[218:219], v[102:103]
	v_fmac_f64_e32 v[204:205], v[238:239], v[56:57]
	v_fma_f64 v[216:217], v[216:217], v[100:101], -v[102:103]
	ds_read_b128 v[100:103], v2 offset:1248
	s_waitcnt vmcnt(15) lgkmcnt(1)
	v_mul_f64 v[196:197], v[212:213], v[62:63]
	v_add_f64 v[0:1], v[0:1], v[204:205]
	v_fmac_f64_e32 v[196:197], v[214:215], v[60:61]
	v_add_f64 v[0:1], v[0:1], v[196:197]
	ds_read_b128 v[196:199], v2 offset:1264
	v_mul_f64 v[106:107], v[210:211], v[106:107]
	v_fma_f64 v[218:219], v[208:209], v[104:105], -v[106:107]
	ds_read_b128 v[104:107], v2 offset:1280
	s_waitcnt vmcnt(14) lgkmcnt(2)
	v_mul_f64 v[204:205], v[100:101], v[66:67]
	v_fmac_f64_e32 v[204:205], v[102:103], v[64:65]
	v_add_f64 v[0:1], v[0:1], v[204:205]
	s_waitcnt vmcnt(13) lgkmcnt(1)
	v_mul_f64 v[204:205], v[196:197], v[70:71]
	v_mul_f64 v[110:111], v[202:203], v[110:111]
	v_fmac_f64_e32 v[204:205], v[198:199], v[68:69]
	v_fma_f64 v[250:251], v[200:201], v[108:109], -v[110:111]
	ds_read_b128 v[108:111], v2 offset:1296
	s_waitcnt vmcnt(12) lgkmcnt(1)
	v_mul_f64 v[200:201], v[104:105], v[74:75]
	v_add_f64 v[0:1], v[0:1], v[204:205]
	v_fmac_f64_e32 v[200:201], v[106:107], v[72:73]
	v_add_f64 v[0:1], v[0:1], v[200:201]
	ds_read_b128 v[200:203], v2 offset:1312
	v_mul_f64 v[114:115], v[186:187], v[114:115]
	v_fma_f64 v[252:253], v[184:185], v[112:113], -v[114:115]
	ds_read_b128 v[112:115], v2 offset:1328
	s_waitcnt vmcnt(11) lgkmcnt(2)
	v_mul_f64 v[184:185], v[108:109], v[78:79]
	v_fmac_f64_e32 v[184:185], v[110:111], v[76:77]
	v_add_f64 v[0:1], v[0:1], v[184:185]
	s_waitcnt vmcnt(10) lgkmcnt(1)
	v_mul_f64 v[184:185], v[200:201], v[82:83]
	v_mul_f64 v[118:119], v[158:159], v[118:119]
	v_fmac_f64_e32 v[184:185], v[202:203], v[80:81]
	v_fma_f64 v[254:255], v[156:157], v[116:117], -v[118:119]
	s_waitcnt vmcnt(9) lgkmcnt(0)
	v_mul_f64 v[156:157], v[112:113], v[86:87]
	v_add_f64 v[0:1], v[0:1], v[184:185]
	ds_read_b128 v[116:119], v2 offset:1344
	v_fmac_f64_e32 v[156:157], v[114:115], v[84:85]
	v_add_f64 v[0:1], v[0:1], v[156:157]
	ds_read_b128 v[156:159], v2 offset:1360
	v_mul_f64 v[122:123], v[182:183], v[122:123]
	v_fma_f64 v[240:241], v[180:181], v[120:121], -v[122:123]
	ds_read_b128 v[120:123], v2 offset:1376
	v_accvgpr_write_b32 a101, v7
	v_mul_f64 v[126:127], v[162:163], v[126:127]
	v_accvgpr_write_b32 a100, v6
	v_accvgpr_write_b32 a99, v5
	;; [unrolled: 1-line block ×3, first 2 shown]
	v_fma_f64 v[4:5], v[160:161], v[124:125], -v[126:127]
	ds_read_b128 v[124:127], v2 offset:1392
	s_waitcnt vmcnt(8) lgkmcnt(3)
	v_mul_f64 v[184:185], v[116:117], v[154:155]
	v_fmac_f64_e32 v[184:185], v[118:119], v[152:153]
	s_waitcnt vmcnt(7) lgkmcnt(2)
	v_mul_f64 v[180:181], v[156:157], v[166:167]
	v_add_f64 v[0:1], v[0:1], v[184:185]
	v_fmac_f64_e32 v[180:181], v[158:159], v[164:165]
	s_waitcnt vmcnt(6) lgkmcnt(1)
	v_mul_f64 v[6:7], v[120:121], v[170:171]
	ds_read_b128 v[160:163], v2 offset:1408
	v_add_f64 v[0:1], v[0:1], v[180:181]
	v_fmac_f64_e32 v[6:7], v[122:123], v[168:169]
	v_add_f64 v[0:1], v[0:1], v[6:7]
	s_waitcnt vmcnt(5) lgkmcnt(1)
	v_mul_f64 v[6:7], v[124:125], v[178:179]
	v_fmac_f64_e32 v[6:7], v[126:127], v[176:177]
	v_add_f64 v[0:1], v[0:1], v[6:7]
	v_mul_f64 v[6:7], v[146:147], v[130:131]
	v_fma_f64 v[6:7], v[144:145], v[128:129], -v[6:7]
	ds_read_b128 v[128:131], v2 offset:1424
	s_waitcnt vmcnt(4) lgkmcnt(1)
	v_mul_f64 v[144:145], v[160:161], v[190:191]
	v_fmac_f64_e32 v[144:145], v[162:163], v[188:189]
	v_add_f64 v[180:181], v[0:1], v[144:145]
	v_mul_f64 v[0:1], v[174:175], v[134:135]
	v_fma_f64 v[0:1], v[172:173], v[132:133], -v[0:1]
	ds_read_b128 v[132:135], v2 offset:1440
	ds_read_b128 v[144:147], v2 offset:1456
	v_mul_f64 v[138:139], v[150:151], v[138:139]
	v_fma_f64 v[242:243], v[148:149], v[136:137], -v[138:139]
	ds_read_b128 v[136:139], v2 offset:1472
	s_waitcnt vmcnt(3) lgkmcnt(3)
	v_mul_f64 v[172:173], v[128:129], v[194:195]
	v_fmac_f64_e32 v[172:173], v[130:131], v[192:193]
	s_waitcnt vmcnt(2) lgkmcnt(2)
	v_mul_f64 v[148:149], v[132:133], v[94:95]
	v_add_f64 v[172:173], v[180:181], v[172:173]
	v_fmac_f64_e32 v[148:149], v[134:135], v[92:93]
	s_waitcnt vmcnt(1) lgkmcnt(1)
	v_mul_f64 v[150:151], v[144:145], v[90:91]
	v_add_f64 v[148:149], v[172:173], v[148:149]
	v_fmac_f64_e32 v[150:151], v[146:147], v[88:89]
	v_add_f64 v[148:149], v[148:149], v[150:151]
	ds_read_b128 v[172:175], v2 offset:1488
	scratch_load_dwordx4 v[208:211], off, off offset:768
	s_waitcnt vmcnt(1) lgkmcnt(1)
	v_mul_f64 v[150:151], v[136:137], v[98:99]
	v_fmac_f64_e32 v[150:151], v[138:139], v[96:97]
	v_add_f64 v[180:181], v[148:149], v[150:151]
	scratch_load_dwordx4 v[148:151], off, off offset:736
	ds_read_b128 v[184:187], v2 offset:1504
	v_accvgpr_write_b32 a103, v1
	v_accvgpr_write_b32 a102, v0
	s_waitcnt vmcnt(0) lgkmcnt(1)
	v_mul_f64 v[182:183], v[172:173], v[150:151]
	v_fmac_f64_e32 v[182:183], v[174:175], v[148:149]
	v_add_f64 v[204:205], v[180:181], v[182:183]
	scratch_load_dwordx4 v[180:183], off, off offset:752
	s_waitcnt vmcnt(0) lgkmcnt(0)
	v_mul_f64 v[206:207], v[184:185], v[182:183]
	v_fmac_f64_e32 v[206:207], v[186:187], v[180:181]
	v_add_f64 v[0:1], v[204:205], v[206:207]
	ds_read_b128 v[204:207], v2 offset:1520
	s_waitcnt lgkmcnt(0)
	v_mul_f64 v[2:3], v[204:205], v[210:211]
	v_fmac_f64_e32 v[2:3], v[206:207], v[208:209]
	v_add_f64 v[2:3], v[0:1], v[2:3]
	v_add_f64 v[0:1], v[244:245], 0
	;; [unrolled: 1-line block ×6, first 2 shown]
	scratch_load_dwordx4 v[216:219], off, off offset:96
	v_add_f64 v[0:1], v[0:1], v[250:251]
	v_add_f64 v[0:1], v[0:1], v[252:253]
	;; [unrolled: 1-line block ×6, first 2 shown]
	v_accvgpr_read_b32 v0, a102
	v_accvgpr_read_b32 v1, a103
	v_add_f64 v[0:1], v[244:245], v[0:1]
	v_add_f64 v[0:1], v[0:1], v[242:243]
	v_accvgpr_read_b32 v243, a101
	v_accvgpr_read_b32 v242, a100
	;; [unrolled: 1-line block ×4, first 2 shown]
	v_mul_f64 v[4:5], v[46:47], v[242:243]
	v_fma_f64 v[4:5], v[44:45], v[240:241], -v[4:5]
	v_add_f64 v[0:1], v[0:1], v[4:5]
	v_mul_f64 v[4:5], v[42:43], v[10:11]
	v_fma_f64 v[4:5], v[40:41], v[8:9], -v[4:5]
	v_add_f64 v[0:1], v[0:1], v[4:5]
	;; [unrolled: 3-line block ×29, first 2 shown]
	s_waitcnt vmcnt(0)
	v_add_f64 v[4:5], v[216:217], -v[0:1]
	v_accvgpr_read_b32 v0, a96
	v_add_f64 v[6:7], v[218:219], -v[2:3]
	v_cmp_lt_u32_e32 vcc, 4, v0
	scratch_store_dwordx4 off, v[4:7], off offset:96
	s_and_saveexec_b64 s[0:1], vcc
	s_cbranch_execz .LBB47_293
; %bb.292:
	scratch_load_dwordx4 v[2:5], off, s28
	v_mov_b32_e32 v6, 0
	v_mov_b32_e32 v7, v6
	;; [unrolled: 1-line block ×4, first 2 shown]
	v_accvgpr_read_b32 v0, a97
	scratch_store_dwordx4 off, v[6:9], off offset:80
	s_waitcnt vmcnt(1)
	ds_write_b128 v0, v[2:5]
.LBB47_293:
	s_or_b64 exec, exec, s[0:1]
	s_waitcnt lgkmcnt(0)
	; wave barrier
	scratch_load_dwordx4 v[96:99], off, off offset:96
	scratch_load_dwordx4 v[100:103], off, off offset:112
	;; [unrolled: 1-line block ×30, first 2 shown]
	v_mov_b32_e32 v2, 0
	ds_read_b128 v[136:139], v2 offset:848
	ds_read_b128 v[144:147], v2 offset:864
	;; [unrolled: 1-line block ×20, first 2 shown]
	s_waitcnt vmcnt(29) lgkmcnt(14)
	v_mul_f64 v[0:1], v[136:137], v[98:99]
	s_waitcnt vmcnt(28)
	v_mul_f64 v[72:73], v[144:145], v[102:103]
	v_fmac_f64_e32 v[0:1], v[138:139], v[96:97]
	s_waitcnt vmcnt(27)
	v_mul_f64 v[74:75], v[148:149], v[106:107]
	v_fmac_f64_e32 v[72:73], v[146:147], v[100:101]
	v_add_f64 v[0:1], v[0:1], 0
	s_waitcnt vmcnt(26)
	v_mul_f64 v[76:77], v[164:165], v[110:111]
	v_fmac_f64_e32 v[74:75], v[150:151], v[104:105]
	v_add_f64 v[0:1], v[0:1], v[72:73]
	;; [unrolled: 4-line block ×4, first 2 shown]
	s_waitcnt vmcnt(23) lgkmcnt(13)
	v_mul_f64 v[82:83], v[200:201], v[158:159]
	v_fmac_f64_e32 v[80:81], v[190:191], v[152:153]
	v_add_f64 v[0:1], v[0:1], v[78:79]
	s_waitcnt vmcnt(22) lgkmcnt(12)
	v_mul_f64 v[84:85], v[208:209], v[162:163]
	v_fmac_f64_e32 v[82:83], v[202:203], v[156:157]
	v_add_f64 v[0:1], v[0:1], v[80:81]
	;; [unrolled: 4-line block ×9, first 2 shown]
	s_waitcnt vmcnt(14) lgkmcnt(4)
	v_mul_f64 v[120:121], v[68:69], v[6:7]
	v_fmac_f64_e32 v[118:119], v[244:245], v[204:205]
	v_accvgpr_write_b32 a101, v7
	v_add_f64 v[0:1], v[0:1], v[116:117]
	v_fmac_f64_e32 v[120:121], v[70:71], v[4:5]
	v_accvgpr_write_b32 a100, v6
	v_accvgpr_write_b32 a99, v5
	;; [unrolled: 1-line block ×3, first 2 shown]
	v_add_f64 v[0:1], v[0:1], v[118:119]
	ds_read_b128 v[116:119], v2 offset:1120
	s_waitcnt vmcnt(13)
	v_mov_b64_e32 v[4:5], v[8:9]
	v_mov_b64_e32 v[6:7], v[10:11]
	s_waitcnt lgkmcnt(4)
	v_mul_f64 v[76:77], v[64:65], v[6:7]
	scratch_load_dwordx4 v[72:75], off, off offset:576
	v_add_f64 v[0:1], v[0:1], v[120:121]
	v_fmac_f64_e32 v[76:77], v[66:67], v[4:5]
	v_add_f64 v[0:1], v[0:1], v[76:77]
	scratch_load_dwordx4 v[76:79], off, off offset:592
	ds_read_b128 v[120:123], v2 offset:1136
	s_waitcnt vmcnt(14) lgkmcnt(1)
	v_mul_f64 v[80:81], v[116:117], v[236:237]
	v_fmac_f64_e32 v[80:81], v[118:119], v[234:235]
	v_add_f64 v[0:1], v[0:1], v[80:81]
	scratch_load_dwordx4 v[80:83], off, off offset:608
	s_waitcnt vmcnt(14) lgkmcnt(0)
	v_mul_f64 v[84:85], v[120:121], v[18:19]
	v_fmac_f64_e32 v[84:85], v[122:123], v[16:17]
	s_waitcnt vmcnt(13)
	v_mul_f64 v[88:89], v[124:125], v[22:23]
	v_add_f64 v[0:1], v[0:1], v[84:85]
	v_fmac_f64_e32 v[88:89], v[126:127], v[20:21]
	scratch_load_dwordx4 v[84:87], off, off offset:624
	v_add_f64 v[0:1], v[0:1], v[88:89]
	s_waitcnt vmcnt(13)
	v_mul_f64 v[88:89], v[128:129], v[26:27]
	v_fmac_f64_e32 v[88:89], v[130:131], v[24:25]
	v_add_f64 v[0:1], v[0:1], v[88:89]
	scratch_load_dwordx4 v[88:91], off, off offset:640
	s_waitcnt vmcnt(13)
	v_mul_f64 v[92:93], v[132:133], v[30:31]
	v_fmac_f64_e32 v[92:93], v[134:135], v[28:29]
	v_add_f64 v[0:1], v[0:1], v[92:93]
	scratch_load_dwordx4 v[92:95], off, off offset:656
	v_mul_f64 v[98:99], v[138:139], v[98:99]
	v_fma_f64 v[246:247], v[136:137], v[96:97], -v[98:99]
	v_mul_f64 v[96:97], v[146:147], v[102:103]
	ds_read_b128 v[140:143], v2 offset:1200
	ds_read_b128 v[136:139], v2 offset:1216
	v_fma_f64 v[248:249], v[144:145], v[100:101], -v[96:97]
	scratch_load_dwordx4 v[100:103], off, off offset:672
	scratch_load_dwordx4 v[96:99], off, off offset:688
	s_waitcnt vmcnt(15) lgkmcnt(1)
	v_mul_f64 v[144:145], v[140:141], v[34:35]
	v_fmac_f64_e32 v[144:145], v[142:143], v[32:33]
	v_mul_f64 v[106:107], v[150:151], v[106:107]
	v_add_f64 v[0:1], v[0:1], v[144:145]
	s_waitcnt vmcnt(14) lgkmcnt(0)
	v_mul_f64 v[144:145], v[136:137], v[38:39]
	v_fma_f64 v[250:251], v[148:149], v[104:105], -v[106:107]
	v_mul_f64 v[104:105], v[166:167], v[110:111]
	v_fmac_f64_e32 v[144:145], v[138:139], v[36:37]
	v_fma_f64 v[252:253], v[164:165], v[108:109], -v[104:105]
	scratch_load_dwordx4 v[104:107], off, off offset:704
	v_add_f64 v[0:1], v[0:1], v[144:145]
	ds_read_b128 v[144:147], v2 offset:1232
	ds_read_b128 v[148:151], v2 offset:1248
	v_mul_f64 v[108:109], v[178:179], v[114:115]
	v_fma_f64 v[254:255], v[176:177], v[112:113], -v[108:109]
	scratch_load_dwordx4 v[108:111], off, off offset:720
	s_waitcnt vmcnt(15) lgkmcnt(1)
	v_mul_f64 v[112:113], v[144:145], v[42:43]
	v_fmac_f64_e32 v[112:113], v[146:147], v[40:41]
	v_add_f64 v[0:1], v[0:1], v[112:113]
	v_mul_f64 v[112:113], v[190:191], v[154:155]
	v_fma_f64 v[232:233], v[188:189], v[152:153], -v[112:113]
	scratch_load_dwordx4 v[112:115], off, off offset:736
	ds_read_b128 v[152:155], v2 offset:1264
	s_waitcnt vmcnt(15) lgkmcnt(1)
	v_mul_f64 v[164:165], v[148:149], v[46:47]
	v_mul_f64 v[158:159], v[202:203], v[158:159]
	v_fmac_f64_e32 v[164:165], v[150:151], v[44:45]
	v_fma_f64 v[12:13], v[200:201], v[156:157], -v[158:159]
	ds_read_b128 v[156:159], v2 offset:1280
	s_waitcnt vmcnt(14) lgkmcnt(1)
	v_mul_f64 v[6:7], v[152:153], v[50:51]
	v_add_f64 v[0:1], v[0:1], v[164:165]
	v_fmac_f64_e32 v[6:7], v[154:155], v[48:49]
	v_accvgpr_write_b32 a105, v11
	v_add_f64 v[0:1], v[0:1], v[6:7]
	v_mul_f64 v[6:7], v[210:211], v[162:163]
	v_accvgpr_write_b32 a104, v10
	v_accvgpr_write_b32 a103, v9
	;; [unrolled: 1-line block ×3, first 2 shown]
	v_fma_f64 v[8:9], v[208:209], v[160:161], -v[6:7]
	ds_read_b128 v[160:163], v2 offset:1296
	ds_read_b128 v[164:167], v2 offset:1312
	s_waitcnt vmcnt(13) lgkmcnt(2)
	v_mul_f64 v[6:7], v[156:157], v[54:55]
	v_fmac_f64_e32 v[6:7], v[158:159], v[52:53]
	v_add_f64 v[0:1], v[0:1], v[6:7]
	s_waitcnt vmcnt(12) lgkmcnt(1)
	v_mul_f64 v[6:7], v[160:161], v[62:63]
	v_fmac_f64_e32 v[6:7], v[162:163], v[60:61]
	v_add_f64 v[0:1], v[0:1], v[6:7]
	v_mul_f64 v[6:7], v[214:215], v[170:171]
	v_fma_f64 v[10:11], v[212:213], v[168:169], -v[6:7]
	s_waitcnt vmcnt(11) lgkmcnt(0)
	v_mul_f64 v[6:7], v[164:165], v[58:59]
	v_fmac_f64_e32 v[6:7], v[166:167], v[56:57]
	ds_read_b128 v[168:171], v2 offset:1328
	v_add_f64 v[0:1], v[0:1], v[6:7]
	v_mul_f64 v[6:7], v[218:219], v[174:175]
	v_fma_f64 v[4:5], v[216:217], v[172:173], -v[6:7]
	ds_read_b128 v[172:175], v2 offset:1344
	s_waitcnt vmcnt(10) lgkmcnt(1)
	v_mul_f64 v[6:7], v[168:169], v[74:75]
	ds_read_b128 v[176:179], v2 offset:1360
	v_fmac_f64_e32 v[6:7], v[170:171], v[72:73]
	v_add_f64 v[0:1], v[0:1], v[6:7]
	s_waitcnt vmcnt(9) lgkmcnt(1)
	v_mul_f64 v[6:7], v[172:173], v[78:79]
	v_fmac_f64_e32 v[6:7], v[174:175], v[76:77]
	v_add_f64 v[0:1], v[0:1], v[6:7]
	v_mul_f64 v[6:7], v[222:223], v[182:183]
	v_fma_f64 v[14:15], v[220:221], v[180:181], -v[6:7]
	ds_read_b128 v[180:183], v2 offset:1376
	s_waitcnt vmcnt(8) lgkmcnt(1)
	v_mul_f64 v[6:7], v[176:177], v[82:83]
	v_fmac_f64_e32 v[6:7], v[178:179], v[80:81]
	v_add_f64 v[0:1], v[0:1], v[6:7]
	v_mul_f64 v[6:7], v[226:227], v[186:187]
	v_fma_f64 v[6:7], v[224:225], v[184:185], -v[6:7]
	ds_read_b128 v[184:187], v2 offset:1392
	s_waitcnt vmcnt(7) lgkmcnt(1)
	v_mul_f64 v[188:189], v[180:181], v[86:87]
	v_fmac_f64_e32 v[188:189], v[182:183], v[84:85]
	v_add_f64 v[0:1], v[0:1], v[188:189]
	ds_read_b128 v[188:191], v2 offset:1408
	s_waitcnt vmcnt(6) lgkmcnt(1)
	v_mul_f64 v[200:201], v[184:185], v[90:91]
	v_fmac_f64_e32 v[200:201], v[186:187], v[88:89]
	v_add_f64 v[200:201], v[0:1], v[200:201]
	v_mul_f64 v[0:1], v[230:231], v[194:195]
	v_fma_f64 v[0:1], v[228:229], v[192:193], -v[0:1]
	ds_read_b128 v[192:195], v2 offset:1424
	s_waitcnt vmcnt(5) lgkmcnt(1)
	v_mul_f64 v[202:203], v[188:189], v[94:95]
	v_fmac_f64_e32 v[202:203], v[190:191], v[92:93]
	v_mul_f64 v[198:199], v[240:241], v[198:199]
	v_fma_f64 v[238:239], v[238:239], v[196:197], -v[198:199]
	ds_read_b128 v[196:199], v2 offset:1440
	v_add_f64 v[200:201], v[200:201], v[202:203]
	s_waitcnt vmcnt(4) lgkmcnt(1)
	v_mul_f64 v[202:203], v[192:193], v[102:103]
	v_fmac_f64_e32 v[202:203], v[194:195], v[100:101]
	v_add_f64 v[208:209], v[200:201], v[202:203]
	ds_read_b128 v[200:203], v2 offset:1456
	v_mul_f64 v[206:207], v[244:245], v[206:207]
	v_fma_f64 v[240:241], v[242:243], v[204:205], -v[206:207]
	ds_read_b128 v[204:207], v2 offset:1472
	s_waitcnt vmcnt(3) lgkmcnt(2)
	v_mul_f64 v[210:211], v[196:197], v[98:99]
	v_fmac_f64_e32 v[210:211], v[198:199], v[96:97]
	v_add_f64 v[208:209], v[208:209], v[210:211]
	s_waitcnt vmcnt(2) lgkmcnt(1)
	v_mul_f64 v[210:211], v[200:201], v[106:107]
	v_fmac_f64_e32 v[210:211], v[202:203], v[104:105]
	v_add_f64 v[208:209], v[208:209], v[210:211]
	;; [unrolled: 4-line block ×3, first 2 shown]
	ds_read_b128 v[208:211], v2 offset:1488
	ds_read_b128 v[216:219], v2 offset:1504
	;; [unrolled: 1-line block ×3, first 2 shown]
	s_waitcnt vmcnt(0) lgkmcnt(2)
	v_mul_f64 v[214:215], v[208:209], v[114:115]
	v_fmac_f64_e32 v[214:215], v[210:211], v[112:113]
	v_add_f64 v[220:221], v[212:213], v[214:215]
	scratch_load_dwordx4 v[212:215], off, off offset:752
	s_waitcnt vmcnt(0) lgkmcnt(1)
	v_mul_f64 v[222:223], v[216:217], v[214:215]
	v_fmac_f64_e32 v[222:223], v[218:219], v[212:213]
	v_add_f64 v[228:229], v[220:221], v[222:223]
	scratch_load_dwordx4 v[220:223], off, off offset:768
	s_waitcnt vmcnt(0) lgkmcnt(0)
	v_mul_f64 v[230:231], v[224:225], v[222:223]
	v_fmac_f64_e32 v[230:231], v[226:227], v[220:221]
	v_add_f64 v[244:245], v[228:229], v[230:231]
	v_add_f64 v[228:229], v[246:247], 0
	;; [unrolled: 1-line block ×8, first 2 shown]
	scratch_load_dwordx4 v[228:231], off, off offset:80
	v_add_f64 v[8:9], v[12:13], v[8:9]
	v_add_f64 v[8:9], v[8:9], v[10:11]
	;; [unrolled: 1-line block ×5, first 2 shown]
	v_accvgpr_read_b32 v6, a98
	v_accvgpr_read_b32 v8, a100
	;; [unrolled: 1-line block ×3, first 2 shown]
	v_add_f64 v[0:1], v[4:5], v[0:1]
	v_accvgpr_read_b32 v7, a99
	v_mul_f64 v[4:5], v[70:71], v[8:9]
	v_add_f64 v[0:1], v[0:1], v[238:239]
	v_fma_f64 v[4:5], v[68:69], v[6:7], -v[4:5]
	v_accvgpr_read_b32 v6, a102
	v_add_f64 v[0:1], v[0:1], v[240:241]
	v_accvgpr_read_b32 v8, a104
	v_accvgpr_read_b32 v9, a105
	v_add_f64 v[0:1], v[0:1], v[4:5]
	v_accvgpr_read_b32 v7, a103
	v_mul_f64 v[4:5], v[66:67], v[8:9]
	v_fma_f64 v[4:5], v[64:65], v[6:7], -v[4:5]
	v_add_f64 v[0:1], v[0:1], v[4:5]
	v_mul_f64 v[4:5], v[118:119], v[236:237]
	v_fma_f64 v[4:5], v[116:117], v[234:235], -v[4:5]
	v_add_f64 v[0:1], v[0:1], v[4:5]
	;; [unrolled: 3-line block ×27, first 2 shown]
	s_waitcnt vmcnt(0)
	v_add_f64 v[4:5], v[228:229], -v[0:1]
	v_accvgpr_read_b32 v0, a96
	v_add_f64 v[6:7], v[230:231], -v[244:245]
	v_cmp_lt_u32_e32 vcc, 3, v0
	scratch_store_dwordx4 off, v[4:7], off offset:80
	s_and_saveexec_b64 s[0:1], vcc
	s_cbranch_execz .LBB47_295
; %bb.294:
	scratch_load_dwordx4 v[6:9], off, s27
	v_mov_b32_e32 v3, v2
	v_mov_b32_e32 v4, v2
	;; [unrolled: 1-line block ×3, first 2 shown]
	v_accvgpr_read_b32 v0, a97
	scratch_store_dwordx4 off, v[2:5], off offset:64
	s_waitcnt vmcnt(1)
	ds_write_b128 v0, v[6:9]
.LBB47_295:
	s_or_b64 exec, exec, s[0:1]
	s_waitcnt lgkmcnt(0)
	; wave barrier
	scratch_load_dwordx4 v[72:75], off, off offset:80
	scratch_load_dwordx4 v[76:79], off, off offset:96
	;; [unrolled: 1-line block ×17, first 2 shown]
	ds_read_b128 v[176:179], v2 offset:832
	ds_read_b128 v[192:195], v2 offset:848
	;; [unrolled: 1-line block ×3, first 2 shown]
	scratch_load_dwordx4 v[20:23], off, off offset:352
	ds_read_b128 v[236:239], v2 offset:880
	ds_read_b128 v[232:235], v2 offset:896
	;; [unrolled: 1-line block ×5, first 2 shown]
	scratch_load_dwordx4 v[168:171], off, off offset:368
	ds_read_b128 v[224:227], v2 offset:960
	ds_read_b128 v[212:215], v2 offset:976
	;; [unrolled: 1-line block ×3, first 2 shown]
	scratch_load_dwordx4 v[12:15], off, off offset:384
	ds_read_b128 v[216:219], v2 offset:1008
	ds_read_b128 v[204:207], v2 offset:1024
	;; [unrolled: 1-line block ×5, first 2 shown]
	scratch_load_dwordx4 v[28:31], off, off offset:400
	ds_read_b128 v[32:35], v2 offset:1088
	scratch_load_dwordx4 v[36:39], off, off offset:416
	scratch_load_dwordx4 v[40:43], off, off offset:432
	;; [unrolled: 1-line block ×9, first 2 shown]
	ds_read_b128 v[132:135], v2 offset:1104
	s_waitcnt lgkmcnt(2)
	v_accvgpr_write_b32 a105, v19
	v_accvgpr_write_b32 a104, v18
	;; [unrolled: 1-line block ×4, first 2 shown]
	ds_read_b128 v[172:175], v2 offset:1168
	s_waitcnt vmcnt(29)
	v_mul_f64 v[0:1], v[176:177], v[74:75]
	s_waitcnt vmcnt(28)
	v_mul_f64 v[136:137], v[192:193], v[78:79]
	v_fmac_f64_e32 v[0:1], v[178:179], v[72:73]
	s_waitcnt vmcnt(27)
	v_mul_f64 v[138:139], v[188:189], v[82:83]
	v_fmac_f64_e32 v[136:137], v[194:195], v[76:77]
	v_add_f64 v[0:1], v[0:1], 0
	s_waitcnt vmcnt(26)
	v_mul_f64 v[140:141], v[236:237], v[86:87]
	v_fmac_f64_e32 v[138:139], v[190:191], v[80:81]
	v_add_f64 v[0:1], v[0:1], v[136:137]
	;; [unrolled: 4-line block ×14, first 2 shown]
	v_fmac_f64_e32 v[164:165], v[18:19], v[4:5]
	v_add_f64 v[0:1], v[0:1], v[162:163]
	s_waitcnt vmcnt(13) lgkmcnt(2)
	v_mul_f64 v[140:141], v[32:33], v[26:27]
	scratch_load_dwordx4 v[136:139], off, off offset:560
	v_add_f64 v[0:1], v[0:1], v[164:165]
	v_fmac_f64_e32 v[140:141], v[34:35], v[24:25]
	v_add_f64 v[0:1], v[0:1], v[140:141]
	ds_read_b128 v[160:163], v2 offset:1120
	scratch_load_dwordx4 v[140:143], off, off offset:576
	ds_read_b128 v[164:167], v2 offset:1136
	s_waitcnt vmcnt(13)
	v_mov_b64_e32 v[16:17], v[168:169]
	v_mov_b64_e32 v[18:19], v[170:171]
	ds_read_b128 v[168:171], v2 offset:1152
	s_waitcnt lgkmcnt(4)
	v_mul_f64 v[144:145], v[132:133], v[22:23]
	v_fmac_f64_e32 v[144:145], v[134:135], v[20:21]
	s_waitcnt lgkmcnt(2)
	v_mul_f64 v[148:149], v[160:161], v[18:19]
	v_add_f64 v[0:1], v[0:1], v[144:145]
	v_fmac_f64_e32 v[148:149], v[162:163], v[16:17]
	s_waitcnt vmcnt(12) lgkmcnt(1)
	v_mul_f64 v[152:153], v[164:165], v[14:15]
	scratch_load_dwordx4 v[144:147], off, off offset:592
	v_add_f64 v[0:1], v[0:1], v[148:149]
	v_fmac_f64_e32 v[152:153], v[166:167], v[12:13]
	scratch_load_dwordx4 v[148:151], off, off offset:608
	v_add_f64 v[0:1], v[0:1], v[152:153]
	s_waitcnt vmcnt(13) lgkmcnt(0)
	v_mul_f64 v[152:153], v[168:169], v[30:31]
	v_fmac_f64_e32 v[152:153], v[170:171], v[28:29]
	v_add_f64 v[0:1], v[0:1], v[152:153]
	scratch_load_dwordx4 v[152:155], off, off offset:624
	s_waitcnt vmcnt(13)
	v_mul_f64 v[156:157], v[172:173], v[38:39]
	v_fmac_f64_e32 v[156:157], v[174:175], v[36:37]
	v_mul_f64 v[74:75], v[178:179], v[74:75]
	v_add_f64 v[0:1], v[0:1], v[156:157]
	scratch_load_dwordx4 v[156:159], off, off offset:640
	v_fma_f64 v[244:245], v[176:177], v[72:73], -v[74:75]
	v_mul_f64 v[72:73], v[194:195], v[78:79]
	ds_read_b128 v[180:183], v2 offset:1184
	ds_read_b128 v[176:179], v2 offset:1200
	v_fma_f64 v[246:247], v[192:193], v[76:77], -v[72:73]
	scratch_load_dwordx4 v[76:79], off, off offset:656
	scratch_load_dwordx4 v[72:75], off, off offset:672
	v_mul_f64 v[82:83], v[190:191], v[82:83]
	v_fma_f64 v[248:249], v[188:189], v[80:81], -v[82:83]
	v_mul_f64 v[80:81], v[238:239], v[86:87]
	v_fma_f64 v[236:237], v[236:237], v[84:85], -v[80:81]
	scratch_load_dwordx4 v[80:83], off, off offset:688
	ds_read_b128 v[188:191], v2 offset:1216
	v_mul_f64 v[84:85], v[234:235], v[90:91]
	s_waitcnt vmcnt(16) lgkmcnt(2)
	v_mul_f64 v[192:193], v[180:181], v[42:43]
	v_fma_f64 v[238:239], v[232:233], v[88:89], -v[84:85]
	scratch_load_dwordx4 v[84:87], off, off offset:704
	v_fmac_f64_e32 v[192:193], v[182:183], v[40:41]
	v_add_f64 v[0:1], v[0:1], v[192:193]
	s_waitcnt vmcnt(16) lgkmcnt(1)
	v_mul_f64 v[192:193], v[176:177], v[46:47]
	v_fmac_f64_e32 v[192:193], v[178:179], v[44:45]
	v_add_f64 v[0:1], v[0:1], v[192:193]
	ds_read_b128 v[192:195], v2 offset:1232
	s_waitcnt vmcnt(15) lgkmcnt(1)
	v_mul_f64 v[88:89], v[188:189], v[50:51]
	v_fmac_f64_e32 v[88:89], v[190:191], v[48:49]
	v_add_f64 v[0:1], v[0:1], v[88:89]
	v_mul_f64 v[88:89], v[230:231], v[94:95]
	v_fma_f64 v[250:251], v[228:229], v[92:93], -v[88:89]
	scratch_load_dwordx4 v[88:91], off, off offset:720
	scratch_load_dwordx4 v[232:235], off, off offset:768
	ds_read_b128 v[92:95], v2 offset:1248
	v_mul_f64 v[98:99], v[222:223], v[98:99]
	v_fma_f64 v[252:253], v[220:221], v[96:97], -v[98:99]
	ds_read_b128 v[96:99], v2 offset:1264
	v_mul_f64 v[102:103], v[210:211], v[102:103]
	s_waitcnt vmcnt(16) lgkmcnt(2)
	v_mul_f64 v[228:229], v[192:193], v[54:55]
	v_fma_f64 v[254:255], v[208:209], v[100:101], -v[102:103]
	ds_read_b128 v[100:103], v2 offset:1280
	ds_read_b128 v[208:211], v2 offset:1296
	v_fmac_f64_e32 v[228:229], v[194:195], v[52:53]
	s_waitcnt vmcnt(15) lgkmcnt(3)
	v_mul_f64 v[220:221], v[92:93], v[58:59]
	v_add_f64 v[0:1], v[0:1], v[228:229]
	v_fmac_f64_e32 v[220:221], v[94:95], v[56:57]
	v_mul_f64 v[106:107], v[226:227], v[106:107]
	v_add_f64 v[0:1], v[0:1], v[220:221]
	s_waitcnt vmcnt(14) lgkmcnt(2)
	v_mul_f64 v[220:221], v[96:97], v[62:63]
	v_fma_f64 v[240:241], v[224:225], v[104:105], -v[106:107]
	ds_read_b128 v[104:107], v2 offset:1312
	v_fmac_f64_e32 v[220:221], v[98:99], v[60:61]
	v_mul_f64 v[110:111], v[214:215], v[110:111]
	v_add_f64 v[0:1], v[0:1], v[220:221]
	s_waitcnt vmcnt(13) lgkmcnt(2)
	v_mul_f64 v[220:221], v[100:101], v[70:71]
	v_fma_f64 v[8:9], v[212:213], v[108:109], -v[110:111]
	ds_read_b128 v[108:111], v2 offset:1328
	v_fmac_f64_e32 v[220:221], v[102:103], v[68:69]
	v_accvgpr_write_b32 a101, v7
	v_add_f64 v[0:1], v[0:1], v[220:221]
	s_waitcnt vmcnt(12) lgkmcnt(2)
	v_mul_f64 v[220:221], v[208:209], v[66:67]
	v_accvgpr_write_b32 a100, v6
	v_accvgpr_write_b32 a99, v5
	;; [unrolled: 1-line block ×3, first 2 shown]
	v_fmac_f64_e32 v[220:221], v[210:211], v[64:65]
	s_waitcnt vmcnt(11) lgkmcnt(1)
	v_mul_f64 v[6:7], v[104:105], v[138:139]
	v_add_f64 v[0:1], v[0:1], v[220:221]
	v_fmac_f64_e32 v[6:7], v[106:107], v[136:137]
	v_add_f64 v[0:1], v[0:1], v[6:7]
	s_waitcnt vmcnt(10) lgkmcnt(0)
	v_mul_f64 v[6:7], v[108:109], v[142:143]
	v_fmac_f64_e32 v[6:7], v[110:111], v[140:141]
	ds_read_b128 v[212:215], v2 offset:1344
	v_add_f64 v[0:1], v[0:1], v[6:7]
	v_mul_f64 v[6:7], v[202:203], v[114:115]
	v_fma_f64 v[6:7], v[200:201], v[112:113], -v[6:7]
	ds_read_b128 v[112:115], v2 offset:1360
	v_mul_f64 v[118:119], v[218:219], v[118:119]
	v_fma_f64 v[4:5], v[216:217], v[116:117], -v[118:119]
	ds_read_b128 v[116:119], v2 offset:1376
	s_waitcnt vmcnt(9) lgkmcnt(2)
	v_mul_f64 v[200:201], v[212:213], v[146:147]
	v_fmac_f64_e32 v[200:201], v[214:215], v[144:145]
	s_waitcnt vmcnt(8) lgkmcnt(1)
	v_mul_f64 v[10:11], v[112:113], v[150:151]
	v_add_f64 v[0:1], v[0:1], v[200:201]
	v_fmac_f64_e32 v[10:11], v[114:115], v[148:149]
	v_add_f64 v[0:1], v[0:1], v[10:11]
	ds_read_b128 v[200:203], v2 offset:1392
	s_waitcnt vmcnt(7) lgkmcnt(1)
	v_mul_f64 v[10:11], v[116:117], v[154:155]
	v_fmac_f64_e32 v[10:11], v[118:119], v[152:153]
	v_add_f64 v[10:11], v[0:1], v[10:11]
	v_mul_f64 v[0:1], v[206:207], v[122:123]
	v_fma_f64 v[0:1], v[204:205], v[120:121], -v[0:1]
	ds_read_b128 v[120:123], v2 offset:1408
	v_mul_f64 v[126:127], v[198:199], v[126:127]
	v_fma_f64 v[124:125], v[196:197], v[124:125], -v[126:127]
	s_waitcnt vmcnt(6) lgkmcnt(1)
	v_mul_f64 v[204:205], v[200:201], v[158:159]
	v_accvgpr_write_b32 a106, v124
	v_fmac_f64_e32 v[204:205], v[202:203], v[156:157]
	v_accvgpr_write_b32 a107, v125
	ds_read_b128 v[124:127], v2 offset:1424
	s_waitcnt vmcnt(5) lgkmcnt(1)
	v_mul_f64 v[196:197], v[120:121], v[78:79]
	v_add_f64 v[10:11], v[10:11], v[204:205]
	v_fmac_f64_e32 v[196:197], v[122:123], v[76:77]
	v_add_f64 v[10:11], v[10:11], v[196:197]
	ds_read_b128 v[196:199], v2 offset:1440
	v_mul_f64 v[130:131], v[186:187], v[130:131]
	v_fma_f64 v[242:243], v[184:185], v[128:129], -v[130:131]
	ds_read_b128 v[128:131], v2 offset:1456
	s_waitcnt vmcnt(4) lgkmcnt(2)
	v_mul_f64 v[184:185], v[124:125], v[74:75]
	v_fmac_f64_e32 v[184:185], v[126:127], v[72:73]
	v_add_f64 v[10:11], v[10:11], v[184:185]
	s_waitcnt vmcnt(3) lgkmcnt(1)
	v_mul_f64 v[184:185], v[196:197], v[82:83]
	v_fmac_f64_e32 v[184:185], v[198:199], v[80:81]
	v_add_f64 v[10:11], v[10:11], v[184:185]
	;; [unrolled: 4-line block ×3, first 2 shown]
	ds_read_b128 v[184:187], v2 offset:1472
	ds_read_b128 v[216:219], v2 offset:1488
	;; [unrolled: 1-line block ×3, first 2 shown]
	s_waitcnt vmcnt(1) lgkmcnt(2)
	v_mul_f64 v[204:205], v[184:185], v[90:91]
	v_fmac_f64_e32 v[204:205], v[186:187], v[88:89]
	v_add_f64 v[10:11], v[10:11], v[204:205]
	scratch_load_dwordx4 v[204:207], off, off offset:736
	s_waitcnt vmcnt(0) lgkmcnt(1)
	v_mul_f64 v[220:221], v[216:217], v[206:207]
	v_fmac_f64_e32 v[220:221], v[218:219], v[204:205]
	v_add_f64 v[10:11], v[10:11], v[220:221]
	scratch_load_dwordx4 v[220:223], off, off offset:752
	s_waitcnt vmcnt(0) lgkmcnt(0)
	v_mul_f64 v[228:229], v[224:225], v[222:223]
	v_fmac_f64_e32 v[228:229], v[226:227], v[220:221]
	v_add_f64 v[10:11], v[10:11], v[228:229]
	ds_read_b128 v[228:231], v2 offset:1520
	s_waitcnt lgkmcnt(0)
	v_mul_f64 v[2:3], v[228:229], v[234:235]
	v_fmac_f64_e32 v[2:3], v[230:231], v[232:233]
	v_add_f64 v[2:3], v[10:11], v[2:3]
	v_add_f64 v[10:11], v[244:245], 0
	;; [unrolled: 1-line block ×6, first 2 shown]
	scratch_load_dwordx4 v[236:239], off, off offset:64
	v_add_f64 v[10:11], v[10:11], v[250:251]
	v_add_f64 v[10:11], v[10:11], v[252:253]
	v_add_f64 v[10:11], v[10:11], v[254:255]
	v_add_f64 v[10:11], v[10:11], v[240:241]
	v_add_f64 v[8:9], v[10:11], v[8:9]
	v_add_f64 v[6:7], v[8:9], v[6:7]
	v_add_f64 v[4:5], v[6:7], v[4:5]
	v_add_f64 v[244:245], v[4:5], v[0:1]
	v_accvgpr_read_b32 v0, a106
	v_accvgpr_read_b32 v1, a107
	v_add_f64 v[0:1], v[244:245], v[0:1]
	v_add_f64 v[0:1], v[0:1], v[242:243]
	v_accvgpr_read_b32 v6, a98
	v_accvgpr_read_b32 v243, a105
	;; [unrolled: 1-line block ×8, first 2 shown]
	v_mul_f64 v[4:5], v[242:243], v[8:9]
	v_fma_f64 v[4:5], v[240:241], v[6:7], -v[4:5]
	v_add_f64 v[0:1], v[0:1], v[4:5]
	v_mul_f64 v[4:5], v[34:35], v[26:27]
	v_fma_f64 v[4:5], v[32:33], v[24:25], -v[4:5]
	v_add_f64 v[0:1], v[0:1], v[4:5]
	;; [unrolled: 3-line block ×29, first 2 shown]
	s_waitcnt vmcnt(0)
	v_add_f64 v[4:5], v[236:237], -v[0:1]
	v_accvgpr_read_b32 v0, a96
	v_add_f64 v[6:7], v[238:239], -v[2:3]
	v_cmp_lt_u32_e32 vcc, 2, v0
	scratch_store_dwordx4 off, v[4:7], off offset:64
	s_and_saveexec_b64 s[0:1], vcc
	s_cbranch_execz .LBB47_297
; %bb.296:
	scratch_load_dwordx4 v[2:5], off, s26
	v_mov_b32_e32 v6, 0
	v_mov_b32_e32 v7, v6
	;; [unrolled: 1-line block ×4, first 2 shown]
	v_accvgpr_read_b32 v0, a97
	scratch_store_dwordx4 off, v[6:9], off offset:48
	s_waitcnt vmcnt(1)
	ds_write_b128 v0, v[2:5]
.LBB47_297:
	s_or_b64 exec, exec, s[0:1]
	s_waitcnt lgkmcnt(0)
	; wave barrier
	scratch_load_dwordx4 v[80:83], off, off offset:64
	scratch_load_dwordx4 v[84:87], off, off offset:80
	;; [unrolled: 1-line block ×29, first 2 shown]
	v_mov_b32_e32 v2, 0
	ds_read_b128 v[132:135], v2 offset:816
	ds_read_b128 v[136:139], v2 offset:832
	;; [unrolled: 1-line block ×22, first 2 shown]
	s_waitcnt vmcnt(28) lgkmcnt(14)
	v_mul_f64 v[0:1], v[132:133], v[82:83]
	s_waitcnt vmcnt(27)
	v_mul_f64 v[56:57], v[136:137], v[86:87]
	v_fmac_f64_e32 v[0:1], v[134:135], v[80:81]
	s_waitcnt vmcnt(26)
	v_mul_f64 v[58:59], v[140:141], v[90:91]
	v_fmac_f64_e32 v[56:57], v[138:139], v[84:85]
	v_add_f64 v[0:1], v[0:1], 0
	s_waitcnt vmcnt(25)
	v_mul_f64 v[60:61], v[148:149], v[94:95]
	v_fmac_f64_e32 v[58:59], v[142:143], v[88:89]
	v_add_f64 v[0:1], v[0:1], v[56:57]
	s_waitcnt vmcnt(24)
	v_mul_f64 v[62:63], v[160:161], v[98:99]
	v_fmac_f64_e32 v[60:61], v[150:151], v[92:93]
	v_add_f64 v[0:1], v[0:1], v[58:59]
	s_waitcnt vmcnt(23)
	v_mul_f64 v[64:65], v[172:173], v[102:103]
	v_fmac_f64_e32 v[62:63], v[162:163], v[96:97]
	v_add_f64 v[0:1], v[0:1], v[60:61]
	s_waitcnt vmcnt(22)
	v_mul_f64 v[66:67], v[184:185], v[106:107]
	v_fmac_f64_e32 v[64:65], v[174:175], v[100:101]
	v_add_f64 v[0:1], v[0:1], v[62:63]
	s_waitcnt vmcnt(21)
	v_mul_f64 v[68:69], v[196:197], v[146:147]
	v_fmac_f64_e32 v[66:67], v[186:187], v[104:105]
	v_add_f64 v[0:1], v[0:1], v[64:65]
	s_waitcnt vmcnt(20) lgkmcnt(13)
	v_mul_f64 v[70:71], v[204:205], v[154:155]
	v_fmac_f64_e32 v[68:69], v[198:199], v[144:145]
	v_add_f64 v[0:1], v[0:1], v[66:67]
	s_waitcnt vmcnt(19) lgkmcnt(12)
	v_mul_f64 v[72:73], v[208:209], v[158:159]
	v_fmac_f64_e32 v[70:71], v[206:207], v[152:153]
	v_add_f64 v[0:1], v[0:1], v[68:69]
	;; [unrolled: 4-line block ×8, first 2 shown]
	v_fmac_f64_e32 v[112:113], v[240:241], v[192:193]
	v_add_f64 v[0:1], v[0:1], v[110:111]
	s_waitcnt vmcnt(12) lgkmcnt(5)
	v_mul_f64 v[60:61], v[242:243], v[202:203]
	scratch_load_dwordx4 v[56:59], off, off offset:528
	ds_read_b128 v[108:111], v2 offset:1104
	v_add_f64 v[0:1], v[0:1], v[112:113]
	v_fmac_f64_e32 v[60:61], v[244:245], v[200:201]
	v_add_f64 v[0:1], v[0:1], v[60:61]
	s_waitcnt vmcnt(12) lgkmcnt(5)
	v_mul_f64 v[64:65], v[52:53], v[6:7]
	scratch_load_dwordx4 v[60:63], off, off offset:544
	v_accvgpr_write_b32 a101, v7
	v_fmac_f64_e32 v[64:65], v[54:55], v[4:5]
	v_accvgpr_write_b32 a100, v6
	v_accvgpr_write_b32 a99, v5
	;; [unrolled: 1-line block ×3, first 2 shown]
	ds_read_b128 v[112:115], v2 offset:1120
	s_waitcnt vmcnt(12)
	v_mov_b64_e32 v[4:5], v[8:9]
	v_mov_b64_e32 v[6:7], v[10:11]
	s_waitcnt lgkmcnt(1)
	v_mul_f64 v[68:69], v[108:109], v[6:7]
	v_fmac_f64_e32 v[68:69], v[110:111], v[4:5]
	s_waitcnt vmcnt(11)
	v_mov_b64_e32 v[4:5], v[12:13]
	v_add_f64 v[0:1], v[0:1], v[64:65]
	v_mov_b64_e32 v[6:7], v[14:15]
	scratch_load_dwordx4 v[64:67], off, off offset:560
	v_add_f64 v[0:1], v[0:1], v[68:69]
	s_waitcnt lgkmcnt(0)
	v_mul_f64 v[68:69], v[112:113], v[6:7]
	v_fmac_f64_e32 v[68:69], v[114:115], v[4:5]
	v_add_f64 v[0:1], v[0:1], v[68:69]
	scratch_load_dwordx4 v[68:71], off, off offset:576
	s_waitcnt vmcnt(12)
	v_mul_f64 v[76:77], v[116:117], v[236:237]
	scratch_load_dwordx4 v[72:75], off, off offset:592
	v_fmac_f64_e32 v[76:77], v[118:119], v[234:235]
	v_add_f64 v[0:1], v[0:1], v[76:77]
	s_waitcnt vmcnt(12)
	v_mul_f64 v[76:77], v[120:121], v[22:23]
	v_fmac_f64_e32 v[76:77], v[122:123], v[20:21]
	v_add_f64 v[0:1], v[0:1], v[76:77]
	scratch_load_dwordx4 v[76:79], off, off offset:608
	v_mul_f64 v[82:83], v[134:135], v[82:83]
	v_fma_f64 v[246:247], v[132:133], v[80:81], -v[82:83]
	scratch_load_dwordx4 v[80:83], off, off offset:624
	v_mul_f64 v[86:87], v[138:139], v[86:87]
	v_fma_f64 v[248:249], v[136:137], v[84:85], -v[86:87]
	scratch_load_dwordx4 v[84:87], off, off offset:640
	v_mul_f64 v[90:91], v[142:143], v[90:91]
	s_waitcnt vmcnt(14)
	v_mul_f64 v[132:133], v[124:125], v[26:27]
	v_fma_f64 v[250:251], v[140:141], v[88:89], -v[90:91]
	scratch_load_dwordx4 v[88:91], off, off offset:656
	v_fmac_f64_e32 v[132:133], v[126:127], v[24:25]
	s_waitcnt vmcnt(14)
	v_mul_f64 v[136:137], v[128:129], v[30:31]
	v_mul_f64 v[94:95], v[150:151], v[94:95]
	v_add_f64 v[0:1], v[0:1], v[132:133]
	v_fmac_f64_e32 v[136:137], v[130:131], v[28:29]
	v_fma_f64 v[252:253], v[148:149], v[92:93], -v[94:95]
	v_mul_f64 v[92:93], v[162:163], v[98:99]
	ds_read_b128 v[132:135], v2 offset:1200
	v_add_f64 v[0:1], v[0:1], v[136:137]
	ds_read_b128 v[136:139], v2 offset:1216
	v_fma_f64 v[254:255], v[160:161], v[96:97], -v[92:93]
	scratch_load_dwordx4 v[96:99], off, off offset:672
	scratch_load_dwordx4 v[92:95], off, off offset:688
	v_mul_f64 v[102:103], v[174:175], v[102:103]
	v_fma_f64 v[232:233], v[172:173], v[100:101], -v[102:103]
	scratch_load_dwordx4 v[100:103], off, off offset:704
	v_mul_f64 v[106:107], v[186:187], v[106:107]
	v_fma_f64 v[16:17], v[184:185], v[104:105], -v[106:107]
	scratch_load_dwordx4 v[104:107], off, off offset:720
	s_waitcnt vmcnt(17) lgkmcnt(1)
	v_mul_f64 v[140:141], v[132:133], v[34:35]
	v_fmac_f64_e32 v[140:141], v[134:135], v[32:33]
	v_add_f64 v[0:1], v[0:1], v[140:141]
	ds_read_b128 v[140:143], v2 offset:1232
	v_accvgpr_write_b32 a109, v15
	v_mul_f64 v[6:7], v[198:199], v[146:147]
	v_accvgpr_write_b32 a108, v14
	v_accvgpr_write_b32 a107, v13
	;; [unrolled: 1-line block ×3, first 2 shown]
	v_fma_f64 v[12:13], v[196:197], v[144:145], -v[6:7]
	ds_read_b128 v[144:147], v2 offset:1248
	s_waitcnt vmcnt(16) lgkmcnt(2)
	v_mul_f64 v[148:149], v[136:137], v[38:39]
	v_fmac_f64_e32 v[148:149], v[138:139], v[36:37]
	v_add_f64 v[0:1], v[0:1], v[148:149]
	s_waitcnt vmcnt(15) lgkmcnt(1)
	v_mul_f64 v[6:7], v[140:141], v[42:43]
	ds_read_b128 v[148:151], v2 offset:1264
	v_fmac_f64_e32 v[6:7], v[142:143], v[40:41]
	v_add_f64 v[0:1], v[0:1], v[6:7]
	s_waitcnt vmcnt(14) lgkmcnt(1)
	v_mul_f64 v[6:7], v[144:145], v[46:47]
	v_fmac_f64_e32 v[6:7], v[146:147], v[44:45]
	v_accvgpr_write_b32 a105, v11
	v_add_f64 v[0:1], v[0:1], v[6:7]
	v_mul_f64 v[6:7], v[206:207], v[154:155]
	v_accvgpr_write_b32 a104, v10
	v_accvgpr_write_b32 a103, v9
	;; [unrolled: 1-line block ×3, first 2 shown]
	v_fma_f64 v[10:11], v[204:205], v[152:153], -v[6:7]
	ds_read_b128 v[152:155], v2 offset:1280
	s_waitcnt vmcnt(13) lgkmcnt(1)
	v_mul_f64 v[6:7], v[148:149], v[50:51]
	v_fmac_f64_e32 v[6:7], v[150:151], v[48:49]
	v_add_f64 v[0:1], v[0:1], v[6:7]
	v_mul_f64 v[6:7], v[210:211], v[158:159]
	v_fma_f64 v[8:9], v[208:209], v[156:157], -v[6:7]
	ds_read_b128 v[156:159], v2 offset:1296
	ds_read_b128 v[160:163], v2 offset:1312
	s_waitcnt vmcnt(12) lgkmcnt(2)
	v_mul_f64 v[6:7], v[152:153], v[58:59]
	v_fmac_f64_e32 v[6:7], v[154:155], v[56:57]
	v_add_f64 v[0:1], v[0:1], v[6:7]
	s_waitcnt vmcnt(11) lgkmcnt(1)
	v_mul_f64 v[6:7], v[156:157], v[62:63]
	v_fmac_f64_e32 v[6:7], v[158:159], v[60:61]
	v_add_f64 v[0:1], v[0:1], v[6:7]
	v_mul_f64 v[6:7], v[214:215], v[166:167]
	v_fma_f64 v[14:15], v[212:213], v[164:165], -v[6:7]
	ds_read_b128 v[164:167], v2 offset:1328
	v_mul_f64 v[170:171], v[218:219], v[170:171]
	v_fma_f64 v[4:5], v[216:217], v[168:169], -v[170:171]
	ds_read_b128 v[168:171], v2 offset:1344
	s_waitcnt vmcnt(10) lgkmcnt(2)
	v_mul_f64 v[6:7], v[160:161], v[66:67]
	v_fmac_f64_e32 v[6:7], v[162:163], v[64:65]
	v_add_f64 v[0:1], v[0:1], v[6:7]
	s_waitcnt vmcnt(9) lgkmcnt(1)
	v_mul_f64 v[6:7], v[164:165], v[70:71]
	ds_read_b128 v[172:175], v2 offset:1360
	v_fmac_f64_e32 v[6:7], v[166:167], v[68:69]
	v_add_f64 v[0:1], v[0:1], v[6:7]
	s_waitcnt vmcnt(8) lgkmcnt(1)
	v_mul_f64 v[6:7], v[168:169], v[74:75]
	v_fmac_f64_e32 v[6:7], v[170:171], v[72:73]
	v_add_f64 v[0:1], v[0:1], v[6:7]
	v_mul_f64 v[6:7], v[222:223], v[178:179]
	v_fma_f64 v[18:19], v[220:221], v[176:177], -v[6:7]
	ds_read_b128 v[176:179], v2 offset:1376
	s_waitcnt vmcnt(7) lgkmcnt(1)
	v_mul_f64 v[6:7], v[172:173], v[78:79]
	v_fmac_f64_e32 v[6:7], v[174:175], v[76:77]
	v_add_f64 v[0:1], v[0:1], v[6:7]
	v_mul_f64 v[6:7], v[226:227], v[182:183]
	v_fma_f64 v[6:7], v[224:225], v[180:181], -v[6:7]
	ds_read_b128 v[180:183], v2 offset:1392
	s_waitcnt vmcnt(6) lgkmcnt(1)
	v_mul_f64 v[184:185], v[176:177], v[82:83]
	v_fmac_f64_e32 v[184:185], v[178:179], v[80:81]
	v_add_f64 v[0:1], v[0:1], v[184:185]
	ds_read_b128 v[184:187], v2 offset:1408
	s_waitcnt vmcnt(5) lgkmcnt(1)
	v_mul_f64 v[196:197], v[180:181], v[86:87]
	v_fmac_f64_e32 v[196:197], v[182:183], v[84:85]
	v_add_f64 v[196:197], v[0:1], v[196:197]
	v_mul_f64 v[0:1], v[230:231], v[190:191]
	v_fma_f64 v[0:1], v[228:229], v[188:189], -v[0:1]
	ds_read_b128 v[188:191], v2 offset:1424
	s_waitcnt vmcnt(4) lgkmcnt(1)
	v_mul_f64 v[198:199], v[184:185], v[90:91]
	v_fmac_f64_e32 v[198:199], v[186:187], v[88:89]
	v_mul_f64 v[194:195], v[240:241], v[194:195]
	v_fma_f64 v[238:239], v[238:239], v[192:193], -v[194:195]
	ds_read_b128 v[192:195], v2 offset:1440
	v_add_f64 v[196:197], v[196:197], v[198:199]
	s_waitcnt vmcnt(3) lgkmcnt(1)
	v_mul_f64 v[198:199], v[188:189], v[98:99]
	v_fmac_f64_e32 v[198:199], v[190:191], v[96:97]
	v_add_f64 v[204:205], v[196:197], v[198:199]
	ds_read_b128 v[196:199], v2 offset:1456
	v_mul_f64 v[202:203], v[244:245], v[202:203]
	v_fma_f64 v[240:241], v[242:243], v[200:201], -v[202:203]
	ds_read_b128 v[200:203], v2 offset:1472
	s_waitcnt vmcnt(2) lgkmcnt(2)
	v_mul_f64 v[206:207], v[192:193], v[94:95]
	v_fmac_f64_e32 v[206:207], v[194:195], v[92:93]
	v_add_f64 v[204:205], v[204:205], v[206:207]
	s_waitcnt vmcnt(1) lgkmcnt(1)
	v_mul_f64 v[206:207], v[196:197], v[102:103]
	v_fmac_f64_e32 v[206:207], v[198:199], v[100:101]
	v_add_f64 v[204:205], v[204:205], v[206:207]
	;; [unrolled: 4-line block ×3, first 2 shown]
	scratch_load_dwordx4 v[204:207], off, off offset:736
	ds_read_b128 v[208:211], v2 offset:1488
	ds_read_b128 v[216:219], v2 offset:1504
	;; [unrolled: 1-line block ×3, first 2 shown]
	s_waitcnt vmcnt(0) lgkmcnt(2)
	v_mul_f64 v[214:215], v[208:209], v[206:207]
	v_fmac_f64_e32 v[214:215], v[210:211], v[204:205]
	v_add_f64 v[220:221], v[212:213], v[214:215]
	scratch_load_dwordx4 v[212:215], off, off offset:752
	s_waitcnt vmcnt(0) lgkmcnt(1)
	v_mul_f64 v[222:223], v[216:217], v[214:215]
	v_fmac_f64_e32 v[222:223], v[218:219], v[212:213]
	v_add_f64 v[228:229], v[220:221], v[222:223]
	scratch_load_dwordx4 v[220:223], off, off offset:768
	s_waitcnt vmcnt(0) lgkmcnt(0)
	v_mul_f64 v[230:231], v[224:225], v[222:223]
	v_fmac_f64_e32 v[230:231], v[226:227], v[220:221]
	v_add_f64 v[244:245], v[228:229], v[230:231]
	v_add_f64 v[228:229], v[246:247], 0
	;; [unrolled: 1-line block ×8, first 2 shown]
	scratch_load_dwordx4 v[228:231], off, off offset:48
	v_add_f64 v[12:13], v[16:17], v[12:13]
	v_add_f64 v[10:11], v[12:13], v[10:11]
	;; [unrolled: 1-line block ×7, first 2 shown]
	v_accvgpr_read_b32 v6, a98
	v_accvgpr_read_b32 v8, a100
	v_accvgpr_read_b32 v9, a101
	v_add_f64 v[0:1], v[4:5], v[0:1]
	v_accvgpr_read_b32 v7, a99
	v_mul_f64 v[4:5], v[54:55], v[8:9]
	v_add_f64 v[0:1], v[0:1], v[238:239]
	v_fma_f64 v[4:5], v[52:53], v[6:7], -v[4:5]
	v_accvgpr_read_b32 v6, a102
	v_add_f64 v[0:1], v[0:1], v[240:241]
	v_accvgpr_read_b32 v8, a104
	v_accvgpr_read_b32 v9, a105
	v_add_f64 v[0:1], v[0:1], v[4:5]
	v_accvgpr_read_b32 v7, a103
	v_mul_f64 v[4:5], v[110:111], v[8:9]
	v_fma_f64 v[4:5], v[108:109], v[6:7], -v[4:5]
	v_accvgpr_read_b32 v6, a106
	v_accvgpr_read_b32 v8, a108
	;; [unrolled: 1-line block ×3, first 2 shown]
	v_add_f64 v[0:1], v[0:1], v[4:5]
	v_accvgpr_read_b32 v7, a107
	v_mul_f64 v[4:5], v[114:115], v[8:9]
	v_fma_f64 v[4:5], v[112:113], v[6:7], -v[4:5]
	v_add_f64 v[0:1], v[0:1], v[4:5]
	v_mul_f64 v[4:5], v[118:119], v[236:237]
	v_fma_f64 v[4:5], v[116:117], v[234:235], -v[4:5]
	v_add_f64 v[0:1], v[0:1], v[4:5]
	;; [unrolled: 3-line block ×26, first 2 shown]
	s_waitcnt vmcnt(0)
	v_add_f64 v[4:5], v[228:229], -v[0:1]
	v_accvgpr_read_b32 v0, a96
	v_add_f64 v[6:7], v[230:231], -v[244:245]
	v_cmp_lt_u32_e32 vcc, 1, v0
	scratch_store_dwordx4 off, v[4:7], off offset:48
	s_and_saveexec_b64 s[0:1], vcc
	s_cbranch_execz .LBB47_299
; %bb.298:
	scratch_load_dwordx4 v[6:9], off, s29
	v_mov_b32_e32 v3, v2
	v_mov_b32_e32 v4, v2
	;; [unrolled: 1-line block ×3, first 2 shown]
	v_accvgpr_read_b32 v0, a97
	scratch_store_dwordx4 off, v[2:5], off offset:32
	s_waitcnt vmcnt(1)
	ds_write_b128 v0, v[6:9]
.LBB47_299:
	s_or_b64 exec, exec, s[0:1]
	s_waitcnt lgkmcnt(0)
	; wave barrier
	scratch_load_dwordx4 v[80:83], off, off offset:48
	scratch_load_dwordx4 v[84:87], off, off offset:64
	;; [unrolled: 1-line block ×17, first 2 shown]
	ds_read_b128 v[136:139], v2 offset:800
	ds_read_b128 v[132:135], v2 offset:816
	scratch_load_dwordx4 v[4:7], off, off offset:320
	ds_read_b128 v[236:239], v2 offset:832
	ds_read_b128 v[228:231], v2 offset:848
	;; [unrolled: 1-line block ×5, first 2 shown]
	scratch_load_dwordx4 v[8:11], off, off offset:336
	ds_read_b128 v[232:235], v2 offset:912
	ds_read_b128 v[216:219], v2 offset:928
	;; [unrolled: 1-line block ×3, first 2 shown]
	scratch_load_dwordx4 v[12:15], off, off offset:352
	ds_read_b128 v[220:223], v2 offset:960
	ds_read_b128 v[172:175], v2 offset:976
	;; [unrolled: 1-line block ×5, first 2 shown]
	scratch_load_dwordx4 v[16:19], off, off offset:368
	ds_read_b128 v[208:211], v2 offset:1040
	ds_read_b128 v[204:207], v2 offset:1056
	;; [unrolled: 1-line block ×3, first 2 shown]
	scratch_load_dwordx4 v[24:27], off, off offset:384
	scratch_load_dwordx4 v[28:31], off, off offset:400
	;; [unrolled: 1-line block ×8, first 2 shown]
	ds_read_b128 v[116:119], v2 offset:1120
	ds_read_b128 v[120:123], v2 offset:1136
	;; [unrolled: 1-line block ×4, first 2 shown]
	s_waitcnt vmcnt(28) lgkmcnt(14)
	v_mul_f64 v[0:1], v[136:137], v[82:83]
	s_waitcnt vmcnt(27)
	v_mul_f64 v[56:57], v[132:133], v[86:87]
	v_fmac_f64_e32 v[0:1], v[138:139], v[80:81]
	s_waitcnt vmcnt(26)
	v_mul_f64 v[58:59], v[236:237], v[90:91]
	v_fmac_f64_e32 v[56:57], v[134:135], v[84:85]
	v_add_f64 v[0:1], v[0:1], 0
	s_waitcnt vmcnt(25)
	v_mul_f64 v[60:61], v[228:229], v[94:95]
	v_fmac_f64_e32 v[58:59], v[238:239], v[88:89]
	v_add_f64 v[0:1], v[0:1], v[56:57]
	;; [unrolled: 4-line block ×6, first 2 shown]
	s_waitcnt vmcnt(20) lgkmcnt(13)
	v_mul_f64 v[70:71], v[216:217], v[154:155]
	v_fmac_f64_e32 v[68:69], v[234:235], v[144:145]
	v_add_f64 v[0:1], v[0:1], v[66:67]
	s_waitcnt vmcnt(19) lgkmcnt(12)
	v_mul_f64 v[72:73], v[160:161], v[158:159]
	v_fmac_f64_e32 v[70:71], v[218:219], v[152:153]
	v_add_f64 v[0:1], v[0:1], v[68:69]
	;; [unrolled: 4-line block ×7, first 2 shown]
	v_fmac_f64_e32 v[110:111], v[198:199], v[188:189]
	v_add_f64 v[0:1], v[0:1], v[108:109]
	s_waitcnt vmcnt(13) lgkmcnt(6)
	v_mul_f64 v[112:113], v[208:209], v[194:195]
	v_add_f64 v[0:1], v[0:1], v[110:111]
	scratch_load_dwordx4 v[56:59], off, off offset:512
	scratch_load_dwordx4 v[60:63], off, off offset:528
	ds_read_b128 v[108:111], v2 offset:1088
	s_waitcnt vmcnt(14) lgkmcnt(6)
	v_mul_f64 v[114:115], v[204:205], v[202:203]
	v_fmac_f64_e32 v[112:113], v[210:211], v[192:193]
	v_add_f64 v[0:1], v[0:1], v[112:113]
	v_fmac_f64_e32 v[114:115], v[206:207], v[200:201]
	s_waitcnt vmcnt(13) lgkmcnt(5)
	v_mul_f64 v[64:65], v[20:21], v[6:7]
	v_accvgpr_write_b32 a101, v7
	v_add_f64 v[0:1], v[0:1], v[114:115]
	v_fmac_f64_e32 v[64:65], v[22:23], v[4:5]
	v_accvgpr_write_b32 a100, v6
	v_accvgpr_write_b32 a99, v5
	;; [unrolled: 1-line block ×3, first 2 shown]
	ds_read_b128 v[112:115], v2 offset:1104
	s_waitcnt vmcnt(12)
	v_mov_b64_e32 v[4:5], v[8:9]
	v_mov_b64_e32 v[6:7], v[10:11]
	s_waitcnt lgkmcnt(1)
	v_mul_f64 v[68:69], v[108:109], v[6:7]
	v_fmac_f64_e32 v[68:69], v[110:111], v[4:5]
	s_waitcnt vmcnt(11)
	v_mov_b64_e32 v[4:5], v[12:13]
	v_add_f64 v[0:1], v[0:1], v[64:65]
	v_mov_b64_e32 v[6:7], v[14:15]
	v_add_f64 v[0:1], v[0:1], v[68:69]
	s_waitcnt lgkmcnt(0)
	v_mul_f64 v[68:69], v[112:113], v[6:7]
	scratch_load_dwordx4 v[64:67], off, off offset:544
	v_fmac_f64_e32 v[68:69], v[114:115], v[4:5]
	v_add_f64 v[0:1], v[0:1], v[68:69]
	scratch_load_dwordx4 v[68:71], off, off offset:560
	scratch_load_dwordx4 v[72:75], off, off offset:576
	s_waitcnt vmcnt(13)
	v_mul_f64 v[76:77], v[116:117], v[18:19]
	v_fmac_f64_e32 v[76:77], v[118:119], v[16:17]
	v_add_f64 v[0:1], v[0:1], v[76:77]
	s_waitcnt vmcnt(12)
	v_mul_f64 v[76:77], v[120:121], v[26:27]
	v_fmac_f64_e32 v[76:77], v[122:123], v[24:25]
	v_add_f64 v[0:1], v[0:1], v[76:77]
	scratch_load_dwordx4 v[76:79], off, off offset:592
	v_mul_f64 v[82:83], v[138:139], v[82:83]
	v_fma_f64 v[244:245], v[136:137], v[80:81], -v[82:83]
	scratch_load_dwordx4 v[80:83], off, off offset:608
	v_mul_f64 v[86:87], v[134:135], v[86:87]
	v_fma_f64 v[246:247], v[132:133], v[84:85], -v[86:87]
	scratch_load_dwordx4 v[84:87], off, off offset:624
	s_waitcnt vmcnt(14)
	v_mul_f64 v[136:137], v[124:125], v[30:31]
	v_mul_f64 v[90:91], v[238:239], v[90:91]
	v_fmac_f64_e32 v[136:137], v[126:127], v[28:29]
	v_fma_f64 v[236:237], v[236:237], v[88:89], -v[90:91]
	scratch_load_dwordx4 v[88:91], off, off offset:640
	v_add_f64 v[0:1], v[0:1], v[136:137]
	s_waitcnt vmcnt(14)
	v_mul_f64 v[136:137], v[128:129], v[34:35]
	v_mul_f64 v[94:95], v[230:231], v[94:95]
	v_fmac_f64_e32 v[136:137], v[130:131], v[32:33]
	v_fma_f64 v[238:239], v[228:229], v[92:93], -v[94:95]
	v_mul_f64 v[92:93], v[226:227], v[98:99]
	ds_read_b128 v[132:135], v2 offset:1184
	v_add_f64 v[0:1], v[0:1], v[136:137]
	ds_read_b128 v[136:139], v2 offset:1200
	v_fma_f64 v[248:249], v[224:225], v[96:97], -v[92:93]
	scratch_load_dwordx4 v[96:99], off, off offset:656
	scratch_load_dwordx4 v[92:95], off, off offset:672
	v_mul_f64 v[102:103], v[150:151], v[102:103]
	v_fma_f64 v[250:251], v[148:149], v[100:101], -v[102:103]
	scratch_load_dwordx4 v[100:103], off, off offset:688
	v_mul_f64 v[106:107], v[142:143], v[106:107]
	v_fma_f64 v[252:253], v[140:141], v[104:105], -v[106:107]
	v_mul_f64 v[104:105], v[234:235], v[146:147]
	v_fma_f64 v[254:255], v[232:233], v[144:145], -v[104:105]
	scratch_load_dwordx4 v[104:107], off, off offset:704
	ds_read_b128 v[140:143], v2 offset:1216
	ds_read_b128 v[144:147], v2 offset:1232
	s_waitcnt vmcnt(17) lgkmcnt(3)
	v_mul_f64 v[228:229], v[132:133], v[38:39]
	v_fmac_f64_e32 v[228:229], v[134:135], v[36:37]
	s_waitcnt vmcnt(16) lgkmcnt(2)
	v_mul_f64 v[224:225], v[136:137], v[42:43]
	v_add_f64 v[0:1], v[0:1], v[228:229]
	v_fmac_f64_e32 v[224:225], v[138:139], v[40:41]
	s_waitcnt vmcnt(15) lgkmcnt(1)
	v_mul_f64 v[148:149], v[140:141], v[46:47]
	v_add_f64 v[0:1], v[0:1], v[224:225]
	v_fmac_f64_e32 v[148:149], v[142:143], v[44:45]
	v_add_f64 v[0:1], v[0:1], v[148:149]
	ds_read_b128 v[148:151], v2 offset:1248
	v_mul_f64 v[154:155], v[218:219], v[154:155]
	v_fma_f64 v[240:241], v[216:217], v[152:153], -v[154:155]
	ds_read_b128 v[152:155], v2 offset:1264
	v_accvgpr_write_b32 a109, v15
	v_mul_f64 v[158:159], v[162:163], v[158:159]
	v_accvgpr_write_b32 a108, v14
	v_accvgpr_write_b32 a107, v13
	;; [unrolled: 1-line block ×3, first 2 shown]
	v_fma_f64 v[12:13], v[160:161], v[156:157], -v[158:159]
	ds_read_b128 v[156:159], v2 offset:1280
	ds_read_b128 v[160:163], v2 offset:1296
	s_waitcnt vmcnt(14) lgkmcnt(4)
	v_mul_f64 v[224:225], v[144:145], v[50:51]
	v_fmac_f64_e32 v[224:225], v[146:147], v[48:49]
	s_waitcnt vmcnt(13) lgkmcnt(3)
	v_mul_f64 v[216:217], v[148:149], v[54:55]
	v_add_f64 v[0:1], v[0:1], v[224:225]
	v_fmac_f64_e32 v[216:217], v[150:151], v[52:53]
	s_waitcnt vmcnt(12) lgkmcnt(2)
	v_mul_f64 v[6:7], v[152:153], v[58:59]
	v_add_f64 v[0:1], v[0:1], v[216:217]
	v_fmac_f64_e32 v[6:7], v[154:155], v[56:57]
	v_add_f64 v[0:1], v[0:1], v[6:7]
	s_waitcnt vmcnt(11) lgkmcnt(1)
	v_mul_f64 v[6:7], v[156:157], v[62:63]
	v_fmac_f64_e32 v[6:7], v[158:159], v[60:61]
	v_accvgpr_write_b32 a105, v11
	v_add_f64 v[0:1], v[0:1], v[6:7]
	v_mul_f64 v[6:7], v[222:223], v[166:167]
	v_accvgpr_write_b32 a104, v10
	v_accvgpr_write_b32 a103, v9
	;; [unrolled: 1-line block ×3, first 2 shown]
	v_fma_f64 v[8:9], v[220:221], v[164:165], -v[6:7]
	ds_read_b128 v[164:167], v2 offset:1312
	v_mul_f64 v[170:171], v[174:175], v[170:171]
	v_fma_f64 v[6:7], v[172:173], v[168:169], -v[170:171]
	ds_read_b128 v[168:171], v2 offset:1328
	s_waitcnt vmcnt(10) lgkmcnt(2)
	v_mul_f64 v[216:217], v[160:161], v[66:67]
	v_fmac_f64_e32 v[216:217], v[162:163], v[64:65]
	s_waitcnt vmcnt(9) lgkmcnt(1)
	v_mul_f64 v[10:11], v[164:165], v[70:71]
	v_add_f64 v[0:1], v[0:1], v[216:217]
	v_fmac_f64_e32 v[10:11], v[166:167], v[68:69]
	v_add_f64 v[0:1], v[0:1], v[10:11]
	s_waitcnt vmcnt(8) lgkmcnt(0)
	v_mul_f64 v[10:11], v[168:169], v[74:75]
	v_fmac_f64_e32 v[10:11], v[170:171], v[72:73]
	ds_read_b128 v[172:175], v2 offset:1344
	v_add_f64 v[0:1], v[0:1], v[10:11]
	v_mul_f64 v[10:11], v[214:215], v[178:179]
	v_fma_f64 v[10:11], v[212:213], v[176:177], -v[10:11]
	ds_read_b128 v[176:179], v2 offset:1360
	v_mul_f64 v[182:183], v[186:187], v[182:183]
	v_fma_f64 v[4:5], v[184:185], v[180:181], -v[182:183]
	ds_read_b128 v[180:183], v2 offset:1376
	ds_read_b128 v[184:187], v2 offset:1392
	s_waitcnt vmcnt(7) lgkmcnt(3)
	v_mul_f64 v[212:213], v[172:173], v[78:79]
	v_fmac_f64_e32 v[212:213], v[174:175], v[76:77]
	s_waitcnt vmcnt(6) lgkmcnt(2)
	v_mul_f64 v[14:15], v[176:177], v[82:83]
	v_add_f64 v[0:1], v[0:1], v[212:213]
	v_fmac_f64_e32 v[14:15], v[178:179], v[80:81]
	v_add_f64 v[0:1], v[0:1], v[14:15]
	s_waitcnt vmcnt(5) lgkmcnt(1)
	v_mul_f64 v[14:15], v[180:181], v[86:87]
	v_fmac_f64_e32 v[14:15], v[182:183], v[84:85]
	v_add_f64 v[14:15], v[0:1], v[14:15]
	v_mul_f64 v[0:1], v[198:199], v[190:191]
	v_fma_f64 v[0:1], v[196:197], v[188:189], -v[0:1]
	ds_read_b128 v[188:191], v2 offset:1408
	v_mul_f64 v[194:195], v[210:211], v[194:195]
	s_waitcnt vmcnt(4) lgkmcnt(1)
	v_mul_f64 v[196:197], v[184:185], v[90:91]
	v_fma_f64 v[192:193], v[208:209], v[192:193], -v[194:195]
	v_fmac_f64_e32 v[196:197], v[186:187], v[88:89]
	v_accvgpr_write_b32 a110, v192
	v_accvgpr_write_b32 a111, v193
	ds_read_b128 v[192:195], v2 offset:1424
	v_add_f64 v[14:15], v[14:15], v[196:197]
	s_waitcnt vmcnt(3) lgkmcnt(1)
	v_mul_f64 v[196:197], v[188:189], v[98:99]
	v_fmac_f64_e32 v[196:197], v[190:191], v[96:97]
	v_add_f64 v[14:15], v[14:15], v[196:197]
	ds_read_b128 v[196:199], v2 offset:1440
	v_mul_f64 v[202:203], v[206:207], v[202:203]
	v_fma_f64 v[242:243], v[204:205], v[200:201], -v[202:203]
	ds_read_b128 v[200:203], v2 offset:1456
	s_waitcnt vmcnt(2) lgkmcnt(2)
	v_mul_f64 v[204:205], v[192:193], v[94:95]
	v_fmac_f64_e32 v[204:205], v[194:195], v[92:93]
	v_add_f64 v[14:15], v[14:15], v[204:205]
	s_waitcnt vmcnt(1) lgkmcnt(1)
	v_mul_f64 v[204:205], v[196:197], v[102:103]
	v_fmac_f64_e32 v[204:205], v[198:199], v[100:101]
	v_add_f64 v[14:15], v[14:15], v[204:205]
	s_waitcnt vmcnt(0) lgkmcnt(0)
	v_mul_f64 v[204:205], v[200:201], v[106:107]
	v_fmac_f64_e32 v[204:205], v[202:203], v[104:105]
	v_add_f64 v[14:15], v[14:15], v[204:205]
	scratch_load_dwordx4 v[204:207], off, off offset:720
	scratch_load_dwordx4 v[232:235], off, off offset:768
	ds_read_b128 v[208:211], v2 offset:1472
	ds_read_b128 v[216:219], v2 offset:1488
	;; [unrolled: 1-line block ×3, first 2 shown]
	s_waitcnt vmcnt(1) lgkmcnt(2)
	v_mul_f64 v[212:213], v[208:209], v[206:207]
	v_fmac_f64_e32 v[212:213], v[210:211], v[204:205]
	v_add_f64 v[14:15], v[14:15], v[212:213]
	scratch_load_dwordx4 v[212:215], off, off offset:736
	s_waitcnt vmcnt(0) lgkmcnt(1)
	v_mul_f64 v[220:221], v[216:217], v[214:215]
	v_fmac_f64_e32 v[220:221], v[218:219], v[212:213]
	v_add_f64 v[14:15], v[14:15], v[220:221]
	scratch_load_dwordx4 v[220:223], off, off offset:752
	s_waitcnt vmcnt(0) lgkmcnt(0)
	v_mul_f64 v[228:229], v[224:225], v[222:223]
	v_fmac_f64_e32 v[228:229], v[226:227], v[220:221]
	v_add_f64 v[14:15], v[14:15], v[228:229]
	ds_read_b128 v[228:231], v2 offset:1520
	s_waitcnt lgkmcnt(0)
	v_mul_f64 v[2:3], v[228:229], v[234:235]
	v_fmac_f64_e32 v[2:3], v[230:231], v[232:233]
	v_add_f64 v[2:3], v[14:15], v[2:3]
	v_add_f64 v[14:15], v[244:245], 0
	;; [unrolled: 1-line block ×5, first 2 shown]
	scratch_load_dwordx4 v[236:239], off, off offset:32
	v_add_f64 v[14:15], v[14:15], v[248:249]
	v_add_f64 v[14:15], v[14:15], v[250:251]
	;; [unrolled: 1-line block ×10, first 2 shown]
	v_accvgpr_read_b32 v6, a98
	v_add_f64 v[244:245], v[4:5], v[0:1]
	v_accvgpr_read_b32 v0, a110
	v_accvgpr_read_b32 v8, a100
	v_accvgpr_read_b32 v9, a101
	v_accvgpr_read_b32 v1, a111
	v_accvgpr_read_b32 v7, a99
	v_mul_f64 v[4:5], v[22:23], v[8:9]
	v_add_f64 v[0:1], v[244:245], v[0:1]
	v_fma_f64 v[4:5], v[20:21], v[6:7], -v[4:5]
	v_accvgpr_read_b32 v6, a102
	v_add_f64 v[0:1], v[0:1], v[242:243]
	v_accvgpr_read_b32 v8, a104
	v_accvgpr_read_b32 v9, a105
	v_add_f64 v[0:1], v[0:1], v[4:5]
	v_accvgpr_read_b32 v7, a103
	v_mul_f64 v[4:5], v[110:111], v[8:9]
	v_fma_f64 v[4:5], v[108:109], v[6:7], -v[4:5]
	v_accvgpr_read_b32 v6, a106
	v_accvgpr_read_b32 v8, a108
	;; [unrolled: 1-line block ×3, first 2 shown]
	v_add_f64 v[0:1], v[0:1], v[4:5]
	v_accvgpr_read_b32 v7, a107
	v_mul_f64 v[4:5], v[114:115], v[8:9]
	v_fma_f64 v[4:5], v[112:113], v[6:7], -v[4:5]
	v_add_f64 v[0:1], v[0:1], v[4:5]
	v_mul_f64 v[4:5], v[118:119], v[18:19]
	v_fma_f64 v[4:5], v[116:117], v[16:17], -v[4:5]
	v_add_f64 v[0:1], v[0:1], v[4:5]
	;; [unrolled: 3-line block ×27, first 2 shown]
	s_waitcnt vmcnt(0)
	v_add_f64 v[4:5], v[236:237], -v[0:1]
	v_accvgpr_read_b32 v0, a96
	v_add_f64 v[6:7], v[238:239], -v[2:3]
	v_cmp_ne_u32_e32 vcc, 0, v0
	scratch_store_dwordx4 off, v[4:7], off offset:32
	s_and_saveexec_b64 s[0:1], vcc
	s_cbranch_execz .LBB47_301
; %bb.300:
	scratch_load_dwordx4 v[2:5], off, off offset:16
	v_mov_b32_e32 v6, 0
	v_mov_b32_e32 v7, v6
	;; [unrolled: 1-line block ×4, first 2 shown]
	v_accvgpr_read_b32 v0, a97
	scratch_store_dwordx4 off, v[6:9], off offset:16
	s_waitcnt vmcnt(1)
	ds_write_b128 v0, v[2:5]
.LBB47_301:
	s_or_b64 exec, exec, s[0:1]
	s_waitcnt lgkmcnt(0)
	; wave barrier
	scratch_load_dwordx4 v[72:75], off, off offset:32
	scratch_load_dwordx4 v[76:79], off, off offset:48
	scratch_load_dwordx4 v[80:83], off, off offset:64
	scratch_load_dwordx4 v[84:87], off, off offset:80
	scratch_load_dwordx4 v[88:91], off, off offset:96
	scratch_load_dwordx4 v[92:95], off, off offset:112
	scratch_load_dwordx4 v[96:99], off, off offset:128
	scratch_load_dwordx4 v[108:111], off, off offset:144
	scratch_load_dwordx4 v[144:147], off, off offset:160
	scratch_load_dwordx4 v[152:155], off, off offset:176
	scratch_load_dwordx4 v[156:159], off, off offset:192
	scratch_load_dwordx4 v[160:163], off, off offset:208
	scratch_load_dwordx4 v[168:171], off, off offset:224
	scratch_load_dwordx4 v[172:175], off, off offset:240
	scratch_load_dwordx4 v[180:183], off, off offset:256
	scratch_load_dwordx4 v[184:187], off, off offset:272
	scratch_load_dwordx4 v[192:195], off, off offset:288
	scratch_load_dwordx4 v[196:199], off, off offset:304
	scratch_load_dwordx4 v[0:3], off, off offset:320
	scratch_load_dwordx4 v[4:7], off, off offset:336
	scratch_load_dwordx4 v[8:11], off, off offset:352
	scratch_load_dwordx4 v[12:15], off, off offset:368
	scratch_load_dwordx4 v[16:19], off, off offset:384
	scratch_load_dwordx4 v[244:247], off, off offset:400
	scratch_load_dwordx4 v[24:27], off, off offset:416
	scratch_load_dwordx4 v[28:31], off, off offset:432
	scratch_load_dwordx4 v[32:35], off, off offset:448
	scratch_load_dwordx4 v[36:39], off, off offset:464
	v_mov_b32_e32 v20, 0
	ds_read_b128 v[128:131], v20 offset:784
	ds_read_b128 v[132:135], v20 offset:800
	;; [unrolled: 1-line block ×22, first 2 shown]
	s_and_b64 vcc, exec, s[18:19]
	ds_read_b128 v[104:107], v20 offset:1088
	s_waitcnt vmcnt(27) lgkmcnt(14)
	v_mul_f64 v[40:41], v[128:129], v[74:75]
	s_waitcnt vmcnt(26)
	v_mul_f64 v[42:43], v[132:133], v[78:79]
	v_fmac_f64_e32 v[40:41], v[130:131], v[72:73]
	s_waitcnt vmcnt(25)
	v_mul_f64 v[44:45], v[136:137], v[82:83]
	v_fmac_f64_e32 v[42:43], v[134:135], v[76:77]
	v_add_f64 v[40:41], v[40:41], 0
	s_waitcnt vmcnt(24)
	v_mul_f64 v[46:47], v[140:141], v[86:87]
	v_fmac_f64_e32 v[44:45], v[138:139], v[80:81]
	v_add_f64 v[40:41], v[40:41], v[42:43]
	;; [unrolled: 4-line block ×7, first 2 shown]
	s_waitcnt vmcnt(18) lgkmcnt(13)
	v_mul_f64 v[58:59], v[204:205], v[154:155]
	v_fmac_f64_e32 v[56:57], v[202:203], v[144:145]
	v_add_f64 v[40:41], v[40:41], v[54:55]
	s_waitcnt vmcnt(17) lgkmcnt(12)
	v_mul_f64 v[60:61], v[208:209], v[158:159]
	v_fmac_f64_e32 v[58:59], v[206:207], v[152:153]
	v_add_f64 v[40:41], v[40:41], v[56:57]
	;; [unrolled: 4-line block ×7, first 2 shown]
	v_fmac_f64_e32 v[70:71], v[230:231], v[184:185]
	v_add_f64 v[40:41], v[40:41], v[68:69]
	s_waitcnt vmcnt(11) lgkmcnt(6)
	v_mul_f64 v[100:101], v[232:233], v[194:195]
	v_add_f64 v[44:45], v[40:41], v[70:71]
	scratch_load_dwordx4 v[40:43], off, off offset:480
	v_fmac_f64_e32 v[100:101], v[234:235], v[192:193]
	v_add_f64 v[48:49], v[44:45], v[100:101]
	scratch_load_dwordx4 v[44:47], off, off offset:496
	ds_read_b128 v[100:103], v20 offset:1072
	s_waitcnt vmcnt(12) lgkmcnt(6)
	v_mul_f64 v[50:51], v[240:241], v[198:199]
	v_fmac_f64_e32 v[50:51], v[242:243], v[196:197]
	v_add_f64 v[52:53], v[48:49], v[50:51]
	scratch_load_dwordx4 v[48:51], off, off offset:512
	s_waitcnt vmcnt(12) lgkmcnt(0)
	v_mul_f64 v[54:55], v[100:101], v[2:3]
	v_accvgpr_write_b32 a99, v3
	v_fmac_f64_e32 v[54:55], v[102:103], v[0:1]
	v_accvgpr_write_b32 a98, v2
	v_accvgpr_write_b32 a97, v1
	;; [unrolled: 1-line block ×3, first 2 shown]
	s_waitcnt vmcnt(11)
	v_mov_b64_e32 v[0:1], v[4:5]
	v_mov_b64_e32 v[2:3], v[6:7]
	v_mul_f64 v[58:59], v[104:105], v[2:3]
	v_add_f64 v[56:57], v[52:53], v[54:55]
	v_fmac_f64_e32 v[58:59], v[106:107], v[0:1]
	scratch_load_dwordx4 v[52:55], off, off offset:528
	s_waitcnt vmcnt(11)
	v_mov_b64_e32 v[0:1], v[8:9]
	v_mov_b64_e32 v[2:3], v[10:11]
	v_add_f64 v[60:61], v[56:57], v[58:59]
	v_mul_f64 v[62:63], v[112:113], v[2:3]
	scratch_load_dwordx4 v[56:59], off, off offset:544
	v_fmac_f64_e32 v[62:63], v[114:115], v[0:1]
	s_waitcnt vmcnt(11)
	v_mov_b64_e32 v[0:1], v[12:13]
	v_mov_b64_e32 v[2:3], v[14:15]
	v_mul_f64 v[66:67], v[116:117], v[2:3]
	v_fmac_f64_e32 v[66:67], v[118:119], v[0:1]
	s_waitcnt vmcnt(10)
	v_mov_b64_e32 v[0:1], v[16:17]
	v_add_f64 v[64:65], v[60:61], v[62:63]
	v_mov_b64_e32 v[2:3], v[18:19]
	scratch_load_dwordx4 v[60:63], off, off offset:560
	v_add_f64 v[64:65], v[64:65], v[66:67]
	v_mul_f64 v[66:67], v[120:121], v[2:3]
	v_fmac_f64_e32 v[66:67], v[122:123], v[0:1]
	v_add_f64 v[236:237], v[64:65], v[66:67]
	scratch_load_dwordx4 v[64:67], off, off offset:576
	scratch_load_dwordx4 v[68:71], off, off offset:592
	s_waitcnt vmcnt(12)
	v_mov_b64_e32 v[0:1], v[244:245]
	v_accvgpr_write_b32 a116, v244
	v_mul_f64 v[74:75], v[130:131], v[74:75]
	v_mov_b64_e32 v[2:3], v[246:247]
	v_accvgpr_write_b32 a117, v245
	v_accvgpr_write_b32 a118, v246
	;; [unrolled: 1-line block ×3, first 2 shown]
	v_fma_f64 v[246:247], v[128:129], v[72:73], -v[74:75]
	ds_read_b128 v[128:131], v20 offset:1168
	v_mul_f64 v[72:73], v[134:135], v[78:79]
	v_fma_f64 v[248:249], v[132:133], v[76:77], -v[72:73]
	ds_read_b128 v[132:135], v20 offset:1184
	v_mul_f64 v[238:239], v[124:125], v[2:3]
	v_mul_f64 v[76:77], v[138:139], v[82:83]
	v_fmac_f64_e32 v[238:239], v[126:127], v[0:1]
	v_fma_f64 v[250:251], v[136:137], v[80:81], -v[76:77]
	s_waitcnt vmcnt(11) lgkmcnt(1)
	v_mul_f64 v[80:81], v[128:129], v[26:27]
	v_add_f64 v[236:237], v[236:237], v[238:239]
	v_fmac_f64_e32 v[80:81], v[130:131], v[24:25]
	v_add_f64 v[236:237], v[236:237], v[80:81]
	v_mul_f64 v[80:81], v[142:143], v[86:87]
	ds_read_b128 v[136:139], v20 offset:1200
	v_fma_f64 v[252:253], v[140:141], v[84:85], -v[80:81]
	s_waitcnt vmcnt(10) lgkmcnt(1)
	v_mul_f64 v[140:141], v[132:133], v[30:31]
	v_fmac_f64_e32 v[140:141], v[134:135], v[28:29]
	v_mul_f64 v[84:85], v[150:151], v[90:91]
	v_accvgpr_write_b32 a107, v11
	v_fma_f64 v[254:255], v[148:149], v[88:89], -v[84:85]
	v_add_f64 v[148:149], v[236:237], v[140:141]
	v_mul_f64 v[88:89], v[166:167], v[94:95]
	ds_read_b128 v[140:143], v20 offset:1216
	v_accvgpr_write_b32 a106, v10
	v_accvgpr_write_b32 a105, v9
	;; [unrolled: 1-line block ×3, first 2 shown]
	v_fma_f64 v[8:9], v[164:165], v[92:93], -v[88:89]
	v_mul_f64 v[88:89], v[178:179], v[98:99]
	v_accvgpr_write_b32 a103, v7
	s_waitcnt vmcnt(9) lgkmcnt(1)
	v_mul_f64 v[2:3], v[136:137], v[34:35]
	v_fma_f64 v[236:237], v[176:177], v[96:97], -v[88:89]
	v_mul_f64 v[96:97], v[190:191], v[110:111]
	v_accvgpr_write_b32 a102, v6
	v_accvgpr_write_b32 a101, v5
	;; [unrolled: 1-line block ×3, first 2 shown]
	v_fmac_f64_e32 v[2:3], v[138:139], v[32:33]
	v_fma_f64 v[4:5], v[188:189], v[108:109], -v[96:97]
	v_mul_f64 v[108:109], v[202:203], v[146:147]
	scratch_load_dwordx4 v[72:75], off, off offset:608
	scratch_load_dwordx4 v[76:79], off, off offset:624
	;; [unrolled: 1-line block ×6, first 2 shown]
	v_add_f64 v[2:3], v[148:149], v[2:3]
	scratch_load_dwordx4 v[96:99], off, off offset:704
	v_fma_f64 v[238:239], v[200:201], v[144:145], -v[108:109]
	ds_read_b128 v[148:151], v20 offset:1232
	ds_read_b128 v[144:147], v20 offset:1248
	s_waitcnt vmcnt(15) lgkmcnt(2)
	v_mul_f64 v[6:7], v[140:141], v[38:39]
	v_fmac_f64_e32 v[6:7], v[142:143], v[36:37]
	v_add_f64 v[2:3], v[2:3], v[6:7]
	v_mul_f64 v[6:7], v[206:207], v[154:155]
	v_fma_f64 v[0:1], v[204:205], v[152:153], -v[6:7]
	s_waitcnt vmcnt(14) lgkmcnt(1)
	v_mul_f64 v[6:7], v[148:149], v[42:43]
	ds_read_b128 v[152:155], v20 offset:1264
	v_fmac_f64_e32 v[6:7], v[150:151], v[40:41]
	v_add_f64 v[2:3], v[2:3], v[6:7]
	s_waitcnt vmcnt(13) lgkmcnt(1)
	v_mul_f64 v[6:7], v[144:145], v[46:47]
	v_fmac_f64_e32 v[6:7], v[146:147], v[44:45]
	v_add_f64 v[2:3], v[2:3], v[6:7]
	v_mul_f64 v[6:7], v[210:211], v[158:159]
	v_fma_f64 v[10:11], v[208:209], v[156:157], -v[6:7]
	ds_read_b128 v[156:159], v20 offset:1280
	s_waitcnt vmcnt(12) lgkmcnt(1)
	v_mul_f64 v[6:7], v[152:153], v[50:51]
	v_fmac_f64_e32 v[6:7], v[154:155], v[48:49]
	v_add_f64 v[2:3], v[2:3], v[6:7]
	v_mul_f64 v[6:7], v[214:215], v[162:163]
	v_fma_f64 v[244:245], v[212:213], v[160:161], -v[6:7]
	ds_read_b128 v[160:163], v20 offset:1296
	ds_read_b128 v[164:167], v20 offset:1312
	s_waitcnt vmcnt(11) lgkmcnt(2)
	v_mul_f64 v[6:7], v[156:157], v[54:55]
	v_fmac_f64_e32 v[6:7], v[158:159], v[52:53]
	v_add_f64 v[2:3], v[2:3], v[6:7]
	s_waitcnt vmcnt(10) lgkmcnt(1)
	v_mul_f64 v[6:7], v[160:161], v[58:59]
	v_fmac_f64_e32 v[6:7], v[162:163], v[56:57]
	v_accvgpr_write_b32 a111, v15
	v_add_f64 v[2:3], v[2:3], v[6:7]
	v_mul_f64 v[6:7], v[218:219], v[170:171]
	v_accvgpr_write_b32 a110, v14
	v_accvgpr_write_b32 a109, v13
	;; [unrolled: 1-line block ×3, first 2 shown]
	v_fma_f64 v[14:15], v[216:217], v[168:169], -v[6:7]
	ds_read_b128 v[168:171], v20 offset:1328
	v_mul_f64 v[174:175], v[222:223], v[174:175]
	v_fma_f64 v[12:13], v[220:221], v[172:173], -v[174:175]
	ds_read_b128 v[172:175], v20 offset:1344
	s_waitcnt vmcnt(9) lgkmcnt(2)
	v_mul_f64 v[6:7], v[164:165], v[62:63]
	scratch_load_dwordx4 v[108:111], off, off offset:720
	v_fmac_f64_e32 v[6:7], v[166:167], v[60:61]
	v_add_f64 v[2:3], v[2:3], v[6:7]
	s_waitcnt vmcnt(9) lgkmcnt(1)
	v_mul_f64 v[6:7], v[168:169], v[66:67]
	v_fmac_f64_e32 v[6:7], v[170:171], v[64:65]
	scratch_load_dwordx4 v[208:211], off, off offset:736
	scratch_load_dwordx4 v[216:219], off, off offset:752
	v_add_f64 v[2:3], v[2:3], v[6:7]
	s_waitcnt vmcnt(10) lgkmcnt(0)
	v_mul_f64 v[6:7], v[172:173], v[70:71]
	v_fmac_f64_e32 v[6:7], v[174:175], v[68:69]
	v_accvgpr_write_b32 a115, v19
	v_add_f64 v[2:3], v[2:3], v[6:7]
	v_mul_f64 v[6:7], v[226:227], v[182:183]
	v_accvgpr_write_b32 a114, v18
	v_accvgpr_write_b32 a113, v17
	;; [unrolled: 1-line block ×3, first 2 shown]
	v_fma_f64 v[18:19], v[224:225], v[180:181], -v[6:7]
	scratch_load_dwordx4 v[224:227], off, off offset:768
	ds_read_b128 v[176:179], v20 offset:1360
	ds_read_b128 v[180:183], v20 offset:1376
	;; [unrolled: 1-line block ×7, first 2 shown]
	s_waitcnt vmcnt(10) lgkmcnt(6)
	v_mul_f64 v[6:7], v[176:177], v[74:75]
	v_fmac_f64_e32 v[6:7], v[178:179], v[72:73]
	v_add_f64 v[2:3], v[2:3], v[6:7]
	v_mul_f64 v[6:7], v[230:231], v[186:187]
	v_fma_f64 v[16:17], v[228:229], v[184:185], -v[6:7]
	ds_read_b128 v[184:187], v20 offset:1392
	s_waitcnt vmcnt(9) lgkmcnt(6)
	v_mul_f64 v[6:7], v[180:181], v[78:79]
	v_fmac_f64_e32 v[6:7], v[182:183], v[76:77]
	v_add_f64 v[2:3], v[2:3], v[6:7]
	s_waitcnt vmcnt(7) lgkmcnt(5)
	v_mul_f64 v[22:23], v[188:189], v[86:87]
	s_waitcnt lgkmcnt(0)
	v_mul_f64 v[6:7], v[184:185], v[82:83]
	v_fmac_f64_e32 v[6:7], v[186:187], v[80:81]
	v_add_f64 v[2:3], v[2:3], v[6:7]
	v_mul_f64 v[6:7], v[234:235], v[194:195]
	v_fma_f64 v[6:7], v[232:233], v[192:193], -v[6:7]
	v_fmac_f64_e32 v[22:23], v[190:191], v[84:85]
	ds_read_b128 v[192:195], v20 offset:1424
	v_add_f64 v[2:3], v[2:3], v[22:23]
	v_mul_f64 v[22:23], v[242:243], v[198:199]
	v_fma_f64 v[240:241], v[240:241], v[196:197], -v[22:23]
	ds_read_b128 v[196:199], v20 offset:1440
	s_waitcnt vmcnt(6) lgkmcnt(1)
	v_mul_f64 v[22:23], v[192:193], v[94:95]
	v_fmac_f64_e32 v[22:23], v[194:195], v[92:93]
	v_add_f64 v[2:3], v[2:3], v[22:23]
	scratch_load_dwordx4 v[232:235], off, off offset:16
	s_waitcnt vmcnt(6) lgkmcnt(0)
	v_mul_f64 v[22:23], v[196:197], v[90:91]
	v_fmac_f64_e32 v[22:23], v[198:199], v[88:89]
	v_add_f64 v[2:3], v[2:3], v[22:23]
	s_waitcnt vmcnt(5)
	v_mul_f64 v[22:23], v[200:201], v[98:99]
	v_fmac_f64_e32 v[22:23], v[202:203], v[96:97]
	v_add_f64 v[2:3], v[2:3], v[22:23]
	ds_read_b128 v[228:231], v20 offset:1520
	s_waitcnt vmcnt(4)
	v_mul_f64 v[22:23], v[204:205], v[110:111]
	v_fmac_f64_e32 v[22:23], v[206:207], v[108:109]
	v_add_f64 v[2:3], v[2:3], v[22:23]
	s_waitcnt vmcnt(3)
	v_mul_f64 v[22:23], v[212:213], v[210:211]
	v_fmac_f64_e32 v[22:23], v[214:215], v[208:209]
	v_add_f64 v[2:3], v[2:3], v[22:23]
	;; [unrolled: 4-line block ×3, first 2 shown]
	s_waitcnt vmcnt(1) lgkmcnt(0)
	v_mul_f64 v[22:23], v[228:229], v[226:227]
	v_fmac_f64_e32 v[22:23], v[230:231], v[224:225]
	v_add_f64 v[2:3], v[2:3], v[22:23]
	v_add_f64 v[22:23], v[246:247], 0
	;; [unrolled: 1-line block ×18, first 2 shown]
	v_accvgpr_read_b32 v6, a96
	v_accvgpr_read_b32 v8, a98
	;; [unrolled: 1-line block ×4, first 2 shown]
	v_mul_f64 v[4:5], v[102:103], v[8:9]
	v_fma_f64 v[4:5], v[100:101], v[6:7], -v[4:5]
	v_accvgpr_read_b32 v6, a100
	v_add_f64 v[0:1], v[0:1], v[240:241]
	v_accvgpr_read_b32 v8, a102
	v_accvgpr_read_b32 v9, a103
	v_add_f64 v[0:1], v[0:1], v[4:5]
	v_accvgpr_read_b32 v7, a101
	v_mul_f64 v[4:5], v[106:107], v[8:9]
	v_fma_f64 v[4:5], v[104:105], v[6:7], -v[4:5]
	v_accvgpr_read_b32 v6, a104
	v_accvgpr_read_b32 v8, a106
	v_accvgpr_read_b32 v9, a107
	v_add_f64 v[0:1], v[0:1], v[4:5]
	v_accvgpr_read_b32 v7, a105
	v_mul_f64 v[4:5], v[114:115], v[8:9]
	v_fma_f64 v[4:5], v[112:113], v[6:7], -v[4:5]
	v_accvgpr_read_b32 v6, a108
	v_accvgpr_read_b32 v8, a110
	v_accvgpr_read_b32 v9, a111
	v_add_f64 v[0:1], v[0:1], v[4:5]
	v_accvgpr_read_b32 v7, a109
	v_mul_f64 v[4:5], v[118:119], v[8:9]
	v_fma_f64 v[4:5], v[116:117], v[6:7], -v[4:5]
	v_accvgpr_read_b32 v6, a112
	v_accvgpr_read_b32 v8, a114
	v_accvgpr_read_b32 v9, a115
	v_add_f64 v[0:1], v[0:1], v[4:5]
	v_accvgpr_read_b32 v7, a113
	v_mul_f64 v[4:5], v[122:123], v[8:9]
	v_fma_f64 v[4:5], v[120:121], v[6:7], -v[4:5]
	v_accvgpr_read_b32 v6, a116
	v_accvgpr_read_b32 v8, a118
	v_accvgpr_read_b32 v9, a119
	v_add_f64 v[0:1], v[0:1], v[4:5]
	v_accvgpr_read_b32 v7, a117
	v_mul_f64 v[4:5], v[126:127], v[8:9]
	v_fma_f64 v[4:5], v[124:125], v[6:7], -v[4:5]
	v_add_f64 v[0:1], v[0:1], v[4:5]
	v_mul_f64 v[4:5], v[130:131], v[26:27]
	v_fma_f64 v[4:5], v[128:129], v[24:25], -v[4:5]
	v_add_f64 v[0:1], v[0:1], v[4:5]
	v_mul_f64 v[4:5], v[134:135], v[30:31]
	v_fma_f64 v[4:5], v[132:133], v[28:29], -v[4:5]
	v_add_f64 v[0:1], v[0:1], v[4:5]
	v_mul_f64 v[4:5], v[138:139], v[34:35]
	v_fma_f64 v[4:5], v[136:137], v[32:33], -v[4:5]
	v_add_f64 v[0:1], v[0:1], v[4:5]
	v_mul_f64 v[4:5], v[142:143], v[38:39]
	v_fma_f64 v[4:5], v[140:141], v[36:37], -v[4:5]
	v_add_f64 v[0:1], v[0:1], v[4:5]
	v_mul_f64 v[4:5], v[150:151], v[42:43]
	v_fma_f64 v[4:5], v[148:149], v[40:41], -v[4:5]
	v_add_f64 v[0:1], v[0:1], v[4:5]
	v_mul_f64 v[4:5], v[146:147], v[46:47]
	v_fma_f64 v[4:5], v[144:145], v[44:45], -v[4:5]
	v_add_f64 v[0:1], v[0:1], v[4:5]
	v_mul_f64 v[4:5], v[154:155], v[50:51]
	v_fma_f64 v[4:5], v[152:153], v[48:49], -v[4:5]
	v_add_f64 v[0:1], v[0:1], v[4:5]
	v_mul_f64 v[4:5], v[158:159], v[54:55]
	v_fma_f64 v[4:5], v[156:157], v[52:53], -v[4:5]
	v_add_f64 v[0:1], v[0:1], v[4:5]
	v_mul_f64 v[4:5], v[162:163], v[58:59]
	v_fma_f64 v[4:5], v[160:161], v[56:57], -v[4:5]
	v_add_f64 v[0:1], v[0:1], v[4:5]
	v_mul_f64 v[4:5], v[166:167], v[62:63]
	v_fma_f64 v[4:5], v[164:165], v[60:61], -v[4:5]
	v_add_f64 v[0:1], v[0:1], v[4:5]
	v_mul_f64 v[4:5], v[170:171], v[66:67]
	v_fma_f64 v[4:5], v[168:169], v[64:65], -v[4:5]
	v_add_f64 v[0:1], v[0:1], v[4:5]
	v_mul_f64 v[4:5], v[174:175], v[70:71]
	v_fma_f64 v[4:5], v[172:173], v[68:69], -v[4:5]
	v_add_f64 v[0:1], v[0:1], v[4:5]
	v_mul_f64 v[4:5], v[178:179], v[74:75]
	v_fma_f64 v[4:5], v[176:177], v[72:73], -v[4:5]
	v_add_f64 v[0:1], v[0:1], v[4:5]
	v_mul_f64 v[4:5], v[182:183], v[78:79]
	v_fma_f64 v[4:5], v[180:181], v[76:77], -v[4:5]
	v_add_f64 v[0:1], v[0:1], v[4:5]
	v_mul_f64 v[4:5], v[186:187], v[82:83]
	v_fma_f64 v[4:5], v[184:185], v[80:81], -v[4:5]
	v_add_f64 v[0:1], v[0:1], v[4:5]
	v_mul_f64 v[4:5], v[190:191], v[86:87]
	v_fma_f64 v[4:5], v[188:189], v[84:85], -v[4:5]
	v_add_f64 v[0:1], v[0:1], v[4:5]
	v_mul_f64 v[4:5], v[194:195], v[94:95]
	v_fma_f64 v[4:5], v[192:193], v[92:93], -v[4:5]
	v_add_f64 v[0:1], v[0:1], v[4:5]
	v_mul_f64 v[4:5], v[198:199], v[90:91]
	v_fma_f64 v[4:5], v[196:197], v[88:89], -v[4:5]
	v_add_f64 v[0:1], v[0:1], v[4:5]
	v_mul_f64 v[4:5], v[202:203], v[98:99]
	v_fma_f64 v[4:5], v[200:201], v[96:97], -v[4:5]
	v_add_f64 v[0:1], v[0:1], v[4:5]
	v_mul_f64 v[4:5], v[206:207], v[110:111]
	v_fma_f64 v[4:5], v[204:205], v[108:109], -v[4:5]
	v_add_f64 v[0:1], v[0:1], v[4:5]
	v_mul_f64 v[4:5], v[214:215], v[210:211]
	v_fma_f64 v[4:5], v[212:213], v[208:209], -v[4:5]
	v_add_f64 v[0:1], v[0:1], v[4:5]
	v_mul_f64 v[4:5], v[222:223], v[218:219]
	v_fma_f64 v[4:5], v[220:221], v[216:217], -v[4:5]
	v_add_f64 v[0:1], v[0:1], v[4:5]
	v_mul_f64 v[4:5], v[230:231], v[226:227]
	v_fma_f64 v[4:5], v[228:229], v[224:225], -v[4:5]
	v_add_f64 v[0:1], v[0:1], v[4:5]
	s_waitcnt vmcnt(0)
	v_add_f64 v[0:1], v[232:233], -v[0:1]
	v_add_f64 v[2:3], v[234:235], -v[2:3]
	scratch_store_dwordx4 off, v[0:3], off offset:16
	s_cbranch_vccz .LBB47_396
; %bb.302:
	global_load_dword v0, v20, s[16:17] offset:184
	s_waitcnt vmcnt(0)
	v_readfirstlane_b32 s0, v0
	s_add_i32 s0, s0, -1
	s_cmp_lg_u32 s0, 46
	s_cbranch_scc0 .LBB47_304
; %bb.303:
	s_lshl_b32 s0, s0, 4
	s_add_i32 s0, s0, 16
	scratch_load_dwordx4 v[0:3], off, s0
	scratch_load_dwordx4 v[4:7], off, s25
	s_waitcnt vmcnt(1)
	scratch_store_dwordx4 off, v[0:3], s25
	s_waitcnt vmcnt(1)
	scratch_store_dwordx4 off, v[4:7], s0
.LBB47_304:
	v_mov_b32_e32 v0, 0
	global_load_dword v1, v0, s[16:17] offset:180
	s_waitcnt vmcnt(0)
	v_readfirstlane_b32 s0, v1
	s_add_i32 s0, s0, -1
	s_cmp_eq_u32 s0, 45
	s_cbranch_scc1 .LBB47_306
; %bb.305:
	s_lshl_b32 s0, s0, 4
	s_add_i32 s0, s0, 16
	scratch_load_dwordx4 v[2:5], off, s0
	scratch_load_dwordx4 v[6:9], off, s24
	s_waitcnt vmcnt(1)
	scratch_store_dwordx4 off, v[2:5], s24
	s_waitcnt vmcnt(1)
	scratch_store_dwordx4 off, v[6:9], s0
.LBB47_306:
	global_load_dword v0, v0, s[16:17] offset:176
	s_waitcnt vmcnt(0)
	v_readfirstlane_b32 s0, v0
	s_add_i32 s0, s0, -1
	s_cmp_eq_u32 s0, 44
	s_cbranch_scc1 .LBB47_308
; %bb.307:
	s_lshl_b32 s0, s0, 4
	s_add_i32 s0, s0, 16
	scratch_load_dwordx4 v[0:3], off, s0
	scratch_load_dwordx4 v[4:7], off, s23
	s_waitcnt vmcnt(1)
	scratch_store_dwordx4 off, v[0:3], s23
	s_waitcnt vmcnt(1)
	scratch_store_dwordx4 off, v[4:7], s0
.LBB47_308:
	v_mov_b32_e32 v0, 0
	global_load_dword v1, v0, s[16:17] offset:172
	s_waitcnt vmcnt(0)
	v_readfirstlane_b32 s0, v1
	s_add_i32 s0, s0, -1
	s_cmp_eq_u32 s0, 43
	s_cbranch_scc1 .LBB47_310
; %bb.309:
	s_lshl_b32 s0, s0, 4
	s_add_i32 s0, s0, 16
	scratch_load_dwordx4 v[2:5], off, s0
	scratch_load_dwordx4 v[6:9], off, s22
	s_waitcnt vmcnt(1)
	scratch_store_dwordx4 off, v[2:5], s22
	s_waitcnt vmcnt(1)
	scratch_store_dwordx4 off, v[6:9], s0
.LBB47_310:
	global_load_dword v0, v0, s[16:17] offset:168
	s_waitcnt vmcnt(0)
	v_readfirstlane_b32 s0, v0
	s_add_i32 s0, s0, -1
	s_cmp_eq_u32 s0, 42
	s_cbranch_scc1 .LBB47_312
; %bb.311:
	s_lshl_b32 s0, s0, 4
	s_add_i32 s0, s0, 16
	scratch_load_dwordx4 v[0:3], off, s0
	scratch_load_dwordx4 v[4:7], off, s21
	s_waitcnt vmcnt(1)
	scratch_store_dwordx4 off, v[0:3], s21
	s_waitcnt vmcnt(1)
	scratch_store_dwordx4 off, v[4:7], s0
.LBB47_312:
	;; [unrolled: 33-line block ×22, first 2 shown]
	v_mov_b32_e32 v0, 0
	global_load_dword v1, v0, s[16:17] offset:4
	s_waitcnt vmcnt(0)
	v_readfirstlane_b32 s0, v1
	s_add_i32 s0, s0, -1
	s_cmp_eq_u32 s0, 1
	s_cbranch_scc1 .LBB47_394
; %bb.393:
	s_lshl_b32 s0, s0, 4
	s_add_i32 s0, s0, 16
	scratch_load_dwordx4 v[2:5], off, s0
	scratch_load_dwordx4 v[6:9], off, s29
	s_waitcnt vmcnt(1)
	scratch_store_dwordx4 off, v[2:5], s29
	s_waitcnt vmcnt(1)
	scratch_store_dwordx4 off, v[6:9], s0
.LBB47_394:
	global_load_dword v0, v0, s[16:17]
	s_waitcnt vmcnt(0)
	v_readfirstlane_b32 s0, v0
	s_add_i32 s0, s0, -1
	s_cmp_eq_u32 s0, 0
	s_cbranch_scc1 .LBB47_396
; %bb.395:
	s_lshl_b32 s0, s0, 4
	s_add_i32 s0, s0, 16
	scratch_load_dwordx4 v[0:3], off, s0
	scratch_load_dwordx4 v[4:7], off, off offset:16
	s_waitcnt vmcnt(1)
	scratch_store_dwordx4 off, v[0:3], off offset:16
	s_waitcnt vmcnt(1)
	scratch_store_dwordx4 off, v[4:7], s0
.LBB47_396:
	scratch_load_dwordx4 v[0:3], off, off offset:16
	s_nop 0
	scratch_load_dwordx4 v[4:7], off, s29
	scratch_load_dwordx4 v[8:11], off, s26
	;; [unrolled: 1-line block ×7, first 2 shown]
                                        ; kill: killed $sgpr29
                                        ; kill: killed $sgpr63
                                        ; kill: killed $sgpr62
                                        ; kill: killed $sgpr30
                                        ; kill: killed $sgpr28
                                        ; kill: killed $sgpr27
                                        ; kill: killed $sgpr26
	scratch_load_dwordx4 v[32:35], off, s31
	scratch_load_dwordx4 v[36:39], off, s33
	;; [unrolled: 1-line block ×30, first 2 shown]
	v_accvgpr_read_b32 v153, a1
	v_accvgpr_read_b32 v152, a0
	;; [unrolled: 1-line block ×10, first 2 shown]
	s_waitcnt vmcnt(37)
	global_store_dwordx4 v[152:153], v[0:3], off
	scratch_load_dwordx4 v[0:3], off, s12
	s_nop 0
	scratch_load_dwordx4 v[152:155], off, s13
	s_waitcnt vmcnt(39)
	global_store_dwordx4 v[156:157], v[4:7], off
	scratch_load_dwordx4 v[4:7], off, s14
	s_nop 0
	scratch_load_dwordx4 v[156:159], off, s20
	s_waitcnt vmcnt(41)
	global_store_dwordx4 v[160:161], v[8:11], off
	v_accvgpr_read_b32 v161, a9
	v_accvgpr_read_b32 v160, a8
	;; [unrolled: 1-line block ×4, first 2 shown]
	s_waitcnt vmcnt(41)
	global_store_dwordx4 v[8:9], v[12:15], off
	scratch_load_dwordx4 v[8:11], off, s15
	s_nop 0
	scratch_load_dwordx4 v[12:15], off, s21
	s_waitcnt vmcnt(43)
	global_store_dwordx4 v[160:161], v[16:19], off
	scratch_load_dwordx4 v[16:19], off, s22
	s_nop 0
	scratch_load_dwordx4 v[160:163], off, s23
	;; [unrolled: 5-line block ×3, first 2 shown]
	s_waitcnt vmcnt(47)
	global_store_dwordx4 v[168:169], v[24:27], off
	s_nop 1
	v_accvgpr_read_b32 v25, a15
	v_accvgpr_read_b32 v24, a14
	s_waitcnt vmcnt(47)
	global_store_dwordx4 v[24:25], v[28:31], off
	v_accvgpr_read_b32 v25, a17
	v_accvgpr_read_b32 v24, a16
	s_waitcnt vmcnt(47)
	global_store_dwordx4 v[24:25], v[32:35], off
	;; [unrolled: 4-line block ×31, first 2 shown]
	s_nop 1
	v_accvgpr_read_b32 v0, a76
	v_accvgpr_read_b32 v1, a77
	s_waitcnt vmcnt(45)
	global_store_dwordx4 v[0:1], v[152:155], off
	v_accvgpr_read_b32 v0, a78
	v_accvgpr_read_b32 v1, a79
	s_waitcnt vmcnt(44)
	global_store_dwordx4 v[0:1], v[4:7], off
	;; [unrolled: 4-line block ×9, first 2 shown]
	v_accvgpr_read_b32 v0, a94
	v_accvgpr_read_b32 v1, a95
	global_store_dwordx4 v[0:1], v[148:151], off
	s_endpgm
	.section	.rodata,"a",@progbits
	.p2align	6, 0x0
	.amdhsa_kernel _ZN9rocsolver6v33100L18getri_kernel_smallILi48E19rocblas_complex_numIdEPS3_EEvT1_iilPiilS6_bb
		.amdhsa_group_segment_fixed_size 1544
		.amdhsa_private_segment_fixed_size 800
		.amdhsa_kernarg_size 60
		.amdhsa_user_sgpr_count 2
		.amdhsa_user_sgpr_dispatch_ptr 0
		.amdhsa_user_sgpr_queue_ptr 0
		.amdhsa_user_sgpr_kernarg_segment_ptr 1
		.amdhsa_user_sgpr_dispatch_id 0
		.amdhsa_user_sgpr_kernarg_preload_length 0
		.amdhsa_user_sgpr_kernarg_preload_offset 0
		.amdhsa_user_sgpr_private_segment_size 0
		.amdhsa_uses_dynamic_stack 0
		.amdhsa_enable_private_segment 1
		.amdhsa_system_sgpr_workgroup_id_x 1
		.amdhsa_system_sgpr_workgroup_id_y 0
		.amdhsa_system_sgpr_workgroup_id_z 0
		.amdhsa_system_sgpr_workgroup_info 0
		.amdhsa_system_vgpr_workitem_id 0
		.amdhsa_next_free_vgpr 376
		.amdhsa_next_free_sgpr 64
		.amdhsa_accum_offset 256
		.amdhsa_reserve_vcc 1
		.amdhsa_float_round_mode_32 0
		.amdhsa_float_round_mode_16_64 0
		.amdhsa_float_denorm_mode_32 3
		.amdhsa_float_denorm_mode_16_64 3
		.amdhsa_dx10_clamp 1
		.amdhsa_ieee_mode 1
		.amdhsa_fp16_overflow 0
		.amdhsa_tg_split 0
		.amdhsa_exception_fp_ieee_invalid_op 0
		.amdhsa_exception_fp_denorm_src 0
		.amdhsa_exception_fp_ieee_div_zero 0
		.amdhsa_exception_fp_ieee_overflow 0
		.amdhsa_exception_fp_ieee_underflow 0
		.amdhsa_exception_fp_ieee_inexact 0
		.amdhsa_exception_int_div_zero 0
	.end_amdhsa_kernel
	.section	.text._ZN9rocsolver6v33100L18getri_kernel_smallILi48E19rocblas_complex_numIdEPS3_EEvT1_iilPiilS6_bb,"axG",@progbits,_ZN9rocsolver6v33100L18getri_kernel_smallILi48E19rocblas_complex_numIdEPS3_EEvT1_iilPiilS6_bb,comdat
.Lfunc_end47:
	.size	_ZN9rocsolver6v33100L18getri_kernel_smallILi48E19rocblas_complex_numIdEPS3_EEvT1_iilPiilS6_bb, .Lfunc_end47-_ZN9rocsolver6v33100L18getri_kernel_smallILi48E19rocblas_complex_numIdEPS3_EEvT1_iilPiilS6_bb
                                        ; -- End function
	.set _ZN9rocsolver6v33100L18getri_kernel_smallILi48E19rocblas_complex_numIdEPS3_EEvT1_iilPiilS6_bb.num_vgpr, 256
	.set _ZN9rocsolver6v33100L18getri_kernel_smallILi48E19rocblas_complex_numIdEPS3_EEvT1_iilPiilS6_bb.num_agpr, 120
	.set _ZN9rocsolver6v33100L18getri_kernel_smallILi48E19rocblas_complex_numIdEPS3_EEvT1_iilPiilS6_bb.numbered_sgpr, 64
	.set _ZN9rocsolver6v33100L18getri_kernel_smallILi48E19rocblas_complex_numIdEPS3_EEvT1_iilPiilS6_bb.num_named_barrier, 0
	.set _ZN9rocsolver6v33100L18getri_kernel_smallILi48E19rocblas_complex_numIdEPS3_EEvT1_iilPiilS6_bb.private_seg_size, 800
	.set _ZN9rocsolver6v33100L18getri_kernel_smallILi48E19rocblas_complex_numIdEPS3_EEvT1_iilPiilS6_bb.uses_vcc, 1
	.set _ZN9rocsolver6v33100L18getri_kernel_smallILi48E19rocblas_complex_numIdEPS3_EEvT1_iilPiilS6_bb.uses_flat_scratch, 0
	.set _ZN9rocsolver6v33100L18getri_kernel_smallILi48E19rocblas_complex_numIdEPS3_EEvT1_iilPiilS6_bb.has_dyn_sized_stack, 0
	.set _ZN9rocsolver6v33100L18getri_kernel_smallILi48E19rocblas_complex_numIdEPS3_EEvT1_iilPiilS6_bb.has_recursion, 0
	.set _ZN9rocsolver6v33100L18getri_kernel_smallILi48E19rocblas_complex_numIdEPS3_EEvT1_iilPiilS6_bb.has_indirect_call, 0
	.section	.AMDGPU.csdata,"",@progbits
; Kernel info:
; codeLenInByte = 98064
; TotalNumSgprs: 70
; NumVgprs: 256
; NumAgprs: 120
; TotalNumVgprs: 376
; ScratchSize: 800
; MemoryBound: 0
; FloatMode: 240
; IeeeMode: 1
; LDSByteSize: 1544 bytes/workgroup (compile time only)
; SGPRBlocks: 8
; VGPRBlocks: 46
; NumSGPRsForWavesPerEU: 70
; NumVGPRsForWavesPerEU: 376
; AccumOffset: 256
; Occupancy: 1
; WaveLimiterHint : 1
; COMPUTE_PGM_RSRC2:SCRATCH_EN: 1
; COMPUTE_PGM_RSRC2:USER_SGPR: 2
; COMPUTE_PGM_RSRC2:TRAP_HANDLER: 0
; COMPUTE_PGM_RSRC2:TGID_X_EN: 1
; COMPUTE_PGM_RSRC2:TGID_Y_EN: 0
; COMPUTE_PGM_RSRC2:TGID_Z_EN: 0
; COMPUTE_PGM_RSRC2:TIDIG_COMP_CNT: 0
; COMPUTE_PGM_RSRC3_GFX90A:ACCUM_OFFSET: 63
; COMPUTE_PGM_RSRC3_GFX90A:TG_SPLIT: 0
	.section	.text._ZN9rocsolver6v33100L18getri_kernel_smallILi49E19rocblas_complex_numIdEPS3_EEvT1_iilPiilS6_bb,"axG",@progbits,_ZN9rocsolver6v33100L18getri_kernel_smallILi49E19rocblas_complex_numIdEPS3_EEvT1_iilPiilS6_bb,comdat
	.globl	_ZN9rocsolver6v33100L18getri_kernel_smallILi49E19rocblas_complex_numIdEPS3_EEvT1_iilPiilS6_bb ; -- Begin function _ZN9rocsolver6v33100L18getri_kernel_smallILi49E19rocblas_complex_numIdEPS3_EEvT1_iilPiilS6_bb
	.p2align	8
	.type	_ZN9rocsolver6v33100L18getri_kernel_smallILi49E19rocblas_complex_numIdEPS3_EEvT1_iilPiilS6_bb,@function
_ZN9rocsolver6v33100L18getri_kernel_smallILi49E19rocblas_complex_numIdEPS3_EEvT1_iilPiilS6_bb: ; @_ZN9rocsolver6v33100L18getri_kernel_smallILi49E19rocblas_complex_numIdEPS3_EEvT1_iilPiilS6_bb
; %bb.0:
	v_mov_b32_e32 v240, v0
	v_cmp_gt_u32_e32 vcc, 49, v240
	s_and_saveexec_b64 s[4:5], vcc
	s_cbranch_execz .LBB48_210
; %bb.1:
	s_load_dword s8, s[0:1], 0x38
	s_load_dwordx4 s[12:15], s[0:1], 0x10
	s_load_dwordx4 s[4:7], s[0:1], 0x28
                                        ; implicit-def: $sgpr16_sgpr17
	s_waitcnt lgkmcnt(0)
	s_bitcmp1_b32 s8, 8
	s_cselect_b64 s[18:19], -1, 0
	s_ashr_i32 s3, s2, 31
	s_bfe_u32 s8, s8, 0x10008
	s_cmp_eq_u32 s8, 0
	s_cbranch_scc1 .LBB48_3
; %bb.2:
	s_load_dword s8, s[0:1], 0x20
	s_mul_i32 s9, s4, s3
	s_mul_hi_u32 s10, s4, s2
	s_mul_i32 s5, s5, s2
	s_add_i32 s10, s10, s9
	s_add_i32 s5, s10, s5
	s_mul_i32 s4, s4, s2
	s_waitcnt lgkmcnt(0)
	s_ashr_i32 s9, s8, 31
	s_lshl_b64 s[4:5], s[4:5], 2
	s_add_u32 s10, s14, s4
	s_addc_u32 s11, s15, s5
	s_lshl_b64 s[4:5], s[8:9], 2
	s_add_u32 s16, s10, s4
	s_addc_u32 s17, s11, s5
.LBB48_3:
	s_load_dwordx4 s[8:11], s[0:1], 0x0
	s_load_dword s4, s[0:1], 0x38
	s_mul_i32 s5, s12, s3
	s_mul_hi_u32 s14, s12, s2
	s_add_i32 s5, s14, s5
	s_waitcnt lgkmcnt(0)
	s_ashr_i32 s1, s10, 31
	s_mov_b32 s0, s10
	s_mul_i32 s10, s13, s2
	s_add_i32 s13, s5, s10
	s_mul_i32 s12, s12, s2
	s_lshl_b64 s[12:13], s[12:13], 4
	s_add_u32 s5, s8, s12
	s_addc_u32 s8, s9, s13
	s_lshl_b64 s[0:1], s[0:1], 4
	s_add_u32 s0, s5, s0
	s_addc_u32 s1, s8, s1
	v_lshlrev_b32_e32 v50, 4, v240
	v_mov_b32_e32 v51, 0
	s_add_i32 s5, s11, s11
	v_lshl_add_u64 v[0:1], s[0:1], 0, v[50:51]
	v_add_u32_e32 v2, s5, v240
	s_ashr_i32 s9, s11, 31
	s_mov_b32 s8, s11
	v_accvgpr_write_b32 a0, v0
	v_ashrrev_i32_e32 v3, 31, v2
	v_accvgpr_write_b32 a1, v1
	v_lshl_add_u64 v[0:1], s[8:9], 4, v[0:1]
	v_lshl_add_u64 v[4:5], v[2:3], 4, s[0:1]
	v_add_u32_e32 v2, s11, v2
	v_accvgpr_write_b32 a3, v1
	v_ashrrev_i32_e32 v3, 31, v2
	global_load_dwordx4 v[22:25], v50, s[0:1]
	global_load_dwordx4 v[26:29], v[0:1], off
	v_accvgpr_write_b32 a2, v0
	v_lshl_add_u64 v[0:1], v[2:3], 4, s[0:1]
	v_add_u32_e32 v2, s11, v2
	v_accvgpr_write_b32 a4, v4
	v_ashrrev_i32_e32 v3, 31, v2
	v_accvgpr_write_b32 a5, v5
	global_load_dwordx4 v[30:33], v[4:5], off
	global_load_dwordx4 v[34:37], v[0:1], off
	v_lshl_add_u64 v[4:5], v[2:3], 4, s[0:1]
	v_add_u32_e32 v2, s11, v2
	v_accvgpr_write_b32 a7, v1
	v_ashrrev_i32_e32 v3, 31, v2
	v_accvgpr_write_b32 a6, v0
	v_lshl_add_u64 v[0:1], v[2:3], 4, s[0:1]
	v_add_u32_e32 v2, s11, v2
	v_accvgpr_write_b32 a9, v5
	v_ashrrev_i32_e32 v3, 31, v2
	v_accvgpr_write_b32 a8, v4
	global_load_dwordx4 v[38:41], v[4:5], off
	global_load_dwordx4 v[42:45], v[0:1], off
	v_lshl_add_u64 v[4:5], v[2:3], 4, s[0:1]
	v_add_u32_e32 v2, s11, v2
	v_accvgpr_write_b32 a11, v1
	v_ashrrev_i32_e32 v3, 31, v2
	v_accvgpr_write_b32 a10, v0
	v_accvgpr_write_b32 a13, v5
	v_lshl_add_u64 v[0:1], v[2:3], 4, s[0:1]
	v_add_u32_e32 v2, s11, v2
	v_accvgpr_write_b32 a12, v4
	global_load_dwordx4 v[46:49], v[4:5], off
	global_load_dwordx4 v[52:55], v[0:1], off
	v_ashrrev_i32_e32 v3, 31, v2
	v_add_u32_e32 v4, s11, v2
	v_lshl_add_u64 v[6:7], v[2:3], 4, s[0:1]
	v_ashrrev_i32_e32 v5, 31, v4
	v_add_u32_e32 v2, s11, v4
	v_accvgpr_write_b32 a15, v1
	v_accvgpr_write_b32 a14, v0
	global_load_dwordx4 v[56:59], v[6:7], off
	v_lshl_add_u64 v[0:1], v[4:5], 4, s[0:1]
	v_ashrrev_i32_e32 v3, 31, v2
	v_add_u32_e32 v4, s11, v2
	v_lshl_add_u64 v[2:3], v[2:3], 4, s[0:1]
	v_ashrrev_i32_e32 v5, 31, v4
	v_accvgpr_write_b32 a19, v1
	global_load_dwordx4 v[60:63], v[0:1], off
	global_load_dwordx4 v[64:67], v[2:3], off
	v_accvgpr_write_b32 a18, v0
	v_lshl_add_u64 v[0:1], v[4:5], 4, s[0:1]
	global_load_dwordx4 v[68:71], v[0:1], off
	v_accvgpr_write_b32 a21, v3
	v_accvgpr_write_b32 a17, v7
	;; [unrolled: 1-line block ×3, first 2 shown]
	v_add_u32_e32 v2, s11, v4
	v_accvgpr_write_b32 a16, v6
	v_add_u32_e32 v6, s11, v2
	v_add_u32_e32 v8, s11, v6
	v_accvgpr_write_b32 a23, v1
	v_ashrrev_i32_e32 v3, 31, v2
	v_ashrrev_i32_e32 v9, 31, v8
	v_add_u32_e32 v14, s11, v8
	v_accvgpr_write_b32 a22, v0
	v_lshl_add_u64 v[0:1], v[2:3], 4, s[0:1]
	v_lshl_add_u64 v[10:11], v[8:9], 4, s[0:1]
	v_add_u32_e32 v16, s11, v14
	v_ashrrev_i32_e32 v7, 31, v6
	v_accvgpr_write_b32 a25, v1
	v_accvgpr_write_b32 a29, v11
	v_ashrrev_i32_e32 v17, 31, v16
	v_accvgpr_write_b32 a24, v0
	global_load_dwordx4 v[2:5], v[0:1], off
	v_accvgpr_write_b32 a28, v10
	global_load_dwordx4 v[10:13], v[10:11], off
	v_lshl_add_u64 v[0:1], v[6:7], 4, s[0:1]
	v_lshl_add_u64 v[18:19], v[16:17], 4, s[0:1]
	v_ashrrev_i32_e32 v15, 31, v14
	v_accvgpr_write_b32 a27, v1
	v_add_u32_e32 v72, s11, v16
	v_accvgpr_write_b32 a33, v19
	v_accvgpr_write_b32 a26, v0
	global_load_dwordx4 v[6:9], v[0:1], off
	v_add_u32_e32 v74, s11, v72
	v_accvgpr_write_b32 a32, v18
	global_load_dwordx4 v[18:21], v[18:19], off
	v_lshl_add_u64 v[0:1], v[14:15], 4, s[0:1]
	global_load_dwordx4 v[14:17], v[0:1], off
	s_waitcnt vmcnt(16)
	scratch_store_dwordx4 off, v[22:25], off offset:16
	s_waitcnt vmcnt(16)
	scratch_store_dwordx4 off, v[26:29], off offset:32
	;; [unrolled: 2-line block ×12, first 2 shown]
	v_add_u32_e32 v30, s11, v74
	v_add_u32_e32 v38, s11, v30
	v_ashrrev_i32_e32 v39, 31, v38
	v_lshl_add_u64 v[34:35], v[38:39], 4, s[0:1]
	v_add_u32_e32 v38, s11, v38
	v_add_u32_e32 v46, s11, v38
	v_ashrrev_i32_e32 v47, 31, v46
	v_lshl_add_u64 v[42:43], v[46:47], 4, s[0:1]
	;; [unrolled: 4-line block ×3, first 2 shown]
	v_add_u32_e32 v56, s11, v56
	v_ashrrev_i32_e32 v73, 31, v72
	v_accvgpr_write_b32 a31, v1
	v_ashrrev_i32_e32 v75, 31, v74
	v_add_u32_e32 v64, s11, v56
	v_accvgpr_write_b32 a30, v0
	v_lshl_add_u64 v[0:1], v[72:73], 4, s[0:1]
	v_lshl_add_u64 v[72:73], v[74:75], 4, s[0:1]
	v_ashrrev_i32_e32 v65, 31, v64
	v_accvgpr_write_b32 a36, v72
	v_lshl_add_u64 v[60:61], v[64:65], 4, s[0:1]
	v_add_u32_e32 v64, s11, v64
	v_accvgpr_write_b32 a37, v73
	global_load_dwordx4 v[26:29], v[72:73], off
	v_add_u32_e32 v72, s11, v64
	v_ashrrev_i32_e32 v73, 31, v72
	v_lshl_add_u64 v[68:69], v[72:73], 4, s[0:1]
	v_add_u32_e32 v72, s11, v72
	v_add_u32_e32 v80, s11, v72
	v_accvgpr_write_b32 a35, v1
	v_ashrrev_i32_e32 v31, 31, v30
	v_accvgpr_write_b32 a41, v35
	v_ashrrev_i32_e32 v81, 31, v80
	v_accvgpr_write_b32 a34, v0
	global_load_dwordx4 v[22:25], v[0:1], off
	v_accvgpr_write_b32 a40, v34
	global_load_dwordx4 v[34:37], v[34:35], off
	v_lshl_add_u64 v[0:1], v[30:31], 4, s[0:1]
	v_lshl_add_u64 v[76:77], v[80:81], 4, s[0:1]
	v_add_u32_e32 v80, s11, v80
	v_accvgpr_write_b32 a39, v1
	v_ashrrev_i32_e32 v39, 31, v38
	v_accvgpr_write_b32 a45, v43
	v_add_u32_e32 v88, s11, v80
	v_accvgpr_write_b32 a38, v0
	global_load_dwordx4 v[30:33], v[0:1], off
	v_accvgpr_write_b32 a44, v42
	global_load_dwordx4 v[42:45], v[42:43], off
	v_lshl_add_u64 v[0:1], v[38:39], 4, s[0:1]
	v_ashrrev_i32_e32 v89, 31, v88
	v_accvgpr_write_b32 a43, v1
	v_ashrrev_i32_e32 v47, 31, v46
	v_accvgpr_write_b32 a48, v52
	v_lshl_add_u64 v[84:85], v[88:89], 4, s[0:1]
	v_add_u32_e32 v88, s11, v88
	v_accvgpr_write_b32 a42, v0
	global_load_dwordx4 v[38:41], v[0:1], off
	v_accvgpr_write_b32 a49, v53
	global_load_dwordx4 v[52:55], v[52:53], off
	v_lshl_add_u64 v[0:1], v[46:47], 4, s[0:1]
	v_add_u32_e32 v96, s11, v88
	v_accvgpr_write_b32 a47, v1
	v_ashrrev_i32_e32 v57, 31, v56
	v_accvgpr_write_b32 a52, v60
	v_ashrrev_i32_e32 v97, 31, v96
	v_accvgpr_write_b32 a46, v0
	global_load_dwordx4 v[46:49], v[0:1], off
	v_accvgpr_write_b32 a53, v61
	global_load_dwordx4 v[60:63], v[60:61], off
	v_lshl_add_u64 v[0:1], v[56:57], 4, s[0:1]
	v_lshl_add_u64 v[92:93], v[96:97], 4, s[0:1]
	v_add_u32_e32 v96, s11, v96
	v_accvgpr_write_b32 a51, v1
	v_ashrrev_i32_e32 v65, 31, v64
	v_accvgpr_write_b32 a56, v68
	v_add_u32_e32 v104, s11, v96
	v_accvgpr_write_b32 a50, v0
	global_load_dwordx4 v[56:59], v[0:1], off
	v_accvgpr_write_b32 a57, v69
	global_load_dwordx4 v[68:71], v[68:69], off
	v_lshl_add_u64 v[0:1], v[64:65], 4, s[0:1]
	v_ashrrev_i32_e32 v105, 31, v104
	v_accvgpr_write_b32 a55, v1
	v_ashrrev_i32_e32 v73, 31, v72
	v_accvgpr_write_b32 a60, v76
	v_lshl_add_u64 v[100:101], v[104:105], 4, s[0:1]
	v_add_u32_e32 v104, s11, v104
	v_accvgpr_write_b32 a54, v0
	global_load_dwordx4 v[64:67], v[0:1], off
	v_accvgpr_write_b32 a61, v77
	global_load_dwordx4 v[76:79], v[76:77], off
	v_lshl_add_u64 v[0:1], v[72:73], 4, s[0:1]
	;; [unrolled: 32-line block ×4, first 2 shown]
	v_add_u32_e32 v144, s11, v136
	v_accvgpr_write_b32 a83, v1
	v_ashrrev_i32_e32 v129, 31, v128
	v_accvgpr_write_b32 a88, v132
	v_ashrrev_i32_e32 v145, 31, v144
	v_accvgpr_write_b32 a82, v0
	global_load_dwordx4 v[120:123], v[0:1], off
	v_accvgpr_write_b32 a89, v133
	global_load_dwordx4 v[132:135], v[132:133], off
	v_lshl_add_u64 v[0:1], v[128:129], 4, s[0:1]
	v_lshl_add_u64 v[140:141], v[144:145], 4, s[0:1]
	v_accvgpr_write_b32 a87, v1
	v_ashrrev_i32_e32 v137, 31, v136
	v_accvgpr_write_b32 a92, v140
	v_accvgpr_write_b32 a86, v0
	global_load_dwordx4 v[128:131], v[0:1], off
	v_accvgpr_write_b32 a93, v141
	global_load_dwordx4 v[140:143], v[140:141], off
	v_lshl_add_u64 v[0:1], v[136:137], 4, s[0:1]
	v_add_u32_e32 v144, s11, v144
	v_accvgpr_write_b32 a91, v1
	v_ashrrev_i32_e32 v145, 31, v144
	v_accvgpr_write_b32 a90, v0
	global_load_dwordx4 v[136:139], v[0:1], off
	v_lshl_add_u64 v[0:1], v[144:145], 4, s[0:1]
	v_add_u32_e32 v144, s11, v144
	v_ashrrev_i32_e32 v145, 31, v144
	v_lshl_add_u64 v[148:149], v[144:145], 4, s[0:1]
	s_movk_i32 s0, 0x50
	global_load_dwordx4 v[144:147], v[0:1], off
	v_accvgpr_write_b32 a96, v148
	s_add_i32 s63, s0, 16
	s_movk_i32 s0, 0x60
	v_accvgpr_write_b32 a97, v149
	global_load_dwordx4 v[148:151], v[148:149], off
	s_add_i32 s64, s0, 16
	s_movk_i32 s0, 0x70
	s_add_i32 s33, s0, 16
	s_movk_i32 s0, 0x80
	;; [unrolled: 2-line block ×42, first 2 shown]
	v_accvgpr_write_b32 a95, v1
	s_add_i32 s13, s0, 16
	v_accvgpr_write_b32 a94, v0
	s_mov_b32 s26, 32
	s_mov_b32 s14, 48
	;; [unrolled: 1-line block ×3, first 2 shown]
	s_movk_i32 s27, 0x50
	s_bitcmp0_b32 s4, 0
	s_mov_b64 s[4:5], -1
	s_waitcnt vmcnt(48)
	scratch_store_dwordx4 off, v[2:5], off offset:208
	s_waitcnt vmcnt(47)
	scratch_store_dwordx4 off, v[6:9], off offset:224
	scratch_store_dwordx4 off, v[10:13], off offset:240
	s_waitcnt vmcnt(47)
	scratch_store_dwordx4 off, v[14:17], off offset:256
	;; [unrolled: 3-line block ×18, first 2 shown]
	s_waitcnt vmcnt(36)
	scratch_store_dwordx4 off, v[148:151], off offset:784
	s_cbranch_scc1 .LBB48_208
; %bb.4:
	v_cmp_eq_u32_e64 s[0:1], 0, v240
	s_and_saveexec_b64 s[4:5], s[0:1]
; %bb.5:
	v_mov_b32_e32 v0, 0
	ds_write_b32 v0, v0 offset:1568
; %bb.6:
	s_or_b64 exec, exec, s[4:5]
	s_waitcnt lgkmcnt(0)
	; wave barrier
	scratch_load_dwordx4 v[2:5], v50, off offset:16
	s_waitcnt vmcnt(0)
	v_cmp_eq_f64_e32 vcc, 0, v[2:3]
	v_cmp_eq_f64_e64 s[4:5], 0, v[4:5]
	s_and_b64 s[4:5], vcc, s[4:5]
	s_and_saveexec_b64 s[8:9], s[4:5]
	s_cbranch_execz .LBB48_10
; %bb.7:
	v_mov_b32_e32 v1, 0
	ds_read_b32 v0, v1 offset:1568
	v_add_u32_e32 v2, 1, v240
	s_waitcnt lgkmcnt(0)
	v_readfirstlane_b32 s4, v0
	s_cmp_eq_u32 s4, 0
	s_cselect_b64 s[10:11], -1, 0
	v_cmp_gt_i32_e32 vcc, s4, v2
	s_or_b64 s[10:11], s[10:11], vcc
	s_and_b64 exec, exec, s[10:11]
	s_cbranch_execz .LBB48_10
; %bb.8:
	s_mov_b64 s[10:11], 0
	v_mov_b32_e32 v3, s4
.LBB48_9:                               ; =>This Inner Loop Header: Depth=1
	ds_cmpst_rtn_b32 v3, v1, v3, v2 offset:1568
	s_waitcnt lgkmcnt(0)
	v_cmp_ne_u32_e32 vcc, 0, v3
	v_cmp_le_i32_e64 s[4:5], v3, v2
	s_and_b64 s[4:5], vcc, s[4:5]
	s_and_b64 s[4:5], exec, s[4:5]
	s_or_b64 s[10:11], s[4:5], s[10:11]
	s_andn2_b64 exec, exec, s[10:11]
	s_cbranch_execnz .LBB48_9
.LBB48_10:
	s_or_b64 exec, exec, s[8:9]
	v_mov_b32_e32 v2, 0
	; wave barrier
	ds_read_b32 v1, v2 offset:1568
	s_and_saveexec_b64 s[4:5], s[0:1]
	s_cbranch_execz .LBB48_12
; %bb.11:
	s_lshl_b64 s[8:9], s[2:3], 2
	s_add_u32 s8, s6, s8
	s_addc_u32 s9, s7, s9
	s_waitcnt lgkmcnt(0)
	global_store_dword v2, v1, s[8:9]
.LBB48_12:
	s_or_b64 exec, exec, s[4:5]
	s_waitcnt lgkmcnt(0)
	v_cmp_ne_u32_e32 vcc, 0, v1
	s_mov_b64 s[4:5], 0
	s_cbranch_vccnz .LBB48_208
; %bb.13:
	v_add_u32_e32 v14, 16, v50
	scratch_load_dwordx4 v[2:5], v14, off
                                        ; implicit-def: $vgpr6_vgpr7
                                        ; implicit-def: $vgpr10_vgpr11
	s_waitcnt vmcnt(0)
	v_cmp_ngt_f64_e64 s[4:5], |v[2:3]|, |v[4:5]|
	s_and_saveexec_b64 s[8:9], s[4:5]
	s_xor_b64 s[4:5], exec, s[8:9]
	s_cbranch_execz .LBB48_15
; %bb.14:
	v_div_scale_f64 v[6:7], s[8:9], v[4:5], v[4:5], v[2:3]
	v_rcp_f64_e32 v[8:9], v[6:7]
	v_div_scale_f64 v[10:11], vcc, v[2:3], v[4:5], v[2:3]
	v_fma_f64 v[12:13], -v[6:7], v[8:9], 1.0
	v_fmac_f64_e32 v[8:9], v[8:9], v[12:13]
	v_fma_f64 v[12:13], -v[6:7], v[8:9], 1.0
	v_fmac_f64_e32 v[8:9], v[8:9], v[12:13]
	v_mul_f64 v[12:13], v[10:11], v[8:9]
	v_fma_f64 v[6:7], -v[6:7], v[12:13], v[10:11]
	v_div_fmas_f64 v[6:7], v[6:7], v[8:9], v[12:13]
	v_div_fixup_f64 v[6:7], v[6:7], v[4:5], v[2:3]
	v_fmac_f64_e32 v[4:5], v[2:3], v[6:7]
	v_div_scale_f64 v[2:3], s[8:9], v[4:5], v[4:5], 1.0
	v_rcp_f64_e32 v[8:9], v[2:3]
	s_nop 0
	v_fma_f64 v[10:11], -v[2:3], v[8:9], 1.0
	v_fmac_f64_e32 v[8:9], v[8:9], v[10:11]
	v_fma_f64 v[10:11], -v[2:3], v[8:9], 1.0
	v_fmac_f64_e32 v[8:9], v[8:9], v[10:11]
	v_div_scale_f64 v[10:11], vcc, 1.0, v[4:5], 1.0
	v_mul_f64 v[12:13], v[10:11], v[8:9]
	v_fma_f64 v[2:3], -v[2:3], v[12:13], v[10:11]
	s_nop 1
	v_div_fmas_f64 v[2:3], v[2:3], v[8:9], v[12:13]
	v_div_fixup_f64 v[8:9], v[2:3], v[4:5], 1.0
	v_mul_f64 v[6:7], v[6:7], v[8:9]
	v_xor_b32_e32 v9, 0x80000000, v9
	v_xor_b32_e32 v11, 0x80000000, v7
	v_mov_b32_e32 v10, v6
                                        ; implicit-def: $vgpr2_vgpr3
.LBB48_15:
	s_andn2_saveexec_b64 s[4:5], s[4:5]
	s_cbranch_execz .LBB48_17
; %bb.16:
	v_div_scale_f64 v[6:7], s[8:9], v[2:3], v[2:3], v[4:5]
	v_rcp_f64_e32 v[8:9], v[6:7]
	v_div_scale_f64 v[10:11], vcc, v[4:5], v[2:3], v[4:5]
	v_fma_f64 v[12:13], -v[6:7], v[8:9], 1.0
	v_fmac_f64_e32 v[8:9], v[8:9], v[12:13]
	v_fma_f64 v[12:13], -v[6:7], v[8:9], 1.0
	v_fmac_f64_e32 v[8:9], v[8:9], v[12:13]
	v_mul_f64 v[12:13], v[10:11], v[8:9]
	v_fma_f64 v[6:7], -v[6:7], v[12:13], v[10:11]
	v_div_fmas_f64 v[6:7], v[6:7], v[8:9], v[12:13]
	v_div_fixup_f64 v[8:9], v[6:7], v[2:3], v[4:5]
	v_fmac_f64_e32 v[2:3], v[4:5], v[8:9]
	v_div_scale_f64 v[4:5], s[8:9], v[2:3], v[2:3], 1.0
	v_rcp_f64_e32 v[6:7], v[4:5]
	s_nop 0
	v_fma_f64 v[10:11], -v[4:5], v[6:7], 1.0
	v_fmac_f64_e32 v[6:7], v[6:7], v[10:11]
	v_fma_f64 v[10:11], -v[4:5], v[6:7], 1.0
	v_fmac_f64_e32 v[6:7], v[6:7], v[10:11]
	v_div_scale_f64 v[10:11], vcc, 1.0, v[2:3], 1.0
	v_mul_f64 v[12:13], v[10:11], v[6:7]
	v_fma_f64 v[4:5], -v[4:5], v[12:13], v[10:11]
	s_nop 1
	v_div_fmas_f64 v[4:5], v[4:5], v[6:7], v[12:13]
	v_div_fixup_f64 v[6:7], v[4:5], v[2:3], 1.0
	v_xor_b32_e32 v11, 0x80000000, v7
	v_mov_b32_e32 v10, v6
	v_mul_f64 v[8:9], v[8:9], -v[6:7]
.LBB48_17:
	s_or_b64 exec, exec, s[4:5]
	scratch_store_dwordx4 v14, v[6:9], off
	scratch_load_dwordx4 v[2:5], off, s26
	v_xor_b32_e32 v13, 0x80000000, v9
	v_mov_b32_e32 v12, v8
	v_add_u32_e32 v1, 0x310, v50
	ds_write_b128 v50, v[10:13]
	s_waitcnt vmcnt(0)
	ds_write_b128 v50, v[2:5] offset:784
	s_waitcnt lgkmcnt(0)
	; wave barrier
	s_and_saveexec_b64 s[4:5], s[0:1]
	s_cbranch_execz .LBB48_19
; %bb.18:
	scratch_load_dwordx4 v[2:5], v14, off
	ds_read_b128 v[6:9], v1
	v_mov_b32_e32 v0, 0
	ds_read_b128 v[10:13], v0 offset:16
	s_waitcnt vmcnt(0) lgkmcnt(1)
	v_mul_f64 v[16:17], v[8:9], v[4:5]
	v_mul_f64 v[4:5], v[6:7], v[4:5]
	v_fma_f64 v[6:7], v[6:7], v[2:3], -v[16:17]
	v_fmac_f64_e32 v[4:5], v[8:9], v[2:3]
	v_add_f64 v[2:3], v[6:7], 0
	v_add_f64 v[6:7], v[4:5], 0
	s_waitcnt lgkmcnt(0)
	v_mul_f64 v[8:9], v[6:7], v[12:13]
	v_mul_f64 v[4:5], v[2:3], v[12:13]
	v_fma_f64 v[2:3], v[2:3], v[10:11], -v[8:9]
	v_fmac_f64_e32 v[4:5], v[6:7], v[10:11]
	scratch_store_dwordx4 off, v[2:5], off offset:32
.LBB48_19:
	s_or_b64 exec, exec, s[4:5]
	; wave barrier
	scratch_load_dwordx4 v[2:5], off, s14
	v_cmp_gt_u32_e32 vcc, 2, v240
	s_waitcnt vmcnt(0)
	ds_write_b128 v1, v[2:5]
	s_waitcnt lgkmcnt(0)
	; wave barrier
	s_and_saveexec_b64 s[4:5], vcc
	s_cbranch_execz .LBB48_23
; %bb.20:
	scratch_load_dwordx4 v[2:5], v14, off
	ds_read_b128 v[6:9], v1
	s_waitcnt vmcnt(0) lgkmcnt(0)
	v_mul_f64 v[10:11], v[8:9], v[4:5]
	v_mul_f64 v[12:13], v[6:7], v[4:5]
	v_fma_f64 v[4:5], v[6:7], v[2:3], -v[10:11]
	v_fmac_f64_e32 v[12:13], v[8:9], v[2:3]
	v_add_f64 v[4:5], v[4:5], 0
	v_add_f64 v[2:3], v[12:13], 0
	s_and_saveexec_b64 s[8:9], s[0:1]
	s_cbranch_execz .LBB48_22
; %bb.21:
	scratch_load_dwordx4 v[6:9], off, off offset:32
	v_mov_b32_e32 v0, 0
	ds_read_b128 v[10:13], v0 offset:800
	s_waitcnt vmcnt(0) lgkmcnt(0)
	v_mul_f64 v[14:15], v[10:11], v[8:9]
	v_mul_f64 v[8:9], v[12:13], v[8:9]
	v_fmac_f64_e32 v[14:15], v[12:13], v[6:7]
	v_fma_f64 v[6:7], v[10:11], v[6:7], -v[8:9]
	v_add_f64 v[2:3], v[2:3], v[14:15]
	v_add_f64 v[4:5], v[4:5], v[6:7]
.LBB48_22:
	s_or_b64 exec, exec, s[8:9]
	v_mov_b32_e32 v0, 0
	ds_read_b128 v[6:9], v0 offset:32
	s_waitcnt lgkmcnt(0)
	v_mul_f64 v[12:13], v[2:3], v[8:9]
	v_mul_f64 v[10:11], v[4:5], v[8:9]
	v_fma_f64 v[8:9], v[4:5], v[6:7], -v[12:13]
	v_fmac_f64_e32 v[10:11], v[2:3], v[6:7]
	scratch_store_dwordx4 off, v[8:11], off offset:48
.LBB48_23:
	s_or_b64 exec, exec, s[4:5]
	; wave barrier
	scratch_load_dwordx4 v[2:5], off, s23
	v_cmp_gt_u32_e32 vcc, 3, v240
	v_add_u32_e32 v6, -1, v240
	s_waitcnt vmcnt(0)
	ds_write_b128 v1, v[2:5]
	s_waitcnt lgkmcnt(0)
	; wave barrier
	s_and_saveexec_b64 s[0:1], vcc
	s_cbranch_execz .LBB48_27
; %bb.24:
	v_add_u32_e32 v7, -1, v240
	v_add_u32_e32 v8, 0x310, v50
	v_add_u32_e32 v9, 16, v50
	v_mov_b64_e32 v[2:3], 0
	s_mov_b64 s[4:5], 0
	v_mov_b64_e32 v[4:5], 0
.LBB48_25:                              ; =>This Inner Loop Header: Depth=1
	scratch_load_dwordx4 v[10:13], v9, off
	ds_read_b128 v[14:17], v8
	v_add_u32_e32 v7, 1, v7
	v_cmp_lt_u32_e32 vcc, 1, v7
	v_add_u32_e32 v8, 16, v8
	v_add_u32_e32 v9, 16, v9
	s_or_b64 s[4:5], vcc, s[4:5]
	s_waitcnt vmcnt(0) lgkmcnt(0)
	v_mul_f64 v[18:19], v[16:17], v[12:13]
	v_mul_f64 v[12:13], v[14:15], v[12:13]
	v_fma_f64 v[14:15], v[14:15], v[10:11], -v[18:19]
	v_fmac_f64_e32 v[12:13], v[16:17], v[10:11]
	v_add_f64 v[4:5], v[4:5], v[14:15]
	v_add_f64 v[2:3], v[2:3], v[12:13]
	s_andn2_b64 exec, exec, s[4:5]
	s_cbranch_execnz .LBB48_25
; %bb.26:
	s_or_b64 exec, exec, s[4:5]
	v_mov_b32_e32 v0, 0
	ds_read_b128 v[8:11], v0 offset:48
	s_waitcnt lgkmcnt(0)
	v_mul_f64 v[14:15], v[2:3], v[10:11]
	v_mul_f64 v[12:13], v[4:5], v[10:11]
	v_fma_f64 v[10:11], v[4:5], v[8:9], -v[14:15]
	v_fmac_f64_e32 v[12:13], v[2:3], v[8:9]
	scratch_store_dwordx4 off, v[10:13], off offset:64
.LBB48_27:
	s_or_b64 exec, exec, s[0:1]
	; wave barrier
	scratch_load_dwordx4 v[2:5], off, s27
	v_cmp_gt_u32_e32 vcc, 4, v240
	s_waitcnt vmcnt(0)
	ds_write_b128 v1, v[2:5]
	s_waitcnt lgkmcnt(0)
	; wave barrier
	s_and_saveexec_b64 s[0:1], vcc
	s_cbranch_execz .LBB48_31
; %bb.28:
	v_add_u32_e32 v7, -1, v240
	v_add_u32_e32 v8, 0x310, v50
	v_add_u32_e32 v9, 16, v50
	v_mov_b64_e32 v[2:3], 0
	s_mov_b64 s[4:5], 0
	v_mov_b64_e32 v[4:5], 0
.LBB48_29:                              ; =>This Inner Loop Header: Depth=1
	scratch_load_dwordx4 v[10:13], v9, off
	ds_read_b128 v[14:17], v8
	v_add_u32_e32 v7, 1, v7
	v_cmp_lt_u32_e32 vcc, 2, v7
	v_add_u32_e32 v8, 16, v8
	v_add_u32_e32 v9, 16, v9
	s_or_b64 s[4:5], vcc, s[4:5]
	s_waitcnt vmcnt(0) lgkmcnt(0)
	v_mul_f64 v[18:19], v[16:17], v[12:13]
	v_mul_f64 v[12:13], v[14:15], v[12:13]
	v_fma_f64 v[14:15], v[14:15], v[10:11], -v[18:19]
	v_fmac_f64_e32 v[12:13], v[16:17], v[10:11]
	v_add_f64 v[4:5], v[4:5], v[14:15]
	v_add_f64 v[2:3], v[2:3], v[12:13]
	s_andn2_b64 exec, exec, s[4:5]
	s_cbranch_execnz .LBB48_29
; %bb.30:
	s_or_b64 exec, exec, s[4:5]
	v_mov_b32_e32 v0, 0
	ds_read_b128 v[8:11], v0 offset:64
	s_waitcnt lgkmcnt(0)
	v_mul_f64 v[14:15], v[2:3], v[10:11]
	v_mul_f64 v[12:13], v[4:5], v[10:11]
	v_fma_f64 v[10:11], v[4:5], v[8:9], -v[14:15]
	v_fmac_f64_e32 v[12:13], v[2:3], v[8:9]
	scratch_store_dwordx4 off, v[10:13], off offset:80
.LBB48_31:
	s_or_b64 exec, exec, s[0:1]
	; wave barrier
	scratch_load_dwordx4 v[2:5], off, s63
	v_cmp_gt_u32_e32 vcc, 5, v240
	;; [unrolled: 45-line block ×19, first 2 shown]
	s_waitcnt vmcnt(0)
	ds_write_b128 v1, v[2:5]
	s_waitcnt lgkmcnt(0)
	; wave barrier
	s_and_saveexec_b64 s[0:1], vcc
	s_cbranch_execz .LBB48_103
; %bb.100:
	v_add_u32_e32 v7, -1, v240
	v_add_u32_e32 v8, 0x310, v50
	v_add_u32_e32 v9, 16, v50
	v_mov_b64_e32 v[2:3], 0
	s_mov_b64 s[4:5], 0
	v_mov_b64_e32 v[4:5], 0
.LBB48_101:                             ; =>This Inner Loop Header: Depth=1
	scratch_load_dwordx4 v[10:13], v9, off
	ds_read_b128 v[14:17], v8
	v_add_u32_e32 v7, 1, v7
	v_cmp_lt_u32_e32 vcc, 20, v7
	v_add_u32_e32 v8, 16, v8
	v_add_u32_e32 v9, 16, v9
	s_or_b64 s[4:5], vcc, s[4:5]
	s_waitcnt vmcnt(0) lgkmcnt(0)
	v_mul_f64 v[18:19], v[16:17], v[12:13]
	v_mul_f64 v[12:13], v[14:15], v[12:13]
	v_fma_f64 v[14:15], v[14:15], v[10:11], -v[18:19]
	v_fmac_f64_e32 v[12:13], v[16:17], v[10:11]
	v_add_f64 v[4:5], v[4:5], v[14:15]
	v_add_f64 v[2:3], v[2:3], v[12:13]
	s_andn2_b64 exec, exec, s[4:5]
	s_cbranch_execnz .LBB48_101
; %bb.102:
	s_or_b64 exec, exec, s[4:5]
	v_mov_b32_e32 v0, 0
	ds_read_b128 v[8:11], v0 offset:352
	s_waitcnt lgkmcnt(0)
	v_mul_f64 v[14:15], v[2:3], v[10:11]
	v_mul_f64 v[12:13], v[4:5], v[10:11]
	v_fma_f64 v[10:11], v[4:5], v[8:9], -v[14:15]
	v_fmac_f64_e32 v[12:13], v[2:3], v[8:9]
	scratch_store_dwordx4 off, v[10:13], off offset:368
.LBB48_103:
	s_or_b64 exec, exec, s[0:1]
	; wave barrier
	scratch_load_dwordx4 v[2:5], off, s49
	v_cmp_gt_u32_e32 vcc, 23, v240
	s_waitcnt vmcnt(0)
	ds_write_b128 v1, v[2:5]
	s_waitcnt lgkmcnt(0)
	; wave barrier
	s_and_saveexec_b64 s[0:1], vcc
	s_cbranch_execz .LBB48_107
; %bb.104:
	v_add_u32_e32 v7, -1, v240
	v_add_u32_e32 v8, 0x310, v50
	v_add_u32_e32 v9, 16, v50
	v_mov_b64_e32 v[2:3], 0
	s_mov_b64 s[4:5], 0
	v_mov_b64_e32 v[4:5], 0
.LBB48_105:                             ; =>This Inner Loop Header: Depth=1
	scratch_load_dwordx4 v[10:13], v9, off
	ds_read_b128 v[14:17], v8
	v_add_u32_e32 v7, 1, v7
	v_cmp_lt_u32_e32 vcc, 21, v7
	v_add_u32_e32 v8, 16, v8
	v_add_u32_e32 v9, 16, v9
	s_or_b64 s[4:5], vcc, s[4:5]
	s_waitcnt vmcnt(0) lgkmcnt(0)
	v_mul_f64 v[18:19], v[16:17], v[12:13]
	v_mul_f64 v[12:13], v[14:15], v[12:13]
	v_fma_f64 v[14:15], v[14:15], v[10:11], -v[18:19]
	v_fmac_f64_e32 v[12:13], v[16:17], v[10:11]
	v_add_f64 v[4:5], v[4:5], v[14:15]
	v_add_f64 v[2:3], v[2:3], v[12:13]
	s_andn2_b64 exec, exec, s[4:5]
	s_cbranch_execnz .LBB48_105
; %bb.106:
	s_or_b64 exec, exec, s[4:5]
	v_mov_b32_e32 v0, 0
	ds_read_b128 v[8:11], v0 offset:368
	s_waitcnt lgkmcnt(0)
	v_mul_f64 v[14:15], v[2:3], v[10:11]
	v_mul_f64 v[12:13], v[4:5], v[10:11]
	v_fma_f64 v[10:11], v[4:5], v[8:9], -v[14:15]
	v_fmac_f64_e32 v[12:13], v[2:3], v[8:9]
	scratch_store_dwordx4 off, v[10:13], off offset:384
.LBB48_107:
	s_or_b64 exec, exec, s[0:1]
	; wave barrier
	scratch_load_dwordx4 v[2:5], off, s50
	v_cmp_gt_u32_e32 vcc, 24, v240
	;; [unrolled: 45-line block ×25, first 2 shown]
	s_waitcnt vmcnt(0)
	ds_write_b128 v1, v[2:5]
	s_waitcnt lgkmcnt(0)
	; wave barrier
	s_and_saveexec_b64 s[0:1], vcc
	s_cbranch_execz .LBB48_203
; %bb.200:
	v_add_u32_e32 v7, -1, v240
	v_add_u32_e32 v8, 0x310, v50
	v_add_u32_e32 v9, 16, v50
	v_mov_b64_e32 v[2:3], 0
	s_mov_b64 s[4:5], 0
	v_mov_b64_e32 v[4:5], 0
.LBB48_201:                             ; =>This Inner Loop Header: Depth=1
	scratch_load_dwordx4 v[10:13], v9, off
	ds_read_b128 v[14:17], v8
	v_add_u32_e32 v7, 1, v7
	v_cmp_lt_u32_e32 vcc, 45, v7
	v_add_u32_e32 v8, 16, v8
	v_add_u32_e32 v9, 16, v9
	s_or_b64 s[4:5], vcc, s[4:5]
	s_waitcnt vmcnt(0) lgkmcnt(0)
	v_mul_f64 v[18:19], v[16:17], v[12:13]
	v_mul_f64 v[12:13], v[14:15], v[12:13]
	v_fma_f64 v[14:15], v[14:15], v[10:11], -v[18:19]
	v_fmac_f64_e32 v[12:13], v[16:17], v[10:11]
	v_add_f64 v[4:5], v[4:5], v[14:15]
	v_add_f64 v[2:3], v[2:3], v[12:13]
	s_andn2_b64 exec, exec, s[4:5]
	s_cbranch_execnz .LBB48_201
; %bb.202:
	s_or_b64 exec, exec, s[4:5]
	v_mov_b32_e32 v0, 0
	ds_read_b128 v[8:11], v0 offset:752
	s_waitcnt lgkmcnt(0)
	v_mul_f64 v[14:15], v[2:3], v[10:11]
	v_mul_f64 v[12:13], v[4:5], v[10:11]
	v_fma_f64 v[10:11], v[4:5], v[8:9], -v[14:15]
	v_fmac_f64_e32 v[12:13], v[2:3], v[8:9]
	scratch_store_dwordx4 off, v[10:13], off offset:768
.LBB48_203:
	s_or_b64 exec, exec, s[0:1]
	; wave barrier
	scratch_load_dwordx4 v[2:5], off, s13
	v_cmp_ne_u32_e32 vcc, 48, v240
	s_waitcnt vmcnt(0)
	ds_write_b128 v1, v[2:5]
	s_waitcnt lgkmcnt(0)
	; wave barrier
	s_and_saveexec_b64 s[0:1], vcc
	s_cbranch_execz .LBB48_207
; %bb.204:
	v_add_u32_e32 v1, 0x310, v50
	v_add_u32_e32 v7, 16, v50
	v_mov_b64_e32 v[2:3], 0
	s_mov_b64 s[4:5], 0
	v_mov_b64_e32 v[4:5], 0
.LBB48_205:                             ; =>This Inner Loop Header: Depth=1
	scratch_load_dwordx4 v[8:11], v7, off
	ds_read_b128 v[12:15], v1
	v_add_u32_e32 v6, 1, v6
	v_cmp_lt_u32_e32 vcc, 46, v6
	v_add_u32_e32 v1, 16, v1
	v_add_u32_e32 v7, 16, v7
	s_or_b64 s[4:5], vcc, s[4:5]
	s_waitcnt vmcnt(0) lgkmcnt(0)
	v_mul_f64 v[16:17], v[14:15], v[10:11]
	v_mul_f64 v[10:11], v[12:13], v[10:11]
	v_fma_f64 v[12:13], v[12:13], v[8:9], -v[16:17]
	v_fmac_f64_e32 v[10:11], v[14:15], v[8:9]
	v_add_f64 v[4:5], v[4:5], v[12:13]
	v_add_f64 v[2:3], v[2:3], v[10:11]
	s_andn2_b64 exec, exec, s[4:5]
	s_cbranch_execnz .LBB48_205
; %bb.206:
	s_or_b64 exec, exec, s[4:5]
	v_mov_b32_e32 v0, 0
	ds_read_b128 v[6:9], v0 offset:768
	s_waitcnt lgkmcnt(0)
	v_mul_f64 v[12:13], v[2:3], v[8:9]
	v_mul_f64 v[10:11], v[4:5], v[8:9]
	v_fma_f64 v[8:9], v[4:5], v[6:7], -v[12:13]
	v_fmac_f64_e32 v[10:11], v[2:3], v[6:7]
	scratch_store_dwordx4 off, v[8:11], off offset:784
.LBB48_207:
	s_or_b64 exec, exec, s[0:1]
	s_mov_b64 s[4:5], -1
	; wave barrier
.LBB48_208:
	s_and_b64 vcc, exec, s[4:5]
	s_cbranch_vccz .LBB48_210
; %bb.209:
	s_lshl_b64 s[0:1], s[2:3], 2
	s_add_u32 s0, s6, s0
	s_addc_u32 s1, s7, s1
	v_mov_b32_e32 v0, 0
	global_load_dword v0, v0, s[0:1]
	s_waitcnt vmcnt(0)
	v_cmp_ne_u32_e32 vcc, 0, v0
	s_cbranch_vccz .LBB48_211
.LBB48_210:
	s_endpgm
.LBB48_211:
	v_mov_b32_e32 v0, 0x310
	v_lshl_add_u32 v0, v240, 4, v0
	v_accvgpr_write_b32 a99, v0
	v_cmp_eq_u32_e32 vcc, 48, v240
	s_and_saveexec_b64 s[0:1], vcc
	s_cbranch_execz .LBB48_213
; %bb.212:
	scratch_load_dwordx4 v[2:5], off, s12
	v_mov_b32_e32 v6, 0
	v_mov_b32_e32 v7, v6
	;; [unrolled: 1-line block ×4, first 2 shown]
	v_accvgpr_read_b32 v0, a99
	scratch_store_dwordx4 off, v[6:9], off offset:768
	s_waitcnt vmcnt(1)
	ds_write_b128 v0, v[2:5]
.LBB48_213:
	s_or_b64 exec, exec, s[0:1]
	s_waitcnt lgkmcnt(0)
	; wave barrier
	scratch_load_dwordx4 v[4:7], off, off offset:784
	scratch_load_dwordx4 v[8:11], off, off offset:768
	v_mov_b32_e32 v2, 0
	ds_read_b128 v[12:15], v2 offset:1552
	v_cmp_lt_u32_e32 vcc, 46, v240
	s_waitcnt vmcnt(1) lgkmcnt(0)
	v_mul_f64 v[16:17], v[12:13], v[6:7]
	v_mul_f64 v[6:7], v[14:15], v[6:7]
	v_fmac_f64_e32 v[16:17], v[14:15], v[4:5]
	v_fma_f64 v[4:5], v[12:13], v[4:5], -v[6:7]
	v_add_f64 v[6:7], v[16:17], 0
	v_add_f64 v[4:5], v[4:5], 0
	s_waitcnt vmcnt(0)
	v_add_f64 v[4:5], v[8:9], -v[4:5]
	v_add_f64 v[6:7], v[10:11], -v[6:7]
	scratch_store_dwordx4 off, v[4:7], off offset:768
	s_and_saveexec_b64 s[0:1], vcc
	s_cbranch_execz .LBB48_215
; %bb.214:
	scratch_load_dwordx4 v[6:9], off, s20
	v_mov_b32_e32 v3, v2
	v_mov_b32_e32 v4, v2
	;; [unrolled: 1-line block ×3, first 2 shown]
	v_accvgpr_read_b32 v0, a99
	scratch_store_dwordx4 off, v[2:5], off offset:752
	s_waitcnt vmcnt(1)
	ds_write_b128 v0, v[6:9]
.LBB48_215:
	s_or_b64 exec, exec, s[0:1]
	s_waitcnt lgkmcnt(0)
	; wave barrier
	scratch_load_dwordx4 v[4:7], off, off offset:768
	scratch_load_dwordx4 v[8:11], off, off offset:784
	;; [unrolled: 1-line block ×3, first 2 shown]
	ds_read_b128 v[16:19], v2 offset:1536
	ds_read_b128 v[20:23], v2 offset:1552
	v_cmp_lt_u32_e32 vcc, 45, v240
	s_waitcnt vmcnt(2) lgkmcnt(1)
	v_mul_f64 v[2:3], v[16:17], v[6:7]
	v_mul_f64 v[6:7], v[18:19], v[6:7]
	s_waitcnt vmcnt(1) lgkmcnt(0)
	v_mul_f64 v[24:25], v[20:21], v[10:11]
	v_mul_f64 v[10:11], v[22:23], v[10:11]
	v_fmac_f64_e32 v[2:3], v[18:19], v[4:5]
	v_fma_f64 v[4:5], v[16:17], v[4:5], -v[6:7]
	v_fmac_f64_e32 v[24:25], v[22:23], v[8:9]
	v_fma_f64 v[6:7], v[20:21], v[8:9], -v[10:11]
	v_add_f64 v[2:3], v[2:3], 0
	v_add_f64 v[4:5], v[4:5], 0
	;; [unrolled: 1-line block ×4, first 2 shown]
	s_waitcnt vmcnt(0)
	v_add_f64 v[2:3], v[12:13], -v[2:3]
	v_add_f64 v[4:5], v[14:15], -v[8:9]
	scratch_store_dwordx4 off, v[2:5], off offset:752
	s_and_saveexec_b64 s[0:1], vcc
	s_cbranch_execz .LBB48_217
; %bb.216:
	scratch_load_dwordx4 v[2:5], off, s15
	v_mov_b32_e32 v6, 0
	v_mov_b32_e32 v7, v6
	;; [unrolled: 1-line block ×4, first 2 shown]
	v_accvgpr_read_b32 v0, a99
	scratch_store_dwordx4 off, v[6:9], off offset:736
	s_waitcnt vmcnt(1)
	ds_write_b128 v0, v[2:5]
.LBB48_217:
	s_or_b64 exec, exec, s[0:1]
	s_waitcnt lgkmcnt(0)
	; wave barrier
	scratch_load_dwordx4 v[4:7], off, off offset:752
	scratch_load_dwordx4 v[8:11], off, off offset:768
	;; [unrolled: 1-line block ×4, first 2 shown]
	v_mov_b32_e32 v2, 0
	ds_read_b128 v[20:23], v2 offset:1520
	ds_read_b128 v[24:27], v2 offset:1536
	;; [unrolled: 1-line block ×3, first 2 shown]
	v_cmp_lt_u32_e32 vcc, 44, v240
	s_waitcnt vmcnt(3) lgkmcnt(2)
	v_mul_f64 v[32:33], v[20:21], v[6:7]
	v_mul_f64 v[6:7], v[22:23], v[6:7]
	s_waitcnt vmcnt(2) lgkmcnt(1)
	v_mul_f64 v[34:35], v[24:25], v[10:11]
	v_mul_f64 v[10:11], v[26:27], v[10:11]
	v_fmac_f64_e32 v[32:33], v[22:23], v[4:5]
	v_fma_f64 v[4:5], v[20:21], v[4:5], -v[6:7]
	s_waitcnt vmcnt(1) lgkmcnt(0)
	v_mul_f64 v[36:37], v[28:29], v[14:15]
	v_mul_f64 v[14:15], v[30:31], v[14:15]
	v_fmac_f64_e32 v[34:35], v[26:27], v[8:9]
	v_fma_f64 v[6:7], v[24:25], v[8:9], -v[10:11]
	v_add_f64 v[10:11], v[32:33], 0
	v_add_f64 v[4:5], v[4:5], 0
	v_fmac_f64_e32 v[36:37], v[30:31], v[12:13]
	v_fma_f64 v[8:9], v[28:29], v[12:13], -v[14:15]
	v_add_f64 v[10:11], v[10:11], v[34:35]
	v_add_f64 v[4:5], v[4:5], v[6:7]
	v_add_f64 v[6:7], v[10:11], v[36:37]
	v_add_f64 v[4:5], v[4:5], v[8:9]
	s_waitcnt vmcnt(0)
	v_add_f64 v[4:5], v[16:17], -v[4:5]
	v_add_f64 v[6:7], v[18:19], -v[6:7]
	scratch_store_dwordx4 off, v[4:7], off offset:736
	s_and_saveexec_b64 s[0:1], vcc
	s_cbranch_execz .LBB48_219
; %bb.218:
	scratch_load_dwordx4 v[6:9], off, s22
	v_mov_b32_e32 v3, v2
	v_mov_b32_e32 v4, v2
	;; [unrolled: 1-line block ×3, first 2 shown]
	v_accvgpr_read_b32 v0, a99
	scratch_store_dwordx4 off, v[2:5], off offset:720
	s_waitcnt vmcnt(1)
	ds_write_b128 v0, v[6:9]
.LBB48_219:
	s_or_b64 exec, exec, s[0:1]
	s_waitcnt lgkmcnt(0)
	; wave barrier
	scratch_load_dwordx4 v[4:7], off, off offset:736
	scratch_load_dwordx4 v[8:11], off, off offset:752
	;; [unrolled: 1-line block ×5, first 2 shown]
	ds_read_b128 v[24:27], v2 offset:1504
	ds_read_b128 v[28:31], v2 offset:1520
	;; [unrolled: 1-line block ×4, first 2 shown]
	v_cmp_lt_u32_e32 vcc, 43, v240
	s_waitcnt vmcnt(4) lgkmcnt(3)
	v_mul_f64 v[2:3], v[24:25], v[6:7]
	v_mul_f64 v[6:7], v[26:27], v[6:7]
	s_waitcnt vmcnt(3) lgkmcnt(2)
	v_mul_f64 v[40:41], v[28:29], v[10:11]
	v_mul_f64 v[10:11], v[30:31], v[10:11]
	v_fmac_f64_e32 v[2:3], v[26:27], v[4:5]
	v_fma_f64 v[4:5], v[24:25], v[4:5], -v[6:7]
	s_waitcnt vmcnt(2) lgkmcnt(1)
	v_mul_f64 v[42:43], v[32:33], v[14:15]
	v_mul_f64 v[14:15], v[34:35], v[14:15]
	v_fmac_f64_e32 v[40:41], v[30:31], v[8:9]
	v_fma_f64 v[6:7], v[28:29], v[8:9], -v[10:11]
	v_add_f64 v[2:3], v[2:3], 0
	v_add_f64 v[4:5], v[4:5], 0
	s_waitcnt vmcnt(1) lgkmcnt(0)
	v_mul_f64 v[44:45], v[36:37], v[18:19]
	v_mul_f64 v[18:19], v[38:39], v[18:19]
	v_fmac_f64_e32 v[42:43], v[34:35], v[12:13]
	v_fma_f64 v[8:9], v[32:33], v[12:13], -v[14:15]
	v_add_f64 v[2:3], v[2:3], v[40:41]
	v_add_f64 v[4:5], v[4:5], v[6:7]
	v_fmac_f64_e32 v[44:45], v[38:39], v[16:17]
	v_fma_f64 v[10:11], v[36:37], v[16:17], -v[18:19]
	v_add_f64 v[2:3], v[2:3], v[42:43]
	v_add_f64 v[4:5], v[4:5], v[8:9]
	;; [unrolled: 1-line block ×4, first 2 shown]
	s_waitcnt vmcnt(0)
	v_add_f64 v[2:3], v[20:21], -v[2:3]
	v_add_f64 v[4:5], v[22:23], -v[6:7]
	scratch_store_dwordx4 off, v[2:5], off offset:720
	s_and_saveexec_b64 s[0:1], vcc
	s_cbranch_execz .LBB48_221
; %bb.220:
	scratch_load_dwordx4 v[2:5], off, s21
	v_mov_b32_e32 v6, 0
	v_mov_b32_e32 v7, v6
	;; [unrolled: 1-line block ×4, first 2 shown]
	v_accvgpr_read_b32 v0, a99
	scratch_store_dwordx4 off, v[6:9], off offset:704
	s_waitcnt vmcnt(1)
	ds_write_b128 v0, v[2:5]
.LBB48_221:
	s_or_b64 exec, exec, s[0:1]
	s_waitcnt lgkmcnt(0)
	; wave barrier
	scratch_load_dwordx4 v[4:7], off, off offset:720
	scratch_load_dwordx4 v[8:11], off, off offset:736
	;; [unrolled: 1-line block ×6, first 2 shown]
	v_mov_b32_e32 v2, 0
	ds_read_b128 v[28:31], v2 offset:1488
	ds_read_b128 v[32:35], v2 offset:1504
	;; [unrolled: 1-line block ×5, first 2 shown]
	v_cmp_lt_u32_e32 vcc, 42, v240
	s_waitcnt vmcnt(5) lgkmcnt(4)
	v_mul_f64 v[48:49], v[28:29], v[6:7]
	v_mul_f64 v[6:7], v[30:31], v[6:7]
	s_waitcnt vmcnt(4) lgkmcnt(3)
	v_mul_f64 v[50:51], v[32:33], v[10:11]
	s_waitcnt vmcnt(3) lgkmcnt(2)
	v_mul_f64 v[52:53], v[36:37], v[14:15]
	v_mul_f64 v[10:11], v[34:35], v[10:11]
	;; [unrolled: 1-line block ×3, first 2 shown]
	v_fmac_f64_e32 v[48:49], v[30:31], v[4:5]
	v_fma_f64 v[4:5], v[28:29], v[4:5], -v[6:7]
	v_fmac_f64_e32 v[50:51], v[34:35], v[8:9]
	v_fma_f64 v[6:7], v[32:33], v[8:9], -v[10:11]
	v_fma_f64 v[8:9], v[36:37], v[12:13], -v[14:15]
	v_add_f64 v[14:15], v[48:49], 0
	v_add_f64 v[4:5], v[4:5], 0
	s_waitcnt vmcnt(2) lgkmcnt(1)
	v_mul_f64 v[54:55], v[40:41], v[18:19]
	v_mul_f64 v[18:19], v[42:43], v[18:19]
	v_fmac_f64_e32 v[52:53], v[38:39], v[12:13]
	v_add_f64 v[14:15], v[14:15], v[50:51]
	v_add_f64 v[4:5], v[4:5], v[6:7]
	s_waitcnt vmcnt(1) lgkmcnt(0)
	v_mul_f64 v[56:57], v[44:45], v[22:23]
	v_mul_f64 v[22:23], v[46:47], v[22:23]
	v_fmac_f64_e32 v[54:55], v[42:43], v[16:17]
	v_fma_f64 v[10:11], v[40:41], v[16:17], -v[18:19]
	v_add_f64 v[6:7], v[14:15], v[52:53]
	v_add_f64 v[4:5], v[4:5], v[8:9]
	v_fmac_f64_e32 v[56:57], v[46:47], v[20:21]
	v_fma_f64 v[12:13], v[44:45], v[20:21], -v[22:23]
	v_add_f64 v[6:7], v[6:7], v[54:55]
	v_add_f64 v[4:5], v[4:5], v[10:11]
	v_add_f64 v[6:7], v[6:7], v[56:57]
	v_add_f64 v[4:5], v[4:5], v[12:13]
	s_waitcnt vmcnt(0)
	v_add_f64 v[4:5], v[24:25], -v[4:5]
	v_add_f64 v[6:7], v[26:27], -v[6:7]
	scratch_store_dwordx4 off, v[4:7], off offset:704
	s_and_saveexec_b64 s[0:1], vcc
	s_cbranch_execz .LBB48_223
; %bb.222:
	scratch_load_dwordx4 v[6:9], off, s25
	v_mov_b32_e32 v3, v2
	v_mov_b32_e32 v4, v2
	;; [unrolled: 1-line block ×3, first 2 shown]
	v_accvgpr_read_b32 v0, a99
	scratch_store_dwordx4 off, v[2:5], off offset:688
	s_waitcnt vmcnt(1)
	ds_write_b128 v0, v[6:9]
.LBB48_223:
	s_or_b64 exec, exec, s[0:1]
	s_waitcnt lgkmcnt(0)
	; wave barrier
	scratch_load_dwordx4 v[4:7], off, off offset:704
	scratch_load_dwordx4 v[8:11], off, off offset:720
	;; [unrolled: 1-line block ×7, first 2 shown]
	ds_read_b128 v[32:35], v2 offset:1472
	ds_read_b128 v[36:39], v2 offset:1488
	;; [unrolled: 1-line block ×6, first 2 shown]
	v_cmp_lt_u32_e32 vcc, 41, v240
	s_waitcnt vmcnt(6) lgkmcnt(5)
	v_mul_f64 v[2:3], v[32:33], v[6:7]
	v_mul_f64 v[6:7], v[34:35], v[6:7]
	s_waitcnt vmcnt(5) lgkmcnt(4)
	v_mul_f64 v[56:57], v[36:37], v[10:11]
	v_mul_f64 v[10:11], v[38:39], v[10:11]
	v_fmac_f64_e32 v[2:3], v[34:35], v[4:5]
	v_fma_f64 v[4:5], v[32:33], v[4:5], -v[6:7]
	s_waitcnt vmcnt(4) lgkmcnt(3)
	v_mul_f64 v[58:59], v[40:41], v[14:15]
	v_mul_f64 v[14:15], v[42:43], v[14:15]
	v_fmac_f64_e32 v[56:57], v[38:39], v[8:9]
	v_fma_f64 v[6:7], v[36:37], v[8:9], -v[10:11]
	v_add_f64 v[2:3], v[2:3], 0
	v_add_f64 v[4:5], v[4:5], 0
	s_waitcnt vmcnt(3) lgkmcnt(2)
	v_mul_f64 v[60:61], v[44:45], v[18:19]
	v_mul_f64 v[18:19], v[46:47], v[18:19]
	v_fmac_f64_e32 v[58:59], v[42:43], v[12:13]
	v_fma_f64 v[8:9], v[40:41], v[12:13], -v[14:15]
	v_add_f64 v[2:3], v[2:3], v[56:57]
	v_add_f64 v[4:5], v[4:5], v[6:7]
	s_waitcnt vmcnt(2) lgkmcnt(1)
	v_mul_f64 v[62:63], v[48:49], v[22:23]
	v_mul_f64 v[22:23], v[50:51], v[22:23]
	v_fmac_f64_e32 v[60:61], v[46:47], v[16:17]
	v_fma_f64 v[10:11], v[44:45], v[16:17], -v[18:19]
	v_add_f64 v[2:3], v[2:3], v[58:59]
	v_add_f64 v[4:5], v[4:5], v[8:9]
	s_waitcnt vmcnt(1) lgkmcnt(0)
	v_mul_f64 v[64:65], v[52:53], v[26:27]
	v_mul_f64 v[26:27], v[54:55], v[26:27]
	v_fmac_f64_e32 v[62:63], v[50:51], v[20:21]
	v_fma_f64 v[12:13], v[48:49], v[20:21], -v[22:23]
	v_add_f64 v[2:3], v[2:3], v[60:61]
	v_add_f64 v[4:5], v[4:5], v[10:11]
	v_fmac_f64_e32 v[64:65], v[54:55], v[24:25]
	v_fma_f64 v[14:15], v[52:53], v[24:25], -v[26:27]
	v_add_f64 v[2:3], v[2:3], v[62:63]
	v_add_f64 v[4:5], v[4:5], v[12:13]
	v_add_f64 v[6:7], v[2:3], v[64:65]
	v_add_f64 v[2:3], v[4:5], v[14:15]
	s_waitcnt vmcnt(0)
	v_add_f64 v[2:3], v[28:29], -v[2:3]
	v_add_f64 v[4:5], v[30:31], -v[6:7]
	scratch_store_dwordx4 off, v[2:5], off offset:688
	s_and_saveexec_b64 s[0:1], vcc
	s_cbranch_execz .LBB48_225
; %bb.224:
	scratch_load_dwordx4 v[2:5], off, s24
	v_mov_b32_e32 v6, 0
	v_mov_b32_e32 v7, v6
	;; [unrolled: 1-line block ×4, first 2 shown]
	v_accvgpr_read_b32 v0, a99
	scratch_store_dwordx4 off, v[6:9], off offset:672
	s_waitcnt vmcnt(1)
	ds_write_b128 v0, v[2:5]
.LBB48_225:
	s_or_b64 exec, exec, s[0:1]
	v_mov_b32_e32 v2, 0
	s_waitcnt lgkmcnt(0)
	; wave barrier
	ds_read_b128 v[4:7], v2 offset:1456
	ds_read_b128 v[8:11], v2 offset:1472
	;; [unrolled: 1-line block ×4, first 2 shown]
	scratch_load_dwordx4 v[20:23], off, off offset:688
	scratch_load_dwordx4 v[40:43], off, off offset:752
	v_cmp_lt_u32_e32 vcc, 40, v240
	scratch_load_dwordx4 v[48:51], off, off offset:768
	scratch_load_dwordx4 v[56:59], off, off offset:784
	s_waitcnt vmcnt(3) lgkmcnt(3)
	v_mul_f64 v[24:25], v[4:5], v[22:23]
	v_fmac_f64_e32 v[24:25], v[6:7], v[20:21]
	v_add_f64 v[28:29], v[24:25], 0
	scratch_load_dwordx4 v[24:27], off, off offset:704
	v_mul_f64 v[6:7], v[6:7], v[22:23]
	v_fma_f64 v[4:5], v[4:5], v[20:21], -v[6:7]
	v_add_f64 v[4:5], v[4:5], 0
	s_waitcnt vmcnt(0) lgkmcnt(2)
	v_mul_f64 v[30:31], v[8:9], v[26:27]
	v_fmac_f64_e32 v[30:31], v[10:11], v[24:25]
	v_add_f64 v[32:33], v[28:29], v[30:31]
	scratch_load_dwordx4 v[28:31], off, off offset:720
	v_mul_f64 v[6:7], v[10:11], v[26:27]
	v_fma_f64 v[6:7], v[8:9], v[24:25], -v[6:7]
	v_add_f64 v[4:5], v[4:5], v[6:7]
	;; [unrolled: 8-line block ×3, first 2 shown]
	s_waitcnt vmcnt(0) lgkmcnt(0)
	v_mul_f64 v[38:39], v[16:17], v[34:35]
	v_fmac_f64_e32 v[38:39], v[18:19], v[32:33]
	v_add_f64 v[44:45], v[36:37], v[38:39]
	ds_read_b128 v[36:39], v2 offset:1520
	v_mul_f64 v[6:7], v[18:19], v[34:35]
	v_fma_f64 v[6:7], v[16:17], v[32:33], -v[6:7]
	v_add_f64 v[4:5], v[4:5], v[6:7]
	s_waitcnt lgkmcnt(0)
	v_mul_f64 v[46:47], v[36:37], v[42:43]
	v_fmac_f64_e32 v[46:47], v[38:39], v[40:41]
	v_add_f64 v[52:53], v[44:45], v[46:47]
	ds_read_b128 v[44:47], v2 offset:1536
	v_mul_f64 v[6:7], v[38:39], v[42:43]
	v_fma_f64 v[6:7], v[36:37], v[40:41], -v[6:7]
	v_add_f64 v[4:5], v[4:5], v[6:7]
	s_waitcnt lgkmcnt(0)
	;; [unrolled: 8-line block ×3, first 2 shown]
	v_mul_f64 v[6:7], v[54:55], v[58:59]
	v_fma_f64 v[6:7], v[52:53], v[56:57], -v[6:7]
	v_add_f64 v[8:9], v[4:5], v[6:7]
	scratch_load_dwordx4 v[4:7], off, off offset:672
	v_mul_f64 v[62:63], v[52:53], v[58:59]
	v_fmac_f64_e32 v[62:63], v[54:55], v[56:57]
	v_add_f64 v[60:61], v[60:61], v[62:63]
	s_waitcnt vmcnt(0)
	v_add_f64 v[4:5], v[4:5], -v[8:9]
	v_add_f64 v[6:7], v[6:7], -v[60:61]
	scratch_store_dwordx4 off, v[4:7], off offset:672
	s_and_saveexec_b64 s[0:1], vcc
	s_cbranch_execz .LBB48_227
; %bb.226:
	scratch_load_dwordx4 v[6:9], off, s29
	v_mov_b32_e32 v3, v2
	v_mov_b32_e32 v4, v2
	;; [unrolled: 1-line block ×3, first 2 shown]
	v_accvgpr_read_b32 v0, a99
	scratch_store_dwordx4 off, v[2:5], off offset:656
	s_waitcnt vmcnt(1)
	ds_write_b128 v0, v[6:9]
.LBB48_227:
	s_or_b64 exec, exec, s[0:1]
	s_waitcnt lgkmcnt(0)
	; wave barrier
	scratch_load_dwordx4 v[4:7], off, off offset:672
	scratch_load_dwordx4 v[8:11], off, off offset:688
	;; [unrolled: 1-line block ×9, first 2 shown]
	ds_read_b128 v[40:43], v2 offset:1440
	ds_read_b128 v[44:47], v2 offset:1456
	;; [unrolled: 1-line block ×8, first 2 shown]
	v_cmp_lt_u32_e32 vcc, 39, v240
	s_waitcnt vmcnt(8) lgkmcnt(7)
	v_mul_f64 v[2:3], v[40:41], v[6:7]
	v_mul_f64 v[6:7], v[42:43], v[6:7]
	s_waitcnt vmcnt(7) lgkmcnt(6)
	v_mul_f64 v[72:73], v[44:45], v[10:11]
	v_mul_f64 v[10:11], v[46:47], v[10:11]
	v_fmac_f64_e32 v[2:3], v[42:43], v[4:5]
	v_fma_f64 v[4:5], v[40:41], v[4:5], -v[6:7]
	s_waitcnt vmcnt(6) lgkmcnt(5)
	v_mul_f64 v[74:75], v[48:49], v[14:15]
	v_mul_f64 v[14:15], v[50:51], v[14:15]
	v_fmac_f64_e32 v[72:73], v[46:47], v[8:9]
	v_fma_f64 v[6:7], v[44:45], v[8:9], -v[10:11]
	v_add_f64 v[2:3], v[2:3], 0
	v_add_f64 v[4:5], v[4:5], 0
	s_waitcnt vmcnt(5) lgkmcnt(4)
	v_mul_f64 v[76:77], v[52:53], v[18:19]
	v_mul_f64 v[18:19], v[54:55], v[18:19]
	v_fmac_f64_e32 v[74:75], v[50:51], v[12:13]
	v_fma_f64 v[8:9], v[48:49], v[12:13], -v[14:15]
	v_add_f64 v[2:3], v[2:3], v[72:73]
	v_add_f64 v[4:5], v[4:5], v[6:7]
	;; [unrolled: 7-line block ×6, first 2 shown]
	v_fmac_f64_e32 v[84:85], v[70:71], v[32:33]
	v_fma_f64 v[18:19], v[68:69], v[32:33], -v[34:35]
	v_add_f64 v[2:3], v[2:3], v[82:83]
	v_add_f64 v[4:5], v[4:5], v[16:17]
	;; [unrolled: 1-line block ×4, first 2 shown]
	s_waitcnt vmcnt(0)
	v_add_f64 v[2:3], v[36:37], -v[2:3]
	v_add_f64 v[4:5], v[38:39], -v[6:7]
	scratch_store_dwordx4 off, v[2:5], off offset:656
	s_and_saveexec_b64 s[0:1], vcc
	s_cbranch_execz .LBB48_229
; %bb.228:
	scratch_load_dwordx4 v[2:5], off, s28
	v_mov_b32_e32 v6, 0
	v_mov_b32_e32 v7, v6
	;; [unrolled: 1-line block ×4, first 2 shown]
	v_accvgpr_read_b32 v0, a99
	scratch_store_dwordx4 off, v[6:9], off offset:640
	s_waitcnt vmcnt(1)
	ds_write_b128 v0, v[2:5]
.LBB48_229:
	s_or_b64 exec, exec, s[0:1]
	s_waitcnt lgkmcnt(0)
	; wave barrier
	scratch_load_dwordx4 v[4:7], off, off offset:656
	scratch_load_dwordx4 v[8:11], off, off offset:672
	;; [unrolled: 1-line block ×10, first 2 shown]
	v_mov_b32_e32 v2, 0
	ds_read_b128 v[44:47], v2 offset:1424
	ds_read_b128 v[48:51], v2 offset:1440
	;; [unrolled: 1-line block ×9, first 2 shown]
	v_cmp_lt_u32_e32 vcc, 38, v240
	s_waitcnt vmcnt(9) lgkmcnt(8)
	v_mul_f64 v[80:81], v[44:45], v[6:7]
	v_mul_f64 v[6:7], v[46:47], v[6:7]
	s_waitcnt vmcnt(8) lgkmcnt(7)
	v_mul_f64 v[82:83], v[48:49], v[10:11]
	s_waitcnt vmcnt(7) lgkmcnt(6)
	v_mul_f64 v[84:85], v[52:53], v[14:15]
	s_waitcnt vmcnt(5) lgkmcnt(4)
	v_mul_f64 v[88:89], v[60:61], v[22:23]
	v_mul_f64 v[10:11], v[50:51], v[10:11]
	;; [unrolled: 1-line block ×4, first 2 shown]
	v_fmac_f64_e32 v[80:81], v[46:47], v[4:5]
	v_fma_f64 v[4:5], v[44:45], v[4:5], -v[6:7]
	v_fmac_f64_e32 v[82:83], v[50:51], v[8:9]
	v_fmac_f64_e32 v[84:85], v[54:55], v[12:13]
	v_fma_f64 v[6:7], v[48:49], v[8:9], -v[10:11]
	v_fma_f64 v[8:9], v[52:53], v[12:13], -v[14:15]
	;; [unrolled: 1-line block ×3, first 2 shown]
	v_add_f64 v[22:23], v[80:81], 0
	v_add_f64 v[4:5], v[4:5], 0
	v_mul_f64 v[86:87], v[56:57], v[18:19]
	v_mul_f64 v[18:19], v[58:59], v[18:19]
	v_add_f64 v[22:23], v[22:23], v[82:83]
	v_add_f64 v[4:5], v[4:5], v[6:7]
	v_fmac_f64_e32 v[86:87], v[58:59], v[16:17]
	v_fma_f64 v[10:11], v[56:57], v[16:17], -v[18:19]
	v_add_f64 v[6:7], v[22:23], v[84:85]
	v_add_f64 v[4:5], v[4:5], v[8:9]
	s_waitcnt vmcnt(4) lgkmcnt(3)
	v_mul_f64 v[90:91], v[64:65], v[26:27]
	v_mul_f64 v[26:27], v[66:67], v[26:27]
	v_fmac_f64_e32 v[88:89], v[62:63], v[20:21]
	v_add_f64 v[6:7], v[6:7], v[86:87]
	v_add_f64 v[4:5], v[4:5], v[10:11]
	s_waitcnt vmcnt(3) lgkmcnt(2)
	v_mul_f64 v[92:93], v[68:69], v[30:31]
	v_mul_f64 v[30:31], v[70:71], v[30:31]
	v_fmac_f64_e32 v[90:91], v[66:67], v[24:25]
	v_fma_f64 v[14:15], v[64:65], v[24:25], -v[26:27]
	v_add_f64 v[6:7], v[6:7], v[88:89]
	v_add_f64 v[4:5], v[4:5], v[12:13]
	s_waitcnt vmcnt(2) lgkmcnt(1)
	v_mul_f64 v[94:95], v[72:73], v[34:35]
	v_mul_f64 v[34:35], v[74:75], v[34:35]
	v_fmac_f64_e32 v[92:93], v[70:71], v[28:29]
	v_fma_f64 v[16:17], v[68:69], v[28:29], -v[30:31]
	;; [unrolled: 7-line block ×3, first 2 shown]
	v_add_f64 v[6:7], v[6:7], v[92:93]
	v_add_f64 v[4:5], v[4:5], v[16:17]
	v_fmac_f64_e32 v[96:97], v[78:79], v[36:37]
	v_fma_f64 v[20:21], v[76:77], v[36:37], -v[38:39]
	v_add_f64 v[6:7], v[6:7], v[94:95]
	v_add_f64 v[4:5], v[4:5], v[18:19]
	;; [unrolled: 1-line block ×4, first 2 shown]
	s_waitcnt vmcnt(0)
	v_add_f64 v[4:5], v[40:41], -v[4:5]
	v_add_f64 v[6:7], v[42:43], -v[6:7]
	scratch_store_dwordx4 off, v[4:7], off offset:640
	s_and_saveexec_b64 s[0:1], vcc
	s_cbranch_execz .LBB48_231
; %bb.230:
	scratch_load_dwordx4 v[6:9], off, s31
	v_mov_b32_e32 v3, v2
	v_mov_b32_e32 v4, v2
	;; [unrolled: 1-line block ×3, first 2 shown]
	v_accvgpr_read_b32 v0, a99
	scratch_store_dwordx4 off, v[2:5], off offset:624
	s_waitcnt vmcnt(1)
	ds_write_b128 v0, v[6:9]
.LBB48_231:
	s_or_b64 exec, exec, s[0:1]
	s_waitcnt lgkmcnt(0)
	; wave barrier
	scratch_load_dwordx4 v[4:7], off, off offset:640
	scratch_load_dwordx4 v[8:11], off, off offset:656
	scratch_load_dwordx4 v[12:15], off, off offset:672
	scratch_load_dwordx4 v[16:19], off, off offset:688
	scratch_load_dwordx4 v[20:23], off, off offset:704
	scratch_load_dwordx4 v[24:27], off, off offset:720
	scratch_load_dwordx4 v[28:31], off, off offset:736
	scratch_load_dwordx4 v[32:35], off, off offset:752
	scratch_load_dwordx4 v[36:39], off, off offset:768
	scratch_load_dwordx4 v[40:43], off, off offset:784
	scratch_load_dwordx4 v[44:47], off, off offset:624
	ds_read_b128 v[48:51], v2 offset:1408
	ds_read_b128 v[52:55], v2 offset:1424
	;; [unrolled: 1-line block ×10, first 2 shown]
	v_cmp_lt_u32_e32 vcc, 37, v240
	s_waitcnt vmcnt(10) lgkmcnt(9)
	v_mul_f64 v[2:3], v[48:49], v[6:7]
	v_mul_f64 v[6:7], v[50:51], v[6:7]
	s_waitcnt vmcnt(9) lgkmcnt(8)
	v_mul_f64 v[88:89], v[52:53], v[10:11]
	v_mul_f64 v[10:11], v[54:55], v[10:11]
	v_fmac_f64_e32 v[2:3], v[50:51], v[4:5]
	v_fma_f64 v[4:5], v[48:49], v[4:5], -v[6:7]
	s_waitcnt vmcnt(8) lgkmcnt(7)
	v_mul_f64 v[90:91], v[56:57], v[14:15]
	v_mul_f64 v[14:15], v[58:59], v[14:15]
	v_fmac_f64_e32 v[88:89], v[54:55], v[8:9]
	v_fma_f64 v[6:7], v[52:53], v[8:9], -v[10:11]
	v_add_f64 v[2:3], v[2:3], 0
	v_add_f64 v[4:5], v[4:5], 0
	s_waitcnt vmcnt(7) lgkmcnt(6)
	v_mul_f64 v[92:93], v[60:61], v[18:19]
	v_mul_f64 v[18:19], v[62:63], v[18:19]
	v_fmac_f64_e32 v[90:91], v[58:59], v[12:13]
	v_fma_f64 v[8:9], v[56:57], v[12:13], -v[14:15]
	v_add_f64 v[2:3], v[2:3], v[88:89]
	v_add_f64 v[4:5], v[4:5], v[6:7]
	;; [unrolled: 7-line block ×8, first 2 shown]
	v_fmac_f64_e32 v[104:105], v[86:87], v[40:41]
	v_fma_f64 v[22:23], v[84:85], v[40:41], -v[42:43]
	v_add_f64 v[2:3], v[2:3], v[102:103]
	v_add_f64 v[4:5], v[4:5], v[20:21]
	v_add_f64 v[6:7], v[2:3], v[104:105]
	v_add_f64 v[2:3], v[4:5], v[22:23]
	s_waitcnt vmcnt(0)
	v_add_f64 v[2:3], v[44:45], -v[2:3]
	v_add_f64 v[4:5], v[46:47], -v[6:7]
	scratch_store_dwordx4 off, v[2:5], off offset:624
	s_and_saveexec_b64 s[0:1], vcc
	s_cbranch_execz .LBB48_233
; %bb.232:
	scratch_load_dwordx4 v[2:5], off, s30
	v_mov_b32_e32 v6, 0
	v_mov_b32_e32 v7, v6
	;; [unrolled: 1-line block ×4, first 2 shown]
	v_accvgpr_read_b32 v0, a99
	scratch_store_dwordx4 off, v[6:9], off offset:608
	s_waitcnt vmcnt(1)
	ds_write_b128 v0, v[2:5]
.LBB48_233:
	s_or_b64 exec, exec, s[0:1]
	s_waitcnt lgkmcnt(0)
	; wave barrier
	scratch_load_dwordx4 v[4:7], off, off offset:624
	scratch_load_dwordx4 v[8:11], off, off offset:640
	;; [unrolled: 1-line block ×12, first 2 shown]
	v_mov_b32_e32 v2, 0
	ds_read_b128 v[52:55], v2 offset:1392
	ds_read_b128 v[56:59], v2 offset:1408
	;; [unrolled: 1-line block ×11, first 2 shown]
	v_cmp_lt_u32_e32 vcc, 36, v240
	s_waitcnt vmcnt(11) lgkmcnt(10)
	v_mul_f64 v[96:97], v[52:53], v[6:7]
	v_mul_f64 v[6:7], v[54:55], v[6:7]
	s_waitcnt vmcnt(10) lgkmcnt(9)
	v_mul_f64 v[98:99], v[56:57], v[10:11]
	s_waitcnt vmcnt(9) lgkmcnt(8)
	v_mul_f64 v[100:101], v[60:61], v[14:15]
	v_mul_f64 v[10:11], v[58:59], v[10:11]
	s_waitcnt vmcnt(6) lgkmcnt(5)
	v_mul_f64 v[106:107], v[72:73], v[26:27]
	v_mul_f64 v[14:15], v[62:63], v[14:15]
	;; [unrolled: 1-line block ×3, first 2 shown]
	v_fmac_f64_e32 v[96:97], v[54:55], v[4:5]
	v_fma_f64 v[4:5], v[52:53], v[4:5], -v[6:7]
	v_fmac_f64_e32 v[98:99], v[58:59], v[8:9]
	v_fma_f64 v[6:7], v[56:57], v[8:9], -v[10:11]
	v_fma_f64 v[8:9], v[60:61], v[12:13], -v[14:15]
	;; [unrolled: 1-line block ×3, first 2 shown]
	v_add_f64 v[26:27], v[96:97], 0
	v_add_f64 v[4:5], v[4:5], 0
	v_mul_f64 v[102:103], v[64:65], v[18:19]
	v_mul_f64 v[18:19], v[66:67], v[18:19]
	v_fmac_f64_e32 v[100:101], v[62:63], v[12:13]
	v_add_f64 v[26:27], v[26:27], v[98:99]
	v_add_f64 v[4:5], v[4:5], v[6:7]
	v_mul_f64 v[104:105], v[68:69], v[22:23]
	v_mul_f64 v[22:23], v[70:71], v[22:23]
	v_fmac_f64_e32 v[102:103], v[66:67], v[16:17]
	v_fma_f64 v[10:11], v[64:65], v[16:17], -v[18:19]
	v_add_f64 v[6:7], v[26:27], v[100:101]
	v_add_f64 v[4:5], v[4:5], v[8:9]
	v_fmac_f64_e32 v[104:105], v[70:71], v[20:21]
	v_fma_f64 v[12:13], v[68:69], v[20:21], -v[22:23]
	v_add_f64 v[6:7], v[6:7], v[102:103]
	v_add_f64 v[4:5], v[4:5], v[10:11]
	s_waitcnt vmcnt(5) lgkmcnt(4)
	v_mul_f64 v[108:109], v[76:77], v[30:31]
	v_mul_f64 v[30:31], v[78:79], v[30:31]
	v_fmac_f64_e32 v[106:107], v[74:75], v[24:25]
	v_add_f64 v[6:7], v[6:7], v[104:105]
	v_add_f64 v[4:5], v[4:5], v[12:13]
	s_waitcnt vmcnt(4) lgkmcnt(3)
	v_mul_f64 v[110:111], v[80:81], v[34:35]
	v_mul_f64 v[34:35], v[82:83], v[34:35]
	v_fmac_f64_e32 v[108:109], v[78:79], v[28:29]
	v_fma_f64 v[16:17], v[76:77], v[28:29], -v[30:31]
	v_add_f64 v[6:7], v[6:7], v[106:107]
	v_add_f64 v[4:5], v[4:5], v[14:15]
	s_waitcnt vmcnt(3) lgkmcnt(2)
	v_mul_f64 v[112:113], v[84:85], v[38:39]
	v_mul_f64 v[38:39], v[86:87], v[38:39]
	v_fmac_f64_e32 v[110:111], v[82:83], v[32:33]
	v_fma_f64 v[18:19], v[80:81], v[32:33], -v[34:35]
	;; [unrolled: 7-line block ×4, first 2 shown]
	v_add_f64 v[6:7], v[6:7], v[112:113]
	v_add_f64 v[4:5], v[4:5], v[20:21]
	v_fmac_f64_e32 v[116:117], v[94:95], v[44:45]
	v_fma_f64 v[24:25], v[92:93], v[44:45], -v[46:47]
	v_add_f64 v[6:7], v[6:7], v[114:115]
	v_add_f64 v[4:5], v[4:5], v[22:23]
	;; [unrolled: 1-line block ×4, first 2 shown]
	s_waitcnt vmcnt(0)
	v_add_f64 v[4:5], v[48:49], -v[4:5]
	v_add_f64 v[6:7], v[50:51], -v[6:7]
	scratch_store_dwordx4 off, v[4:7], off offset:608
	s_and_saveexec_b64 s[0:1], vcc
	s_cbranch_execz .LBB48_235
; %bb.234:
	scratch_load_dwordx4 v[6:9], off, s62
	v_mov_b32_e32 v3, v2
	v_mov_b32_e32 v4, v2
	;; [unrolled: 1-line block ×3, first 2 shown]
	v_accvgpr_read_b32 v0, a99
	scratch_store_dwordx4 off, v[2:5], off offset:592
	s_waitcnt vmcnt(1)
	ds_write_b128 v0, v[6:9]
.LBB48_235:
	s_or_b64 exec, exec, s[0:1]
	s_waitcnt lgkmcnt(0)
	; wave barrier
	scratch_load_dwordx4 v[4:7], off, off offset:608
	scratch_load_dwordx4 v[8:11], off, off offset:624
	;; [unrolled: 1-line block ×12, first 2 shown]
	ds_read_b128 v[52:55], v2 offset:1376
	ds_read_b128 v[56:59], v2 offset:1392
	ds_read_b128 v[60:63], v2 offset:1408
	ds_read_b128 v[64:67], v2 offset:1424
	scratch_load_dwordx4 v[68:71], off, off offset:592
	ds_read_b128 v[72:75], v2 offset:1440
	ds_read_b128 v[76:79], v2 offset:1456
	;; [unrolled: 1-line block ×8, first 2 shown]
	v_cmp_lt_u32_e32 vcc, 35, v240
	s_waitcnt vmcnt(12) lgkmcnt(11)
	v_mul_f64 v[2:3], v[52:53], v[6:7]
	s_waitcnt vmcnt(11) lgkmcnt(10)
	v_mul_f64 v[104:105], v[56:57], v[10:11]
	v_fmac_f64_e32 v[2:3], v[54:55], v[4:5]
	s_waitcnt vmcnt(10) lgkmcnt(9)
	v_mul_f64 v[106:107], v[60:61], v[14:15]
	v_mul_f64 v[6:7], v[54:55], v[6:7]
	v_fmac_f64_e32 v[104:105], v[58:59], v[8:9]
	v_add_f64 v[2:3], v[2:3], 0
	s_waitcnt vmcnt(9) lgkmcnt(8)
	v_mul_f64 v[108:109], v[64:65], v[18:19]
	v_mul_f64 v[10:11], v[58:59], v[10:11]
	v_fmac_f64_e32 v[106:107], v[62:63], v[12:13]
	v_fma_f64 v[4:5], v[52:53], v[4:5], -v[6:7]
	v_add_f64 v[2:3], v[2:3], v[104:105]
	s_waitcnt vmcnt(8) lgkmcnt(7)
	v_mul_f64 v[110:111], v[72:73], v[22:23]
	v_mul_f64 v[14:15], v[62:63], v[14:15]
	v_fmac_f64_e32 v[108:109], v[66:67], v[16:17]
	v_fma_f64 v[6:7], v[56:57], v[8:9], -v[10:11]
	v_add_f64 v[4:5], v[4:5], 0
	v_add_f64 v[2:3], v[2:3], v[106:107]
	s_waitcnt vmcnt(7) lgkmcnt(6)
	v_mul_f64 v[112:113], v[76:77], v[26:27]
	v_mul_f64 v[18:19], v[66:67], v[18:19]
	v_fmac_f64_e32 v[110:111], v[74:75], v[20:21]
	v_fma_f64 v[8:9], v[60:61], v[12:13], -v[14:15]
	v_add_f64 v[4:5], v[4:5], v[6:7]
	;; [unrolled: 7-line block ×8, first 2 shown]
	v_add_f64 v[2:3], v[2:3], v[120:121]
	v_mul_f64 v[46:47], v[98:99], v[46:47]
	v_fmac_f64_e32 v[124:125], v[102:103], v[48:49]
	v_fma_f64 v[22:23], v[92:93], v[40:41], -v[42:43]
	v_add_f64 v[4:5], v[4:5], v[20:21]
	v_add_f64 v[2:3], v[2:3], v[122:123]
	;; [unrolled: 1-line block ×4, first 2 shown]
	v_fma_f64 v[2:3], v[96:97], v[44:45], -v[46:47]
	v_add_f64 v[2:3], v[4:5], v[2:3]
	v_mul_f64 v[4:5], v[102:103], v[50:51]
	v_fma_f64 v[4:5], v[100:101], v[48:49], -v[4:5]
	v_add_f64 v[2:3], v[2:3], v[4:5]
	s_waitcnt vmcnt(0)
	v_add_f64 v[2:3], v[68:69], -v[2:3]
	v_add_f64 v[4:5], v[70:71], -v[6:7]
	scratch_store_dwordx4 off, v[2:5], off offset:592
	s_and_saveexec_b64 s[0:1], vcc
	s_cbranch_execz .LBB48_237
; %bb.236:
	scratch_load_dwordx4 v[2:5], off, s61
	v_mov_b32_e32 v6, 0
	v_mov_b32_e32 v7, v6
	;; [unrolled: 1-line block ×4, first 2 shown]
	v_accvgpr_read_b32 v0, a99
	scratch_store_dwordx4 off, v[6:9], off offset:576
	s_waitcnt vmcnt(1)
	ds_write_b128 v0, v[2:5]
.LBB48_237:
	s_or_b64 exec, exec, s[0:1]
	s_waitcnt lgkmcnt(0)
	; wave barrier
	scratch_load_dwordx4 v[4:7], off, off offset:592
	scratch_load_dwordx4 v[8:11], off, off offset:608
	;; [unrolled: 1-line block ×14, first 2 shown]
	v_mov_b32_e32 v2, 0
	ds_read_b128 v[60:63], v2 offset:1360
	ds_read_b128 v[64:67], v2 offset:1376
	;; [unrolled: 1-line block ×13, first 2 shown]
	v_cmp_lt_u32_e32 vcc, 34, v240
	s_waitcnt vmcnt(13) lgkmcnt(12)
	v_mul_f64 v[112:113], v[60:61], v[6:7]
	v_mul_f64 v[6:7], v[62:63], v[6:7]
	s_waitcnt vmcnt(12) lgkmcnt(11)
	v_mul_f64 v[114:115], v[64:65], v[10:11]
	v_mul_f64 v[10:11], v[66:67], v[10:11]
	v_fmac_f64_e32 v[112:113], v[62:63], v[4:5]
	v_fma_f64 v[4:5], v[60:61], v[4:5], -v[6:7]
	s_waitcnt vmcnt(11) lgkmcnt(10)
	v_mul_f64 v[116:117], v[68:69], v[14:15]
	v_mul_f64 v[14:15], v[70:71], v[14:15]
	v_fma_f64 v[6:7], v[64:65], v[8:9], -v[10:11]
	v_add_f64 v[4:5], v[4:5], 0
	s_waitcnt vmcnt(10) lgkmcnt(9)
	v_mul_f64 v[118:119], v[72:73], v[18:19]
	v_mul_f64 v[18:19], v[74:75], v[18:19]
	v_fmac_f64_e32 v[114:115], v[66:67], v[8:9]
	v_fma_f64 v[8:9], v[68:69], v[12:13], -v[14:15]
	v_add_f64 v[4:5], v[4:5], v[6:7]
	s_waitcnt vmcnt(9) lgkmcnt(8)
	v_mul_f64 v[120:121], v[76:77], v[22:23]
	v_mul_f64 v[22:23], v[78:79], v[22:23]
	v_fma_f64 v[10:11], v[72:73], v[16:17], -v[18:19]
	v_add_f64 v[4:5], v[4:5], v[8:9]
	s_waitcnt vmcnt(8) lgkmcnt(7)
	v_mul_f64 v[122:123], v[80:81], v[26:27]
	v_mul_f64 v[26:27], v[82:83], v[26:27]
	v_fmac_f64_e32 v[116:117], v[70:71], v[12:13]
	v_fma_f64 v[12:13], v[76:77], v[20:21], -v[22:23]
	v_add_f64 v[22:23], v[112:113], 0
	v_add_f64 v[4:5], v[4:5], v[10:11]
	s_waitcnt vmcnt(7) lgkmcnt(6)
	v_mul_f64 v[124:125], v[84:85], v[30:31]
	v_mul_f64 v[30:31], v[86:87], v[30:31]
	v_fma_f64 v[14:15], v[80:81], v[24:25], -v[26:27]
	v_add_f64 v[22:23], v[22:23], v[114:115]
	v_add_f64 v[4:5], v[4:5], v[12:13]
	s_waitcnt vmcnt(6) lgkmcnt(5)
	v_mul_f64 v[126:127], v[88:89], v[34:35]
	v_mul_f64 v[34:35], v[90:91], v[34:35]
	v_fmac_f64_e32 v[118:119], v[74:75], v[16:17]
	v_fma_f64 v[16:17], v[84:85], v[28:29], -v[30:31]
	v_add_f64 v[6:7], v[22:23], v[116:117]
	v_add_f64 v[4:5], v[4:5], v[14:15]
	s_waitcnt vmcnt(5) lgkmcnt(4)
	v_mul_f64 v[128:129], v[92:93], v[38:39]
	v_mul_f64 v[38:39], v[94:95], v[38:39]
	v_fmac_f64_e32 v[120:121], v[78:79], v[20:21]
	v_fma_f64 v[18:19], v[88:89], v[32:33], -v[34:35]
	v_add_f64 v[6:7], v[6:7], v[118:119]
	v_add_f64 v[4:5], v[4:5], v[16:17]
	v_fmac_f64_e32 v[122:123], v[82:83], v[24:25]
	v_fma_f64 v[20:21], v[92:93], v[36:37], -v[38:39]
	v_add_f64 v[6:7], v[6:7], v[120:121]
	v_add_f64 v[4:5], v[4:5], v[18:19]
	s_waitcnt vmcnt(4) lgkmcnt(3)
	v_mul_f64 v[8:9], v[98:99], v[42:43]
	v_fmac_f64_e32 v[124:125], v[86:87], v[28:29]
	v_add_f64 v[6:7], v[6:7], v[122:123]
	v_add_f64 v[4:5], v[4:5], v[20:21]
	v_fma_f64 v[8:9], v[96:97], v[40:41], -v[8:9]
	v_fmac_f64_e32 v[126:127], v[90:91], v[32:33]
	v_add_f64 v[6:7], v[6:7], v[124:125]
	v_add_f64 v[4:5], v[4:5], v[8:9]
	s_waitcnt vmcnt(3) lgkmcnt(2)
	v_mul_f64 v[8:9], v[102:103], v[46:47]
	v_mul_f64 v[130:131], v[96:97], v[42:43]
	v_fmac_f64_e32 v[128:129], v[94:95], v[36:37]
	v_add_f64 v[6:7], v[6:7], v[126:127]
	v_fma_f64 v[8:9], v[100:101], v[44:45], -v[8:9]
	v_mul_f64 v[132:133], v[100:101], v[46:47]
	v_fmac_f64_e32 v[130:131], v[98:99], v[40:41]
	v_add_f64 v[6:7], v[6:7], v[128:129]
	v_add_f64 v[4:5], v[4:5], v[8:9]
	s_waitcnt vmcnt(2) lgkmcnt(1)
	v_mul_f64 v[8:9], v[106:107], v[50:51]
	v_mul_f64 v[134:135], v[104:105], v[50:51]
	v_fmac_f64_e32 v[132:133], v[102:103], v[44:45]
	v_add_f64 v[6:7], v[6:7], v[130:131]
	v_fma_f64 v[8:9], v[104:105], v[48:49], -v[8:9]
	s_waitcnt vmcnt(1) lgkmcnt(0)
	v_mul_f64 v[136:137], v[108:109], v[54:55]
	v_fmac_f64_e32 v[134:135], v[106:107], v[48:49]
	v_add_f64 v[6:7], v[6:7], v[132:133]
	v_add_f64 v[4:5], v[4:5], v[8:9]
	v_mul_f64 v[8:9], v[110:111], v[54:55]
	v_fmac_f64_e32 v[136:137], v[110:111], v[52:53]
	v_add_f64 v[6:7], v[6:7], v[134:135]
	v_fma_f64 v[8:9], v[108:109], v[52:53], -v[8:9]
	v_add_f64 v[6:7], v[6:7], v[136:137]
	v_add_f64 v[4:5], v[4:5], v[8:9]
	s_waitcnt vmcnt(0)
	v_add_f64 v[4:5], v[56:57], -v[4:5]
	v_add_f64 v[6:7], v[58:59], -v[6:7]
	scratch_store_dwordx4 off, v[4:7], off offset:576
	s_and_saveexec_b64 s[0:1], vcc
	s_cbranch_execz .LBB48_239
; %bb.238:
	scratch_load_dwordx4 v[6:9], off, s60
	v_mov_b32_e32 v3, v2
	v_mov_b32_e32 v4, v2
	;; [unrolled: 1-line block ×3, first 2 shown]
	v_accvgpr_read_b32 v0, a99
	scratch_store_dwordx4 off, v[2:5], off offset:560
	s_waitcnt vmcnt(1)
	ds_write_b128 v0, v[6:9]
.LBB48_239:
	s_or_b64 exec, exec, s[0:1]
	s_waitcnt lgkmcnt(0)
	; wave barrier
	scratch_load_dwordx4 v[4:7], off, off offset:576
	scratch_load_dwordx4 v[8:11], off, off offset:592
	;; [unrolled: 1-line block ×14, first 2 shown]
	ds_read_b128 v[60:63], v2 offset:1344
	ds_read_b128 v[64:67], v2 offset:1360
	;; [unrolled: 1-line block ×14, first 2 shown]
	scratch_load_dwordx4 v[116:119], off, off offset:560
	v_cmp_lt_u32_e32 vcc, 33, v240
	s_waitcnt vmcnt(14) lgkmcnt(13)
	v_mul_f64 v[2:3], v[60:61], v[6:7]
	s_waitcnt vmcnt(13) lgkmcnt(12)
	v_mul_f64 v[120:121], v[64:65], v[10:11]
	v_fmac_f64_e32 v[2:3], v[62:63], v[4:5]
	s_waitcnt vmcnt(12) lgkmcnt(11)
	v_mul_f64 v[122:123], v[68:69], v[14:15]
	v_fmac_f64_e32 v[120:121], v[66:67], v[8:9]
	v_add_f64 v[2:3], v[2:3], 0
	s_waitcnt vmcnt(11) lgkmcnt(10)
	v_mul_f64 v[124:125], v[72:73], v[18:19]
	v_fmac_f64_e32 v[122:123], v[70:71], v[12:13]
	v_add_f64 v[2:3], v[2:3], v[120:121]
	;; [unrolled: 4-line block ×4, first 2 shown]
	s_waitcnt vmcnt(8) lgkmcnt(7)
	v_mul_f64 v[130:131], v[84:85], v[30:31]
	v_mul_f64 v[6:7], v[62:63], v[6:7]
	v_fmac_f64_e32 v[128:129], v[82:83], v[24:25]
	v_add_f64 v[2:3], v[2:3], v[126:127]
	s_waitcnt vmcnt(7) lgkmcnt(6)
	v_mul_f64 v[132:133], v[88:89], v[34:35]
	v_mul_f64 v[10:11], v[66:67], v[10:11]
	v_fmac_f64_e32 v[130:131], v[86:87], v[28:29]
	v_fma_f64 v[4:5], v[60:61], v[4:5], -v[6:7]
	v_add_f64 v[2:3], v[2:3], v[128:129]
	s_waitcnt vmcnt(6) lgkmcnt(5)
	v_mul_f64 v[134:135], v[92:93], v[38:39]
	v_mul_f64 v[14:15], v[70:71], v[14:15]
	v_fmac_f64_e32 v[132:133], v[90:91], v[32:33]
	v_fma_f64 v[6:7], v[64:65], v[8:9], -v[10:11]
	v_add_f64 v[4:5], v[4:5], 0
	v_add_f64 v[2:3], v[2:3], v[130:131]
	s_waitcnt vmcnt(5) lgkmcnt(4)
	v_mul_f64 v[136:137], v[96:97], v[42:43]
	v_mul_f64 v[18:19], v[74:75], v[18:19]
	v_fmac_f64_e32 v[134:135], v[94:95], v[36:37]
	v_fma_f64 v[8:9], v[68:69], v[12:13], -v[14:15]
	v_add_f64 v[4:5], v[4:5], v[6:7]
	v_add_f64 v[2:3], v[2:3], v[132:133]
	s_waitcnt vmcnt(4) lgkmcnt(3)
	v_mul_f64 v[138:139], v[100:101], v[46:47]
	v_mul_f64 v[22:23], v[78:79], v[22:23]
	v_fmac_f64_e32 v[136:137], v[98:99], v[40:41]
	v_fma_f64 v[10:11], v[72:73], v[16:17], -v[18:19]
	v_add_f64 v[4:5], v[4:5], v[8:9]
	v_add_f64 v[2:3], v[2:3], v[134:135]
	s_waitcnt vmcnt(3) lgkmcnt(2)
	v_mul_f64 v[140:141], v[104:105], v[50:51]
	v_mul_f64 v[26:27], v[82:83], v[26:27]
	v_fmac_f64_e32 v[138:139], v[102:103], v[44:45]
	v_fma_f64 v[12:13], v[76:77], v[20:21], -v[22:23]
	v_add_f64 v[4:5], v[4:5], v[10:11]
	v_add_f64 v[2:3], v[2:3], v[136:137]
	s_waitcnt vmcnt(2) lgkmcnt(1)
	v_mul_f64 v[142:143], v[108:109], v[54:55]
	v_mul_f64 v[30:31], v[86:87], v[30:31]
	v_fmac_f64_e32 v[140:141], v[106:107], v[48:49]
	v_fma_f64 v[14:15], v[80:81], v[24:25], -v[26:27]
	v_add_f64 v[4:5], v[4:5], v[12:13]
	v_add_f64 v[2:3], v[2:3], v[138:139]
	s_waitcnt vmcnt(1) lgkmcnt(0)
	v_mul_f64 v[144:145], v[112:113], v[58:59]
	v_mul_f64 v[34:35], v[90:91], v[34:35]
	v_fmac_f64_e32 v[142:143], v[110:111], v[52:53]
	v_fma_f64 v[16:17], v[84:85], v[28:29], -v[30:31]
	v_add_f64 v[4:5], v[4:5], v[14:15]
	v_add_f64 v[2:3], v[2:3], v[140:141]
	v_fmac_f64_e32 v[144:145], v[114:115], v[56:57]
	v_fma_f64 v[18:19], v[88:89], v[32:33], -v[34:35]
	v_add_f64 v[4:5], v[4:5], v[16:17]
	v_add_f64 v[2:3], v[2:3], v[142:143]
	;; [unrolled: 1-line block ×4, first 2 shown]
	v_mul_f64 v[4:5], v[94:95], v[38:39]
	v_fma_f64 v[4:5], v[92:93], v[36:37], -v[4:5]
	v_add_f64 v[2:3], v[2:3], v[4:5]
	v_mul_f64 v[4:5], v[98:99], v[42:43]
	v_fma_f64 v[4:5], v[96:97], v[40:41], -v[4:5]
	v_add_f64 v[2:3], v[2:3], v[4:5]
	;; [unrolled: 3-line block ×6, first 2 shown]
	s_waitcnt vmcnt(0)
	v_add_f64 v[2:3], v[116:117], -v[2:3]
	v_add_f64 v[4:5], v[118:119], -v[6:7]
	scratch_store_dwordx4 off, v[2:5], off offset:560
	s_and_saveexec_b64 s[0:1], vcc
	s_cbranch_execz .LBB48_241
; %bb.240:
	scratch_load_dwordx4 v[2:5], off, s59
	v_mov_b32_e32 v6, 0
	v_mov_b32_e32 v7, v6
	;; [unrolled: 1-line block ×4, first 2 shown]
	v_accvgpr_read_b32 v0, a99
	scratch_store_dwordx4 off, v[6:9], off offset:544
	s_waitcnt vmcnt(1)
	ds_write_b128 v0, v[2:5]
.LBB48_241:
	s_or_b64 exec, exec, s[0:1]
	v_mov_b32_e32 v2, 0
	s_waitcnt lgkmcnt(0)
	; wave barrier
	ds_read_b128 v[16:19], v2 offset:1328
	ds_read_b128 v[12:15], v2 offset:1344
	;; [unrolled: 1-line block ×4, first 2 shown]
	scratch_load_dwordx4 v[20:23], off, off offset:560
	scratch_load_dwordx4 v[40:43], off, off offset:624
	;; [unrolled: 1-line block ×9, first 2 shown]
	v_cmp_lt_u32_e32 vcc, 32, v240
	scratch_load_dwordx4 v[50:53], off, off offset:640
	scratch_load_dwordx4 v[58:61], off, off offset:656
	scratch_load_dwordx4 v[66:69], off, off offset:672
	s_waitcnt vmcnt(11) lgkmcnt(3)
	v_mul_f64 v[24:25], v[16:17], v[22:23]
	v_fmac_f64_e32 v[24:25], v[18:19], v[20:21]
	v_add_f64 v[28:29], v[24:25], 0
	scratch_load_dwordx4 v[24:27], off, off offset:576
	v_mul_f64 v[18:19], v[18:19], v[22:23]
	v_fma_f64 v[16:17], v[16:17], v[20:21], -v[18:19]
	v_add_f64 v[16:17], v[16:17], 0
	s_waitcnt vmcnt(0) lgkmcnt(2)
	v_mul_f64 v[30:31], v[12:13], v[26:27]
	v_fmac_f64_e32 v[30:31], v[14:15], v[24:25]
	v_add_f64 v[32:33], v[28:29], v[30:31]
	scratch_load_dwordx4 v[28:31], off, off offset:592
	v_mul_f64 v[14:15], v[14:15], v[26:27]
	v_fma_f64 v[12:13], v[12:13], v[24:25], -v[14:15]
	v_add_f64 v[12:13], v[16:17], v[12:13]
	;; [unrolled: 8-line block ×3, first 2 shown]
	s_waitcnt vmcnt(0) lgkmcnt(0)
	v_mul_f64 v[38:39], v[4:5], v[34:35]
	v_fmac_f64_e32 v[38:39], v[6:7], v[32:33]
	v_add_f64 v[44:45], v[36:37], v[38:39]
	ds_read_b128 v[36:39], v2 offset:1392
	v_mul_f64 v[6:7], v[6:7], v[34:35]
	v_fma_f64 v[4:5], v[4:5], v[32:33], -v[6:7]
	v_add_f64 v[4:5], v[8:9], v[4:5]
	s_waitcnt lgkmcnt(0)
	v_mul_f64 v[46:47], v[36:37], v[42:43]
	v_fmac_f64_e32 v[46:47], v[38:39], v[40:41]
	v_add_f64 v[48:49], v[44:45], v[46:47]
	ds_read_b128 v[44:47], v2 offset:1408
	v_mul_f64 v[6:7], v[38:39], v[42:43]
	v_fma_f64 v[6:7], v[36:37], v[40:41], -v[6:7]
	v_add_f64 v[4:5], v[4:5], v[6:7]
	s_waitcnt lgkmcnt(0)
	;; [unrolled: 8-line block ×11, first 2 shown]
	v_mul_f64 v[6:7], v[120:121], v[124:125]
	v_fma_f64 v[6:7], v[118:119], v[122:123], -v[6:7]
	v_add_f64 v[8:9], v[4:5], v[6:7]
	scratch_load_dwordx4 v[4:7], off, off offset:544
	v_mul_f64 v[126:127], v[118:119], v[124:125]
	v_fmac_f64_e32 v[126:127], v[120:121], v[122:123]
	v_add_f64 v[48:49], v[48:49], v[126:127]
	s_waitcnt vmcnt(0)
	v_add_f64 v[4:5], v[4:5], -v[8:9]
	v_add_f64 v[6:7], v[6:7], -v[48:49]
	scratch_store_dwordx4 off, v[4:7], off offset:544
	s_and_saveexec_b64 s[0:1], vcc
	s_cbranch_execz .LBB48_243
; %bb.242:
	scratch_load_dwordx4 v[6:9], off, s58
	v_mov_b32_e32 v3, v2
	v_mov_b32_e32 v4, v2
	v_mov_b32_e32 v5, v2
	v_accvgpr_read_b32 v0, a99
	scratch_store_dwordx4 off, v[2:5], off offset:528
	s_waitcnt vmcnt(1)
	ds_write_b128 v0, v[6:9]
.LBB48_243:
	s_or_b64 exec, exec, s[0:1]
	s_waitcnt lgkmcnt(0)
	; wave barrier
	ds_read_b128 v[16:19], v2 offset:1312
	ds_read_b128 v[12:15], v2 offset:1328
	;; [unrolled: 1-line block ×4, first 2 shown]
	scratch_load_dwordx4 v[20:23], off, off offset:544
	scratch_load_dwordx4 v[40:43], off, off offset:608
	;; [unrolled: 1-line block ×10, first 2 shown]
	v_cmp_lt_u32_e32 vcc, 31, v240
	scratch_load_dwordx4 v[48:51], off, off offset:624
	scratch_load_dwordx4 v[56:59], off, off offset:640
	;; [unrolled: 1-line block ×3, first 2 shown]
	s_waitcnt vmcnt(12) lgkmcnt(3)
	v_mul_f64 v[24:25], v[16:17], v[22:23]
	v_fmac_f64_e32 v[24:25], v[18:19], v[20:21]
	v_add_f64 v[28:29], v[24:25], 0
	scratch_load_dwordx4 v[24:27], off, off offset:560
	s_waitcnt vmcnt(0) lgkmcnt(2)
	v_mul_f64 v[30:31], v[12:13], v[26:27]
	v_fmac_f64_e32 v[30:31], v[14:15], v[24:25]
	v_add_f64 v[32:33], v[28:29], v[30:31]
	scratch_load_dwordx4 v[28:31], off, off offset:576
	v_mul_f64 v[14:15], v[14:15], v[26:27]
	v_fma_f64 v[12:13], v[12:13], v[24:25], -v[14:15]
	s_waitcnt vmcnt(0) lgkmcnt(1)
	v_mul_f64 v[34:35], v[8:9], v[30:31]
	v_fmac_f64_e32 v[34:35], v[10:11], v[28:29]
	v_add_f64 v[36:37], v[32:33], v[34:35]
	scratch_load_dwordx4 v[32:35], off, off offset:592
	v_mul_f64 v[10:11], v[10:11], v[30:31]
	v_fma_f64 v[8:9], v[8:9], v[28:29], -v[10:11]
	s_waitcnt vmcnt(0) lgkmcnt(0)
	v_mul_f64 v[38:39], v[4:5], v[34:35]
	v_fmac_f64_e32 v[38:39], v[6:7], v[32:33]
	v_add_f64 v[44:45], v[36:37], v[38:39]
	ds_read_b128 v[36:39], v2 offset:1376
	v_mul_f64 v[6:7], v[6:7], v[34:35]
	v_fma_f64 v[4:5], v[4:5], v[32:33], -v[6:7]
	s_waitcnt lgkmcnt(0)
	v_mul_f64 v[46:47], v[36:37], v[42:43]
	v_fmac_f64_e32 v[46:47], v[38:39], v[40:41]
	v_add_f64 v[52:53], v[44:45], v[46:47]
	ds_read_b128 v[44:47], v2 offset:1392
	s_waitcnt lgkmcnt(0)
	v_mul_f64 v[54:55], v[44:45], v[50:51]
	v_fmac_f64_e32 v[54:55], v[46:47], v[48:49]
	v_add_f64 v[60:61], v[52:53], v[54:55]
	ds_read_b128 v[52:55], v2 offset:1408
	;; [unrolled: 5-line block ×11, first 2 shown]
	s_waitcnt lgkmcnt(0)
	v_mul_f64 v[2:3], v[126:127], v[132:133]
	v_fmac_f64_e32 v[2:3], v[128:129], v[130:131]
	v_add_f64 v[64:65], v[64:65], v[2:3]
	v_mul_f64 v[2:3], v[18:19], v[22:23]
	v_fma_f64 v[2:3], v[16:17], v[20:21], -v[2:3]
	v_add_f64 v[2:3], v[2:3], 0
	v_add_f64 v[2:3], v[2:3], v[12:13]
	;; [unrolled: 1-line block ×4, first 2 shown]
	v_mul_f64 v[4:5], v[38:39], v[42:43]
	v_fma_f64 v[4:5], v[36:37], v[40:41], -v[4:5]
	v_add_f64 v[2:3], v[2:3], v[4:5]
	v_mul_f64 v[4:5], v[46:47], v[50:51]
	v_fma_f64 v[4:5], v[44:45], v[48:49], -v[4:5]
	v_add_f64 v[2:3], v[2:3], v[4:5]
	;; [unrolled: 3-line block ×12, first 2 shown]
	scratch_load_dwordx4 v[2:5], off, off offset:528
	s_waitcnt vmcnt(0)
	v_add_f64 v[2:3], v[2:3], -v[6:7]
	v_add_f64 v[4:5], v[4:5], -v[64:65]
	scratch_store_dwordx4 off, v[2:5], off offset:528
	s_and_saveexec_b64 s[0:1], vcc
	s_cbranch_execz .LBB48_245
; %bb.244:
	scratch_load_dwordx4 v[2:5], off, s57
	v_mov_b32_e32 v6, 0
	v_mov_b32_e32 v7, v6
	;; [unrolled: 1-line block ×4, first 2 shown]
	v_accvgpr_read_b32 v0, a99
	scratch_store_dwordx4 off, v[6:9], off offset:512
	s_waitcnt vmcnt(1)
	ds_write_b128 v0, v[2:5]
.LBB48_245:
	s_or_b64 exec, exec, s[0:1]
	v_mov_b32_e32 v2, 0
	s_waitcnt lgkmcnt(0)
	; wave barrier
	ds_read_b128 v[16:19], v2 offset:1296
	ds_read_b128 v[12:15], v2 offset:1312
	;; [unrolled: 1-line block ×4, first 2 shown]
	scratch_load_dwordx4 v[20:23], off, off offset:528
	scratch_load_dwordx4 v[40:43], off, off offset:592
	;; [unrolled: 1-line block ×11, first 2 shown]
	v_cmp_lt_u32_e32 vcc, 30, v240
	scratch_load_dwordx4 v[48:51], off, off offset:608
	scratch_load_dwordx4 v[56:59], off, off offset:624
	;; [unrolled: 1-line block ×3, first 2 shown]
	s_waitcnt vmcnt(13) lgkmcnt(3)
	v_mul_f64 v[24:25], v[16:17], v[22:23]
	v_fmac_f64_e32 v[24:25], v[18:19], v[20:21]
	v_add_f64 v[28:29], v[24:25], 0
	scratch_load_dwordx4 v[24:27], off, off offset:544
	v_mul_f64 v[18:19], v[18:19], v[22:23]
	v_fma_f64 v[16:17], v[16:17], v[20:21], -v[18:19]
	v_add_f64 v[16:17], v[16:17], 0
	s_waitcnt vmcnt(0) lgkmcnt(2)
	v_mul_f64 v[30:31], v[12:13], v[26:27]
	v_fmac_f64_e32 v[30:31], v[14:15], v[24:25]
	v_add_f64 v[32:33], v[28:29], v[30:31]
	scratch_load_dwordx4 v[28:31], off, off offset:560
	v_mul_f64 v[14:15], v[14:15], v[26:27]
	v_fma_f64 v[12:13], v[12:13], v[24:25], -v[14:15]
	v_add_f64 v[12:13], v[16:17], v[12:13]
	;; [unrolled: 8-line block ×3, first 2 shown]
	s_waitcnt vmcnt(0) lgkmcnt(0)
	v_mul_f64 v[38:39], v[4:5], v[34:35]
	v_fmac_f64_e32 v[38:39], v[6:7], v[32:33]
	v_add_f64 v[44:45], v[36:37], v[38:39]
	ds_read_b128 v[36:39], v2 offset:1360
	v_mul_f64 v[6:7], v[6:7], v[34:35]
	v_fma_f64 v[4:5], v[4:5], v[32:33], -v[6:7]
	v_add_f64 v[4:5], v[8:9], v[4:5]
	s_waitcnt lgkmcnt(0)
	v_mul_f64 v[46:47], v[36:37], v[42:43]
	v_fmac_f64_e32 v[46:47], v[38:39], v[40:41]
	v_add_f64 v[52:53], v[44:45], v[46:47]
	ds_read_b128 v[44:47], v2 offset:1376
	v_mul_f64 v[6:7], v[38:39], v[42:43]
	v_fma_f64 v[6:7], v[36:37], v[40:41], -v[6:7]
	v_add_f64 v[4:5], v[4:5], v[6:7]
	s_waitcnt lgkmcnt(0)
	;; [unrolled: 8-line block ×13, first 2 shown]
	v_mul_f64 v[6:7], v[136:137], v[140:141]
	v_fma_f64 v[6:7], v[134:135], v[138:139], -v[6:7]
	v_add_f64 v[8:9], v[4:5], v[6:7]
	scratch_load_dwordx4 v[4:7], off, off offset:512
	v_mul_f64 v[142:143], v[134:135], v[140:141]
	v_fmac_f64_e32 v[142:143], v[136:137], v[138:139]
	v_add_f64 v[72:73], v[72:73], v[142:143]
	s_waitcnt vmcnt(0)
	v_add_f64 v[4:5], v[4:5], -v[8:9]
	v_add_f64 v[6:7], v[6:7], -v[72:73]
	scratch_store_dwordx4 off, v[4:7], off offset:512
	s_and_saveexec_b64 s[0:1], vcc
	s_cbranch_execz .LBB48_247
; %bb.246:
	scratch_load_dwordx4 v[6:9], off, s56
	v_mov_b32_e32 v3, v2
	v_mov_b32_e32 v4, v2
	;; [unrolled: 1-line block ×3, first 2 shown]
	v_accvgpr_read_b32 v0, a99
	scratch_store_dwordx4 off, v[2:5], off offset:496
	s_waitcnt vmcnt(1)
	ds_write_b128 v0, v[6:9]
.LBB48_247:
	s_or_b64 exec, exec, s[0:1]
	s_waitcnt lgkmcnt(0)
	; wave barrier
	ds_read_b128 v[16:19], v2 offset:1280
	ds_read_b128 v[12:15], v2 offset:1296
	;; [unrolled: 1-line block ×4, first 2 shown]
	scratch_load_dwordx4 v[20:23], off, off offset:512
	scratch_load_dwordx4 v[40:43], off, off offset:576
	;; [unrolled: 1-line block ×12, first 2 shown]
	v_cmp_lt_u32_e32 vcc, 29, v240
	scratch_load_dwordx4 v[48:51], off, off offset:592
	scratch_load_dwordx4 v[56:59], off, off offset:608
	scratch_load_dwordx4 v[64:67], off, off offset:624
	s_waitcnt vmcnt(14) lgkmcnt(3)
	v_mul_f64 v[24:25], v[16:17], v[22:23]
	v_fmac_f64_e32 v[24:25], v[18:19], v[20:21]
	v_add_f64 v[28:29], v[24:25], 0
	scratch_load_dwordx4 v[24:27], off, off offset:528
	s_waitcnt vmcnt(0) lgkmcnt(2)
	v_mul_f64 v[30:31], v[12:13], v[26:27]
	v_fmac_f64_e32 v[30:31], v[14:15], v[24:25]
	v_add_f64 v[32:33], v[28:29], v[30:31]
	scratch_load_dwordx4 v[28:31], off, off offset:544
	v_mul_f64 v[14:15], v[14:15], v[26:27]
	v_fma_f64 v[12:13], v[12:13], v[24:25], -v[14:15]
	s_waitcnt vmcnt(0) lgkmcnt(1)
	v_mul_f64 v[34:35], v[8:9], v[30:31]
	v_fmac_f64_e32 v[34:35], v[10:11], v[28:29]
	v_add_f64 v[36:37], v[32:33], v[34:35]
	scratch_load_dwordx4 v[32:35], off, off offset:560
	v_mul_f64 v[10:11], v[10:11], v[30:31]
	v_fma_f64 v[8:9], v[8:9], v[28:29], -v[10:11]
	s_waitcnt vmcnt(0) lgkmcnt(0)
	v_mul_f64 v[38:39], v[4:5], v[34:35]
	v_fmac_f64_e32 v[38:39], v[6:7], v[32:33]
	v_add_f64 v[44:45], v[36:37], v[38:39]
	ds_read_b128 v[36:39], v2 offset:1344
	v_mul_f64 v[6:7], v[6:7], v[34:35]
	v_fma_f64 v[4:5], v[4:5], v[32:33], -v[6:7]
	s_waitcnt lgkmcnt(0)
	v_mul_f64 v[46:47], v[36:37], v[42:43]
	v_fmac_f64_e32 v[46:47], v[38:39], v[40:41]
	v_add_f64 v[52:53], v[44:45], v[46:47]
	ds_read_b128 v[44:47], v2 offset:1360
	s_waitcnt lgkmcnt(0)
	v_mul_f64 v[54:55], v[44:45], v[50:51]
	v_fmac_f64_e32 v[54:55], v[46:47], v[48:49]
	v_add_f64 v[60:61], v[52:53], v[54:55]
	ds_read_b128 v[52:55], v2 offset:1376
	;; [unrolled: 5-line block ×13, first 2 shown]
	s_waitcnt lgkmcnt(0)
	v_mul_f64 v[2:3], v[142:143], v[148:149]
	v_fmac_f64_e32 v[2:3], v[144:145], v[146:147]
	v_add_f64 v[80:81], v[80:81], v[2:3]
	v_mul_f64 v[2:3], v[18:19], v[22:23]
	v_fma_f64 v[2:3], v[16:17], v[20:21], -v[2:3]
	v_add_f64 v[2:3], v[2:3], 0
	v_add_f64 v[2:3], v[2:3], v[12:13]
	;; [unrolled: 1-line block ×4, first 2 shown]
	v_mul_f64 v[4:5], v[38:39], v[42:43]
	v_fma_f64 v[4:5], v[36:37], v[40:41], -v[4:5]
	v_add_f64 v[2:3], v[2:3], v[4:5]
	v_mul_f64 v[4:5], v[46:47], v[50:51]
	v_fma_f64 v[4:5], v[44:45], v[48:49], -v[4:5]
	v_add_f64 v[2:3], v[2:3], v[4:5]
	v_mul_f64 v[4:5], v[54:55], v[58:59]
	v_fma_f64 v[4:5], v[52:53], v[56:57], -v[4:5]
	v_add_f64 v[2:3], v[2:3], v[4:5]
	v_mul_f64 v[4:5], v[62:63], v[66:67]
	v_fma_f64 v[4:5], v[60:61], v[64:65], -v[4:5]
	v_add_f64 v[2:3], v[2:3], v[4:5]
	v_mul_f64 v[4:5], v[70:71], v[74:75]
	v_fma_f64 v[4:5], v[68:69], v[72:73], -v[4:5]
	v_add_f64 v[2:3], v[2:3], v[4:5]
	v_mul_f64 v[4:5], v[78:79], v[84:85]
	v_fma_f64 v[4:5], v[76:77], v[82:83], -v[4:5]
	v_add_f64 v[2:3], v[2:3], v[4:5]
	v_mul_f64 v[4:5], v[88:89], v[92:93]
	v_fma_f64 v[4:5], v[86:87], v[90:91], -v[4:5]
	v_add_f64 v[2:3], v[2:3], v[4:5]
	v_mul_f64 v[4:5], v[96:97], v[100:101]
	v_fma_f64 v[4:5], v[94:95], v[98:99], -v[4:5]
	v_add_f64 v[2:3], v[2:3], v[4:5]
	v_mul_f64 v[4:5], v[104:105], v[108:109]
	v_fma_f64 v[4:5], v[102:103], v[106:107], -v[4:5]
	v_add_f64 v[2:3], v[2:3], v[4:5]
	v_mul_f64 v[4:5], v[112:113], v[116:117]
	v_fma_f64 v[4:5], v[110:111], v[114:115], -v[4:5]
	v_add_f64 v[2:3], v[2:3], v[4:5]
	v_mul_f64 v[4:5], v[120:121], v[124:125]
	v_fma_f64 v[4:5], v[118:119], v[122:123], -v[4:5]
	v_add_f64 v[2:3], v[2:3], v[4:5]
	v_mul_f64 v[4:5], v[128:129], v[132:133]
	v_fma_f64 v[4:5], v[126:127], v[130:131], -v[4:5]
	v_add_f64 v[2:3], v[2:3], v[4:5]
	v_mul_f64 v[4:5], v[136:137], v[140:141]
	v_fma_f64 v[4:5], v[134:135], v[138:139], -v[4:5]
	v_add_f64 v[2:3], v[2:3], v[4:5]
	v_mul_f64 v[4:5], v[144:145], v[148:149]
	v_fma_f64 v[4:5], v[142:143], v[146:147], -v[4:5]
	v_add_f64 v[6:7], v[2:3], v[4:5]
	scratch_load_dwordx4 v[2:5], off, off offset:496
	s_waitcnt vmcnt(0)
	v_add_f64 v[2:3], v[2:3], -v[6:7]
	v_add_f64 v[4:5], v[4:5], -v[80:81]
	scratch_store_dwordx4 off, v[2:5], off offset:496
	s_and_saveexec_b64 s[0:1], vcc
	s_cbranch_execz .LBB48_249
; %bb.248:
	scratch_load_dwordx4 v[2:5], off, s55
	v_mov_b32_e32 v6, 0
	v_mov_b32_e32 v7, v6
	;; [unrolled: 1-line block ×4, first 2 shown]
	v_accvgpr_read_b32 v0, a99
	scratch_store_dwordx4 off, v[6:9], off offset:480
	s_waitcnt vmcnt(1)
	ds_write_b128 v0, v[2:5]
.LBB48_249:
	s_or_b64 exec, exec, s[0:1]
	v_mov_b32_e32 v2, 0
	s_waitcnt lgkmcnt(0)
	; wave barrier
	ds_read_b128 v[16:19], v2 offset:1264
	ds_read_b128 v[12:15], v2 offset:1280
	;; [unrolled: 1-line block ×4, first 2 shown]
	scratch_load_dwordx4 v[20:23], off, off offset:496
	scratch_load_dwordx4 v[40:43], off, off offset:560
	;; [unrolled: 1-line block ×13, first 2 shown]
	v_cmp_lt_u32_e32 vcc, 28, v240
	scratch_load_dwordx4 v[48:51], off, off offset:576
	scratch_load_dwordx4 v[56:59], off, off offset:592
	;; [unrolled: 1-line block ×3, first 2 shown]
	s_waitcnt vmcnt(15) lgkmcnt(3)
	v_mul_f64 v[24:25], v[16:17], v[22:23]
	v_fmac_f64_e32 v[24:25], v[18:19], v[20:21]
	v_add_f64 v[28:29], v[24:25], 0
	scratch_load_dwordx4 v[24:27], off, off offset:512
	v_mul_f64 v[18:19], v[18:19], v[22:23]
	v_fma_f64 v[16:17], v[16:17], v[20:21], -v[18:19]
	v_add_f64 v[16:17], v[16:17], 0
	s_waitcnt vmcnt(0) lgkmcnt(2)
	v_mul_f64 v[30:31], v[12:13], v[26:27]
	v_fmac_f64_e32 v[30:31], v[14:15], v[24:25]
	v_add_f64 v[32:33], v[28:29], v[30:31]
	scratch_load_dwordx4 v[28:31], off, off offset:528
	v_mul_f64 v[14:15], v[14:15], v[26:27]
	v_fma_f64 v[12:13], v[12:13], v[24:25], -v[14:15]
	v_add_f64 v[12:13], v[16:17], v[12:13]
	;; [unrolled: 8-line block ×3, first 2 shown]
	s_waitcnt vmcnt(0) lgkmcnt(0)
	v_mul_f64 v[38:39], v[4:5], v[34:35]
	v_fmac_f64_e32 v[38:39], v[6:7], v[32:33]
	v_add_f64 v[44:45], v[36:37], v[38:39]
	ds_read_b128 v[36:39], v2 offset:1328
	v_mul_f64 v[6:7], v[6:7], v[34:35]
	v_fma_f64 v[4:5], v[4:5], v[32:33], -v[6:7]
	v_add_f64 v[4:5], v[8:9], v[4:5]
	s_waitcnt lgkmcnt(0)
	v_mul_f64 v[46:47], v[36:37], v[42:43]
	v_fmac_f64_e32 v[46:47], v[38:39], v[40:41]
	v_add_f64 v[52:53], v[44:45], v[46:47]
	ds_read_b128 v[44:47], v2 offset:1344
	v_mul_f64 v[6:7], v[38:39], v[42:43]
	v_fma_f64 v[6:7], v[36:37], v[40:41], -v[6:7]
	v_add_f64 v[4:5], v[4:5], v[6:7]
	s_waitcnt lgkmcnt(0)
	;; [unrolled: 8-line block ×15, first 2 shown]
	v_mul_f64 v[6:7], v[152:153], v[156:157]
	v_fma_f64 v[6:7], v[150:151], v[154:155], -v[6:7]
	v_add_f64 v[8:9], v[4:5], v[6:7]
	scratch_load_dwordx4 v[4:7], off, off offset:480
	v_mul_f64 v[158:159], v[150:151], v[156:157]
	v_fmac_f64_e32 v[158:159], v[152:153], v[154:155]
	v_add_f64 v[88:89], v[88:89], v[158:159]
	s_waitcnt vmcnt(0)
	v_add_f64 v[4:5], v[4:5], -v[8:9]
	v_add_f64 v[6:7], v[6:7], -v[88:89]
	scratch_store_dwordx4 off, v[4:7], off offset:480
	s_and_saveexec_b64 s[0:1], vcc
	s_cbranch_execz .LBB48_251
; %bb.250:
	scratch_load_dwordx4 v[6:9], off, s54
	v_mov_b32_e32 v3, v2
	v_mov_b32_e32 v4, v2
	;; [unrolled: 1-line block ×3, first 2 shown]
	v_accvgpr_read_b32 v0, a99
	scratch_store_dwordx4 off, v[2:5], off offset:464
	s_waitcnt vmcnt(1)
	ds_write_b128 v0, v[6:9]
.LBB48_251:
	s_or_b64 exec, exec, s[0:1]
	s_waitcnt lgkmcnt(0)
	; wave barrier
	ds_read_b128 v[16:19], v2 offset:1248
	ds_read_b128 v[12:15], v2 offset:1264
	;; [unrolled: 1-line block ×4, first 2 shown]
	scratch_load_dwordx4 v[20:23], off, off offset:480
	scratch_load_dwordx4 v[40:43], off, off offset:544
	;; [unrolled: 1-line block ×14, first 2 shown]
	v_cmp_lt_u32_e32 vcc, 27, v240
	scratch_load_dwordx4 v[48:51], off, off offset:560
	scratch_load_dwordx4 v[56:59], off, off offset:576
	;; [unrolled: 1-line block ×3, first 2 shown]
	s_waitcnt vmcnt(16) lgkmcnt(3)
	v_mul_f64 v[24:25], v[16:17], v[22:23]
	v_fmac_f64_e32 v[24:25], v[18:19], v[20:21]
	v_add_f64 v[28:29], v[24:25], 0
	scratch_load_dwordx4 v[24:27], off, off offset:496
	s_waitcnt vmcnt(0) lgkmcnt(2)
	v_mul_f64 v[30:31], v[12:13], v[26:27]
	v_fmac_f64_e32 v[30:31], v[14:15], v[24:25]
	v_add_f64 v[32:33], v[28:29], v[30:31]
	scratch_load_dwordx4 v[28:31], off, off offset:512
	v_mul_f64 v[14:15], v[14:15], v[26:27]
	v_fma_f64 v[12:13], v[12:13], v[24:25], -v[14:15]
	s_waitcnt vmcnt(0) lgkmcnt(1)
	v_mul_f64 v[34:35], v[8:9], v[30:31]
	v_fmac_f64_e32 v[34:35], v[10:11], v[28:29]
	v_add_f64 v[36:37], v[32:33], v[34:35]
	scratch_load_dwordx4 v[32:35], off, off offset:528
	v_mul_f64 v[10:11], v[10:11], v[30:31]
	v_fma_f64 v[8:9], v[8:9], v[28:29], -v[10:11]
	s_waitcnt vmcnt(0) lgkmcnt(0)
	v_mul_f64 v[38:39], v[4:5], v[34:35]
	v_fmac_f64_e32 v[38:39], v[6:7], v[32:33]
	v_add_f64 v[44:45], v[36:37], v[38:39]
	ds_read_b128 v[36:39], v2 offset:1312
	v_mul_f64 v[6:7], v[6:7], v[34:35]
	v_fma_f64 v[4:5], v[4:5], v[32:33], -v[6:7]
	s_waitcnt lgkmcnt(0)
	v_mul_f64 v[46:47], v[36:37], v[42:43]
	v_fmac_f64_e32 v[46:47], v[38:39], v[40:41]
	v_add_f64 v[52:53], v[44:45], v[46:47]
	ds_read_b128 v[44:47], v2 offset:1328
	s_waitcnt lgkmcnt(0)
	v_mul_f64 v[54:55], v[44:45], v[50:51]
	v_fmac_f64_e32 v[54:55], v[46:47], v[48:49]
	v_add_f64 v[60:61], v[52:53], v[54:55]
	ds_read_b128 v[52:55], v2 offset:1344
	;; [unrolled: 5-line block ×15, first 2 shown]
	s_waitcnt lgkmcnt(0)
	v_mul_f64 v[2:3], v[158:159], v[164:165]
	v_fmac_f64_e32 v[2:3], v[160:161], v[162:163]
	v_add_f64 v[96:97], v[96:97], v[2:3]
	v_mul_f64 v[2:3], v[18:19], v[22:23]
	v_fma_f64 v[2:3], v[16:17], v[20:21], -v[2:3]
	v_add_f64 v[2:3], v[2:3], 0
	v_add_f64 v[2:3], v[2:3], v[12:13]
	;; [unrolled: 1-line block ×4, first 2 shown]
	v_mul_f64 v[4:5], v[38:39], v[42:43]
	v_fma_f64 v[4:5], v[36:37], v[40:41], -v[4:5]
	v_add_f64 v[2:3], v[2:3], v[4:5]
	v_mul_f64 v[4:5], v[46:47], v[50:51]
	v_fma_f64 v[4:5], v[44:45], v[48:49], -v[4:5]
	v_add_f64 v[2:3], v[2:3], v[4:5]
	;; [unrolled: 3-line block ×16, first 2 shown]
	scratch_load_dwordx4 v[2:5], off, off offset:464
	s_waitcnt vmcnt(0)
	v_add_f64 v[2:3], v[2:3], -v[6:7]
	v_add_f64 v[4:5], v[4:5], -v[96:97]
	scratch_store_dwordx4 off, v[2:5], off offset:464
	s_and_saveexec_b64 s[0:1], vcc
	s_cbranch_execz .LBB48_253
; %bb.252:
	scratch_load_dwordx4 v[2:5], off, s53
	v_mov_b32_e32 v6, 0
	v_mov_b32_e32 v7, v6
	;; [unrolled: 1-line block ×4, first 2 shown]
	v_accvgpr_read_b32 v0, a99
	scratch_store_dwordx4 off, v[6:9], off offset:448
	s_waitcnt vmcnt(1)
	ds_write_b128 v0, v[2:5]
.LBB48_253:
	s_or_b64 exec, exec, s[0:1]
	v_mov_b32_e32 v2, 0
	s_waitcnt lgkmcnt(0)
	; wave barrier
	ds_read_b128 v[16:19], v2 offset:1232
	ds_read_b128 v[12:15], v2 offset:1248
	;; [unrolled: 1-line block ×4, first 2 shown]
	scratch_load_dwordx4 v[20:23], off, off offset:464
	scratch_load_dwordx4 v[40:43], off, off offset:528
	;; [unrolled: 1-line block ×15, first 2 shown]
	v_cmp_lt_u32_e32 vcc, 26, v240
	scratch_load_dwordx4 v[48:51], off, off offset:544
	scratch_load_dwordx4 v[56:59], off, off offset:560
	;; [unrolled: 1-line block ×3, first 2 shown]
	s_waitcnt vmcnt(17) lgkmcnt(3)
	v_mul_f64 v[24:25], v[16:17], v[22:23]
	v_fmac_f64_e32 v[24:25], v[18:19], v[20:21]
	v_add_f64 v[28:29], v[24:25], 0
	scratch_load_dwordx4 v[24:27], off, off offset:480
	v_mul_f64 v[18:19], v[18:19], v[22:23]
	v_fma_f64 v[16:17], v[16:17], v[20:21], -v[18:19]
	v_add_f64 v[16:17], v[16:17], 0
	s_waitcnt vmcnt(0) lgkmcnt(2)
	v_mul_f64 v[30:31], v[12:13], v[26:27]
	v_fmac_f64_e32 v[30:31], v[14:15], v[24:25]
	v_add_f64 v[32:33], v[28:29], v[30:31]
	scratch_load_dwordx4 v[28:31], off, off offset:496
	v_mul_f64 v[14:15], v[14:15], v[26:27]
	v_fma_f64 v[12:13], v[12:13], v[24:25], -v[14:15]
	v_add_f64 v[12:13], v[16:17], v[12:13]
	;; [unrolled: 8-line block ×3, first 2 shown]
	s_waitcnt vmcnt(0) lgkmcnt(0)
	v_mul_f64 v[38:39], v[4:5], v[34:35]
	v_fmac_f64_e32 v[38:39], v[6:7], v[32:33]
	v_add_f64 v[44:45], v[36:37], v[38:39]
	ds_read_b128 v[36:39], v2 offset:1296
	v_mul_f64 v[6:7], v[6:7], v[34:35]
	v_fma_f64 v[4:5], v[4:5], v[32:33], -v[6:7]
	v_add_f64 v[4:5], v[8:9], v[4:5]
	s_waitcnt lgkmcnt(0)
	v_mul_f64 v[46:47], v[36:37], v[42:43]
	v_fmac_f64_e32 v[46:47], v[38:39], v[40:41]
	v_add_f64 v[52:53], v[44:45], v[46:47]
	ds_read_b128 v[44:47], v2 offset:1312
	v_mul_f64 v[6:7], v[38:39], v[42:43]
	v_fma_f64 v[6:7], v[36:37], v[40:41], -v[6:7]
	v_add_f64 v[4:5], v[4:5], v[6:7]
	s_waitcnt lgkmcnt(0)
	;; [unrolled: 8-line block ×17, first 2 shown]
	v_mul_f64 v[6:7], v[168:169], v[172:173]
	v_fma_f64 v[6:7], v[166:167], v[170:171], -v[6:7]
	v_add_f64 v[8:9], v[4:5], v[6:7]
	scratch_load_dwordx4 v[4:7], off, off offset:448
	v_mul_f64 v[174:175], v[166:167], v[172:173]
	v_fmac_f64_e32 v[174:175], v[168:169], v[170:171]
	v_add_f64 v[104:105], v[104:105], v[174:175]
	s_waitcnt vmcnt(0)
	v_add_f64 v[4:5], v[4:5], -v[8:9]
	v_add_f64 v[6:7], v[6:7], -v[104:105]
	scratch_store_dwordx4 off, v[4:7], off offset:448
	s_and_saveexec_b64 s[0:1], vcc
	s_cbranch_execz .LBB48_255
; %bb.254:
	scratch_load_dwordx4 v[6:9], off, s52
	v_mov_b32_e32 v3, v2
	v_mov_b32_e32 v4, v2
	;; [unrolled: 1-line block ×3, first 2 shown]
	v_accvgpr_read_b32 v0, a99
	scratch_store_dwordx4 off, v[2:5], off offset:432
	s_waitcnt vmcnt(1)
	ds_write_b128 v0, v[6:9]
.LBB48_255:
	s_or_b64 exec, exec, s[0:1]
	s_waitcnt lgkmcnt(0)
	; wave barrier
	ds_read_b128 v[16:19], v2 offset:1216
	ds_read_b128 v[12:15], v2 offset:1232
	;; [unrolled: 1-line block ×4, first 2 shown]
	scratch_load_dwordx4 v[20:23], off, off offset:448
	scratch_load_dwordx4 v[40:43], off, off offset:512
	;; [unrolled: 1-line block ×16, first 2 shown]
	v_cmp_lt_u32_e32 vcc, 25, v240
	scratch_load_dwordx4 v[48:51], off, off offset:528
	scratch_load_dwordx4 v[56:59], off, off offset:544
	;; [unrolled: 1-line block ×3, first 2 shown]
	s_waitcnt vmcnt(18) lgkmcnt(3)
	v_mul_f64 v[24:25], v[16:17], v[22:23]
	v_fmac_f64_e32 v[24:25], v[18:19], v[20:21]
	v_add_f64 v[28:29], v[24:25], 0
	scratch_load_dwordx4 v[24:27], off, off offset:464
	s_waitcnt vmcnt(0) lgkmcnt(2)
	v_mul_f64 v[30:31], v[12:13], v[26:27]
	v_fmac_f64_e32 v[30:31], v[14:15], v[24:25]
	v_add_f64 v[32:33], v[28:29], v[30:31]
	scratch_load_dwordx4 v[28:31], off, off offset:480
	v_mul_f64 v[14:15], v[14:15], v[26:27]
	v_fma_f64 v[12:13], v[12:13], v[24:25], -v[14:15]
	s_waitcnt vmcnt(0) lgkmcnt(1)
	v_mul_f64 v[34:35], v[8:9], v[30:31]
	v_fmac_f64_e32 v[34:35], v[10:11], v[28:29]
	v_add_f64 v[36:37], v[32:33], v[34:35]
	scratch_load_dwordx4 v[32:35], off, off offset:496
	v_mul_f64 v[10:11], v[10:11], v[30:31]
	v_fma_f64 v[8:9], v[8:9], v[28:29], -v[10:11]
	s_waitcnt vmcnt(0) lgkmcnt(0)
	v_mul_f64 v[38:39], v[4:5], v[34:35]
	v_fmac_f64_e32 v[38:39], v[6:7], v[32:33]
	v_add_f64 v[44:45], v[36:37], v[38:39]
	ds_read_b128 v[36:39], v2 offset:1280
	v_mul_f64 v[6:7], v[6:7], v[34:35]
	v_fma_f64 v[4:5], v[4:5], v[32:33], -v[6:7]
	s_waitcnt lgkmcnt(0)
	v_mul_f64 v[46:47], v[36:37], v[42:43]
	v_fmac_f64_e32 v[46:47], v[38:39], v[40:41]
	v_add_f64 v[52:53], v[44:45], v[46:47]
	ds_read_b128 v[44:47], v2 offset:1296
	s_waitcnt lgkmcnt(0)
	v_mul_f64 v[54:55], v[44:45], v[50:51]
	v_fmac_f64_e32 v[54:55], v[46:47], v[48:49]
	v_add_f64 v[60:61], v[52:53], v[54:55]
	ds_read_b128 v[52:55], v2 offset:1312
	;; [unrolled: 5-line block ×17, first 2 shown]
	s_waitcnt lgkmcnt(0)
	v_mul_f64 v[2:3], v[174:175], v[180:181]
	v_fmac_f64_e32 v[2:3], v[176:177], v[178:179]
	v_add_f64 v[120:121], v[120:121], v[2:3]
	v_mul_f64 v[2:3], v[18:19], v[22:23]
	v_fma_f64 v[2:3], v[16:17], v[20:21], -v[2:3]
	v_add_f64 v[2:3], v[2:3], 0
	v_add_f64 v[2:3], v[2:3], v[12:13]
	v_add_f64 v[2:3], v[2:3], v[8:9]
	v_add_f64 v[2:3], v[2:3], v[4:5]
	v_mul_f64 v[4:5], v[38:39], v[42:43]
	v_fma_f64 v[4:5], v[36:37], v[40:41], -v[4:5]
	v_add_f64 v[2:3], v[2:3], v[4:5]
	v_mul_f64 v[4:5], v[46:47], v[50:51]
	v_fma_f64 v[4:5], v[44:45], v[48:49], -v[4:5]
	v_add_f64 v[2:3], v[2:3], v[4:5]
	;; [unrolled: 3-line block ×18, first 2 shown]
	scratch_load_dwordx4 v[2:5], off, off offset:432
	s_waitcnt vmcnt(0)
	v_add_f64 v[2:3], v[2:3], -v[6:7]
	v_add_f64 v[4:5], v[4:5], -v[120:121]
	scratch_store_dwordx4 off, v[2:5], off offset:432
	s_and_saveexec_b64 s[0:1], vcc
	s_cbranch_execz .LBB48_257
; %bb.256:
	scratch_load_dwordx4 v[2:5], off, s51
	v_mov_b32_e32 v6, 0
	v_mov_b32_e32 v7, v6
	;; [unrolled: 1-line block ×4, first 2 shown]
	v_accvgpr_read_b32 v0, a99
	scratch_store_dwordx4 off, v[6:9], off offset:416
	s_waitcnt vmcnt(1)
	ds_write_b128 v0, v[2:5]
.LBB48_257:
	s_or_b64 exec, exec, s[0:1]
	v_mov_b32_e32 v2, 0
	s_waitcnt lgkmcnt(0)
	; wave barrier
	ds_read_b128 v[16:19], v2 offset:1200
	ds_read_b128 v[12:15], v2 offset:1216
	;; [unrolled: 1-line block ×4, first 2 shown]
	scratch_load_dwordx4 v[20:23], off, off offset:432
	scratch_load_dwordx4 v[40:43], off, off offset:496
	;; [unrolled: 1-line block ×17, first 2 shown]
	v_cmp_lt_u32_e32 vcc, 24, v240
	scratch_load_dwordx4 v[48:51], off, off offset:512
	scratch_load_dwordx4 v[56:59], off, off offset:528
	;; [unrolled: 1-line block ×3, first 2 shown]
	s_waitcnt vmcnt(19) lgkmcnt(3)
	v_mul_f64 v[24:25], v[16:17], v[22:23]
	v_fmac_f64_e32 v[24:25], v[18:19], v[20:21]
	v_add_f64 v[28:29], v[24:25], 0
	scratch_load_dwordx4 v[24:27], off, off offset:448
	v_mul_f64 v[18:19], v[18:19], v[22:23]
	v_fma_f64 v[16:17], v[16:17], v[20:21], -v[18:19]
	v_add_f64 v[16:17], v[16:17], 0
	s_waitcnt vmcnt(0) lgkmcnt(2)
	v_mul_f64 v[30:31], v[12:13], v[26:27]
	v_fmac_f64_e32 v[30:31], v[14:15], v[24:25]
	v_add_f64 v[32:33], v[28:29], v[30:31]
	scratch_load_dwordx4 v[28:31], off, off offset:464
	v_mul_f64 v[14:15], v[14:15], v[26:27]
	v_fma_f64 v[12:13], v[12:13], v[24:25], -v[14:15]
	v_add_f64 v[12:13], v[16:17], v[12:13]
	s_waitcnt vmcnt(0) lgkmcnt(1)
	v_mul_f64 v[34:35], v[8:9], v[30:31]
	v_fmac_f64_e32 v[34:35], v[10:11], v[28:29]
	v_add_f64 v[36:37], v[32:33], v[34:35]
	scratch_load_dwordx4 v[32:35], off, off offset:480
	v_mul_f64 v[10:11], v[10:11], v[30:31]
	v_fma_f64 v[8:9], v[8:9], v[28:29], -v[10:11]
	v_add_f64 v[8:9], v[12:13], v[8:9]
	s_waitcnt vmcnt(0) lgkmcnt(0)
	v_mul_f64 v[38:39], v[4:5], v[34:35]
	v_fmac_f64_e32 v[38:39], v[6:7], v[32:33]
	v_add_f64 v[44:45], v[36:37], v[38:39]
	ds_read_b128 v[36:39], v2 offset:1264
	v_mul_f64 v[6:7], v[6:7], v[34:35]
	v_fma_f64 v[4:5], v[4:5], v[32:33], -v[6:7]
	v_add_f64 v[4:5], v[8:9], v[4:5]
	s_waitcnt lgkmcnt(0)
	v_mul_f64 v[46:47], v[36:37], v[42:43]
	v_fmac_f64_e32 v[46:47], v[38:39], v[40:41]
	v_add_f64 v[52:53], v[44:45], v[46:47]
	ds_read_b128 v[44:47], v2 offset:1280
	v_mul_f64 v[6:7], v[38:39], v[42:43]
	v_fma_f64 v[6:7], v[36:37], v[40:41], -v[6:7]
	v_add_f64 v[4:5], v[4:5], v[6:7]
	s_waitcnt lgkmcnt(0)
	;; [unrolled: 8-line block ×19, first 2 shown]
	v_mul_f64 v[6:7], v[184:185], v[188:189]
	v_fma_f64 v[6:7], v[182:183], v[186:187], -v[6:7]
	v_add_f64 v[8:9], v[4:5], v[6:7]
	scratch_load_dwordx4 v[4:7], off, off offset:416
	v_mul_f64 v[190:191], v[182:183], v[188:189]
	v_fmac_f64_e32 v[190:191], v[184:185], v[186:187]
	v_add_f64 v[128:129], v[128:129], v[190:191]
	s_waitcnt vmcnt(0)
	v_add_f64 v[4:5], v[4:5], -v[8:9]
	v_add_f64 v[6:7], v[6:7], -v[128:129]
	scratch_store_dwordx4 off, v[4:7], off offset:416
	s_and_saveexec_b64 s[0:1], vcc
	s_cbranch_execz .LBB48_259
; %bb.258:
	scratch_load_dwordx4 v[6:9], off, s50
	v_mov_b32_e32 v3, v2
	v_mov_b32_e32 v4, v2
	;; [unrolled: 1-line block ×3, first 2 shown]
	v_accvgpr_read_b32 v0, a99
	scratch_store_dwordx4 off, v[2:5], off offset:400
	s_waitcnt vmcnt(1)
	ds_write_b128 v0, v[6:9]
.LBB48_259:
	s_or_b64 exec, exec, s[0:1]
	s_waitcnt lgkmcnt(0)
	; wave barrier
	ds_read_b128 v[16:19], v2 offset:1184
	ds_read_b128 v[12:15], v2 offset:1200
	;; [unrolled: 1-line block ×4, first 2 shown]
	scratch_load_dwordx4 v[20:23], off, off offset:416
	scratch_load_dwordx4 v[40:43], off, off offset:480
	;; [unrolled: 1-line block ×18, first 2 shown]
	v_cmp_lt_u32_e32 vcc, 23, v240
	scratch_load_dwordx4 v[48:51], off, off offset:496
	scratch_load_dwordx4 v[56:59], off, off offset:512
	;; [unrolled: 1-line block ×3, first 2 shown]
	s_waitcnt vmcnt(20) lgkmcnt(3)
	v_mul_f64 v[24:25], v[16:17], v[22:23]
	v_fmac_f64_e32 v[24:25], v[18:19], v[20:21]
	v_add_f64 v[28:29], v[24:25], 0
	scratch_load_dwordx4 v[24:27], off, off offset:432
	s_waitcnt vmcnt(0) lgkmcnt(2)
	v_mul_f64 v[30:31], v[12:13], v[26:27]
	v_fmac_f64_e32 v[30:31], v[14:15], v[24:25]
	v_add_f64 v[32:33], v[28:29], v[30:31]
	scratch_load_dwordx4 v[28:31], off, off offset:448
	v_mul_f64 v[14:15], v[14:15], v[26:27]
	v_fma_f64 v[12:13], v[12:13], v[24:25], -v[14:15]
	s_waitcnt vmcnt(0) lgkmcnt(1)
	v_mul_f64 v[34:35], v[8:9], v[30:31]
	v_fmac_f64_e32 v[34:35], v[10:11], v[28:29]
	v_add_f64 v[36:37], v[32:33], v[34:35]
	scratch_load_dwordx4 v[32:35], off, off offset:464
	v_mul_f64 v[10:11], v[10:11], v[30:31]
	v_fma_f64 v[8:9], v[8:9], v[28:29], -v[10:11]
	s_waitcnt vmcnt(0) lgkmcnt(0)
	v_mul_f64 v[38:39], v[4:5], v[34:35]
	v_fmac_f64_e32 v[38:39], v[6:7], v[32:33]
	v_add_f64 v[44:45], v[36:37], v[38:39]
	ds_read_b128 v[36:39], v2 offset:1248
	v_mul_f64 v[6:7], v[6:7], v[34:35]
	v_fma_f64 v[4:5], v[4:5], v[32:33], -v[6:7]
	s_waitcnt lgkmcnt(0)
	v_mul_f64 v[46:47], v[36:37], v[42:43]
	v_fmac_f64_e32 v[46:47], v[38:39], v[40:41]
	v_add_f64 v[52:53], v[44:45], v[46:47]
	ds_read_b128 v[44:47], v2 offset:1264
	s_waitcnt lgkmcnt(0)
	v_mul_f64 v[54:55], v[44:45], v[50:51]
	v_fmac_f64_e32 v[54:55], v[46:47], v[48:49]
	v_add_f64 v[60:61], v[52:53], v[54:55]
	ds_read_b128 v[52:55], v2 offset:1280
	;; [unrolled: 5-line block ×19, first 2 shown]
	s_waitcnt lgkmcnt(0)
	v_mul_f64 v[2:3], v[190:191], v[196:197]
	v_fmac_f64_e32 v[2:3], v[192:193], v[194:195]
	v_add_f64 v[148:149], v[148:149], v[2:3]
	v_mul_f64 v[2:3], v[18:19], v[22:23]
	v_fma_f64 v[2:3], v[16:17], v[20:21], -v[2:3]
	v_add_f64 v[2:3], v[2:3], 0
	v_add_f64 v[2:3], v[2:3], v[12:13]
	;; [unrolled: 1-line block ×4, first 2 shown]
	v_mul_f64 v[4:5], v[38:39], v[42:43]
	v_fma_f64 v[4:5], v[36:37], v[40:41], -v[4:5]
	v_add_f64 v[2:3], v[2:3], v[4:5]
	v_mul_f64 v[4:5], v[46:47], v[50:51]
	v_fma_f64 v[4:5], v[44:45], v[48:49], -v[4:5]
	v_add_f64 v[2:3], v[2:3], v[4:5]
	;; [unrolled: 3-line block ×20, first 2 shown]
	scratch_load_dwordx4 v[2:5], off, off offset:400
	s_waitcnt vmcnt(0)
	v_add_f64 v[2:3], v[2:3], -v[6:7]
	v_add_f64 v[4:5], v[4:5], -v[148:149]
	scratch_store_dwordx4 off, v[2:5], off offset:400
	s_and_saveexec_b64 s[0:1], vcc
	s_cbranch_execz .LBB48_261
; %bb.260:
	scratch_load_dwordx4 v[2:5], off, s49
	v_mov_b32_e32 v6, 0
	v_mov_b32_e32 v7, v6
	;; [unrolled: 1-line block ×4, first 2 shown]
	v_accvgpr_read_b32 v0, a99
	scratch_store_dwordx4 off, v[6:9], off offset:384
	s_waitcnt vmcnt(1)
	ds_write_b128 v0, v[2:5]
.LBB48_261:
	s_or_b64 exec, exec, s[0:1]
	v_mov_b32_e32 v2, 0
	s_waitcnt lgkmcnt(0)
	; wave barrier
	ds_read_b128 v[16:19], v2 offset:1168
	ds_read_b128 v[12:15], v2 offset:1184
	;; [unrolled: 1-line block ×4, first 2 shown]
	scratch_load_dwordx4 v[20:23], off, off offset:400
	scratch_load_dwordx4 v[40:43], off, off offset:464
	scratch_load_dwordx4 v[72:75], off, off offset:528
	scratch_load_dwordx4 v[80:83], off, off offset:544
	scratch_load_dwordx4 v[88:91], off, off offset:560
	scratch_load_dwordx4 v[96:99], off, off offset:576
	scratch_load_dwordx4 v[104:107], off, off offset:592
	scratch_load_dwordx4 v[112:115], off, off offset:608
	scratch_load_dwordx4 v[120:123], off, off offset:624
	scratch_load_dwordx4 v[128:131], off, off offset:640
	scratch_load_dwordx4 v[136:139], off, off offset:656
	scratch_load_dwordx4 v[146:149], off, off offset:672
	scratch_load_dwordx4 v[154:157], off, off offset:688
	scratch_load_dwordx4 v[162:165], off, off offset:704
	scratch_load_dwordx4 v[170:173], off, off offset:720
	scratch_load_dwordx4 v[178:181], off, off offset:736
	scratch_load_dwordx4 v[186:189], off, off offset:752
	scratch_load_dwordx4 v[194:197], off, off offset:768
	scratch_load_dwordx4 v[202:205], off, off offset:784
	v_cmp_lt_u32_e32 vcc, 22, v240
	scratch_load_dwordx4 v[48:51], off, off offset:480
	scratch_load_dwordx4 v[56:59], off, off offset:496
	;; [unrolled: 1-line block ×3, first 2 shown]
	s_waitcnt vmcnt(21) lgkmcnt(3)
	v_mul_f64 v[24:25], v[16:17], v[22:23]
	v_fmac_f64_e32 v[24:25], v[18:19], v[20:21]
	v_add_f64 v[28:29], v[24:25], 0
	scratch_load_dwordx4 v[24:27], off, off offset:416
	v_mul_f64 v[18:19], v[18:19], v[22:23]
	v_fma_f64 v[16:17], v[16:17], v[20:21], -v[18:19]
	v_add_f64 v[16:17], v[16:17], 0
	s_waitcnt vmcnt(0) lgkmcnt(2)
	v_mul_f64 v[30:31], v[12:13], v[26:27]
	v_fmac_f64_e32 v[30:31], v[14:15], v[24:25]
	v_add_f64 v[32:33], v[28:29], v[30:31]
	scratch_load_dwordx4 v[28:31], off, off offset:432
	v_mul_f64 v[14:15], v[14:15], v[26:27]
	v_fma_f64 v[12:13], v[12:13], v[24:25], -v[14:15]
	v_add_f64 v[12:13], v[16:17], v[12:13]
	;; [unrolled: 8-line block ×3, first 2 shown]
	s_waitcnt vmcnt(0) lgkmcnt(0)
	v_mul_f64 v[38:39], v[4:5], v[34:35]
	v_fmac_f64_e32 v[38:39], v[6:7], v[32:33]
	v_add_f64 v[44:45], v[36:37], v[38:39]
	ds_read_b128 v[36:39], v2 offset:1232
	v_mul_f64 v[6:7], v[6:7], v[34:35]
	v_fma_f64 v[4:5], v[4:5], v[32:33], -v[6:7]
	v_add_f64 v[4:5], v[8:9], v[4:5]
	s_waitcnt lgkmcnt(0)
	v_mul_f64 v[46:47], v[36:37], v[42:43]
	v_fmac_f64_e32 v[46:47], v[38:39], v[40:41]
	v_add_f64 v[52:53], v[44:45], v[46:47]
	ds_read_b128 v[44:47], v2 offset:1248
	v_mul_f64 v[6:7], v[38:39], v[42:43]
	v_fma_f64 v[6:7], v[36:37], v[40:41], -v[6:7]
	v_add_f64 v[4:5], v[4:5], v[6:7]
	s_waitcnt lgkmcnt(0)
	;; [unrolled: 8-line block ×21, first 2 shown]
	v_mul_f64 v[6:7], v[200:201], v[204:205]
	v_fma_f64 v[6:7], v[198:199], v[202:203], -v[6:7]
	v_add_f64 v[8:9], v[4:5], v[6:7]
	scratch_load_dwordx4 v[4:7], off, off offset:384
	v_mul_f64 v[206:207], v[198:199], v[204:205]
	v_fmac_f64_e32 v[206:207], v[200:201], v[202:203]
	v_add_f64 v[144:145], v[144:145], v[206:207]
	s_waitcnt vmcnt(0)
	v_add_f64 v[4:5], v[4:5], -v[8:9]
	v_add_f64 v[6:7], v[6:7], -v[144:145]
	scratch_store_dwordx4 off, v[4:7], off offset:384
	s_and_saveexec_b64 s[0:1], vcc
	s_cbranch_execz .LBB48_263
; %bb.262:
	scratch_load_dwordx4 v[6:9], off, s48
	v_mov_b32_e32 v3, v2
	v_mov_b32_e32 v4, v2
	;; [unrolled: 1-line block ×3, first 2 shown]
	v_accvgpr_read_b32 v0, a99
	scratch_store_dwordx4 off, v[2:5], off offset:368
	s_waitcnt vmcnt(1)
	ds_write_b128 v0, v[6:9]
.LBB48_263:
	s_or_b64 exec, exec, s[0:1]
	s_waitcnt lgkmcnt(0)
	; wave barrier
	ds_read_b128 v[16:19], v2 offset:1152
	ds_read_b128 v[12:15], v2 offset:1168
	;; [unrolled: 1-line block ×4, first 2 shown]
	scratch_load_dwordx4 v[20:23], off, off offset:384
	scratch_load_dwordx4 v[40:43], off, off offset:448
	;; [unrolled: 1-line block ×20, first 2 shown]
	v_cmp_lt_u32_e32 vcc, 21, v240
	scratch_load_dwordx4 v[48:51], off, off offset:464
	scratch_load_dwordx4 v[56:59], off, off offset:480
	;; [unrolled: 1-line block ×3, first 2 shown]
	s_waitcnt vmcnt(22) lgkmcnt(3)
	v_mul_f64 v[24:25], v[16:17], v[22:23]
	v_fmac_f64_e32 v[24:25], v[18:19], v[20:21]
	v_add_f64 v[28:29], v[24:25], 0
	scratch_load_dwordx4 v[24:27], off, off offset:400
	s_waitcnt vmcnt(0) lgkmcnt(2)
	v_mul_f64 v[30:31], v[12:13], v[26:27]
	v_fmac_f64_e32 v[30:31], v[14:15], v[24:25]
	v_add_f64 v[32:33], v[28:29], v[30:31]
	scratch_load_dwordx4 v[28:31], off, off offset:416
	v_mul_f64 v[14:15], v[14:15], v[26:27]
	v_fma_f64 v[12:13], v[12:13], v[24:25], -v[14:15]
	s_waitcnt vmcnt(0) lgkmcnt(1)
	v_mul_f64 v[34:35], v[8:9], v[30:31]
	v_fmac_f64_e32 v[34:35], v[10:11], v[28:29]
	v_add_f64 v[36:37], v[32:33], v[34:35]
	scratch_load_dwordx4 v[32:35], off, off offset:432
	v_mul_f64 v[10:11], v[10:11], v[30:31]
	v_fma_f64 v[8:9], v[8:9], v[28:29], -v[10:11]
	s_waitcnt vmcnt(0) lgkmcnt(0)
	v_mul_f64 v[38:39], v[4:5], v[34:35]
	v_fmac_f64_e32 v[38:39], v[6:7], v[32:33]
	v_add_f64 v[44:45], v[36:37], v[38:39]
	ds_read_b128 v[36:39], v2 offset:1216
	v_mul_f64 v[6:7], v[6:7], v[34:35]
	v_fma_f64 v[4:5], v[4:5], v[32:33], -v[6:7]
	s_waitcnt lgkmcnt(0)
	v_mul_f64 v[46:47], v[36:37], v[42:43]
	v_fmac_f64_e32 v[46:47], v[38:39], v[40:41]
	v_add_f64 v[52:53], v[44:45], v[46:47]
	ds_read_b128 v[44:47], v2 offset:1232
	s_waitcnt lgkmcnt(0)
	v_mul_f64 v[54:55], v[44:45], v[50:51]
	v_fmac_f64_e32 v[54:55], v[46:47], v[48:49]
	v_add_f64 v[60:61], v[52:53], v[54:55]
	ds_read_b128 v[52:55], v2 offset:1248
	;; [unrolled: 5-line block ×21, first 2 shown]
	s_waitcnt lgkmcnt(0)
	v_mul_f64 v[2:3], v[206:207], v[212:213]
	v_fmac_f64_e32 v[2:3], v[208:209], v[210:211]
	v_add_f64 v[168:169], v[168:169], v[2:3]
	v_mul_f64 v[2:3], v[18:19], v[22:23]
	v_fma_f64 v[2:3], v[16:17], v[20:21], -v[2:3]
	v_add_f64 v[2:3], v[2:3], 0
	v_add_f64 v[2:3], v[2:3], v[12:13]
	;; [unrolled: 1-line block ×4, first 2 shown]
	v_mul_f64 v[4:5], v[38:39], v[42:43]
	v_fma_f64 v[4:5], v[36:37], v[40:41], -v[4:5]
	v_add_f64 v[2:3], v[2:3], v[4:5]
	v_mul_f64 v[4:5], v[46:47], v[50:51]
	v_fma_f64 v[4:5], v[44:45], v[48:49], -v[4:5]
	v_add_f64 v[2:3], v[2:3], v[4:5]
	v_mul_f64 v[4:5], v[54:55], v[58:59]
	v_fma_f64 v[4:5], v[52:53], v[56:57], -v[4:5]
	v_add_f64 v[2:3], v[2:3], v[4:5]
	v_mul_f64 v[4:5], v[62:63], v[66:67]
	v_fma_f64 v[4:5], v[60:61], v[64:65], -v[4:5]
	v_add_f64 v[2:3], v[2:3], v[4:5]
	v_mul_f64 v[4:5], v[70:71], v[74:75]
	v_fma_f64 v[4:5], v[68:69], v[72:73], -v[4:5]
	v_add_f64 v[2:3], v[2:3], v[4:5]
	v_mul_f64 v[4:5], v[78:79], v[82:83]
	v_fma_f64 v[4:5], v[76:77], v[80:81], -v[4:5]
	v_add_f64 v[2:3], v[2:3], v[4:5]
	v_mul_f64 v[4:5], v[86:87], v[90:91]
	v_fma_f64 v[4:5], v[84:85], v[88:89], -v[4:5]
	v_add_f64 v[2:3], v[2:3], v[4:5]
	v_mul_f64 v[4:5], v[94:95], v[98:99]
	v_fma_f64 v[4:5], v[92:93], v[96:97], -v[4:5]
	v_add_f64 v[2:3], v[2:3], v[4:5]
	v_mul_f64 v[4:5], v[102:103], v[106:107]
	v_fma_f64 v[4:5], v[100:101], v[104:105], -v[4:5]
	v_add_f64 v[2:3], v[2:3], v[4:5]
	v_mul_f64 v[4:5], v[110:111], v[114:115]
	v_fma_f64 v[4:5], v[108:109], v[112:113], -v[4:5]
	v_add_f64 v[2:3], v[2:3], v[4:5]
	v_mul_f64 v[4:5], v[118:119], v[122:123]
	v_fma_f64 v[4:5], v[116:117], v[120:121], -v[4:5]
	v_add_f64 v[2:3], v[2:3], v[4:5]
	v_mul_f64 v[4:5], v[126:127], v[130:131]
	v_fma_f64 v[4:5], v[124:125], v[128:129], -v[4:5]
	v_add_f64 v[2:3], v[2:3], v[4:5]
	v_mul_f64 v[4:5], v[134:135], v[138:139]
	v_fma_f64 v[4:5], v[132:133], v[136:137], -v[4:5]
	v_add_f64 v[2:3], v[2:3], v[4:5]
	v_mul_f64 v[4:5], v[142:143], v[146:147]
	v_fma_f64 v[4:5], v[140:141], v[144:145], -v[4:5]
	v_add_f64 v[2:3], v[2:3], v[4:5]
	v_mul_f64 v[4:5], v[150:151], v[154:155]
	v_fma_f64 v[4:5], v[148:149], v[152:153], -v[4:5]
	v_add_f64 v[2:3], v[2:3], v[4:5]
	v_mul_f64 v[4:5], v[158:159], v[162:163]
	v_fma_f64 v[4:5], v[156:157], v[160:161], -v[4:5]
	v_add_f64 v[2:3], v[2:3], v[4:5]
	v_mul_f64 v[4:5], v[166:167], v[172:173]
	v_fma_f64 v[4:5], v[164:165], v[170:171], -v[4:5]
	v_add_f64 v[2:3], v[2:3], v[4:5]
	v_mul_f64 v[4:5], v[176:177], v[180:181]
	v_fma_f64 v[4:5], v[174:175], v[178:179], -v[4:5]
	v_add_f64 v[2:3], v[2:3], v[4:5]
	v_mul_f64 v[4:5], v[184:185], v[188:189]
	v_fma_f64 v[4:5], v[182:183], v[186:187], -v[4:5]
	v_add_f64 v[2:3], v[2:3], v[4:5]
	v_mul_f64 v[4:5], v[192:193], v[196:197]
	v_fma_f64 v[4:5], v[190:191], v[194:195], -v[4:5]
	v_add_f64 v[2:3], v[2:3], v[4:5]
	v_mul_f64 v[4:5], v[200:201], v[204:205]
	v_fma_f64 v[4:5], v[198:199], v[202:203], -v[4:5]
	v_add_f64 v[2:3], v[2:3], v[4:5]
	v_mul_f64 v[4:5], v[208:209], v[212:213]
	v_fma_f64 v[4:5], v[206:207], v[210:211], -v[4:5]
	v_add_f64 v[6:7], v[2:3], v[4:5]
	scratch_load_dwordx4 v[2:5], off, off offset:368
	s_waitcnt vmcnt(0)
	v_add_f64 v[2:3], v[2:3], -v[6:7]
	v_add_f64 v[4:5], v[4:5], -v[168:169]
	scratch_store_dwordx4 off, v[2:5], off offset:368
	s_and_saveexec_b64 s[0:1], vcc
	s_cbranch_execz .LBB48_265
; %bb.264:
	scratch_load_dwordx4 v[2:5], off, s47
	v_mov_b32_e32 v6, 0
	v_mov_b32_e32 v7, v6
	;; [unrolled: 1-line block ×4, first 2 shown]
	v_accvgpr_read_b32 v0, a99
	scratch_store_dwordx4 off, v[6:9], off offset:352
	s_waitcnt vmcnt(1)
	ds_write_b128 v0, v[2:5]
.LBB48_265:
	s_or_b64 exec, exec, s[0:1]
	v_mov_b32_e32 v2, 0
	s_waitcnt lgkmcnt(0)
	; wave barrier
	ds_read_b128 v[16:19], v2 offset:1136
	ds_read_b128 v[12:15], v2 offset:1152
	;; [unrolled: 1-line block ×4, first 2 shown]
	scratch_load_dwordx4 v[20:23], off, off offset:368
	scratch_load_dwordx4 v[40:43], off, off offset:432
	;; [unrolled: 1-line block ×21, first 2 shown]
	v_cmp_lt_u32_e32 vcc, 20, v240
	scratch_load_dwordx4 v[48:51], off, off offset:448
	scratch_load_dwordx4 v[56:59], off, off offset:464
	;; [unrolled: 1-line block ×3, first 2 shown]
	s_waitcnt vmcnt(23) lgkmcnt(3)
	v_mul_f64 v[24:25], v[16:17], v[22:23]
	v_fmac_f64_e32 v[24:25], v[18:19], v[20:21]
	v_add_f64 v[28:29], v[24:25], 0
	scratch_load_dwordx4 v[24:27], off, off offset:384
	v_mul_f64 v[18:19], v[18:19], v[22:23]
	v_fma_f64 v[16:17], v[16:17], v[20:21], -v[18:19]
	v_add_f64 v[16:17], v[16:17], 0
	s_waitcnt vmcnt(0) lgkmcnt(2)
	v_mul_f64 v[30:31], v[12:13], v[26:27]
	v_fmac_f64_e32 v[30:31], v[14:15], v[24:25]
	v_add_f64 v[32:33], v[28:29], v[30:31]
	scratch_load_dwordx4 v[28:31], off, off offset:400
	v_mul_f64 v[14:15], v[14:15], v[26:27]
	v_fma_f64 v[12:13], v[12:13], v[24:25], -v[14:15]
	v_add_f64 v[12:13], v[16:17], v[12:13]
	;; [unrolled: 8-line block ×3, first 2 shown]
	s_waitcnt vmcnt(0) lgkmcnt(0)
	v_mul_f64 v[38:39], v[4:5], v[34:35]
	v_fmac_f64_e32 v[38:39], v[6:7], v[32:33]
	v_add_f64 v[44:45], v[36:37], v[38:39]
	ds_read_b128 v[36:39], v2 offset:1200
	v_mul_f64 v[6:7], v[6:7], v[34:35]
	v_fma_f64 v[4:5], v[4:5], v[32:33], -v[6:7]
	v_add_f64 v[4:5], v[8:9], v[4:5]
	s_waitcnt lgkmcnt(0)
	v_mul_f64 v[46:47], v[36:37], v[42:43]
	v_fmac_f64_e32 v[46:47], v[38:39], v[40:41]
	v_add_f64 v[52:53], v[44:45], v[46:47]
	ds_read_b128 v[44:47], v2 offset:1216
	v_mul_f64 v[6:7], v[38:39], v[42:43]
	v_fma_f64 v[6:7], v[36:37], v[40:41], -v[6:7]
	v_add_f64 v[4:5], v[4:5], v[6:7]
	s_waitcnt lgkmcnt(0)
	;; [unrolled: 8-line block ×23, first 2 shown]
	v_mul_f64 v[6:7], v[216:217], v[220:221]
	v_fma_f64 v[6:7], v[214:215], v[218:219], -v[6:7]
	v_add_f64 v[8:9], v[4:5], v[6:7]
	scratch_load_dwordx4 v[4:7], off, off offset:352
	v_mul_f64 v[222:223], v[214:215], v[220:221]
	v_fmac_f64_e32 v[222:223], v[216:217], v[218:219]
	v_add_f64 v[160:161], v[160:161], v[222:223]
	s_waitcnt vmcnt(0)
	v_add_f64 v[4:5], v[4:5], -v[8:9]
	v_add_f64 v[6:7], v[6:7], -v[160:161]
	scratch_store_dwordx4 off, v[4:7], off offset:352
	s_and_saveexec_b64 s[0:1], vcc
	s_cbranch_execz .LBB48_267
; %bb.266:
	scratch_load_dwordx4 v[6:9], off, s46
	v_mov_b32_e32 v3, v2
	v_mov_b32_e32 v4, v2
	;; [unrolled: 1-line block ×3, first 2 shown]
	v_accvgpr_read_b32 v0, a99
	scratch_store_dwordx4 off, v[2:5], off offset:336
	s_waitcnt vmcnt(1)
	ds_write_b128 v0, v[6:9]
.LBB48_267:
	s_or_b64 exec, exec, s[0:1]
	s_waitcnt lgkmcnt(0)
	; wave barrier
	ds_read_b128 v[16:19], v2 offset:1120
	ds_read_b128 v[12:15], v2 offset:1136
	;; [unrolled: 1-line block ×4, first 2 shown]
	scratch_load_dwordx4 v[20:23], off, off offset:352
	scratch_load_dwordx4 v[40:43], off, off offset:416
	;; [unrolled: 1-line block ×22, first 2 shown]
	v_cmp_lt_u32_e32 vcc, 19, v240
	scratch_load_dwordx4 v[48:51], off, off offset:432
	scratch_load_dwordx4 v[56:59], off, off offset:448
	;; [unrolled: 1-line block ×3, first 2 shown]
	s_waitcnt vmcnt(24) lgkmcnt(3)
	v_mul_f64 v[24:25], v[16:17], v[22:23]
	v_fmac_f64_e32 v[24:25], v[18:19], v[20:21]
	v_add_f64 v[28:29], v[24:25], 0
	scratch_load_dwordx4 v[24:27], off, off offset:368
	s_waitcnt vmcnt(0) lgkmcnt(2)
	v_mul_f64 v[30:31], v[12:13], v[26:27]
	v_fmac_f64_e32 v[30:31], v[14:15], v[24:25]
	v_add_f64 v[32:33], v[28:29], v[30:31]
	scratch_load_dwordx4 v[28:31], off, off offset:384
	v_mul_f64 v[14:15], v[14:15], v[26:27]
	v_fma_f64 v[12:13], v[12:13], v[24:25], -v[14:15]
	s_waitcnt vmcnt(0) lgkmcnt(1)
	v_mul_f64 v[34:35], v[8:9], v[30:31]
	v_fmac_f64_e32 v[34:35], v[10:11], v[28:29]
	v_add_f64 v[36:37], v[32:33], v[34:35]
	scratch_load_dwordx4 v[32:35], off, off offset:400
	v_mul_f64 v[10:11], v[10:11], v[30:31]
	v_fma_f64 v[8:9], v[8:9], v[28:29], -v[10:11]
	s_waitcnt vmcnt(0) lgkmcnt(0)
	v_mul_f64 v[38:39], v[4:5], v[34:35]
	v_fmac_f64_e32 v[38:39], v[6:7], v[32:33]
	v_add_f64 v[44:45], v[36:37], v[38:39]
	ds_read_b128 v[36:39], v2 offset:1184
	v_mul_f64 v[6:7], v[6:7], v[34:35]
	v_fma_f64 v[4:5], v[4:5], v[32:33], -v[6:7]
	s_waitcnt lgkmcnt(0)
	v_mul_f64 v[46:47], v[36:37], v[42:43]
	v_fmac_f64_e32 v[46:47], v[38:39], v[40:41]
	v_add_f64 v[52:53], v[44:45], v[46:47]
	ds_read_b128 v[44:47], v2 offset:1200
	s_waitcnt lgkmcnt(0)
	v_mul_f64 v[54:55], v[44:45], v[50:51]
	v_fmac_f64_e32 v[54:55], v[46:47], v[48:49]
	v_add_f64 v[60:61], v[52:53], v[54:55]
	ds_read_b128 v[52:55], v2 offset:1216
	;; [unrolled: 5-line block ×23, first 2 shown]
	s_waitcnt lgkmcnt(0)
	v_mul_f64 v[2:3], v[222:223], v[228:229]
	v_fmac_f64_e32 v[2:3], v[224:225], v[226:227]
	v_add_f64 v[176:177], v[176:177], v[2:3]
	v_mul_f64 v[2:3], v[18:19], v[22:23]
	v_fma_f64 v[2:3], v[16:17], v[20:21], -v[2:3]
	v_add_f64 v[2:3], v[2:3], 0
	v_add_f64 v[2:3], v[2:3], v[12:13]
	;; [unrolled: 1-line block ×4, first 2 shown]
	v_mul_f64 v[4:5], v[38:39], v[42:43]
	v_fma_f64 v[4:5], v[36:37], v[40:41], -v[4:5]
	v_add_f64 v[2:3], v[2:3], v[4:5]
	v_mul_f64 v[4:5], v[46:47], v[50:51]
	v_fma_f64 v[4:5], v[44:45], v[48:49], -v[4:5]
	v_add_f64 v[2:3], v[2:3], v[4:5]
	;; [unrolled: 3-line block ×24, first 2 shown]
	scratch_load_dwordx4 v[2:5], off, off offset:336
	s_waitcnt vmcnt(0)
	v_add_f64 v[2:3], v[2:3], -v[6:7]
	v_add_f64 v[4:5], v[4:5], -v[176:177]
	scratch_store_dwordx4 off, v[2:5], off offset:336
	s_and_saveexec_b64 s[0:1], vcc
	s_cbranch_execz .LBB48_269
; %bb.268:
	scratch_load_dwordx4 v[2:5], off, s45
	v_mov_b32_e32 v6, 0
	v_mov_b32_e32 v7, v6
	;; [unrolled: 1-line block ×4, first 2 shown]
	v_accvgpr_read_b32 v0, a99
	scratch_store_dwordx4 off, v[6:9], off offset:320
	s_waitcnt vmcnt(1)
	ds_write_b128 v0, v[2:5]
.LBB48_269:
	s_or_b64 exec, exec, s[0:1]
	v_mov_b32_e32 v2, 0
	s_waitcnt lgkmcnt(0)
	; wave barrier
	ds_read_b128 v[16:19], v2 offset:1104
	ds_read_b128 v[12:15], v2 offset:1120
	;; [unrolled: 1-line block ×4, first 2 shown]
	scratch_load_dwordx4 v[20:23], off, off offset:336
	scratch_load_dwordx4 v[40:43], off, off offset:400
	;; [unrolled: 1-line block ×23, first 2 shown]
	v_cmp_lt_u32_e32 vcc, 18, v240
	scratch_load_dwordx4 v[48:51], off, off offset:416
	scratch_load_dwordx4 v[56:59], off, off offset:432
	;; [unrolled: 1-line block ×3, first 2 shown]
	s_waitcnt vmcnt(25) lgkmcnt(3)
	v_mul_f64 v[24:25], v[16:17], v[22:23]
	v_fmac_f64_e32 v[24:25], v[18:19], v[20:21]
	v_add_f64 v[28:29], v[24:25], 0
	scratch_load_dwordx4 v[24:27], off, off offset:352
	v_mul_f64 v[18:19], v[18:19], v[22:23]
	v_fma_f64 v[16:17], v[16:17], v[20:21], -v[18:19]
	v_add_f64 v[16:17], v[16:17], 0
	s_waitcnt vmcnt(0) lgkmcnt(2)
	v_mul_f64 v[30:31], v[12:13], v[26:27]
	v_fmac_f64_e32 v[30:31], v[14:15], v[24:25]
	v_add_f64 v[32:33], v[28:29], v[30:31]
	scratch_load_dwordx4 v[28:31], off, off offset:368
	v_mul_f64 v[14:15], v[14:15], v[26:27]
	v_fma_f64 v[12:13], v[12:13], v[24:25], -v[14:15]
	v_add_f64 v[12:13], v[16:17], v[12:13]
	;; [unrolled: 8-line block ×3, first 2 shown]
	s_waitcnt vmcnt(0) lgkmcnt(0)
	v_mul_f64 v[38:39], v[4:5], v[34:35]
	v_fmac_f64_e32 v[38:39], v[6:7], v[32:33]
	v_add_f64 v[44:45], v[36:37], v[38:39]
	ds_read_b128 v[36:39], v2 offset:1168
	v_mul_f64 v[6:7], v[6:7], v[34:35]
	v_fma_f64 v[4:5], v[4:5], v[32:33], -v[6:7]
	v_add_f64 v[4:5], v[8:9], v[4:5]
	s_waitcnt lgkmcnt(0)
	v_mul_f64 v[46:47], v[36:37], v[42:43]
	v_fmac_f64_e32 v[46:47], v[38:39], v[40:41]
	v_add_f64 v[52:53], v[44:45], v[46:47]
	ds_read_b128 v[44:47], v2 offset:1184
	v_mul_f64 v[6:7], v[38:39], v[42:43]
	v_fma_f64 v[6:7], v[36:37], v[40:41], -v[6:7]
	v_add_f64 v[4:5], v[4:5], v[6:7]
	s_waitcnt lgkmcnt(0)
	;; [unrolled: 8-line block ×25, first 2 shown]
	v_mul_f64 v[6:7], v[232:233], v[236:237]
	v_fma_f64 v[6:7], v[230:231], v[234:235], -v[6:7]
	v_add_f64 v[8:9], v[4:5], v[6:7]
	scratch_load_dwordx4 v[4:7], off, off offset:320
	v_mul_f64 v[238:239], v[230:231], v[236:237]
	v_fmac_f64_e32 v[238:239], v[232:233], v[234:235]
	v_add_f64 v[176:177], v[176:177], v[238:239]
	s_waitcnt vmcnt(0)
	v_add_f64 v[4:5], v[4:5], -v[8:9]
	v_add_f64 v[6:7], v[6:7], -v[176:177]
	scratch_store_dwordx4 off, v[4:7], off offset:320
	s_and_saveexec_b64 s[0:1], vcc
	s_cbranch_execz .LBB48_271
; %bb.270:
	scratch_load_dwordx4 v[6:9], off, s44
	v_mov_b32_e32 v3, v2
	v_mov_b32_e32 v4, v2
	;; [unrolled: 1-line block ×3, first 2 shown]
	v_accvgpr_read_b32 v0, a99
	scratch_store_dwordx4 off, v[2:5], off offset:304
	s_waitcnt vmcnt(1)
	ds_write_b128 v0, v[6:9]
.LBB48_271:
	s_or_b64 exec, exec, s[0:1]
	s_waitcnt lgkmcnt(0)
	; wave barrier
	ds_read_b128 v[16:19], v2 offset:1088
	ds_read_b128 v[12:15], v2 offset:1104
	;; [unrolled: 1-line block ×4, first 2 shown]
	scratch_load_dwordx4 v[20:23], off, off offset:320
	scratch_load_dwordx4 v[40:43], off, off offset:384
	;; [unrolled: 1-line block ×24, first 2 shown]
	v_cmp_lt_u32_e32 vcc, 17, v240
	scratch_load_dwordx4 v[48:51], off, off offset:400
	scratch_load_dwordx4 v[56:59], off, off offset:416
	;; [unrolled: 1-line block ×3, first 2 shown]
	ds_read_b128 v[242:245], v2 offset:1552
	s_waitcnt vmcnt(26) lgkmcnt(4)
	v_mul_f64 v[24:25], v[16:17], v[22:23]
	v_fmac_f64_e32 v[24:25], v[18:19], v[20:21]
	v_add_f64 v[28:29], v[24:25], 0
	scratch_load_dwordx4 v[24:27], off, off offset:336
	s_waitcnt vmcnt(0) lgkmcnt(3)
	v_mul_f64 v[30:31], v[12:13], v[26:27]
	v_fmac_f64_e32 v[30:31], v[14:15], v[24:25]
	v_add_f64 v[32:33], v[28:29], v[30:31]
	scratch_load_dwordx4 v[28:31], off, off offset:352
	v_mul_f64 v[14:15], v[14:15], v[26:27]
	v_fma_f64 v[12:13], v[12:13], v[24:25], -v[14:15]
	s_waitcnt vmcnt(0) lgkmcnt(2)
	v_mul_f64 v[34:35], v[8:9], v[30:31]
	v_fmac_f64_e32 v[34:35], v[10:11], v[28:29]
	v_add_f64 v[36:37], v[32:33], v[34:35]
	scratch_load_dwordx4 v[32:35], off, off offset:368
	v_mul_f64 v[10:11], v[10:11], v[30:31]
	v_fma_f64 v[8:9], v[8:9], v[28:29], -v[10:11]
	s_waitcnt vmcnt(0) lgkmcnt(1)
	v_mul_f64 v[38:39], v[4:5], v[34:35]
	v_fmac_f64_e32 v[38:39], v[6:7], v[32:33]
	v_add_f64 v[44:45], v[36:37], v[38:39]
	ds_read_b128 v[36:39], v2 offset:1152
	v_mul_f64 v[6:7], v[6:7], v[34:35]
	v_fma_f64 v[4:5], v[4:5], v[32:33], -v[6:7]
	s_waitcnt lgkmcnt(0)
	v_mul_f64 v[46:47], v[36:37], v[42:43]
	v_fmac_f64_e32 v[46:47], v[38:39], v[40:41]
	v_add_f64 v[52:53], v[44:45], v[46:47]
	ds_read_b128 v[44:47], v2 offset:1168
	s_waitcnt lgkmcnt(0)
	v_mul_f64 v[54:55], v[44:45], v[50:51]
	v_fmac_f64_e32 v[54:55], v[46:47], v[48:49]
	v_add_f64 v[60:61], v[52:53], v[54:55]
	ds_read_b128 v[52:55], v2 offset:1184
	;; [unrolled: 5-line block ×24, first 2 shown]
	v_mul_f64 v[2:3], v[242:243], v[248:249]
	v_fmac_f64_e32 v[2:3], v[244:245], v[246:247]
	s_waitcnt lgkmcnt(0)
	v_mul_f64 v[238:239], v[230:231], v[236:237]
	v_fmac_f64_e32 v[238:239], v[232:233], v[234:235]
	v_add_f64 v[184:185], v[184:185], v[238:239]
	v_add_f64 v[184:185], v[184:185], v[2:3]
	v_mul_f64 v[2:3], v[18:19], v[22:23]
	v_fma_f64 v[2:3], v[16:17], v[20:21], -v[2:3]
	v_add_f64 v[2:3], v[2:3], 0
	v_add_f64 v[2:3], v[2:3], v[12:13]
	;; [unrolled: 1-line block ×4, first 2 shown]
	v_mul_f64 v[4:5], v[38:39], v[42:43]
	v_fma_f64 v[4:5], v[36:37], v[40:41], -v[4:5]
	v_add_f64 v[2:3], v[2:3], v[4:5]
	v_mul_f64 v[4:5], v[46:47], v[50:51]
	v_fma_f64 v[4:5], v[44:45], v[48:49], -v[4:5]
	v_add_f64 v[2:3], v[2:3], v[4:5]
	;; [unrolled: 3-line block ×26, first 2 shown]
	scratch_load_dwordx4 v[2:5], off, off offset:304
	s_waitcnt vmcnt(0)
	v_add_f64 v[2:3], v[2:3], -v[6:7]
	v_add_f64 v[4:5], v[4:5], -v[184:185]
	scratch_store_dwordx4 off, v[2:5], off offset:304
	s_and_saveexec_b64 s[0:1], vcc
	s_cbranch_execz .LBB48_273
; %bb.272:
	scratch_load_dwordx4 v[2:5], off, s43
	v_mov_b32_e32 v6, 0
	v_mov_b32_e32 v7, v6
	;; [unrolled: 1-line block ×4, first 2 shown]
	v_accvgpr_read_b32 v0, a99
	scratch_store_dwordx4 off, v[6:9], off offset:288
	s_waitcnt vmcnt(1)
	ds_write_b128 v0, v[2:5]
.LBB48_273:
	s_or_b64 exec, exec, s[0:1]
	s_waitcnt lgkmcnt(0)
	; wave barrier
	scratch_load_dwordx4 v[16:19], off, off offset:304
	scratch_load_dwordx4 v[12:15], off, off offset:320
	;; [unrolled: 1-line block ×32, first 2 shown]
	v_mov_b32_e32 v2, 0
	ds_read_b128 v[132:135], v2 offset:1072
	ds_read_b128 v[136:139], v2 offset:1088
	;; [unrolled: 1-line block ×17, first 2 shown]
	v_cmp_lt_u32_e32 vcc, 16, v240
	s_waitcnt vmcnt(31) lgkmcnt(14)
	v_mul_f64 v[200:201], v[132:133], v[18:19]
	s_waitcnt vmcnt(30)
	v_mul_f64 v[202:203], v[136:137], v[14:15]
	v_fmac_f64_e32 v[200:201], v[134:135], v[16:17]
	s_waitcnt vmcnt(29)
	v_mul_f64 v[204:205], v[140:141], v[10:11]
	v_fmac_f64_e32 v[202:203], v[138:139], v[12:13]
	v_add_f64 v[200:201], v[200:201], 0
	s_waitcnt vmcnt(28) lgkmcnt(13)
	v_mul_f64 v[206:207], v[144:145], v[6:7]
	v_fmac_f64_e32 v[204:205], v[142:143], v[8:9]
	v_add_f64 v[200:201], v[200:201], v[202:203]
	s_waitcnt vmcnt(27) lgkmcnt(12)
	;; [unrolled: 4-line block ×12, first 2 shown]
	v_mul_f64 v[228:229], v[188:189], v[62:63]
	v_fmac_f64_e32 v[226:227], v[186:187], v[56:57]
	v_add_f64 v[200:201], v[200:201], v[224:225]
	v_fmac_f64_e32 v[228:229], v[190:191], v[60:61]
	v_add_f64 v[200:201], v[200:201], v[226:227]
	s_waitcnt vmcnt(16) lgkmcnt(1)
	v_mul_f64 v[202:203], v[192:193], v[66:67]
	v_add_f64 v[200:201], v[200:201], v[228:229]
	v_fmac_f64_e32 v[202:203], v[194:195], v[64:65]
	s_waitcnt vmcnt(15) lgkmcnt(0)
	v_mul_f64 v[206:207], v[196:197], v[70:71]
	v_add_f64 v[204:205], v[200:201], v[202:203]
	ds_read_b128 v[200:203], v2 offset:1344
	v_fmac_f64_e32 v[206:207], v[198:199], v[68:69]
	v_add_f64 v[208:209], v[204:205], v[206:207]
	ds_read_b128 v[204:207], v2 offset:1360
	v_mul_f64 v[18:19], v[134:135], v[18:19]
	s_waitcnt vmcnt(14) lgkmcnt(1)
	v_mul_f64 v[210:211], v[200:201], v[74:75]
	v_fmac_f64_e32 v[210:211], v[202:203], v[72:73]
	v_add_f64 v[212:213], v[208:209], v[210:211]
	s_waitcnt vmcnt(13) lgkmcnt(0)
	v_mul_f64 v[214:215], v[204:205], v[78:79]
	ds_read_b128 v[208:211], v2 offset:1376
	v_fmac_f64_e32 v[214:215], v[206:207], v[76:77]
	v_add_f64 v[216:217], v[212:213], v[214:215]
	ds_read_b128 v[212:215], v2 offset:1392
	v_fma_f64 v[244:245], v[132:133], v[16:17], -v[18:19]
	s_waitcnt vmcnt(12) lgkmcnt(1)
	v_mul_f64 v[218:219], v[208:209], v[82:83]
	v_fmac_f64_e32 v[218:219], v[210:211], v[80:81]
	v_add_f64 v[220:221], v[216:217], v[218:219]
	s_waitcnt vmcnt(11) lgkmcnt(0)
	v_mul_f64 v[222:223], v[212:213], v[86:87]
	ds_read_b128 v[216:219], v2 offset:1408
	v_fmac_f64_e32 v[222:223], v[214:215], v[84:85]
	v_add_f64 v[224:225], v[220:221], v[222:223]
	ds_read_b128 v[220:223], v2 offset:1424
	ds_read_b128 v[16:19], v2 offset:1504
	s_waitcnt vmcnt(10) lgkmcnt(2)
	v_mul_f64 v[226:227], v[216:217], v[90:91]
	v_fmac_f64_e32 v[226:227], v[218:219], v[88:89]
	v_add_f64 v[228:229], v[224:225], v[226:227]
	s_waitcnt vmcnt(9) lgkmcnt(1)
	v_mul_f64 v[230:231], v[220:221], v[94:95]
	ds_read_b128 v[224:227], v2 offset:1440
	v_fmac_f64_e32 v[230:231], v[222:223], v[92:93]
	v_add_f64 v[232:233], v[228:229], v[230:231]
	ds_read_b128 v[228:231], v2 offset:1456
	v_mul_f64 v[14:15], v[138:139], v[14:15]
	s_waitcnt vmcnt(8) lgkmcnt(1)
	v_mul_f64 v[234:235], v[224:225], v[98:99]
	v_fmac_f64_e32 v[234:235], v[226:227], v[96:97]
	v_add_f64 v[236:237], v[232:233], v[234:235]
	s_waitcnt vmcnt(7) lgkmcnt(0)
	v_mul_f64 v[238:239], v[228:229], v[102:103]
	ds_read_b128 v[232:235], v2 offset:1472
	v_fmac_f64_e32 v[238:239], v[230:231], v[100:101]
	v_add_f64 v[242:243], v[236:237], v[238:239]
	ds_read_b128 v[236:239], v2 offset:1488
	v_fma_f64 v[136:137], v[136:137], v[12:13], -v[14:15]
	s_waitcnt vmcnt(6) lgkmcnt(1)
	v_mul_f64 v[132:133], v[232:233], v[106:107]
	v_fmac_f64_e32 v[132:133], v[234:235], v[104:105]
	v_add_f64 v[132:133], v[242:243], v[132:133]
	s_waitcnt vmcnt(5) lgkmcnt(0)
	v_mul_f64 v[134:135], v[236:237], v[110:111]
	v_fmac_f64_e32 v[134:135], v[238:239], v[108:109]
	v_add_f64 v[132:133], v[132:133], v[134:135]
	ds_read_b128 v[12:15], v2 offset:1520
	s_waitcnt vmcnt(4)
	v_mul_f64 v[134:135], v[16:17], v[114:115]
	v_fmac_f64_e32 v[134:135], v[18:19], v[112:113]
	v_add_f64 v[138:139], v[132:133], v[134:135]
	ds_read_b128 v[132:135], v2 offset:1536
	v_mul_f64 v[10:11], v[142:143], v[10:11]
	v_fma_f64 v[140:141], v[140:141], v[8:9], -v[10:11]
	ds_read_b128 v[8:11], v2 offset:1552
	s_waitcnt vmcnt(3) lgkmcnt(2)
	v_mul_f64 v[142:143], v[12:13], v[118:119]
	v_fmac_f64_e32 v[142:143], v[14:15], v[116:117]
	v_add_f64 v[138:139], v[138:139], v[142:143]
	s_waitcnt vmcnt(2) lgkmcnt(1)
	v_mul_f64 v[142:143], v[132:133], v[122:123]
	v_fmac_f64_e32 v[142:143], v[134:135], v[120:121]
	v_add_f64 v[138:139], v[138:139], v[142:143]
	;; [unrolled: 4-line block ×3, first 2 shown]
	v_add_f64 v[142:143], v[244:245], 0
	v_add_f64 v[136:137], v[142:143], v[136:137]
	v_mul_f64 v[6:7], v[146:147], v[6:7]
	v_add_f64 v[136:137], v[136:137], v[140:141]
	v_fma_f64 v[4:5], v[144:145], v[4:5], -v[6:7]
	v_mul_f64 v[6:7], v[150:151], v[22:23]
	v_add_f64 v[4:5], v[136:137], v[4:5]
	v_fma_f64 v[6:7], v[148:149], v[20:21], -v[6:7]
	v_add_f64 v[4:5], v[4:5], v[6:7]
	v_mul_f64 v[6:7], v[154:155], v[26:27]
	v_fma_f64 v[6:7], v[152:153], v[24:25], -v[6:7]
	v_add_f64 v[4:5], v[4:5], v[6:7]
	v_mul_f64 v[6:7], v[158:159], v[30:31]
	;; [unrolled: 3-line block ×26, first 2 shown]
	v_fma_f64 v[6:7], v[8:9], v[124:125], -v[6:7]
	v_add_f64 v[4:5], v[4:5], v[6:7]
	s_waitcnt vmcnt(0)
	v_add_f64 v[4:5], v[128:129], -v[4:5]
	v_add_f64 v[6:7], v[130:131], -v[138:139]
	scratch_store_dwordx4 off, v[4:7], off offset:288
	s_and_saveexec_b64 s[0:1], vcc
	s_cbranch_execz .LBB48_275
; %bb.274:
	scratch_load_dwordx4 v[6:9], off, s42
	v_mov_b32_e32 v3, v2
	v_mov_b32_e32 v4, v2
	v_mov_b32_e32 v5, v2
	v_accvgpr_read_b32 v0, a99
	scratch_store_dwordx4 off, v[2:5], off offset:272
	s_waitcnt vmcnt(1)
	ds_write_b128 v0, v[6:9]
.LBB48_275:
	s_or_b64 exec, exec, s[0:1]
	s_waitcnt lgkmcnt(0)
	; wave barrier
	scratch_load_dwordx4 v[140:143], off, off offset:288
	scratch_load_dwordx4 v[148:151], off, off offset:304
	;; [unrolled: 1-line block ×16, first 2 shown]
	ds_read_b128 v[188:191], v2 offset:1056
	ds_read_b128 v[184:187], v2 offset:1072
	scratch_load_dwordx4 v[56:59], off, off offset:544
	ds_read_b128 v[192:195], v2 offset:1088
	ds_read_b128 v[68:71], v2 offset:1104
	scratch_load_dwordx4 v[60:63], off, off offset:560
	ds_read_b128 v[88:91], v2 offset:1120
	ds_read_b128 v[84:87], v2 offset:1136
	;; [unrolled: 1-line block ×4, first 2 shown]
	scratch_load_dwordx4 v[64:67], off, off offset:576
	ds_read_b128 v[100:103], v2 offset:1184
	ds_read_b128 v[96:99], v2 offset:1200
	scratch_load_dwordx4 v[72:75], off, off offset:592
	ds_read_b128 v[116:119], v2 offset:1216
	ds_read_b128 v[112:115], v2 offset:1232
	;; [unrolled: 1-line block ×4, first 2 shown]
	scratch_load_dwordx4 v[92:95], off, off offset:608
	ds_read_b128 v[132:135], v2 offset:1280
	ds_read_b128 v[128:131], v2 offset:1296
	;; [unrolled: 1-line block ×3, first 2 shown]
	scratch_load_dwordx4 v[120:123], off, off offset:624
	scratch_load_dwordx4 v[136:139], off, off offset:640
	;; [unrolled: 1-line block ×11, first 2 shown]
	v_cmp_lt_u32_e32 vcc, 15, v240
	s_waitcnt vmcnt(31) lgkmcnt(14)
	v_mul_f64 v[200:201], v[188:189], v[142:143]
	s_waitcnt vmcnt(30)
	v_mul_f64 v[202:203], v[184:185], v[150:151]
	v_fmac_f64_e32 v[200:201], v[190:191], v[140:141]
	s_waitcnt vmcnt(29)
	v_mul_f64 v[204:205], v[192:193], v[154:155]
	v_fmac_f64_e32 v[202:203], v[186:187], v[148:149]
	v_add_f64 v[200:201], v[200:201], 0
	s_waitcnt vmcnt(28) lgkmcnt(13)
	v_mul_f64 v[206:207], v[68:69], v[6:7]
	v_fmac_f64_e32 v[204:205], v[194:195], v[152:153]
	v_add_f64 v[200:201], v[200:201], v[202:203]
	s_waitcnt vmcnt(27) lgkmcnt(12)
	;; [unrolled: 4-line block ×13, first 2 shown]
	v_mul_f64 v[230:231], v[128:129], v[54:55]
	v_fmac_f64_e32 v[228:229], v[134:135], v[48:49]
	v_add_f64 v[200:201], v[200:201], v[226:227]
	v_add_f64 v[200:201], v[200:201], v[228:229]
	v_fmac_f64_e32 v[230:231], v[130:131], v[52:53]
	v_add_f64 v[204:205], v[200:201], v[230:231]
	ds_read_b128 v[200:203], v2 offset:1328
	s_waitcnt vmcnt(15) lgkmcnt(1)
	v_mul_f64 v[206:207], v[124:125], v[58:59]
	v_fmac_f64_e32 v[206:207], v[126:127], v[56:57]
	v_add_f64 v[208:209], v[204:205], v[206:207]
	ds_read_b128 v[204:207], v2 offset:1344
	s_waitcnt vmcnt(14) lgkmcnt(1)
	v_mul_f64 v[210:211], v[200:201], v[62:63]
	;; [unrolled: 5-line block ×10, first 2 shown]
	v_fmac_f64_e32 v[244:245], v[234:235], v[160:161]
	v_mul_f64 v[142:143], v[190:191], v[142:143]
	v_add_f64 v[244:245], v[242:243], v[244:245]
	v_fma_f64 v[242:243], v[188:189], v[140:141], -v[142:143]
	ds_read_b128 v[140:143], v2 offset:1488
	s_waitcnt vmcnt(5) lgkmcnt(1)
	v_mul_f64 v[188:189], v[236:237], v[166:167]
	v_fmac_f64_e32 v[188:189], v[238:239], v[164:165]
	v_mul_f64 v[150:151], v[186:187], v[150:151]
	v_add_f64 v[188:189], v[244:245], v[188:189]
	v_fma_f64 v[244:245], v[184:185], v[148:149], -v[150:151]
	ds_read_b128 v[148:151], v2 offset:1504
	s_waitcnt vmcnt(4) lgkmcnt(1)
	v_mul_f64 v[184:185], v[140:141], v[170:171]
	v_fmac_f64_e32 v[184:185], v[142:143], v[168:169]
	v_add_f64 v[188:189], v[188:189], v[184:185]
	ds_read_b128 v[184:187], v2 offset:1520
	v_mul_f64 v[154:155], v[194:195], v[154:155]
	s_waitcnt vmcnt(3) lgkmcnt(1)
	v_mul_f64 v[190:191], v[148:149], v[174:175]
	v_fma_f64 v[248:249], v[192:193], v[152:153], -v[154:155]
	ds_read_b128 v[152:155], v2 offset:1536
	v_fmac_f64_e32 v[190:191], v[150:151], v[172:173]
	v_add_f64 v[246:247], v[188:189], v[190:191]
	ds_read_b128 v[188:191], v2 offset:1552
	s_waitcnt vmcnt(2) lgkmcnt(2)
	v_mul_f64 v[192:193], v[184:185], v[178:179]
	v_fmac_f64_e32 v[192:193], v[186:187], v[176:177]
	v_add_f64 v[2:3], v[246:247], v[192:193]
	s_waitcnt vmcnt(1) lgkmcnt(1)
	v_mul_f64 v[192:193], v[152:153], v[182:183]
	v_fmac_f64_e32 v[192:193], v[154:155], v[180:181]
	v_add_f64 v[2:3], v[2:3], v[192:193]
	;; [unrolled: 4-line block ×3, first 2 shown]
	scratch_load_dwordx4 v[192:195], off, off offset:272
	v_add_f64 v[242:243], v[242:243], 0
	v_add_f64 v[242:243], v[242:243], v[244:245]
	v_mul_f64 v[6:7], v[70:71], v[6:7]
	v_add_f64 v[242:243], v[242:243], v[248:249]
	v_fma_f64 v[4:5], v[68:69], v[4:5], -v[6:7]
	v_mul_f64 v[6:7], v[90:91], v[10:11]
	v_add_f64 v[4:5], v[242:243], v[4:5]
	v_fma_f64 v[6:7], v[88:89], v[8:9], -v[6:7]
	v_add_f64 v[4:5], v[4:5], v[6:7]
	v_mul_f64 v[6:7], v[86:87], v[14:15]
	v_fma_f64 v[6:7], v[84:85], v[12:13], -v[6:7]
	v_add_f64 v[4:5], v[4:5], v[6:7]
	v_mul_f64 v[6:7], v[82:83], v[18:19]
	;; [unrolled: 3-line block ×27, first 2 shown]
	v_fma_f64 v[6:7], v[188:189], v[196:197], -v[6:7]
	v_add_f64 v[4:5], v[4:5], v[6:7]
	s_waitcnt vmcnt(0)
	v_add_f64 v[4:5], v[192:193], -v[4:5]
	v_add_f64 v[6:7], v[194:195], -v[2:3]
	scratch_store_dwordx4 off, v[4:7], off offset:272
	s_and_saveexec_b64 s[0:1], vcc
	s_cbranch_execz .LBB48_277
; %bb.276:
	scratch_load_dwordx4 v[2:5], off, s41
	v_mov_b32_e32 v6, 0
	v_mov_b32_e32 v7, v6
	;; [unrolled: 1-line block ×4, first 2 shown]
	v_accvgpr_read_b32 v0, a99
	scratch_store_dwordx4 off, v[6:9], off offset:256
	s_waitcnt vmcnt(1)
	ds_write_b128 v0, v[2:5]
.LBB48_277:
	s_or_b64 exec, exec, s[0:1]
	s_waitcnt lgkmcnt(0)
	; wave barrier
	scratch_load_dwordx4 v[108:111], off, off offset:272
	scratch_load_dwordx4 v[116:119], off, off offset:288
	;; [unrolled: 1-line block ×33, first 2 shown]
	v_mov_b32_e32 v2, 0
	ds_read_b128 v[220:223], v2 offset:1040
	ds_read_b128 v[224:227], v2 offset:1056
	;; [unrolled: 1-line block ×16, first 2 shown]
	v_cmp_lt_u32_e32 vcc, 14, v240
	s_waitcnt vmcnt(32) lgkmcnt(14)
	v_mul_f64 v[180:181], v[220:221], v[110:111]
	s_waitcnt vmcnt(31)
	v_mul_f64 v[182:183], v[224:225], v[118:119]
	v_fmac_f64_e32 v[180:181], v[222:223], v[108:109]
	s_waitcnt vmcnt(30) lgkmcnt(13)
	v_mul_f64 v[184:185], v[234:235], v[122:123]
	v_fmac_f64_e32 v[182:183], v[226:227], v[116:117]
	v_add_f64 v[180:181], v[180:181], 0
	s_waitcnt vmcnt(29) lgkmcnt(12)
	v_mul_f64 v[186:187], v[242:243], v[126:127]
	v_fmac_f64_e32 v[184:185], v[236:237], v[120:121]
	v_add_f64 v[180:181], v[180:181], v[182:183]
	;; [unrolled: 4-line block ×13, first 2 shown]
	v_fmac_f64_e32 v[208:209], v[142:143], v[40:41]
	v_add_f64 v[180:181], v[180:181], v[206:207]
	v_add_f64 v[184:185], v[180:181], v[208:209]
	ds_read_b128 v[180:183], v2 offset:1296
	s_waitcnt vmcnt(17) lgkmcnt(1)
	v_mul_f64 v[186:187], v[136:137], v[46:47]
	v_fmac_f64_e32 v[186:187], v[138:139], v[44:45]
	v_add_f64 v[188:189], v[184:185], v[186:187]
	ds_read_b128 v[184:187], v2 offset:1312
	s_waitcnt vmcnt(16) lgkmcnt(1)
	v_mul_f64 v[190:191], v[180:181], v[50:51]
	v_fmac_f64_e32 v[190:191], v[182:183], v[48:49]
	;; [unrolled: 5-line block ×10, first 2 shown]
	v_mul_f64 v[110:111], v[222:223], v[110:111]
	v_add_f64 v[228:229], v[228:229], v[230:231]
	v_fma_f64 v[230:231], v[220:221], v[108:109], -v[110:111]
	ds_read_b128 v[108:111], v2 offset:1456
	s_waitcnt vmcnt(7) lgkmcnt(1)
	v_mul_f64 v[220:221], v[216:217], v[86:87]
	v_mul_f64 v[118:119], v[226:227], v[118:119]
	v_fmac_f64_e32 v[220:221], v[218:219], v[84:85]
	v_fma_f64 v[232:233], v[224:225], v[116:117], -v[118:119]
	ds_read_b128 v[116:119], v2 offset:1472
	s_waitcnt vmcnt(6) lgkmcnt(1)
	v_mul_f64 v[222:223], v[108:109], v[90:91]
	v_add_f64 v[220:221], v[228:229], v[220:221]
	v_fmac_f64_e32 v[222:223], v[110:111], v[88:89]
	v_add_f64 v[224:225], v[220:221], v[222:223]
	ds_read_b128 v[220:223], v2 offset:1488
	v_mul_f64 v[122:123], v[236:237], v[122:123]
	v_fma_f64 v[234:235], v[234:235], v[120:121], -v[122:123]
	ds_read_b128 v[120:123], v2 offset:1504
	s_waitcnt vmcnt(5) lgkmcnt(2)
	v_mul_f64 v[226:227], v[116:117], v[94:95]
	v_fmac_f64_e32 v[226:227], v[118:119], v[92:93]
	v_mul_f64 v[126:127], v[244:245], v[126:127]
	v_add_f64 v[224:225], v[224:225], v[226:227]
	s_waitcnt vmcnt(4) lgkmcnt(1)
	v_mul_f64 v[226:227], v[220:221], v[98:99]
	v_fma_f64 v[236:237], v[242:243], v[124:125], -v[126:127]
	ds_read_b128 v[124:127], v2 offset:1520
	v_fmac_f64_e32 v[226:227], v[222:223], v[96:97]
	v_add_f64 v[228:229], v[224:225], v[226:227]
	s_waitcnt vmcnt(3) lgkmcnt(1)
	v_mul_f64 v[238:239], v[120:121], v[102:103]
	ds_read_b128 v[224:227], v2 offset:1536
	v_fmac_f64_e32 v[238:239], v[122:123], v[100:101]
	v_mul_f64 v[130:131], v[248:249], v[130:131]
	v_add_f64 v[228:229], v[228:229], v[238:239]
	v_fma_f64 v[238:239], v[246:247], v[128:129], -v[130:131]
	ds_read_b128 v[128:131], v2 offset:1552
	s_waitcnt vmcnt(2) lgkmcnt(2)
	v_mul_f64 v[242:243], v[124:125], v[106:107]
	v_fmac_f64_e32 v[242:243], v[126:127], v[104:105]
	v_add_f64 v[228:229], v[228:229], v[242:243]
	s_waitcnt vmcnt(1) lgkmcnt(1)
	v_mul_f64 v[242:243], v[224:225], v[114:115]
	v_fmac_f64_e32 v[242:243], v[226:227], v[112:113]
	v_add_f64 v[228:229], v[228:229], v[242:243]
	;; [unrolled: 4-line block ×3, first 2 shown]
	scratch_load_dwordx4 v[242:245], off, off offset:256
	v_add_f64 v[230:231], v[230:231], 0
	v_add_f64 v[230:231], v[230:231], v[232:233]
	;; [unrolled: 1-line block ×4, first 2 shown]
	v_mul_f64 v[6:7], v[178:179], v[6:7]
	v_add_f64 v[230:231], v[230:231], v[238:239]
	v_fma_f64 v[4:5], v[176:177], v[4:5], -v[6:7]
	v_mul_f64 v[6:7], v[174:175], v[10:11]
	v_add_f64 v[4:5], v[230:231], v[4:5]
	v_fma_f64 v[6:7], v[172:173], v[8:9], -v[6:7]
	v_add_f64 v[4:5], v[4:5], v[6:7]
	v_mul_f64 v[6:7], v[170:171], v[14:15]
	v_fma_f64 v[6:7], v[168:169], v[12:13], -v[6:7]
	v_add_f64 v[4:5], v[4:5], v[6:7]
	v_mul_f64 v[6:7], v[166:167], v[18:19]
	;; [unrolled: 3-line block ×26, first 2 shown]
	v_fma_f64 v[6:7], v[128:129], v[132:133], -v[6:7]
	v_add_f64 v[4:5], v[4:5], v[6:7]
	s_waitcnt vmcnt(0)
	v_add_f64 v[4:5], v[242:243], -v[4:5]
	v_add_f64 v[6:7], v[244:245], -v[228:229]
	scratch_store_dwordx4 off, v[4:7], off offset:256
	s_and_saveexec_b64 s[0:1], vcc
	s_cbranch_execz .LBB48_279
; %bb.278:
	scratch_load_dwordx4 v[6:9], off, s40
	v_mov_b32_e32 v3, v2
	v_mov_b32_e32 v4, v2
	;; [unrolled: 1-line block ×3, first 2 shown]
	v_accvgpr_read_b32 v0, a99
	scratch_store_dwordx4 off, v[2:5], off offset:240
	s_waitcnt vmcnt(1)
	ds_write_b128 v0, v[6:9]
.LBB48_279:
	s_or_b64 exec, exec, s[0:1]
	s_waitcnt lgkmcnt(0)
	; wave barrier
	scratch_load_dwordx4 v[144:147], off, off offset:256
	scratch_load_dwordx4 v[152:155], off, off offset:272
	;; [unrolled: 1-line block ×16, first 2 shown]
	ds_read_b128 v[196:199], v2 offset:1024
	ds_read_b128 v[188:191], v2 offset:1040
	ds_read_b128 v[180:183], v2 offset:1056
	scratch_load_dwordx4 v[48:51], off, off offset:512
	ds_read_b128 v[192:195], v2 offset:1072
	ds_read_b128 v[184:187], v2 offset:1088
	ds_read_b128 v[64:67], v2 offset:1104
	scratch_load_dwordx4 v[52:55], off, off offset:528
	;; [unrolled: 4-line block ×5, first 2 shown]
	ds_read_b128 v[116:119], v2 offset:1264
	ds_read_b128 v[112:115], v2 offset:1280
	scratch_load_dwordx4 v[108:111], off, off offset:592
	scratch_load_dwordx4 v[120:123], off, off offset:608
	;; [unrolled: 1-line block ×12, first 2 shown]
	v_cmp_lt_u32_e32 vcc, 13, v240
	s_waitcnt vmcnt(32) lgkmcnt(14)
	v_mul_f64 v[204:205], v[196:197], v[146:147]
	s_waitcnt vmcnt(31)
	v_mul_f64 v[206:207], v[188:189], v[154:155]
	v_fmac_f64_e32 v[204:205], v[198:199], v[144:145]
	s_waitcnt vmcnt(30)
	v_mul_f64 v[208:209], v[180:181], v[158:159]
	v_fmac_f64_e32 v[206:207], v[190:191], v[152:153]
	v_add_f64 v[204:205], v[204:205], 0
	s_waitcnt vmcnt(29) lgkmcnt(13)
	v_mul_f64 v[210:211], v[192:193], v[162:163]
	v_fmac_f64_e32 v[208:209], v[182:183], v[156:157]
	v_add_f64 v[204:205], v[204:205], v[206:207]
	s_waitcnt vmcnt(28) lgkmcnt(12)
	;; [unrolled: 4-line block ×12, first 2 shown]
	v_mul_f64 v[232:233], v[96:97], v[42:43]
	v_fmac_f64_e32 v[230:231], v[102:103], v[36:37]
	v_add_f64 v[204:205], v[204:205], v[228:229]
	v_fmac_f64_e32 v[232:233], v[98:99], v[40:41]
	v_add_f64 v[204:205], v[204:205], v[230:231]
	s_waitcnt vmcnt(17) lgkmcnt(1)
	v_mul_f64 v[206:207], v[116:117], v[46:47]
	v_add_f64 v[204:205], v[204:205], v[232:233]
	v_fmac_f64_e32 v[206:207], v[118:119], v[44:45]
	s_waitcnt vmcnt(16) lgkmcnt(0)
	v_mul_f64 v[210:211], v[112:113], v[50:51]
	v_add_f64 v[208:209], v[204:205], v[206:207]
	ds_read_b128 v[204:207], v2 offset:1296
	v_fmac_f64_e32 v[210:211], v[114:115], v[48:49]
	v_add_f64 v[212:213], v[208:209], v[210:211]
	ds_read_b128 v[208:211], v2 offset:1312
	v_mul_f64 v[146:147], v[198:199], v[146:147]
	s_waitcnt vmcnt(15) lgkmcnt(1)
	v_mul_f64 v[214:215], v[204:205], v[54:55]
	v_fmac_f64_e32 v[214:215], v[206:207], v[52:53]
	v_add_f64 v[216:217], v[212:213], v[214:215]
	s_waitcnt vmcnt(14) lgkmcnt(0)
	v_mul_f64 v[218:219], v[208:209], v[58:59]
	ds_read_b128 v[212:215], v2 offset:1328
	v_fmac_f64_e32 v[218:219], v[210:211], v[56:57]
	v_add_f64 v[220:221], v[216:217], v[218:219]
	ds_read_b128 v[216:219], v2 offset:1344
	v_mul_f64 v[154:155], v[190:191], v[154:155]
	s_waitcnt vmcnt(13) lgkmcnt(1)
	v_mul_f64 v[222:223], v[212:213], v[62:63]
	v_fmac_f64_e32 v[222:223], v[214:215], v[60:61]
	v_add_f64 v[224:225], v[220:221], v[222:223]
	s_waitcnt vmcnt(12) lgkmcnt(0)
	v_mul_f64 v[226:227], v[216:217], v[94:95]
	ds_read_b128 v[220:223], v2 offset:1360
	v_fmac_f64_e32 v[226:227], v[218:219], v[92:93]
	v_add_f64 v[228:229], v[224:225], v[226:227]
	ds_read_b128 v[224:227], v2 offset:1376
	v_fma_f64 v[246:247], v[188:189], v[152:153], -v[154:155]
	s_waitcnt vmcnt(11) lgkmcnt(1)
	v_mul_f64 v[230:231], v[220:221], v[110:111]
	v_fmac_f64_e32 v[230:231], v[222:223], v[108:109]
	v_add_f64 v[232:233], v[228:229], v[230:231]
	s_waitcnt vmcnt(10) lgkmcnt(0)
	v_mul_f64 v[234:235], v[224:225], v[122:123]
	ds_read_b128 v[228:231], v2 offset:1392
	v_fmac_f64_e32 v[234:235], v[226:227], v[120:121]
	v_add_f64 v[236:237], v[232:233], v[234:235]
	ds_read_b128 v[232:235], v2 offset:1408
	ds_read_b128 v[152:155], v2 offset:1456
	s_waitcnt vmcnt(9) lgkmcnt(2)
	v_mul_f64 v[238:239], v[228:229], v[126:127]
	v_fmac_f64_e32 v[238:239], v[230:231], v[124:125]
	v_add_f64 v[242:243], v[236:237], v[238:239]
	s_waitcnt vmcnt(8) lgkmcnt(1)
	v_mul_f64 v[244:245], v[232:233], v[130:131]
	ds_read_b128 v[236:239], v2 offset:1424
	v_fmac_f64_e32 v[244:245], v[234:235], v[128:129]
	v_add_f64 v[242:243], v[242:243], v[244:245]
	v_fma_f64 v[244:245], v[196:197], v[144:145], -v[146:147]
	ds_read_b128 v[144:147], v2 offset:1440
	s_waitcnt vmcnt(7) lgkmcnt(1)
	v_mul_f64 v[196:197], v[236:237], v[134:135]
	v_fmac_f64_e32 v[196:197], v[238:239], v[132:133]
	v_add_f64 v[188:189], v[242:243], v[196:197]
	v_mul_f64 v[158:159], v[182:183], v[158:159]
	s_waitcnt vmcnt(6) lgkmcnt(0)
	v_mul_f64 v[190:191], v[144:145], v[138:139]
	v_fmac_f64_e32 v[190:191], v[146:147], v[136:137]
	v_add_f64 v[196:197], v[188:189], v[190:191]
	ds_read_b128 v[188:191], v2 offset:1472
	v_fma_f64 v[242:243], v[180:181], v[156:157], -v[158:159]
	ds_read_b128 v[156:159], v2 offset:1488
	s_waitcnt vmcnt(5)
	v_mul_f64 v[198:199], v[152:153], v[142:143]
	v_fmac_f64_e32 v[198:199], v[154:155], v[140:141]
	s_waitcnt vmcnt(4) lgkmcnt(1)
	v_mul_f64 v[180:181], v[188:189], v[150:151]
	v_add_f64 v[196:197], v[196:197], v[198:199]
	v_fmac_f64_e32 v[180:181], v[190:191], v[148:149]
	v_mul_f64 v[162:163], v[194:195], v[162:163]
	v_add_f64 v[198:199], v[196:197], v[180:181]
	v_fma_f64 v[196:197], v[192:193], v[160:161], -v[162:163]
	ds_read_b128 v[160:163], v2 offset:1504
	s_waitcnt vmcnt(3) lgkmcnt(1)
	v_mul_f64 v[192:193], v[156:157], v[166:167]
	ds_read_b128 v[180:183], v2 offset:1520
	v_fmac_f64_e32 v[192:193], v[158:159], v[164:165]
	v_mul_f64 v[170:171], v[186:187], v[170:171]
	v_add_f64 v[192:193], v[198:199], v[192:193]
	v_fma_f64 v[198:199], v[184:185], v[168:169], -v[170:171]
	ds_read_b128 v[168:171], v2 offset:1536
	s_waitcnt vmcnt(2) lgkmcnt(2)
	v_mul_f64 v[184:185], v[160:161], v[174:175]
	v_fmac_f64_e32 v[184:185], v[162:163], v[172:173]
	s_waitcnt vmcnt(1) lgkmcnt(1)
	v_mul_f64 v[186:187], v[180:181], v[178:179]
	v_add_f64 v[184:185], v[192:193], v[184:185]
	v_fmac_f64_e32 v[186:187], v[182:183], v[176:177]
	v_add_f64 v[184:185], v[184:185], v[186:187]
	s_waitcnt vmcnt(0) lgkmcnt(0)
	v_mul_f64 v[186:187], v[168:169], v[202:203]
	v_fmac_f64_e32 v[186:187], v[170:171], v[200:201]
	v_add_f64 v[248:249], v[184:185], v[186:187]
	scratch_load_dwordx4 v[184:187], off, off offset:784
	v_add_f64 v[244:245], v[244:245], 0
	v_add_f64 v[244:245], v[244:245], v[246:247]
	;; [unrolled: 1-line block ×3, first 2 shown]
	scratch_load_dwordx4 v[244:247], off, off offset:240
	v_add_f64 v[196:197], v[242:243], v[196:197]
	v_mul_f64 v[6:7], v[66:67], v[6:7]
	v_add_f64 v[196:197], v[196:197], v[198:199]
	v_fma_f64 v[4:5], v[64:65], v[4:5], -v[6:7]
	v_mul_f64 v[6:7], v[78:79], v[10:11]
	v_add_f64 v[4:5], v[196:197], v[4:5]
	v_fma_f64 v[6:7], v[76:77], v[8:9], -v[6:7]
	v_add_f64 v[4:5], v[4:5], v[6:7]
	v_mul_f64 v[6:7], v[74:75], v[14:15]
	v_fma_f64 v[6:7], v[72:73], v[12:13], -v[6:7]
	v_add_f64 v[4:5], v[4:5], v[6:7]
	v_mul_f64 v[6:7], v[70:71], v[18:19]
	;; [unrolled: 3-line block ×24, first 2 shown]
	ds_read_b128 v[192:195], v2 offset:1552
	v_fma_f64 v[6:7], v[160:161], v[172:173], -v[6:7]
	v_add_f64 v[4:5], v[4:5], v[6:7]
	v_mul_f64 v[6:7], v[182:183], v[178:179]
	v_fma_f64 v[6:7], v[180:181], v[176:177], -v[6:7]
	v_add_f64 v[4:5], v[4:5], v[6:7]
	v_mul_f64 v[6:7], v[170:171], v[202:203]
	v_fma_f64 v[6:7], v[168:169], v[200:201], -v[6:7]
	s_waitcnt vmcnt(1) lgkmcnt(0)
	v_mul_f64 v[2:3], v[192:193], v[186:187]
	v_add_f64 v[4:5], v[4:5], v[6:7]
	v_mul_f64 v[6:7], v[194:195], v[186:187]
	v_fmac_f64_e32 v[2:3], v[194:195], v[184:185]
	v_fma_f64 v[6:7], v[192:193], v[184:185], -v[6:7]
	v_add_f64 v[2:3], v[248:249], v[2:3]
	v_add_f64 v[4:5], v[4:5], v[6:7]
	s_waitcnt vmcnt(0)
	v_add_f64 v[4:5], v[244:245], -v[4:5]
	v_add_f64 v[6:7], v[246:247], -v[2:3]
	scratch_store_dwordx4 off, v[4:7], off offset:240
	s_and_saveexec_b64 s[0:1], vcc
	s_cbranch_execz .LBB48_281
; %bb.280:
	scratch_load_dwordx4 v[2:5], off, s39
	v_mov_b32_e32 v6, 0
	v_mov_b32_e32 v7, v6
	;; [unrolled: 1-line block ×4, first 2 shown]
	v_accvgpr_read_b32 v0, a99
	scratch_store_dwordx4 off, v[6:9], off offset:224
	s_waitcnt vmcnt(1)
	ds_write_b128 v0, v[2:5]
.LBB48_281:
	s_or_b64 exec, exec, s[0:1]
	s_waitcnt lgkmcnt(0)
	; wave barrier
	scratch_load_dwordx4 v[184:187], off, off offset:240
	scratch_load_dwordx4 v[188:191], off, off offset:256
	;; [unrolled: 1-line block ×32, first 2 shown]
	v_mov_b32_e32 v2, 0
	ds_read_b128 v[192:195], v2 offset:1008
	ds_read_b128 v[204:207], v2 offset:1024
	;; [unrolled: 1-line block ×16, first 2 shown]
	v_cmp_lt_u32_e32 vcc, 12, v240
	s_waitcnt vmcnt(31) lgkmcnt(14)
	v_mul_f64 v[104:105], v[192:193], v[186:187]
	s_waitcnt vmcnt(30)
	v_mul_f64 v[106:107], v[204:205], v[190:191]
	v_fmac_f64_e32 v[104:105], v[194:195], v[184:185]
	s_waitcnt vmcnt(29) lgkmcnt(13)
	v_mul_f64 v[112:113], v[216:217], v[198:199]
	v_fmac_f64_e32 v[106:107], v[206:207], v[188:189]
	v_add_f64 v[104:105], v[104:105], 0
	s_waitcnt vmcnt(28) lgkmcnt(12)
	v_mul_f64 v[114:115], v[224:225], v[202:203]
	v_fmac_f64_e32 v[112:113], v[218:219], v[196:197]
	v_add_f64 v[104:105], v[104:105], v[106:107]
	;; [unrolled: 4-line block ×10, first 2 shown]
	ds_read_b128 v[152:155], v2 offset:1264
	ds_read_b128 v[156:159], v2 offset:1280
	s_waitcnt vmcnt(19) lgkmcnt(5)
	v_mul_f64 v[164:165], v[124:125], v[26:27]
	v_fmac_f64_e32 v[162:163], v[134:135], v[20:21]
	v_add_f64 v[104:105], v[104:105], v[160:161]
	s_waitcnt vmcnt(18) lgkmcnt(4)
	v_mul_f64 v[166:167], v[120:121], v[30:31]
	v_fmac_f64_e32 v[164:165], v[126:127], v[24:25]
	v_add_f64 v[104:105], v[104:105], v[162:163]
	;; [unrolled: 4-line block ×4, first 2 shown]
	v_add_f64 v[112:113], v[104:105], v[168:169]
	v_fmac_f64_e32 v[170:171], v[110:111], v[36:37]
	scratch_load_dwordx4 v[104:107], off, off offset:752
	s_waitcnt vmcnt(16) lgkmcnt(1)
	v_mul_f64 v[114:115], v[152:153], v[42:43]
	v_add_f64 v[112:113], v[112:113], v[170:171]
	v_fmac_f64_e32 v[114:115], v[154:155], v[40:41]
	v_add_f64 v[128:129], v[112:113], v[114:115]
	scratch_load_dwordx4 v[112:115], off, off offset:768
	s_waitcnt vmcnt(16) lgkmcnt(0)
	v_mul_f64 v[130:131], v[156:157], v[46:47]
	v_fmac_f64_e32 v[130:131], v[158:159], v[44:45]
	v_add_f64 v[168:169], v[128:129], v[130:131]
	scratch_load_dwordx4 v[128:131], off, off offset:784
	ds_read_b128 v[160:163], v2 offset:1296
	ds_read_b128 v[164:167], v2 offset:1312
	v_mul_f64 v[186:187], v[194:195], v[186:187]
	v_fma_f64 v[250:251], v[192:193], v[184:185], -v[186:187]
	ds_read_b128 v[184:187], v2 offset:1392
	s_waitcnt vmcnt(16) lgkmcnt(2)
	v_mul_f64 v[170:171], v[160:161], v[50:51]
	v_fmac_f64_e32 v[170:171], v[162:163], v[48:49]
	s_waitcnt vmcnt(15) lgkmcnt(1)
	v_mul_f64 v[174:175], v[164:165], v[54:55]
	v_add_f64 v[172:173], v[168:169], v[170:171]
	ds_read_b128 v[168:171], v2 offset:1328
	v_fmac_f64_e32 v[174:175], v[166:167], v[52:53]
	v_add_f64 v[176:177], v[172:173], v[174:175]
	ds_read_b128 v[172:175], v2 offset:1344
	v_mul_f64 v[190:191], v[206:207], v[190:191]
	s_waitcnt vmcnt(14) lgkmcnt(1)
	v_mul_f64 v[178:179], v[168:169], v[58:59]
	v_fmac_f64_e32 v[178:179], v[170:171], v[56:57]
	v_add_f64 v[180:181], v[176:177], v[178:179]
	s_waitcnt vmcnt(13) lgkmcnt(0)
	v_mul_f64 v[182:183], v[172:173], v[62:63]
	ds_read_b128 v[176:179], v2 offset:1360
	v_fmac_f64_e32 v[182:183], v[174:175], v[60:61]
	v_add_f64 v[232:233], v[180:181], v[182:183]
	ds_read_b128 v[180:183], v2 offset:1376
	v_fma_f64 v[252:253], v[204:205], v[188:189], -v[190:191]
	s_waitcnt vmcnt(12) lgkmcnt(1)
	v_mul_f64 v[234:235], v[176:177], v[66:67]
	v_fmac_f64_e32 v[234:235], v[178:179], v[64:65]
	v_add_f64 v[232:233], v[232:233], v[234:235]
	s_waitcnt vmcnt(11) lgkmcnt(0)
	v_mul_f64 v[192:193], v[180:181], v[70:71]
	v_fmac_f64_e32 v[192:193], v[182:183], v[68:69]
	ds_read_b128 v[188:191], v2 offset:1408
	s_waitcnt vmcnt(10)
	v_mul_f64 v[194:195], v[184:185], v[74:75]
	v_add_f64 v[192:193], v[232:233], v[192:193]
	v_fmac_f64_e32 v[194:195], v[186:187], v[72:73]
	v_add_f64 v[204:205], v[192:193], v[194:195]
	ds_read_b128 v[192:195], v2 offset:1424
	v_mul_f64 v[198:199], v[218:219], v[198:199]
	v_fma_f64 v[254:255], v[216:217], v[196:197], -v[198:199]
	ds_read_b128 v[196:199], v2 offset:1440
	s_waitcnt vmcnt(9) lgkmcnt(2)
	v_mul_f64 v[206:207], v[188:189], v[78:79]
	v_fmac_f64_e32 v[206:207], v[190:191], v[76:77]
	v_add_f64 v[204:205], v[204:205], v[206:207]
	s_waitcnt vmcnt(8) lgkmcnt(1)
	v_mul_f64 v[206:207], v[192:193], v[82:83]
	v_fmac_f64_e32 v[206:207], v[194:195], v[80:81]
	v_mul_f64 v[202:203], v[226:227], v[202:203]
	v_add_f64 v[204:205], v[204:205], v[206:207]
	v_fma_f64 v[234:235], v[224:225], v[200:201], -v[202:203]
	ds_read_b128 v[200:203], v2 offset:1456
	s_waitcnt vmcnt(7) lgkmcnt(1)
	v_mul_f64 v[206:207], v[196:197], v[86:87]
	v_fmac_f64_e32 v[206:207], v[198:199], v[84:85]
	v_add_f64 v[216:217], v[204:205], v[206:207]
	ds_read_b128 v[204:207], v2 offset:1472
	v_mul_f64 v[210:211], v[230:231], v[210:211]
	v_fma_f64 v[236:237], v[228:229], v[208:209], -v[210:211]
	ds_read_b128 v[208:211], v2 offset:1488
	s_waitcnt vmcnt(6) lgkmcnt(2)
	v_mul_f64 v[218:219], v[200:201], v[90:91]
	v_fmac_f64_e32 v[218:219], v[202:203], v[88:89]
	v_add_f64 v[216:217], v[216:217], v[218:219]
	s_waitcnt vmcnt(5) lgkmcnt(1)
	v_mul_f64 v[218:219], v[204:205], v[94:95]
	v_fmac_f64_e32 v[218:219], v[206:207], v[92:93]
	v_mul_f64 v[214:215], v[244:245], v[214:215]
	v_fma_f64 v[238:239], v[242:243], v[212:213], -v[214:215]
	ds_read_b128 v[212:215], v2 offset:1504
	v_add_f64 v[216:217], v[216:217], v[218:219]
	s_waitcnt vmcnt(4) lgkmcnt(1)
	v_mul_f64 v[218:219], v[208:209], v[102:103]
	v_fmac_f64_e32 v[218:219], v[210:211], v[100:101]
	v_add_f64 v[224:225], v[216:217], v[218:219]
	ds_read_b128 v[216:219], v2 offset:1520
	v_mul_f64 v[222:223], v[248:249], v[222:223]
	v_fma_f64 v[242:243], v[246:247], v[220:221], -v[222:223]
	ds_read_b128 v[220:223], v2 offset:1536
	s_waitcnt vmcnt(3) lgkmcnt(2)
	v_mul_f64 v[226:227], v[212:213], v[98:99]
	v_fmac_f64_e32 v[226:227], v[214:215], v[96:97]
	v_add_f64 v[224:225], v[224:225], v[226:227]
	s_waitcnt vmcnt(2) lgkmcnt(1)
	v_mul_f64 v[226:227], v[216:217], v[106:107]
	v_fmac_f64_e32 v[226:227], v[218:219], v[104:105]
	v_add_f64 v[224:225], v[224:225], v[226:227]
	;; [unrolled: 4-line block ×3, first 2 shown]
	ds_read_b128 v[224:227], v2 offset:1552
	v_mul_f64 v[6:7], v[150:151], v[6:7]
	v_fma_f64 v[4:5], v[148:149], v[4:5], -v[6:7]
	v_mul_f64 v[6:7], v[146:147], v[10:11]
	v_fma_f64 v[6:7], v[144:145], v[8:9], -v[6:7]
	s_waitcnt vmcnt(0) lgkmcnt(0)
	v_mul_f64 v[230:231], v[224:225], v[130:131]
	v_fmac_f64_e32 v[230:231], v[226:227], v[128:129]
	v_add_f64 v[232:233], v[228:229], v[230:231]
	v_add_f64 v[228:229], v[250:251], 0
	v_add_f64 v[228:229], v[228:229], v[252:253]
	v_add_f64 v[244:245], v[228:229], v[254:255]
	scratch_load_dwordx4 v[228:231], off, off offset:224
	v_add_f64 v[234:235], v[244:245], v[234:235]
	v_add_f64 v[234:235], v[234:235], v[236:237]
	;; [unrolled: 1-line block ×6, first 2 shown]
	v_mul_f64 v[6:7], v[142:143], v[14:15]
	v_fma_f64 v[6:7], v[140:141], v[12:13], -v[6:7]
	v_add_f64 v[4:5], v[4:5], v[6:7]
	v_mul_f64 v[6:7], v[138:139], v[18:19]
	v_fma_f64 v[6:7], v[136:137], v[16:17], -v[6:7]
	v_add_f64 v[4:5], v[4:5], v[6:7]
	;; [unrolled: 3-line block ×26, first 2 shown]
	s_waitcnt vmcnt(0)
	v_add_f64 v[4:5], v[228:229], -v[4:5]
	v_add_f64 v[6:7], v[230:231], -v[232:233]
	scratch_store_dwordx4 off, v[4:7], off offset:224
	s_and_saveexec_b64 s[0:1], vcc
	s_cbranch_execz .LBB48_283
; %bb.282:
	scratch_load_dwordx4 v[6:9], off, s38
	v_mov_b32_e32 v3, v2
	v_mov_b32_e32 v4, v2
	;; [unrolled: 1-line block ×3, first 2 shown]
	v_accvgpr_read_b32 v0, a99
	scratch_store_dwordx4 off, v[2:5], off offset:208
	s_waitcnt vmcnt(1)
	ds_write_b128 v0, v[6:9]
.LBB48_283:
	s_or_b64 exec, exec, s[0:1]
	s_waitcnt lgkmcnt(0)
	; wave barrier
	scratch_load_dwordx4 v[140:143], off, off offset:224
	scratch_load_dwordx4 v[144:147], off, off offset:240
	;; [unrolled: 1-line block ×16, first 2 shown]
	ds_read_b128 v[208:211], v2 offset:992
	ds_read_b128 v[200:203], v2 offset:1008
	;; [unrolled: 1-line block ×3, first 2 shown]
	scratch_load_dwordx4 v[40:43], off, off offset:480
	ds_read_b128 v[204:207], v2 offset:1040
	ds_read_b128 v[192:195], v2 offset:1056
	;; [unrolled: 1-line block ×3, first 2 shown]
	scratch_load_dwordx4 v[44:47], off, off offset:496
	ds_read_b128 v[196:199], v2 offset:1088
	ds_read_b128 v[64:67], v2 offset:1104
	;; [unrolled: 1-line block ×4, first 2 shown]
	scratch_load_dwordx4 v[48:51], off, off offset:512
	ds_read_b128 v[72:75], v2 offset:1152
	ds_read_b128 v[68:71], v2 offset:1168
	scratch_load_dwordx4 v[56:59], off, off offset:528
	ds_read_b128 v[92:95], v2 offset:1184
	ds_read_b128 v[88:91], v2 offset:1200
	;; [unrolled: 1-line block ×4, first 2 shown]
	scratch_load_dwordx4 v[76:79], off, off offset:544
	scratch_load_dwordx4 v[96:99], off, off offset:560
	scratch_load_dwordx4 v[100:103], off, off offset:576
	scratch_load_dwordx4 v[104:107], off, off offset:592
	scratch_load_dwordx4 v[108:111], off, off offset:608
	scratch_load_dwordx4 v[112:115], off, off offset:624
	scratch_load_dwordx4 v[116:119], off, off offset:640
	scratch_load_dwordx4 v[120:123], off, off offset:656
	scratch_load_dwordx4 v[124:127], off, off offset:672
	scratch_load_dwordx4 v[128:131], off, off offset:688
	scratch_load_dwordx4 v[136:139], off, off offset:704
	scratch_load_dwordx4 v[132:135], off, off offset:720
	ds_read_b128 v[168:171], v2 offset:1248
	v_accvgpr_write_b32 a98, v240
	v_cmp_lt_u32_e32 vcc, 11, v240
	s_waitcnt vmcnt(31) lgkmcnt(14)
	v_mul_f64 v[172:173], v[208:209], v[142:143]
	s_waitcnt vmcnt(30)
	v_mul_f64 v[174:175], v[200:201], v[146:147]
	v_fmac_f64_e32 v[172:173], v[210:211], v[140:141]
	s_waitcnt vmcnt(29)
	v_mul_f64 v[176:177], v[188:189], v[150:151]
	v_fmac_f64_e32 v[174:175], v[202:203], v[144:145]
	v_add_f64 v[172:173], v[172:173], 0
	s_waitcnt vmcnt(28) lgkmcnt(13)
	v_mul_f64 v[178:179], v[204:205], v[154:155]
	v_fmac_f64_e32 v[176:177], v[190:191], v[148:149]
	v_add_f64 v[172:173], v[172:173], v[174:175]
	s_waitcnt vmcnt(27) lgkmcnt(12)
	;; [unrolled: 4-line block ×10, first 2 shown]
	v_mul_f64 v[224:225], v[92:93], v[26:27]
	v_fmac_f64_e32 v[222:223], v[70:71], v[20:21]
	v_add_f64 v[172:173], v[172:173], v[220:221]
	ds_read_b128 v[212:215], v2 offset:1264
	s_waitcnt vmcnt(18) lgkmcnt(4)
	v_mul_f64 v[226:227], v[88:89], v[30:31]
	v_fmac_f64_e32 v[224:225], v[94:95], v[24:25]
	v_add_f64 v[172:173], v[172:173], v[222:223]
	ds_read_b128 v[216:219], v2 offset:1280
	ds_read_b128 v[220:223], v2 offset:1296
	s_waitcnt vmcnt(17) lgkmcnt(5)
	v_mul_f64 v[228:229], v[84:85], v[34:35]
	v_fmac_f64_e32 v[226:227], v[90:91], v[28:29]
	v_add_f64 v[172:173], v[172:173], v[224:225]
	s_waitcnt vmcnt(16) lgkmcnt(4)
	v_mul_f64 v[230:231], v[80:81], v[38:39]
	v_fmac_f64_e32 v[228:229], v[86:87], v[32:33]
	v_add_f64 v[172:173], v[172:173], v[226:227]
	v_add_f64 v[176:177], v[172:173], v[228:229]
	v_fmac_f64_e32 v[230:231], v[82:83], v[36:37]
	s_waitcnt vmcnt(15) lgkmcnt(3)
	v_mul_f64 v[178:179], v[168:169], v[42:43]
	v_add_f64 v[176:177], v[176:177], v[230:231]
	v_fmac_f64_e32 v[178:179], v[170:171], v[40:41]
	s_waitcnt vmcnt(14) lgkmcnt(2)
	v_mul_f64 v[182:183], v[212:213], v[46:47]
	;; [unrolled: 4-line block ×3, first 2 shown]
	v_add_f64 v[224:225], v[180:181], v[182:183]
	v_fmac_f64_e32 v[226:227], v[218:219], v[48:49]
	v_add_f64 v[228:229], v[224:225], v[226:227]
	ds_read_b128 v[224:227], v2 offset:1312
	s_waitcnt vmcnt(12) lgkmcnt(1)
	v_mul_f64 v[230:231], v[220:221], v[58:59]
	v_fmac_f64_e32 v[230:231], v[222:223], v[56:57]
	v_add_f64 v[232:233], v[228:229], v[230:231]
	ds_read_b128 v[228:231], v2 offset:1328
	s_waitcnt vmcnt(11) lgkmcnt(1)
	v_mul_f64 v[234:235], v[224:225], v[78:79]
	;; [unrolled: 5-line block ×4, first 2 shown]
	v_fmac_f64_e32 v[244:245], v[234:235], v[100:101]
	v_mul_f64 v[142:143], v[210:211], v[142:143]
	v_add_f64 v[242:243], v[242:243], v[244:245]
	v_fma_f64 v[244:245], v[208:209], v[140:141], -v[142:143]
	ds_read_b128 v[140:143], v2 offset:1376
	s_waitcnt vmcnt(8) lgkmcnt(1)
	v_mul_f64 v[208:209], v[236:237], v[106:107]
	v_fmac_f64_e32 v[208:209], v[238:239], v[104:105]
	v_mul_f64 v[146:147], v[202:203], v[146:147]
	v_add_f64 v[208:209], v[242:243], v[208:209]
	v_fma_f64 v[242:243], v[200:201], v[144:145], -v[146:147]
	ds_read_b128 v[144:147], v2 offset:1392
	s_waitcnt vmcnt(7) lgkmcnt(1)
	v_mul_f64 v[200:201], v[140:141], v[110:111]
	scratch_load_dwordx4 v[172:175], off, off offset:736
	v_fmac_f64_e32 v[200:201], v[142:143], v[108:109]
	v_add_f64 v[208:209], v[208:209], v[200:201]
	ds_read_b128 v[200:203], v2 offset:1408
	v_mul_f64 v[150:151], v[190:191], v[150:151]
	scratch_load_dwordx4 v[176:179], off, off offset:752
	scratch_load_dwordx4 v[180:183], off, off offset:768
	v_fma_f64 v[246:247], v[188:189], v[148:149], -v[150:151]
	ds_read_b128 v[148:151], v2 offset:1424
	s_waitcnt vmcnt(9) lgkmcnt(2)
	v_mul_f64 v[210:211], v[144:145], v[114:115]
	v_fmac_f64_e32 v[210:211], v[146:147], v[112:113]
	s_waitcnt vmcnt(8) lgkmcnt(1)
	v_mul_f64 v[188:189], v[200:201], v[118:119]
	v_add_f64 v[208:209], v[208:209], v[210:211]
	v_fmac_f64_e32 v[188:189], v[202:203], v[116:117]
	v_mul_f64 v[154:155], v[206:207], v[154:155]
	s_waitcnt vmcnt(7) lgkmcnt(0)
	v_mul_f64 v[190:191], v[148:149], v[122:123]
	v_add_f64 v[188:189], v[208:209], v[188:189]
	v_fma_f64 v[248:249], v[204:205], v[152:153], -v[154:155]
	ds_read_b128 v[152:155], v2 offset:1440
	v_fmac_f64_e32 v[190:191], v[150:151], v[120:121]
	v_add_f64 v[204:205], v[188:189], v[190:191]
	ds_read_b128 v[188:191], v2 offset:1456
	v_mul_f64 v[158:159], v[194:195], v[158:159]
	s_waitcnt vmcnt(6) lgkmcnt(1)
	v_mul_f64 v[206:207], v[152:153], v[126:127]
	v_fmac_f64_e32 v[206:207], v[154:155], v[124:125]
	v_fma_f64 v[250:251], v[192:193], v[156:157], -v[158:159]
	s_waitcnt vmcnt(5) lgkmcnt(0)
	v_mul_f64 v[192:193], v[188:189], v[130:131]
	v_add_f64 v[204:205], v[204:205], v[206:207]
	v_fmac_f64_e32 v[192:193], v[190:191], v[128:129]
	v_mul_f64 v[162:163], v[186:187], v[162:163]
	v_fma_f64 v[208:209], v[184:185], v[160:161], -v[162:163]
	v_add_f64 v[184:185], v[204:205], v[192:193]
	scratch_load_dwordx4 v[204:207], off, off offset:784
	v_add_f64 v[244:245], v[244:245], 0
	v_add_f64 v[242:243], v[244:245], v[242:243]
	;; [unrolled: 1-line block ×3, first 2 shown]
	scratch_load_dwordx4 v[244:247], off, off offset:208
	v_add_f64 v[242:243], v[242:243], v[248:249]
	v_mul_f64 v[166:167], v[198:199], v[166:167]
	v_add_f64 v[242:243], v[242:243], v[250:251]
	v_fma_f64 v[210:211], v[196:197], v[164:165], -v[166:167]
	v_add_f64 v[208:209], v[242:243], v[208:209]
	v_mul_f64 v[6:7], v[66:67], v[6:7]
	v_add_f64 v[208:209], v[208:209], v[210:211]
	v_fma_f64 v[4:5], v[64:65], v[4:5], -v[6:7]
	v_mul_f64 v[6:7], v[62:63], v[10:11]
	v_add_f64 v[4:5], v[208:209], v[4:5]
	v_fma_f64 v[6:7], v[60:61], v[8:9], -v[6:7]
	v_add_f64 v[4:5], v[4:5], v[6:7]
	v_mul_f64 v[6:7], v[54:55], v[14:15]
	v_fma_f64 v[6:7], v[52:53], v[12:13], -v[6:7]
	v_add_f64 v[4:5], v[4:5], v[6:7]
	v_mul_f64 v[6:7], v[74:75], v[18:19]
	;; [unrolled: 3-line block ×12, first 2 shown]
	v_fma_f64 v[6:7], v[224:225], v[76:77], -v[6:7]
	ds_read_b128 v[156:159], v2 offset:1472
	ds_read_b128 v[160:163], v2 offset:1488
	v_add_f64 v[4:5], v[4:5], v[6:7]
	v_mul_f64 v[6:7], v[230:231], v[98:99]
	v_fma_f64 v[6:7], v[228:229], v[96:97], -v[6:7]
	v_add_f64 v[4:5], v[4:5], v[6:7]
	v_mul_f64 v[6:7], v[234:235], v[102:103]
	v_fma_f64 v[6:7], v[232:233], v[100:101], -v[6:7]
	v_add_f64 v[4:5], v[4:5], v[6:7]
	v_mul_f64 v[6:7], v[238:239], v[106:107]
	s_waitcnt vmcnt(6) lgkmcnt(1)
	v_mul_f64 v[186:187], v[156:157], v[138:139]
	v_fma_f64 v[6:7], v[236:237], v[104:105], -v[6:7]
	v_fmac_f64_e32 v[186:187], v[158:159], v[136:137]
	v_add_f64 v[4:5], v[4:5], v[6:7]
	v_mul_f64 v[6:7], v[142:143], v[110:111]
	v_add_f64 v[192:193], v[184:185], v[186:187]
	ds_read_b128 v[184:187], v2 offset:1504
	ds_read_b128 v[164:167], v2 offset:1520
	v_fma_f64 v[6:7], v[140:141], v[108:109], -v[6:7]
	v_add_f64 v[4:5], v[4:5], v[6:7]
	v_mul_f64 v[6:7], v[146:147], v[114:115]
	v_fma_f64 v[6:7], v[144:145], v[112:113], -v[6:7]
	s_waitcnt vmcnt(5) lgkmcnt(2)
	v_mul_f64 v[194:195], v[160:161], v[134:135]
	v_add_f64 v[4:5], v[4:5], v[6:7]
	v_mul_f64 v[6:7], v[202:203], v[118:119]
	v_fmac_f64_e32 v[194:195], v[162:163], v[132:133]
	v_fma_f64 v[6:7], v[200:201], v[116:117], -v[6:7]
	v_add_f64 v[192:193], v[192:193], v[194:195]
	s_waitcnt vmcnt(4) lgkmcnt(1)
	v_mul_f64 v[194:195], v[184:185], v[174:175]
	v_add_f64 v[4:5], v[4:5], v[6:7]
	v_mul_f64 v[6:7], v[150:151], v[122:123]
	v_fmac_f64_e32 v[194:195], v[186:187], v[172:173]
	v_fma_f64 v[6:7], v[148:149], v[120:121], -v[6:7]
	v_add_f64 v[192:193], v[192:193], v[194:195]
	;; [unrolled: 7-line block ×3, first 2 shown]
	ds_read_b128 v[192:195], v2 offset:1536
	v_add_f64 v[4:5], v[4:5], v[6:7]
	v_mul_f64 v[6:7], v[190:191], v[130:131]
	v_fma_f64 v[6:7], v[188:189], v[128:129], -v[6:7]
	v_add_f64 v[4:5], v[4:5], v[6:7]
	v_mul_f64 v[6:7], v[158:159], v[138:139]
	v_fma_f64 v[6:7], v[156:157], v[136:137], -v[6:7]
	v_add_f64 v[4:5], v[4:5], v[6:7]
	v_mul_f64 v[6:7], v[162:163], v[134:135]
	s_waitcnt vmcnt(2) lgkmcnt(0)
	v_mul_f64 v[198:199], v[192:193], v[182:183]
	v_fma_f64 v[6:7], v[160:161], v[132:133], -v[6:7]
	v_fmac_f64_e32 v[198:199], v[194:195], v[180:181]
	v_add_f64 v[4:5], v[4:5], v[6:7]
	v_mul_f64 v[6:7], v[186:187], v[174:175]
	v_add_f64 v[252:253], v[196:197], v[198:199]
	ds_read_b128 v[196:199], v2 offset:1552
	v_fma_f64 v[6:7], v[184:185], v[172:173], -v[6:7]
	v_add_f64 v[4:5], v[4:5], v[6:7]
	v_mul_f64 v[6:7], v[166:167], v[178:179]
	v_fma_f64 v[6:7], v[164:165], v[176:177], -v[6:7]
	v_add_f64 v[4:5], v[4:5], v[6:7]
	v_mul_f64 v[6:7], v[194:195], v[182:183]
	v_fma_f64 v[6:7], v[192:193], v[180:181], -v[6:7]
	s_waitcnt vmcnt(1) lgkmcnt(0)
	v_mul_f64 v[2:3], v[196:197], v[206:207]
	v_add_f64 v[4:5], v[4:5], v[6:7]
	v_mul_f64 v[6:7], v[198:199], v[206:207]
	v_fmac_f64_e32 v[2:3], v[198:199], v[204:205]
	v_fma_f64 v[6:7], v[196:197], v[204:205], -v[6:7]
	v_add_f64 v[2:3], v[252:253], v[2:3]
	v_add_f64 v[4:5], v[4:5], v[6:7]
	s_waitcnt vmcnt(0)
	v_add_f64 v[4:5], v[244:245], -v[4:5]
	v_add_f64 v[6:7], v[246:247], -v[2:3]
	scratch_store_dwordx4 off, v[4:7], off offset:208
	s_and_saveexec_b64 s[0:1], vcc
	s_cbranch_execz .LBB48_285
; %bb.284:
	scratch_load_dwordx4 v[2:5], off, s37
	v_mov_b32_e32 v6, 0
	v_mov_b32_e32 v7, v6
	;; [unrolled: 1-line block ×4, first 2 shown]
	v_accvgpr_read_b32 v0, a99
	scratch_store_dwordx4 off, v[6:9], off offset:192
	s_waitcnt vmcnt(1)
	ds_write_b128 v0, v[2:5]
.LBB48_285:
	s_or_b64 exec, exec, s[0:1]
	s_waitcnt lgkmcnt(0)
	; wave barrier
	scratch_load_dwordx4 v[168:171], off, off offset:208
	scratch_load_dwordx4 v[172:175], off, off offset:224
	;; [unrolled: 1-line block ×32, first 2 shown]
	v_mov_b32_e32 v2, 0
	ds_read_b128 v[176:179], v2 offset:976
	ds_read_b128 v[188:191], v2 offset:992
	;; [unrolled: 1-line block ×17, first 2 shown]
	v_accvgpr_read_b32 v0, a98
	v_cmp_lt_u32_e32 vcc, 10, v0
	s_waitcnt vmcnt(31) lgkmcnt(14)
	v_mul_f64 v[104:105], v[176:177], v[170:171]
	s_waitcnt vmcnt(30)
	v_mul_f64 v[106:107], v[188:189], v[174:175]
	v_fmac_f64_e32 v[104:105], v[178:179], v[168:169]
	s_waitcnt vmcnt(29)
	v_mul_f64 v[108:109], v[200:201], v[182:183]
	v_fmac_f64_e32 v[106:107], v[190:191], v[172:173]
	v_add_f64 v[104:105], v[104:105], 0
	s_waitcnt vmcnt(28) lgkmcnt(13)
	v_mul_f64 v[110:111], v[212:213], v[186:187]
	v_fmac_f64_e32 v[108:109], v[202:203], v[180:181]
	v_add_f64 v[104:105], v[104:105], v[106:107]
	s_waitcnt vmcnt(27) lgkmcnt(12)
	;; [unrolled: 4-line block ×12, first 2 shown]
	v_mul_f64 v[156:157], v[112:113], v[26:27]
	v_fmac_f64_e32 v[154:155], v[118:119], v[20:21]
	v_add_f64 v[104:105], v[104:105], v[152:153]
	v_fmac_f64_e32 v[156:157], v[114:115], v[24:25]
	v_add_f64 v[104:105], v[104:105], v[154:155]
	s_waitcnt vmcnt(16) lgkmcnt(1)
	v_mul_f64 v[106:107], v[100:101], v[30:31]
	v_add_f64 v[104:105], v[104:105], v[156:157]
	v_fmac_f64_e32 v[106:107], v[102:103], v[28:29]
	v_add_f64 v[108:109], v[104:105], v[106:107]
	ds_read_b128 v[144:147], v2 offset:1248
	ds_read_b128 v[148:151], v2 offset:1264
	scratch_load_dwordx4 v[104:107], off, off offset:720
	s_waitcnt vmcnt(16) lgkmcnt(2)
	v_mul_f64 v[110:111], v[96:97], v[34:35]
	v_fmac_f64_e32 v[110:111], v[98:99], v[32:33]
	v_add_f64 v[120:121], v[108:109], v[110:111]
	scratch_load_dwordx4 v[108:111], off, off offset:736
	s_waitcnt vmcnt(16) lgkmcnt(1)
	v_mul_f64 v[122:123], v[144:145], v[38:39]
	v_fmac_f64_e32 v[122:123], v[146:147], v[36:37]
	v_add_f64 v[132:133], v[120:121], v[122:123]
	s_waitcnt vmcnt(15) lgkmcnt(0)
	v_mul_f64 v[134:135], v[148:149], v[42:43]
	scratch_load_dwordx4 v[120:123], off, off offset:752
	v_fmac_f64_e32 v[134:135], v[150:151], v[40:41]
	v_add_f64 v[160:161], v[132:133], v[134:135]
	scratch_load_dwordx4 v[132:135], off, off offset:768
	ds_read_b128 v[152:155], v2 offset:1280
	ds_read_b128 v[156:159], v2 offset:1296
	v_mul_f64 v[170:171], v[178:179], v[170:171]
	v_fma_f64 v[250:251], v[176:177], v[168:169], -v[170:171]
	ds_read_b128 v[168:171], v2 offset:1344
	s_waitcnt vmcnt(16) lgkmcnt(2)
	v_mul_f64 v[162:163], v[152:153], v[46:47]
	v_fmac_f64_e32 v[162:163], v[154:155], v[44:45]
	s_waitcnt vmcnt(15) lgkmcnt(1)
	v_mul_f64 v[166:167], v[156:157], v[50:51]
	v_add_f64 v[164:165], v[160:161], v[162:163]
	ds_read_b128 v[160:163], v2 offset:1312
	v_fmac_f64_e32 v[166:167], v[158:159], v[48:49]
	v_add_f64 v[232:233], v[164:165], v[166:167]
	ds_read_b128 v[164:167], v2 offset:1328
	v_mul_f64 v[174:175], v[190:191], v[174:175]
	s_waitcnt vmcnt(14) lgkmcnt(1)
	v_mul_f64 v[234:235], v[160:161], v[54:55]
	v_fmac_f64_e32 v[234:235], v[162:163], v[52:53]
	v_add_f64 v[232:233], v[232:233], v[234:235]
	s_waitcnt vmcnt(13) lgkmcnt(0)
	v_mul_f64 v[176:177], v[164:165], v[58:59]
	v_fmac_f64_e32 v[176:177], v[166:167], v[56:57]
	v_fma_f64 v[252:253], v[188:189], v[172:173], -v[174:175]
	ds_read_b128 v[172:175], v2 offset:1360
	s_waitcnt vmcnt(12)
	v_mul_f64 v[178:179], v[168:169], v[62:63]
	v_add_f64 v[176:177], v[232:233], v[176:177]
	v_fmac_f64_e32 v[178:179], v[170:171], v[60:61]
	v_add_f64 v[188:189], v[176:177], v[178:179]
	ds_read_b128 v[176:179], v2 offset:1376
	v_mul_f64 v[182:183], v[202:203], v[182:183]
	v_fma_f64 v[254:255], v[200:201], v[180:181], -v[182:183]
	ds_read_b128 v[180:183], v2 offset:1392
	s_waitcnt vmcnt(11) lgkmcnt(2)
	v_mul_f64 v[190:191], v[172:173], v[66:67]
	v_fmac_f64_e32 v[190:191], v[174:175], v[64:65]
	v_add_f64 v[188:189], v[188:189], v[190:191]
	s_waitcnt vmcnt(10) lgkmcnt(1)
	v_mul_f64 v[190:191], v[176:177], v[70:71]
	v_fmac_f64_e32 v[190:191], v[178:179], v[68:69]
	v_mul_f64 v[186:187], v[214:215], v[186:187]
	v_fma_f64 v[240:241], v[212:213], v[184:185], -v[186:187]
	ds_read_b128 v[184:187], v2 offset:1408
	v_add_f64 v[188:189], v[188:189], v[190:191]
	s_waitcnt vmcnt(9) lgkmcnt(1)
	v_mul_f64 v[190:191], v[180:181], v[74:75]
	v_fmac_f64_e32 v[190:191], v[182:183], v[72:73]
	v_add_f64 v[200:201], v[188:189], v[190:191]
	ds_read_b128 v[188:191], v2 offset:1424
	v_mul_f64 v[194:195], v[222:223], v[194:195]
	v_fma_f64 v[232:233], v[220:221], v[192:193], -v[194:195]
	ds_read_b128 v[192:195], v2 offset:1440
	s_waitcnt vmcnt(8) lgkmcnt(2)
	v_mul_f64 v[202:203], v[184:185], v[78:79]
	v_fmac_f64_e32 v[202:203], v[186:187], v[76:77]
	v_add_f64 v[200:201], v[200:201], v[202:203]
	s_waitcnt vmcnt(7) lgkmcnt(1)
	v_mul_f64 v[202:203], v[188:189], v[82:83]
	v_fmac_f64_e32 v[202:203], v[190:191], v[80:81]
	v_mul_f64 v[198:199], v[226:227], v[198:199]
	v_add_f64 v[200:201], v[200:201], v[202:203]
	v_fma_f64 v[234:235], v[224:225], v[196:197], -v[198:199]
	ds_read_b128 v[196:199], v2 offset:1456
	s_waitcnt vmcnt(6) lgkmcnt(1)
	v_mul_f64 v[202:203], v[192:193], v[86:87]
	v_fmac_f64_e32 v[202:203], v[194:195], v[84:85]
	v_add_f64 v[212:213], v[200:201], v[202:203]
	ds_read_b128 v[200:203], v2 offset:1472
	v_mul_f64 v[206:207], v[230:231], v[206:207]
	v_fma_f64 v[236:237], v[228:229], v[204:205], -v[206:207]
	ds_read_b128 v[204:207], v2 offset:1488
	s_waitcnt vmcnt(5) lgkmcnt(2)
	v_mul_f64 v[214:215], v[196:197], v[94:95]
	v_fmac_f64_e32 v[214:215], v[198:199], v[92:93]
	v_add_f64 v[212:213], v[212:213], v[214:215]
	s_waitcnt vmcnt(4) lgkmcnt(1)
	v_mul_f64 v[214:215], v[200:201], v[90:91]
	v_fmac_f64_e32 v[214:215], v[202:203], v[88:89]
	v_mul_f64 v[210:211], v[244:245], v[210:211]
	v_fma_f64 v[238:239], v[242:243], v[208:209], -v[210:211]
	ds_read_b128 v[208:211], v2 offset:1504
	v_add_f64 v[212:213], v[212:213], v[214:215]
	s_waitcnt vmcnt(3) lgkmcnt(1)
	v_mul_f64 v[214:215], v[204:205], v[106:107]
	v_fmac_f64_e32 v[214:215], v[206:207], v[104:105]
	v_add_f64 v[220:221], v[212:213], v[214:215]
	ds_read_b128 v[212:215], v2 offset:1520
	v_mul_f64 v[218:219], v[248:249], v[218:219]
	v_fma_f64 v[242:243], v[246:247], v[216:217], -v[218:219]
	ds_read_b128 v[216:219], v2 offset:1536
	ds_read_b128 v[224:227], v2 offset:1552
	s_waitcnt vmcnt(2) lgkmcnt(3)
	v_mul_f64 v[222:223], v[208:209], v[110:111]
	v_fmac_f64_e32 v[222:223], v[210:211], v[108:109]
	v_add_f64 v[220:221], v[220:221], v[222:223]
	s_waitcnt vmcnt(1) lgkmcnt(2)
	v_mul_f64 v[222:223], v[212:213], v[122:123]
	v_fmac_f64_e32 v[222:223], v[214:215], v[120:121]
	v_add_f64 v[220:221], v[220:221], v[222:223]
	;; [unrolled: 4-line block ×3, first 2 shown]
	scratch_load_dwordx4 v[220:223], off, off offset:784
	v_mul_f64 v[6:7], v[142:143], v[6:7]
	v_fma_f64 v[4:5], v[140:141], v[4:5], -v[6:7]
	v_mul_f64 v[6:7], v[138:139], v[10:11]
	v_fma_f64 v[6:7], v[136:137], v[8:9], -v[6:7]
	s_waitcnt vmcnt(0) lgkmcnt(0)
	v_mul_f64 v[230:231], v[224:225], v[222:223]
	v_fmac_f64_e32 v[230:231], v[226:227], v[220:221]
	v_add_f64 v[246:247], v[228:229], v[230:231]
	v_add_f64 v[228:229], v[250:251], 0
	;; [unrolled: 1-line block ×6, first 2 shown]
	scratch_load_dwordx4 v[228:231], off, off offset:192
	v_add_f64 v[232:233], v[244:245], v[234:235]
	v_add_f64 v[232:233], v[232:233], v[236:237]
	;; [unrolled: 1-line block ×6, first 2 shown]
	v_mul_f64 v[6:7], v[130:131], v[14:15]
	v_fma_f64 v[6:7], v[128:129], v[12:13], -v[6:7]
	v_add_f64 v[4:5], v[4:5], v[6:7]
	v_mul_f64 v[6:7], v[126:127], v[18:19]
	v_fma_f64 v[6:7], v[124:125], v[16:17], -v[6:7]
	v_add_f64 v[4:5], v[4:5], v[6:7]
	;; [unrolled: 3-line block ×26, first 2 shown]
	s_waitcnt vmcnt(0)
	v_add_f64 v[4:5], v[228:229], -v[4:5]
	v_add_f64 v[6:7], v[230:231], -v[246:247]
	scratch_store_dwordx4 off, v[4:7], off offset:192
	s_and_saveexec_b64 s[0:1], vcc
	s_cbranch_execz .LBB48_287
; %bb.286:
	scratch_load_dwordx4 v[6:9], off, s36
	v_mov_b32_e32 v3, v2
	v_mov_b32_e32 v4, v2
	;; [unrolled: 1-line block ×3, first 2 shown]
	v_accvgpr_read_b32 v0, a99
	scratch_store_dwordx4 off, v[2:5], off offset:176
	s_waitcnt vmcnt(1)
	ds_write_b128 v0, v[6:9]
.LBB48_287:
	s_or_b64 exec, exec, s[0:1]
	s_waitcnt lgkmcnt(0)
	; wave barrier
	scratch_load_dwordx4 v[168:171], off, off offset:192
	scratch_load_dwordx4 v[172:175], off, off offset:208
	;; [unrolled: 1-line block ×16, first 2 shown]
	ds_read_b128 v[232:235], v2 offset:960
	ds_read_b128 v[176:179], v2 offset:976
	scratch_load_dwordx4 v[32:35], off, off offset:448
	ds_read_b128 v[236:239], v2 offset:992
	ds_read_b128 v[188:191], v2 offset:1008
	;; [unrolled: 1-line block ×5, first 2 shown]
	scratch_load_dwordx4 v[36:39], off, off offset:464
	ds_read_b128 v[224:227], v2 offset:1072
	ds_read_b128 v[220:223], v2 offset:1088
	ds_read_b128 v[44:47], v2 offset:1104
	scratch_load_dwordx4 v[40:43], off, off offset:480
	ds_read_b128 v[64:67], v2 offset:1120
	ds_read_b128 v[60:63], v2 offset:1136
	;; [unrolled: 1-line block ×4, first 2 shown]
	scratch_load_dwordx4 v[48:51], off, off offset:496
	ds_read_b128 v[80:83], v2 offset:1184
	ds_read_b128 v[72:75], v2 offset:1200
	;; [unrolled: 1-line block ×3, first 2 shown]
	scratch_load_dwordx4 v[76:79], off, off offset:512
	scratch_load_dwordx4 v[84:87], off, off offset:528
	;; [unrolled: 1-line block ×12, first 2 shown]
	v_accvgpr_read_b32 v0, a98
	v_cmp_lt_u32_e32 vcc, 9, v0
	s_waitcnt vmcnt(31) lgkmcnt(14)
	v_mul_f64 v[128:129], v[232:233], v[170:171]
	s_waitcnt vmcnt(30)
	v_mul_f64 v[130:131], v[176:177], v[174:175]
	v_fmac_f64_e32 v[128:129], v[234:235], v[168:169]
	s_waitcnt vmcnt(29)
	v_mul_f64 v[132:133], v[236:237], v[182:183]
	v_fmac_f64_e32 v[130:131], v[178:179], v[172:173]
	v_add_f64 v[128:129], v[128:129], 0
	s_waitcnt vmcnt(28) lgkmcnt(13)
	v_mul_f64 v[134:135], v[188:189], v[186:187]
	v_fmac_f64_e32 v[132:133], v[238:239], v[180:181]
	v_add_f64 v[128:129], v[128:129], v[130:131]
	s_waitcnt vmcnt(27) lgkmcnt(12)
	;; [unrolled: 4-line block ×13, first 2 shown]
	v_mul_f64 v[158:159], v[72:73], v[30:31]
	v_fmac_f64_e32 v[156:157], v[82:83], v[24:25]
	v_add_f64 v[128:129], v[128:129], v[154:155]
	v_add_f64 v[128:129], v[128:129], v[156:157]
	v_fmac_f64_e32 v[158:159], v[74:75], v[28:29]
	v_add_f64 v[132:133], v[128:129], v[158:159]
	ds_read_b128 v[144:147], v2 offset:1232
	ds_read_b128 v[148:151], v2 offset:1248
	scratch_load_dwordx4 v[128:131], off, off offset:704
	s_waitcnt vmcnt(16) lgkmcnt(2)
	v_mul_f64 v[134:135], v[68:69], v[34:35]
	v_fmac_f64_e32 v[134:135], v[70:71], v[32:33]
	s_waitcnt vmcnt(15) lgkmcnt(1)
	v_mul_f64 v[138:139], v[144:145], v[38:39]
	v_add_f64 v[136:137], v[132:133], v[134:135]
	scratch_load_dwordx4 v[132:135], off, off offset:720
	v_fmac_f64_e32 v[138:139], v[146:147], v[36:37]
	v_add_f64 v[140:141], v[136:137], v[138:139]
	s_waitcnt vmcnt(15) lgkmcnt(0)
	v_mul_f64 v[142:143], v[148:149], v[42:43]
	scratch_load_dwordx4 v[136:139], off, off offset:736
	v_fmac_f64_e32 v[142:143], v[150:151], v[40:41]
	v_add_f64 v[160:161], v[140:141], v[142:143]
	scratch_load_dwordx4 v[140:143], off, off offset:752
	ds_read_b128 v[152:155], v2 offset:1264
	ds_read_b128 v[156:159], v2 offset:1280
	v_mul_f64 v[170:171], v[234:235], v[170:171]
	v_fma_f64 v[246:247], v[232:233], v[168:169], -v[170:171]
	ds_read_b128 v[168:171], v2 offset:1328
	s_waitcnt vmcnt(16) lgkmcnt(2)
	v_mul_f64 v[162:163], v[152:153], v[50:51]
	v_fmac_f64_e32 v[162:163], v[154:155], v[48:49]
	s_waitcnt vmcnt(15) lgkmcnt(1)
	v_mul_f64 v[166:167], v[156:157], v[78:79]
	v_add_f64 v[164:165], v[160:161], v[162:163]
	ds_read_b128 v[160:163], v2 offset:1296
	v_fmac_f64_e32 v[166:167], v[158:159], v[76:77]
	v_add_f64 v[240:241], v[164:165], v[166:167]
	ds_read_b128 v[164:167], v2 offset:1312
	v_mul_f64 v[174:175], v[178:179], v[174:175]
	s_waitcnt vmcnt(14) lgkmcnt(1)
	v_mul_f64 v[242:243], v[160:161], v[86:87]
	v_fmac_f64_e32 v[242:243], v[162:163], v[84:85]
	v_add_f64 v[240:241], v[240:241], v[242:243]
	s_waitcnt vmcnt(13) lgkmcnt(0)
	v_mul_f64 v[232:233], v[164:165], v[90:91]
	v_fmac_f64_e32 v[232:233], v[166:167], v[88:89]
	v_add_f64 v[232:233], v[240:241], v[232:233]
	v_fma_f64 v[240:241], v[176:177], v[172:173], -v[174:175]
	ds_read_b128 v[172:175], v2 offset:1344
	s_waitcnt vmcnt(12)
	v_mul_f64 v[176:177], v[168:169], v[94:95]
	v_fmac_f64_e32 v[176:177], v[170:171], v[92:93]
	v_add_f64 v[232:233], v[232:233], v[176:177]
	ds_read_b128 v[176:179], v2 offset:1360
	v_mul_f64 v[182:183], v[238:239], v[182:183]
	v_fma_f64 v[236:237], v[236:237], v[180:181], -v[182:183]
	ds_read_b128 v[180:183], v2 offset:1376
	s_waitcnt vmcnt(11) lgkmcnt(2)
	v_mul_f64 v[234:235], v[172:173], v[98:99]
	v_fmac_f64_e32 v[234:235], v[174:175], v[96:97]
	v_add_f64 v[232:233], v[232:233], v[234:235]
	s_waitcnt vmcnt(10) lgkmcnt(1)
	v_mul_f64 v[234:235], v[176:177], v[102:103]
	v_fmac_f64_e32 v[234:235], v[178:179], v[100:101]
	v_mul_f64 v[186:187], v[190:191], v[186:187]
	s_waitcnt vmcnt(9) lgkmcnt(0)
	v_mul_f64 v[190:191], v[180:181], v[106:107]
	v_fma_f64 v[238:239], v[188:189], v[184:185], -v[186:187]
	ds_read_b128 v[184:187], v2 offset:1392
	v_add_f64 v[188:189], v[232:233], v[234:235]
	v_fmac_f64_e32 v[190:191], v[182:183], v[104:105]
	v_add_f64 v[232:233], v[188:189], v[190:191]
	ds_read_b128 v[188:191], v2 offset:1408
	v_mul_f64 v[194:195], v[230:231], v[194:195]
	v_fma_f64 v[248:249], v[228:229], v[192:193], -v[194:195]
	ds_read_b128 v[192:195], v2 offset:1424
	s_waitcnt vmcnt(8) lgkmcnt(2)
	v_mul_f64 v[234:235], v[184:185], v[110:111]
	v_fmac_f64_e32 v[234:235], v[186:187], v[108:109]
	s_waitcnt vmcnt(7) lgkmcnt(1)
	v_mul_f64 v[228:229], v[188:189], v[114:115]
	v_mul_f64 v[198:199], v[202:203], v[198:199]
	v_add_f64 v[232:233], v[232:233], v[234:235]
	v_fmac_f64_e32 v[228:229], v[190:191], v[112:113]
	v_fma_f64 v[250:251], v[200:201], v[196:197], -v[198:199]
	ds_read_b128 v[196:199], v2 offset:1440
	s_waitcnt vmcnt(6) lgkmcnt(1)
	v_mul_f64 v[200:201], v[192:193], v[118:119]
	v_add_f64 v[228:229], v[232:233], v[228:229]
	v_fmac_f64_e32 v[200:201], v[194:195], v[116:117]
	v_add_f64 v[228:229], v[228:229], v[200:201]
	ds_read_b128 v[200:203], v2 offset:1456
	v_mul_f64 v[206:207], v[214:215], v[206:207]
	v_add_f64 v[246:247], v[246:247], 0
	v_fma_f64 v[252:253], v[212:213], v[204:205], -v[206:207]
	ds_read_b128 v[204:207], v2 offset:1472
	v_add_f64 v[240:241], v[246:247], v[240:241]
	v_add_f64 v[236:237], v[240:241], v[236:237]
	;; [unrolled: 1-line block ×3, first 2 shown]
	s_waitcnt vmcnt(5) lgkmcnt(2)
	v_mul_f64 v[230:231], v[196:197], v[126:127]
	v_add_f64 v[236:237], v[236:237], v[248:249]
	v_fmac_f64_e32 v[230:231], v[198:199], v[124:125]
	s_waitcnt vmcnt(4) lgkmcnt(1)
	v_mul_f64 v[212:213], v[200:201], v[122:123]
	v_add_f64 v[236:237], v[236:237], v[250:251]
	v_add_f64 v[228:229], v[228:229], v[230:231]
	v_fmac_f64_e32 v[212:213], v[202:203], v[120:121]
	v_mul_f64 v[210:211], v[226:227], v[210:211]
	v_add_f64 v[246:247], v[236:237], v[252:253]
	scratch_load_dwordx4 v[236:239], off, off offset:176
	s_waitcnt vmcnt(4) lgkmcnt(0)
	v_mul_f64 v[214:215], v[204:205], v[130:131]
	v_fma_f64 v[242:243], v[224:225], v[208:209], -v[210:211]
	ds_read_b128 v[208:211], v2 offset:1488
	v_add_f64 v[212:213], v[228:229], v[212:213]
	v_fmac_f64_e32 v[214:215], v[206:207], v[128:129]
	v_add_f64 v[224:225], v[212:213], v[214:215]
	ds_read_b128 v[212:215], v2 offset:1504
	v_mul_f64 v[218:219], v[222:223], v[218:219]
	v_fma_f64 v[244:245], v[220:221], v[216:217], -v[218:219]
	ds_read_b128 v[216:219], v2 offset:1520
	s_waitcnt vmcnt(3) lgkmcnt(2)
	v_mul_f64 v[220:221], v[208:209], v[134:135]
	v_fmac_f64_e32 v[220:221], v[210:211], v[132:133]
	s_waitcnt vmcnt(2) lgkmcnt(1)
	v_mul_f64 v[222:223], v[212:213], v[138:139]
	v_add_f64 v[220:221], v[224:225], v[220:221]
	v_fmac_f64_e32 v[222:223], v[214:215], v[136:137]
	v_add_f64 v[220:221], v[220:221], v[222:223]
	ds_read_b128 v[224:227], v2 offset:1536
	scratch_load_dwordx4 v[232:235], off, off offset:784
	s_waitcnt vmcnt(2) lgkmcnt(1)
	v_mul_f64 v[222:223], v[216:217], v[142:143]
	v_fmac_f64_e32 v[222:223], v[218:219], v[140:141]
	v_add_f64 v[228:229], v[220:221], v[222:223]
	scratch_load_dwordx4 v[220:223], off, off offset:768
	v_add_f64 v[240:241], v[246:247], v[242:243]
	v_mul_f64 v[6:7], v[46:47], v[6:7]
	v_add_f64 v[240:241], v[240:241], v[244:245]
	v_fma_f64 v[4:5], v[44:45], v[4:5], -v[6:7]
	v_mul_f64 v[6:7], v[66:67], v[10:11]
	v_add_f64 v[4:5], v[240:241], v[4:5]
	v_fma_f64 v[6:7], v[64:65], v[8:9], -v[6:7]
	v_add_f64 v[4:5], v[4:5], v[6:7]
	v_mul_f64 v[6:7], v[62:63], v[14:15]
	v_fma_f64 v[6:7], v[60:61], v[12:13], -v[6:7]
	v_add_f64 v[4:5], v[4:5], v[6:7]
	v_mul_f64 v[6:7], v[58:59], v[18:19]
	;; [unrolled: 3-line block ×24, first 2 shown]
	v_fma_f64 v[6:7], v[212:213], v[136:137], -v[6:7]
	s_waitcnt vmcnt(0) lgkmcnt(0)
	v_mul_f64 v[230:231], v[224:225], v[222:223]
	v_fmac_f64_e32 v[230:231], v[226:227], v[220:221]
	v_add_f64 v[254:255], v[228:229], v[230:231]
	ds_read_b128 v[228:231], v2 offset:1552
	v_add_f64 v[4:5], v[4:5], v[6:7]
	v_mul_f64 v[6:7], v[218:219], v[142:143]
	v_fma_f64 v[6:7], v[216:217], v[140:141], -v[6:7]
	v_add_f64 v[4:5], v[4:5], v[6:7]
	v_mul_f64 v[6:7], v[226:227], v[222:223]
	v_fma_f64 v[6:7], v[224:225], v[220:221], -v[6:7]
	s_waitcnt lgkmcnt(0)
	v_mul_f64 v[2:3], v[228:229], v[234:235]
	v_add_f64 v[4:5], v[4:5], v[6:7]
	v_mul_f64 v[6:7], v[230:231], v[234:235]
	v_fmac_f64_e32 v[2:3], v[230:231], v[232:233]
	v_fma_f64 v[6:7], v[228:229], v[232:233], -v[6:7]
	v_add_f64 v[2:3], v[254:255], v[2:3]
	v_add_f64 v[4:5], v[4:5], v[6:7]
	v_add_f64 v[4:5], v[236:237], -v[4:5]
	v_add_f64 v[6:7], v[238:239], -v[2:3]
	scratch_store_dwordx4 off, v[4:7], off offset:176
	s_and_saveexec_b64 s[0:1], vcc
	s_cbranch_execz .LBB48_289
; %bb.288:
	scratch_load_dwordx4 v[2:5], off, s35
	v_mov_b32_e32 v6, 0
	v_mov_b32_e32 v7, v6
	;; [unrolled: 1-line block ×4, first 2 shown]
	v_accvgpr_read_b32 v0, a99
	scratch_store_dwordx4 off, v[6:9], off offset:160
	s_waitcnt vmcnt(1)
	ds_write_b128 v0, v[2:5]
.LBB48_289:
	s_or_b64 exec, exec, s[0:1]
	s_waitcnt lgkmcnt(0)
	; wave barrier
	scratch_load_dwordx4 v[80:83], off, off offset:176
	scratch_load_dwordx4 v[84:87], off, off offset:192
	;; [unrolled: 1-line block ×31, first 2 shown]
	v_mov_b32_e32 v2, 0
	ds_read_b128 v[196:199], v2 offset:944
	ds_read_b128 v[200:203], v2 offset:960
	;; [unrolled: 1-line block ×20, first 2 shown]
	s_waitcnt vmcnt(30) lgkmcnt(14)
	v_mul_f64 v[140:141], v[196:197], v[82:83]
	s_waitcnt vmcnt(29)
	v_mul_f64 v[142:143], v[200:201], v[86:87]
	v_fmac_f64_e32 v[140:141], v[198:199], v[80:81]
	s_waitcnt vmcnt(28)
	v_mul_f64 v[152:153], v[204:205], v[90:91]
	v_fmac_f64_e32 v[142:143], v[202:203], v[84:85]
	v_add_f64 v[140:141], v[140:141], 0
	s_waitcnt vmcnt(27)
	v_mul_f64 v[154:155], v[208:209], v[94:95]
	v_fmac_f64_e32 v[152:153], v[206:207], v[88:89]
	v_add_f64 v[140:141], v[140:141], v[142:143]
	;; [unrolled: 4-line block ×4, first 2 shown]
	s_waitcnt vmcnt(24) lgkmcnt(13)
	v_mul_f64 v[164:165], v[220:221], v[106:107]
	v_fmac_f64_e32 v[162:163], v[218:219], v[100:101]
	v_add_f64 v[140:141], v[140:141], v[160:161]
	s_waitcnt vmcnt(23) lgkmcnt(12)
	v_mul_f64 v[166:167], v[224:225], v[110:111]
	v_fmac_f64_e32 v[164:165], v[222:223], v[104:105]
	v_add_f64 v[140:141], v[140:141], v[162:163]
	;; [unrolled: 4-line block ×8, first 2 shown]
	v_fmac_f64_e32 v[178:179], v[146:147], v[12:13]
	v_add_f64 v[140:141], v[140:141], v[176:177]
	v_add_f64 v[140:141], v[140:141], v[178:179]
	ds_read_b128 v[176:179], v2 offset:1216
	s_waitcnt vmcnt(16) lgkmcnt(6)
	v_mul_f64 v[180:181], v[136:137], v[18:19]
	s_waitcnt vmcnt(15) lgkmcnt(5)
	v_mul_f64 v[182:183], v[132:133], v[22:23]
	v_fmac_f64_e32 v[180:181], v[138:139], v[16:17]
	v_add_f64 v[152:153], v[140:141], v[180:181]
	v_fmac_f64_e32 v[182:183], v[134:135], v[20:21]
	scratch_load_dwordx4 v[140:143], off, off offset:672
	s_waitcnt vmcnt(15) lgkmcnt(4)
	v_mul_f64 v[154:155], v[128:129], v[26:27]
	v_add_f64 v[152:153], v[152:153], v[182:183]
	v_fmac_f64_e32 v[154:155], v[130:131], v[24:25]
	v_add_f64 v[160:161], v[152:153], v[154:155]
	ds_read_b128 v[180:183], v2 offset:1232
	s_waitcnt vmcnt(14) lgkmcnt(1)
	v_mul_f64 v[162:163], v[176:177], v[30:31]
	scratch_load_dwordx4 v[152:155], off, off offset:688
	v_fmac_f64_e32 v[162:163], v[178:179], v[28:29]
	v_add_f64 v[164:165], v[160:161], v[162:163]
	scratch_load_dwordx4 v[160:163], off, off offset:704
	s_waitcnt vmcnt(15) lgkmcnt(0)
	v_mul_f64 v[166:167], v[180:181], v[34:35]
	v_fmac_f64_e32 v[166:167], v[182:183], v[32:33]
	v_add_f64 v[168:169], v[164:165], v[166:167]
	s_waitcnt vmcnt(14)
	v_mul_f64 v[170:171], v[184:185], v[38:39]
	scratch_load_dwordx4 v[164:167], off, off offset:720
	v_fmac_f64_e32 v[170:171], v[186:187], v[36:37]
	v_add_f64 v[168:169], v[168:169], v[170:171]
	s_waitcnt vmcnt(14)
	v_mul_f64 v[170:171], v[188:189], v[42:43]
	scratch_load_dwordx4 v[172:175], off, off offset:736
	v_fmac_f64_e32 v[170:171], v[190:191], v[40:41]
	v_add_f64 v[232:233], v[168:169], v[170:171]
	scratch_load_dwordx4 v[168:171], off, off offset:752
	v_mul_f64 v[82:83], v[198:199], v[82:83]
	v_fma_f64 v[240:241], v[196:197], v[80:81], -v[82:83]
	ds_read_b128 v[196:199], v2 offset:1296
	s_waitcnt vmcnt(15)
	v_mul_f64 v[80:81], v[192:193], v[46:47]
	v_fmac_f64_e32 v[80:81], v[194:195], v[44:45]
	v_add_f64 v[232:233], v[232:233], v[80:81]
	v_mul_f64 v[80:81], v[202:203], v[86:87]
	v_fma_f64 v[250:251], v[200:201], v[84:85], -v[80:81]
	scratch_load_dwordx4 v[80:83], off, off offset:768
	ds_read_b128 v[84:87], v2 offset:1312
	v_mul_f64 v[90:91], v[206:207], v[90:91]
	v_fma_f64 v[252:253], v[204:205], v[88:89], -v[90:91]
	ds_read_b128 v[88:91], v2 offset:1328
	s_waitcnt vmcnt(15) lgkmcnt(2)
	v_mul_f64 v[200:201], v[196:197], v[50:51]
	v_fmac_f64_e32 v[200:201], v[198:199], v[48:49]
	s_waitcnt vmcnt(14) lgkmcnt(1)
	v_mul_f64 v[202:203], v[84:85], v[54:55]
	v_add_f64 v[200:201], v[232:233], v[200:201]
	v_fmac_f64_e32 v[202:203], v[86:87], v[52:53]
	v_mul_f64 v[94:95], v[210:211], v[94:95]
	v_fma_f64 v[254:255], v[208:209], v[92:93], -v[94:95]
	ds_read_b128 v[92:95], v2 offset:1344
	v_add_f64 v[200:201], v[200:201], v[202:203]
	s_waitcnt vmcnt(13) lgkmcnt(1)
	v_mul_f64 v[202:203], v[88:89], v[58:59]
	v_fmac_f64_e32 v[202:203], v[90:91], v[56:57]
	v_add_f64 v[204:205], v[200:201], v[202:203]
	ds_read_b128 v[200:203], v2 offset:1360
	v_mul_f64 v[98:99], v[214:215], v[98:99]
	v_fma_f64 v[232:233], v[212:213], v[96:97], -v[98:99]
	ds_read_b128 v[96:99], v2 offset:1376
	s_waitcnt vmcnt(12) lgkmcnt(2)
	v_mul_f64 v[206:207], v[92:93], v[62:63]
	v_fmac_f64_e32 v[206:207], v[94:95], v[60:61]
	v_add_f64 v[204:205], v[204:205], v[206:207]
	s_waitcnt vmcnt(11) lgkmcnt(1)
	v_mul_f64 v[206:207], v[200:201], v[66:67]
	v_fmac_f64_e32 v[206:207], v[202:203], v[64:65]
	v_mul_f64 v[102:103], v[218:219], v[102:103]
	v_add_f64 v[204:205], v[204:205], v[206:207]
	v_fma_f64 v[4:5], v[216:217], v[100:101], -v[102:103]
	ds_read_b128 v[100:103], v2 offset:1392
	s_waitcnt vmcnt(10) lgkmcnt(1)
	v_mul_f64 v[206:207], v[96:97], v[70:71]
	v_fmac_f64_e32 v[206:207], v[98:99], v[68:69]
	v_add_f64 v[208:209], v[204:205], v[206:207]
	ds_read_b128 v[204:207], v2 offset:1408
	v_mul_f64 v[106:107], v[222:223], v[106:107]
	v_fma_f64 v[0:1], v[220:221], v[104:105], -v[106:107]
	ds_read_b128 v[104:107], v2 offset:1424
	s_waitcnt vmcnt(9) lgkmcnt(2)
	v_mul_f64 v[210:211], v[100:101], v[74:75]
	v_fmac_f64_e32 v[210:211], v[102:103], v[72:73]
	v_add_f64 v[208:209], v[208:209], v[210:211]
	s_waitcnt vmcnt(8) lgkmcnt(1)
	v_mul_f64 v[210:211], v[204:205], v[78:79]
	v_fmac_f64_e32 v[210:211], v[206:207], v[76:77]
	v_mul_f64 v[6:7], v[226:227], v[110:111]
	v_fma_f64 v[6:7], v[224:225], v[108:109], -v[6:7]
	ds_read_b128 v[108:111], v2 offset:1440
	v_add_f64 v[208:209], v[208:209], v[210:211]
	s_waitcnt vmcnt(7) lgkmcnt(1)
	v_mul_f64 v[210:211], v[104:105], v[126:127]
	v_fmac_f64_e32 v[210:211], v[106:107], v[124:125]
	v_mul_f64 v[114:115], v[230:231], v[114:115]
	v_add_f64 v[212:213], v[208:209], v[210:211]
	ds_read_b128 v[208:211], v2 offset:1456
	v_fma_f64 v[112:113], v[228:229], v[112:113], -v[114:115]
	v_accvgpr_write_b32 a100, v112
	v_accvgpr_write_b32 a101, v113
	ds_read_b128 v[112:115], v2 offset:1472
	s_waitcnt vmcnt(6) lgkmcnt(2)
	v_mul_f64 v[214:215], v[108:109], v[142:143]
	v_fmac_f64_e32 v[214:215], v[110:111], v[140:141]
	v_add_f64 v[212:213], v[212:213], v[214:215]
	s_waitcnt vmcnt(5) lgkmcnt(1)
	v_mul_f64 v[214:215], v[208:209], v[154:155]
	v_fmac_f64_e32 v[214:215], v[210:211], v[152:153]
	v_mul_f64 v[118:119], v[244:245], v[118:119]
	v_add_f64 v[212:213], v[212:213], v[214:215]
	v_fma_f64 v[238:239], v[242:243], v[116:117], -v[118:119]
	ds_read_b128 v[116:119], v2 offset:1488
	s_waitcnt vmcnt(4) lgkmcnt(1)
	v_mul_f64 v[214:215], v[112:113], v[162:163]
	v_fmac_f64_e32 v[214:215], v[114:115], v[160:161]
	v_add_f64 v[216:217], v[212:213], v[214:215]
	ds_read_b128 v[212:215], v2 offset:1504
	v_mul_f64 v[122:123], v[248:249], v[122:123]
	v_fma_f64 v[242:243], v[246:247], v[120:121], -v[122:123]
	ds_read_b128 v[120:123], v2 offset:1520
	s_waitcnt vmcnt(3) lgkmcnt(2)
	v_mul_f64 v[218:219], v[116:117], v[166:167]
	v_fmac_f64_e32 v[218:219], v[118:119], v[164:165]
	v_add_f64 v[216:217], v[216:217], v[218:219]
	s_waitcnt vmcnt(2) lgkmcnt(1)
	v_mul_f64 v[218:219], v[212:213], v[174:175]
	v_fmac_f64_e32 v[218:219], v[214:215], v[172:173]
	v_add_f64 v[216:217], v[216:217], v[218:219]
	;; [unrolled: 4-line block ×3, first 2 shown]
	ds_read_b128 v[216:219], v2 offset:1536
	ds_read_b128 v[224:227], v2 offset:1552
	s_waitcnt vmcnt(0) lgkmcnt(1)
	v_mul_f64 v[222:223], v[216:217], v[82:83]
	v_fmac_f64_e32 v[222:223], v[218:219], v[80:81]
	v_add_f64 v[228:229], v[220:221], v[222:223]
	scratch_load_dwordx4 v[220:223], off, off offset:784
	s_waitcnt vmcnt(0) lgkmcnt(0)
	v_mul_f64 v[230:231], v[224:225], v[222:223]
	v_fmac_f64_e32 v[230:231], v[226:227], v[220:221]
	v_add_f64 v[246:247], v[228:229], v[230:231]
	v_add_f64 v[228:229], v[240:241], 0
	;; [unrolled: 1-line block ×7, first 2 shown]
	scratch_load_dwordx4 v[228:231], off, off offset:160
	v_add_f64 v[244:245], v[4:5], v[0:1]
	v_accvgpr_read_b32 v4, a100
	v_add_f64 v[0:1], v[244:245], v[6:7]
	v_accvgpr_read_b32 v5, a101
	v_add_f64 v[0:1], v[0:1], v[4:5]
	v_add_f64 v[0:1], v[0:1], v[238:239]
	v_mul_f64 v[4:5], v[158:159], v[236:237]
	v_add_f64 v[0:1], v[0:1], v[242:243]
	v_fma_f64 v[4:5], v[156:157], v[234:235], -v[4:5]
	v_add_f64 v[0:1], v[0:1], v[4:5]
	v_mul_f64 v[4:5], v[150:151], v[10:11]
	v_fma_f64 v[4:5], v[148:149], v[8:9], -v[4:5]
	v_add_f64 v[0:1], v[0:1], v[4:5]
	v_mul_f64 v[4:5], v[146:147], v[14:15]
	;; [unrolled: 3-line block ×27, first 2 shown]
	v_fma_f64 v[4:5], v[224:225], v[220:221], -v[4:5]
	v_add_f64 v[0:1], v[0:1], v[4:5]
	s_waitcnt vmcnt(0)
	v_add_f64 v[4:5], v[228:229], -v[0:1]
	v_accvgpr_read_b32 v0, a98
	v_add_f64 v[6:7], v[230:231], -v[246:247]
	v_cmp_lt_u32_e32 vcc, 8, v0
	scratch_store_dwordx4 off, v[4:7], off offset:160
	s_and_saveexec_b64 s[0:1], vcc
	s_cbranch_execz .LBB48_291
; %bb.290:
	scratch_load_dwordx4 v[6:9], off, s34
	v_mov_b32_e32 v3, v2
	v_mov_b32_e32 v4, v2
	;; [unrolled: 1-line block ×3, first 2 shown]
	v_accvgpr_read_b32 v0, a99
	scratch_store_dwordx4 off, v[2:5], off offset:144
	s_waitcnt vmcnt(1)
	ds_write_b128 v0, v[6:9]
.LBB48_291:
	s_or_b64 exec, exec, s[0:1]
	s_waitcnt lgkmcnt(0)
	; wave barrier
	scratch_load_dwordx4 v[132:135], off, off offset:160
	scratch_load_dwordx4 v[160:163], off, off offset:176
	;; [unrolled: 1-line block ×16, first 2 shown]
	ds_read_b128 v[156:159], v2 offset:928
	ds_read_b128 v[172:175], v2 offset:944
	scratch_load_dwordx4 v[24:27], off, off offset:416
	ds_read_b128 v[232:235], v2 offset:960
	ds_read_b128 v[228:231], v2 offset:976
	scratch_load_dwordx4 v[28:31], off, off offset:432
	ds_read_b128 v[236:239], v2 offset:992
	ds_read_b128 v[184:187], v2 offset:1008
	;; [unrolled: 1-line block ×5, first 2 shown]
	scratch_load_dwordx4 v[32:35], off, off offset:448
	ds_read_b128 v[220:223], v2 offset:1072
	ds_read_b128 v[216:219], v2 offset:1088
	;; [unrolled: 1-line block ×3, first 2 shown]
	scratch_load_dwordx4 v[36:39], off, off offset:464
	ds_read_b128 v[64:67], v2 offset:1120
	ds_read_b128 v[60:63], v2 offset:1136
	;; [unrolled: 1-line block ×5, first 2 shown]
	scratch_load_dwordx4 v[52:55], off, off offset:480
	scratch_load_dwordx4 v[68:71], off, off offset:496
	scratch_load_dwordx4 v[72:75], off, off offset:512
	scratch_load_dwordx4 v[76:79], off, off offset:528
	scratch_load_dwordx4 v[80:83], off, off offset:544
	scratch_load_dwordx4 v[84:87], off, off offset:560
	scratch_load_dwordx4 v[88:91], off, off offset:576
	scratch_load_dwordx4 v[92:95], off, off offset:592
	scratch_load_dwordx4 v[96:99], off, off offset:608
	scratch_load_dwordx4 v[100:103], off, off offset:624
	scratch_load_dwordx4 v[104:107], off, off offset:640
	ds_read_b128 v[144:147], v2 offset:1232
	ds_read_b128 v[148:151], v2 offset:1248
	;; [unrolled: 1-line block ×3, first 2 shown]
	s_waitcnt vmcnt(30) lgkmcnt(14)
	v_mul_f64 v[0:1], v[156:157], v[134:135]
	s_waitcnt vmcnt(29)
	v_mul_f64 v[108:109], v[172:173], v[162:163]
	v_fmac_f64_e32 v[0:1], v[158:159], v[132:133]
	s_waitcnt vmcnt(28)
	v_mul_f64 v[110:111], v[232:233], v[166:167]
	v_fmac_f64_e32 v[108:109], v[174:175], v[160:161]
	v_add_f64 v[0:1], v[0:1], 0
	s_waitcnt vmcnt(27)
	v_mul_f64 v[112:113], v[228:229], v[170:171]
	v_fmac_f64_e32 v[110:111], v[234:235], v[164:165]
	v_add_f64 v[0:1], v[0:1], v[108:109]
	;; [unrolled: 4-line block ×4, first 2 shown]
	s_waitcnt vmcnt(24) lgkmcnt(13)
	v_mul_f64 v[118:119], v[224:225], v[190:191]
	v_fmac_f64_e32 v[116:117], v[186:187], v[180:181]
	v_add_f64 v[0:1], v[0:1], v[114:115]
	s_waitcnt vmcnt(23) lgkmcnt(12)
	v_mul_f64 v[120:121], v[196:197], v[194:195]
	v_fmac_f64_e32 v[118:119], v[226:227], v[188:189]
	v_add_f64 v[0:1], v[0:1], v[116:117]
	;; [unrolled: 4-line block ×9, first 2 shown]
	v_fmac_f64_e32 v[138:139], v[58:59], v[16:17]
	v_add_f64 v[0:1], v[0:1], v[136:137]
	v_add_f64 v[0:1], v[0:1], v[138:139]
	ds_read_b128 v[136:139], v2 offset:1200
	s_waitcnt vmcnt(15) lgkmcnt(5)
	v_mul_f64 v[140:141], v[48:49], v[22:23]
	v_fmac_f64_e32 v[140:141], v[50:51], v[20:21]
	s_waitcnt vmcnt(14) lgkmcnt(4)
	v_mul_f64 v[112:113], v[44:45], v[26:27]
	scratch_load_dwordx4 v[108:111], off, off offset:656
	v_add_f64 v[0:1], v[0:1], v[140:141]
	v_fmac_f64_e32 v[112:113], v[46:47], v[24:25]
	v_add_f64 v[0:1], v[0:1], v[112:113]
	scratch_load_dwordx4 v[112:115], off, off offset:672
	ds_read_b128 v[140:143], v2 offset:1216
	s_waitcnt vmcnt(15) lgkmcnt(1)
	v_mul_f64 v[116:117], v[136:137], v[30:31]
	v_fmac_f64_e32 v[116:117], v[138:139], v[28:29]
	v_add_f64 v[0:1], v[0:1], v[116:117]
	scratch_load_dwordx4 v[116:119], off, off offset:688
	s_waitcnt vmcnt(15) lgkmcnt(0)
	v_mul_f64 v[120:121], v[140:141], v[34:35]
	v_fmac_f64_e32 v[120:121], v[142:143], v[32:33]
	s_waitcnt vmcnt(14)
	v_mul_f64 v[124:125], v[144:145], v[38:39]
	v_add_f64 v[0:1], v[0:1], v[120:121]
	scratch_load_dwordx4 v[120:123], off, off offset:704
	v_fmac_f64_e32 v[124:125], v[146:147], v[36:37]
	v_add_f64 v[0:1], v[0:1], v[124:125]
	s_waitcnt vmcnt(14)
	v_mul_f64 v[124:125], v[148:149], v[54:55]
	scratch_load_dwordx4 v[128:131], off, off offset:720
	v_fmac_f64_e32 v[124:125], v[150:151], v[52:53]
	v_add_f64 v[0:1], v[0:1], v[124:125]
	scratch_load_dwordx4 v[124:127], off, off offset:736
	v_mul_f64 v[134:135], v[158:159], v[134:135]
	v_fma_f64 v[240:241], v[156:157], v[132:133], -v[134:135]
	ds_read_b128 v[156:159], v2 offset:1280
	s_waitcnt vmcnt(15)
	v_mul_f64 v[132:133], v[152:153], v[70:71]
	v_fmac_f64_e32 v[132:133], v[154:155], v[68:69]
	v_add_f64 v[0:1], v[0:1], v[132:133]
	v_mul_f64 v[132:133], v[174:175], v[162:163]
	v_fma_f64 v[246:247], v[172:173], v[160:161], -v[132:133]
	scratch_load_dwordx4 v[132:135], off, off offset:752
	ds_read_b128 v[160:163], v2 offset:1296
	v_mul_f64 v[166:167], v[234:235], v[166:167]
	v_fma_f64 v[248:249], v[232:233], v[164:165], -v[166:167]
	ds_read_b128 v[164:167], v2 offset:1312
	s_waitcnt vmcnt(15) lgkmcnt(2)
	v_mul_f64 v[172:173], v[156:157], v[74:75]
	v_fmac_f64_e32 v[172:173], v[158:159], v[72:73]
	v_add_f64 v[0:1], v[0:1], v[172:173]
	s_waitcnt vmcnt(14) lgkmcnt(1)
	v_mul_f64 v[172:173], v[160:161], v[78:79]
	v_fmac_f64_e32 v[172:173], v[162:163], v[76:77]
	v_mul_f64 v[170:171], v[230:231], v[170:171]
	v_fma_f64 v[250:251], v[228:229], v[168:169], -v[170:171]
	ds_read_b128 v[168:171], v2 offset:1328
	v_add_f64 v[0:1], v[0:1], v[172:173]
	s_waitcnt vmcnt(13) lgkmcnt(1)
	v_mul_f64 v[172:173], v[164:165], v[82:83]
	v_fmac_f64_e32 v[172:173], v[166:167], v[80:81]
	v_add_f64 v[0:1], v[0:1], v[172:173]
	ds_read_b128 v[172:175], v2 offset:1344
	v_mul_f64 v[178:179], v[238:239], v[178:179]
	v_fma_f64 v[236:237], v[236:237], v[176:177], -v[178:179]
	ds_read_b128 v[176:179], v2 offset:1360
	s_waitcnt vmcnt(12) lgkmcnt(2)
	v_mul_f64 v[228:229], v[168:169], v[86:87]
	v_fmac_f64_e32 v[228:229], v[170:171], v[84:85]
	v_add_f64 v[0:1], v[0:1], v[228:229]
	s_waitcnt vmcnt(11) lgkmcnt(1)
	v_mul_f64 v[228:229], v[172:173], v[90:91]
	v_mul_f64 v[182:183], v[186:187], v[182:183]
	v_fmac_f64_e32 v[228:229], v[174:175], v[88:89]
	v_fma_f64 v[238:239], v[184:185], v[180:181], -v[182:183]
	ds_read_b128 v[180:183], v2 offset:1376
	s_waitcnt vmcnt(10) lgkmcnt(1)
	v_mul_f64 v[184:185], v[176:177], v[94:95]
	v_add_f64 v[0:1], v[0:1], v[228:229]
	v_fmac_f64_e32 v[184:185], v[178:179], v[92:93]
	v_add_f64 v[0:1], v[0:1], v[184:185]
	ds_read_b128 v[184:187], v2 offset:1392
	v_mul_f64 v[190:191], v[226:227], v[190:191]
	v_fma_f64 v[252:253], v[224:225], v[188:189], -v[190:191]
	ds_read_b128 v[188:191], v2 offset:1408
	s_waitcnt vmcnt(9) lgkmcnt(2)
	v_mul_f64 v[228:229], v[180:181], v[98:99]
	v_fmac_f64_e32 v[228:229], v[182:183], v[96:97]
	s_waitcnt vmcnt(8) lgkmcnt(1)
	v_mul_f64 v[224:225], v[184:185], v[102:103]
	v_mul_f64 v[194:195], v[198:199], v[194:195]
	v_add_f64 v[0:1], v[0:1], v[228:229]
	v_fmac_f64_e32 v[224:225], v[186:187], v[100:101]
	v_fma_f64 v[254:255], v[196:197], v[192:193], -v[194:195]
	s_waitcnt vmcnt(7) lgkmcnt(0)
	v_mul_f64 v[196:197], v[188:189], v[106:107]
	ds_read_b128 v[192:195], v2 offset:1424
	v_add_f64 v[0:1], v[0:1], v[224:225]
	v_fmac_f64_e32 v[196:197], v[190:191], v[104:105]
	v_add_f64 v[0:1], v[0:1], v[196:197]
	ds_read_b128 v[196:199], v2 offset:1440
	v_mul_f64 v[202:203], v[210:211], v[202:203]
	v_fma_f64 v[242:243], v[208:209], v[200:201], -v[202:203]
	ds_read_b128 v[200:203], v2 offset:1456
	s_waitcnt vmcnt(6) lgkmcnt(2)
	v_mul_f64 v[224:225], v[192:193], v[110:111]
	v_fmac_f64_e32 v[224:225], v[194:195], v[108:109]
	s_waitcnt vmcnt(5) lgkmcnt(1)
	v_mul_f64 v[208:209], v[196:197], v[114:115]
	v_add_f64 v[0:1], v[0:1], v[224:225]
	v_fmac_f64_e32 v[208:209], v[198:199], v[112:113]
	v_add_f64 v[208:209], v[0:1], v[208:209]
	v_mul_f64 v[0:1], v[222:223], v[206:207]
	v_fma_f64 v[0:1], v[220:221], v[204:205], -v[0:1]
	ds_read_b128 v[204:207], v2 offset:1472
	s_waitcnt vmcnt(4) lgkmcnt(1)
	v_mul_f64 v[210:211], v[200:201], v[118:119]
	v_fmac_f64_e32 v[210:211], v[202:203], v[116:117]
	v_add_f64 v[220:221], v[208:209], v[210:211]
	ds_read_b128 v[208:211], v2 offset:1488
	v_mul_f64 v[214:215], v[218:219], v[214:215]
	v_fma_f64 v[244:245], v[216:217], v[212:213], -v[214:215]
	ds_read_b128 v[212:215], v2 offset:1504
	s_waitcnt vmcnt(3) lgkmcnt(2)
	v_mul_f64 v[216:217], v[204:205], v[122:123]
	v_fmac_f64_e32 v[216:217], v[206:207], v[120:121]
	s_waitcnt vmcnt(2) lgkmcnt(1)
	v_mul_f64 v[218:219], v[208:209], v[130:131]
	v_add_f64 v[216:217], v[220:221], v[216:217]
	v_fmac_f64_e32 v[218:219], v[210:211], v[128:129]
	v_add_f64 v[216:217], v[216:217], v[218:219]
	s_waitcnt vmcnt(1) lgkmcnt(0)
	v_mul_f64 v[218:219], v[212:213], v[126:127]
	v_fmac_f64_e32 v[218:219], v[214:215], v[124:125]
	v_add_f64 v[220:221], v[216:217], v[218:219]
	ds_read_b128 v[216:219], v2 offset:1520
	ds_read_b128 v[224:227], v2 offset:1536
	scratch_load_dwordx4 v[232:235], off, off offset:784
	v_accvgpr_write_b32 a101, v1
	v_accvgpr_write_b32 a100, v0
	s_waitcnt vmcnt(1) lgkmcnt(1)
	v_mul_f64 v[222:223], v[216:217], v[134:135]
	v_fmac_f64_e32 v[222:223], v[218:219], v[132:133]
	v_add_f64 v[228:229], v[220:221], v[222:223]
	scratch_load_dwordx4 v[220:223], off, off offset:768
	v_mul_f64 v[6:7], v[42:43], v[6:7]
	v_fma_f64 v[4:5], v[40:41], v[4:5], -v[6:7]
	s_waitcnt vmcnt(0) lgkmcnt(0)
	v_mul_f64 v[230:231], v[224:225], v[222:223]
	v_fmac_f64_e32 v[230:231], v[226:227], v[220:221]
	v_add_f64 v[0:1], v[228:229], v[230:231]
	ds_read_b128 v[228:231], v2 offset:1552
	s_waitcnt lgkmcnt(0)
	v_mul_f64 v[2:3], v[228:229], v[234:235]
	v_fmac_f64_e32 v[2:3], v[230:231], v[232:233]
	v_add_f64 v[2:3], v[0:1], v[2:3]
	v_add_f64 v[0:1], v[240:241], 0
	;; [unrolled: 1-line block ×7, first 2 shown]
	scratch_load_dwordx4 v[236:239], off, off offset:144
	v_add_f64 v[0:1], v[0:1], v[252:253]
	v_add_f64 v[0:1], v[0:1], v[254:255]
	;; [unrolled: 1-line block ×3, first 2 shown]
	v_accvgpr_read_b32 v0, a100
	v_accvgpr_read_b32 v1, a101
	v_add_f64 v[0:1], v[246:247], v[0:1]
	v_add_f64 v[0:1], v[0:1], v[244:245]
	;; [unrolled: 1-line block ×3, first 2 shown]
	v_mul_f64 v[4:5], v[66:67], v[10:11]
	v_fma_f64 v[4:5], v[64:65], v[8:9], -v[4:5]
	v_add_f64 v[0:1], v[0:1], v[4:5]
	v_mul_f64 v[4:5], v[62:63], v[14:15]
	v_fma_f64 v[4:5], v[60:61], v[12:13], -v[4:5]
	v_add_f64 v[0:1], v[0:1], v[4:5]
	;; [unrolled: 3-line block ×28, first 2 shown]
	s_waitcnt vmcnt(0)
	v_add_f64 v[4:5], v[236:237], -v[0:1]
	v_accvgpr_read_b32 v0, a98
	v_add_f64 v[6:7], v[238:239], -v[2:3]
	v_cmp_lt_u32_e32 vcc, 7, v0
	scratch_store_dwordx4 off, v[4:7], off offset:144
	s_and_saveexec_b64 s[0:1], vcc
	s_cbranch_execz .LBB48_293
; %bb.292:
	scratch_load_dwordx4 v[2:5], off, s33
	v_mov_b32_e32 v6, 0
	v_mov_b32_e32 v7, v6
	;; [unrolled: 1-line block ×4, first 2 shown]
	v_accvgpr_read_b32 v0, a99
	scratch_store_dwordx4 off, v[6:9], off offset:128
	s_waitcnt vmcnt(1)
	ds_write_b128 v0, v[2:5]
.LBB48_293:
	s_or_b64 exec, exec, s[0:1]
	s_waitcnt lgkmcnt(0)
	; wave barrier
	scratch_load_dwordx4 v[112:115], off, off offset:144
	scratch_load_dwordx4 v[116:119], off, off offset:160
	;; [unrolled: 1-line block ×30, first 2 shown]
	v_mov_b32_e32 v2, 0
	ds_read_b128 v[144:147], v2 offset:912
	ds_read_b128 v[156:159], v2 offset:928
	;; [unrolled: 1-line block ×20, first 2 shown]
	s_waitcnt vmcnt(29) lgkmcnt(14)
	v_mul_f64 v[0:1], v[144:145], v[114:115]
	s_waitcnt vmcnt(28)
	v_mul_f64 v[88:89], v[156:157], v[118:119]
	v_fmac_f64_e32 v[0:1], v[146:147], v[112:113]
	s_waitcnt vmcnt(27)
	v_mul_f64 v[90:91], v[168:169], v[122:123]
	v_fmac_f64_e32 v[88:89], v[158:159], v[116:117]
	v_add_f64 v[0:1], v[0:1], 0
	s_waitcnt vmcnt(26)
	v_mul_f64 v[92:93], v[180:181], v[154:155]
	v_fmac_f64_e32 v[90:91], v[170:171], v[120:121]
	v_add_f64 v[0:1], v[0:1], v[88:89]
	;; [unrolled: 4-line block ×4, first 2 shown]
	s_waitcnt vmcnt(23) lgkmcnt(13)
	v_mul_f64 v[98:99], v[212:213], v[174:175]
	v_fmac_f64_e32 v[96:97], v[206:207], v[164:165]
	v_add_f64 v[0:1], v[0:1], v[94:95]
	s_waitcnt vmcnt(22) lgkmcnt(12)
	v_mul_f64 v[100:101], v[216:217], v[178:179]
	v_fmac_f64_e32 v[98:99], v[214:215], v[172:173]
	v_add_f64 v[0:1], v[0:1], v[96:97]
	;; [unrolled: 4-line block ×9, first 2 shown]
	v_fmac_f64_e32 v[126:127], v[82:83], v[8:9]
	v_add_f64 v[0:1], v[0:1], v[124:125]
	scratch_load_dwordx4 v[88:91], off, off offset:624
	s_waitcnt vmcnt(15) lgkmcnt(4)
	v_mul_f64 v[128:129], v[76:77], v[236:237]
	v_add_f64 v[0:1], v[0:1], v[126:127]
	ds_read_b128 v[124:127], v2 offset:1184
	v_fmac_f64_e32 v[128:129], v[78:79], v[234:235]
	v_add_f64 v[0:1], v[0:1], v[128:129]
	ds_read_b128 v[128:131], v2 offset:1200
	s_waitcnt vmcnt(14) lgkmcnt(5)
	v_mul_f64 v[92:93], v[72:73], v[18:19]
	v_fmac_f64_e32 v[92:93], v[74:75], v[16:17]
	v_add_f64 v[0:1], v[0:1], v[92:93]
	s_waitcnt vmcnt(13) lgkmcnt(1)
	v_mul_f64 v[96:97], v[124:125], v[22:23]
	scratch_load_dwordx4 v[92:95], off, off offset:640
	v_fmac_f64_e32 v[96:97], v[126:127], v[20:21]
	v_add_f64 v[0:1], v[0:1], v[96:97]
	s_waitcnt vmcnt(13) lgkmcnt(0)
	v_mul_f64 v[100:101], v[128:129], v[26:27]
	scratch_load_dwordx4 v[96:99], off, off offset:656
	v_fmac_f64_e32 v[100:101], v[130:131], v[24:25]
	v_add_f64 v[0:1], v[0:1], v[100:101]
	scratch_load_dwordx4 v[100:103], off, off offset:672
	s_waitcnt vmcnt(14)
	v_mul_f64 v[104:105], v[132:133], v[30:31]
	v_fmac_f64_e32 v[104:105], v[134:135], v[28:29]
	v_add_f64 v[0:1], v[0:1], v[104:105]
	s_waitcnt vmcnt(13)
	v_mul_f64 v[104:105], v[136:137], v[34:35]
	v_fmac_f64_e32 v[104:105], v[138:139], v[32:33]
	v_add_f64 v[0:1], v[0:1], v[104:105]
	scratch_load_dwordx4 v[104:107], off, off offset:688
	s_waitcnt vmcnt(13)
	v_mul_f64 v[108:109], v[140:141], v[38:39]
	v_fmac_f64_e32 v[108:109], v[142:143], v[36:37]
	v_add_f64 v[0:1], v[0:1], v[108:109]
	scratch_load_dwordx4 v[108:111], off, off offset:704
	v_mul_f64 v[114:115], v[146:147], v[114:115]
	v_fma_f64 v[240:241], v[144:145], v[112:113], -v[114:115]
	v_mul_f64 v[112:113], v[158:159], v[118:119]
	ds_read_b128 v[148:151], v2 offset:1264
	ds_read_b128 v[144:147], v2 offset:1280
	v_fma_f64 v[250:251], v[156:157], v[116:117], -v[112:113]
	scratch_load_dwordx4 v[116:119], off, off offset:720
	scratch_load_dwordx4 v[112:115], off, off offset:736
	v_mul_f64 v[122:123], v[170:171], v[122:123]
	v_fma_f64 v[252:253], v[168:169], v[120:121], -v[122:123]
	scratch_load_dwordx4 v[120:123], off, off offset:752
	s_waitcnt vmcnt(16) lgkmcnt(1)
	v_mul_f64 v[156:157], v[148:149], v[42:43]
	v_fmac_f64_e32 v[156:157], v[150:151], v[40:41]
	v_mul_f64 v[154:155], v[182:183], v[154:155]
	v_add_f64 v[0:1], v[0:1], v[156:157]
	v_fma_f64 v[254:255], v[180:181], v[152:153], -v[154:155]
	ds_read_b128 v[152:155], v2 offset:1296
	s_waitcnt vmcnt(15) lgkmcnt(1)
	v_mul_f64 v[156:157], v[144:145], v[46:47]
	v_fmac_f64_e32 v[156:157], v[146:147], v[44:45]
	v_add_f64 v[0:1], v[0:1], v[156:157]
	ds_read_b128 v[156:159], v2 offset:1312
	v_mul_f64 v[162:163], v[194:195], v[162:163]
	v_fma_f64 v[232:233], v[192:193], v[160:161], -v[162:163]
	ds_read_b128 v[160:163], v2 offset:1328
	s_waitcnt vmcnt(14) lgkmcnt(2)
	v_mul_f64 v[168:169], v[152:153], v[50:51]
	v_fmac_f64_e32 v[168:169], v[154:155], v[48:49]
	v_mul_f64 v[166:167], v[206:207], v[166:167]
	v_add_f64 v[0:1], v[0:1], v[168:169]
	s_waitcnt vmcnt(13) lgkmcnt(1)
	v_mul_f64 v[168:169], v[156:157], v[54:55]
	v_fma_f64 v[12:13], v[204:205], v[164:165], -v[166:167]
	ds_read_b128 v[164:167], v2 offset:1344
	v_accvgpr_write_b32 a103, v7
	v_fmac_f64_e32 v[168:169], v[158:159], v[52:53]
	v_accvgpr_write_b32 a102, v6
	v_accvgpr_write_b32 a101, v5
	v_accvgpr_write_b32 a100, v4
	v_add_f64 v[0:1], v[0:1], v[168:169]
	s_waitcnt vmcnt(12) lgkmcnt(1)
	v_mul_f64 v[6:7], v[160:161], v[58:59]
	ds_read_b128 v[168:171], v2 offset:1360
	v_fmac_f64_e32 v[6:7], v[162:163], v[56:57]
	v_accvgpr_write_b32 a107, v11
	v_add_f64 v[0:1], v[0:1], v[6:7]
	v_mul_f64 v[6:7], v[214:215], v[174:175]
	v_accvgpr_write_b32 a106, v10
	v_accvgpr_write_b32 a105, v9
	;; [unrolled: 1-line block ×3, first 2 shown]
	v_fma_f64 v[8:9], v[212:213], v[172:173], -v[6:7]
	s_waitcnt vmcnt(11) lgkmcnt(1)
	v_mul_f64 v[6:7], v[164:165], v[62:63]
	v_fmac_f64_e32 v[6:7], v[166:167], v[60:61]
	ds_read_b128 v[172:175], v2 offset:1376
	v_add_f64 v[0:1], v[0:1], v[6:7]
	s_waitcnt vmcnt(10) lgkmcnt(1)
	v_mul_f64 v[6:7], v[168:169], v[66:67]
	v_fmac_f64_e32 v[6:7], v[170:171], v[64:65]
	v_add_f64 v[0:1], v[0:1], v[6:7]
	v_mul_f64 v[6:7], v[218:219], v[178:179]
	v_fma_f64 v[10:11], v[216:217], v[176:177], -v[6:7]
	ds_read_b128 v[176:179], v2 offset:1392
	ds_read_b128 v[180:183], v2 offset:1408
	s_waitcnt vmcnt(9) lgkmcnt(2)
	v_mul_f64 v[6:7], v[172:173], v[70:71]
	v_fmac_f64_e32 v[6:7], v[174:175], v[68:69]
	v_add_f64 v[0:1], v[0:1], v[6:7]
	s_waitcnt vmcnt(8) lgkmcnt(1)
	v_mul_f64 v[6:7], v[176:177], v[90:91]
	v_fmac_f64_e32 v[6:7], v[178:179], v[88:89]
	v_add_f64 v[0:1], v[0:1], v[6:7]
	v_mul_f64 v[6:7], v[222:223], v[186:187]
	v_fma_f64 v[4:5], v[220:221], v[184:185], -v[6:7]
	ds_read_b128 v[184:187], v2 offset:1424
	v_mul_f64 v[6:7], v[226:227], v[190:191]
	v_fma_f64 v[6:7], v[224:225], v[188:189], -v[6:7]
	ds_read_b128 v[188:191], v2 offset:1440
	s_waitcnt vmcnt(7) lgkmcnt(2)
	v_mul_f64 v[14:15], v[180:181], v[94:95]
	v_fmac_f64_e32 v[14:15], v[182:183], v[92:93]
	v_add_f64 v[0:1], v[0:1], v[14:15]
	s_waitcnt vmcnt(6) lgkmcnt(1)
	v_mul_f64 v[14:15], v[184:185], v[98:99]
	v_fmac_f64_e32 v[14:15], v[186:187], v[96:97]
	v_add_f64 v[0:1], v[0:1], v[14:15]
	s_waitcnt vmcnt(5) lgkmcnt(0)
	v_mul_f64 v[14:15], v[188:189], v[102:103]
	ds_read_b128 v[192:195], v2 offset:1456
	v_fmac_f64_e32 v[14:15], v[190:191], v[100:101]
	v_add_f64 v[14:15], v[0:1], v[14:15]
	v_mul_f64 v[0:1], v[230:231], v[198:199]
	v_fma_f64 v[0:1], v[228:229], v[196:197], -v[0:1]
	ds_read_b128 v[196:199], v2 offset:1472
	v_mul_f64 v[202:203], v[244:245], v[202:203]
	s_waitcnt vmcnt(4) lgkmcnt(1)
	v_mul_f64 v[204:205], v[192:193], v[106:107]
	v_fma_f64 v[238:239], v[242:243], v[200:201], -v[202:203]
	ds_read_b128 v[200:203], v2 offset:1488
	v_fmac_f64_e32 v[204:205], v[194:195], v[104:105]
	v_add_f64 v[14:15], v[14:15], v[204:205]
	ds_read_b128 v[204:207], v2 offset:1504
	s_waitcnt vmcnt(3) lgkmcnt(2)
	v_mul_f64 v[212:213], v[196:197], v[110:111]
	v_mul_f64 v[210:211], v[248:249], v[210:211]
	v_fmac_f64_e32 v[212:213], v[198:199], v[108:109]
	v_fma_f64 v[242:243], v[246:247], v[208:209], -v[210:211]
	ds_read_b128 v[208:211], v2 offset:1520
	ds_read_b128 v[216:219], v2 offset:1536
	v_add_f64 v[14:15], v[14:15], v[212:213]
	s_waitcnt vmcnt(2) lgkmcnt(3)
	v_mul_f64 v[212:213], v[200:201], v[118:119]
	v_fmac_f64_e32 v[212:213], v[202:203], v[116:117]
	v_add_f64 v[14:15], v[14:15], v[212:213]
	s_waitcnt vmcnt(1) lgkmcnt(2)
	v_mul_f64 v[212:213], v[204:205], v[114:115]
	v_fmac_f64_e32 v[212:213], v[206:207], v[112:113]
	;; [unrolled: 4-line block ×3, first 2 shown]
	v_add_f64 v[14:15], v[14:15], v[212:213]
	scratch_load_dwordx4 v[212:215], off, off offset:768
	ds_read_b128 v[224:227], v2 offset:1552
	s_waitcnt vmcnt(0) lgkmcnt(1)
	v_mul_f64 v[220:221], v[216:217], v[214:215]
	v_fmac_f64_e32 v[220:221], v[218:219], v[212:213]
	v_add_f64 v[14:15], v[14:15], v[220:221]
	scratch_load_dwordx4 v[220:223], off, off offset:784
	s_waitcnt vmcnt(0) lgkmcnt(0)
	v_mul_f64 v[228:229], v[224:225], v[222:223]
	v_fmac_f64_e32 v[228:229], v[226:227], v[220:221]
	v_add_f64 v[246:247], v[14:15], v[228:229]
	scratch_load_dwordx4 v[228:231], off, off offset:128
	v_add_f64 v[14:15], v[240:241], 0
	v_add_f64 v[14:15], v[14:15], v[250:251]
	v_add_f64 v[14:15], v[14:15], v[252:253]
	v_add_f64 v[14:15], v[14:15], v[254:255]
	v_add_f64 v[14:15], v[14:15], v[232:233]
	v_add_f64 v[12:13], v[14:15], v[12:13]
	v_add_f64 v[8:9], v[12:13], v[8:9]
	v_add_f64 v[8:9], v[8:9], v[10:11]
	v_add_f64 v[244:245], v[8:9], v[4:5]
	v_add_f64 v[4:5], v[244:245], v[6:7]
	v_accvgpr_read_b32 v6, a100
	v_accvgpr_read_b32 v8, a102
	;; [unrolled: 1-line block ×3, first 2 shown]
	v_add_f64 v[0:1], v[4:5], v[0:1]
	v_accvgpr_read_b32 v7, a101
	v_mul_f64 v[4:5], v[86:87], v[8:9]
	v_add_f64 v[0:1], v[0:1], v[238:239]
	v_fma_f64 v[4:5], v[84:85], v[6:7], -v[4:5]
	v_accvgpr_read_b32 v6, a104
	v_add_f64 v[0:1], v[0:1], v[242:243]
	v_accvgpr_read_b32 v8, a106
	v_accvgpr_read_b32 v9, a107
	v_add_f64 v[0:1], v[0:1], v[4:5]
	v_accvgpr_read_b32 v7, a105
	v_mul_f64 v[4:5], v[82:83], v[8:9]
	v_fma_f64 v[4:5], v[80:81], v[6:7], -v[4:5]
	v_add_f64 v[0:1], v[0:1], v[4:5]
	v_mul_f64 v[4:5], v[78:79], v[236:237]
	v_fma_f64 v[4:5], v[76:77], v[234:235], -v[4:5]
	v_add_f64 v[0:1], v[0:1], v[4:5]
	;; [unrolled: 3-line block ×27, first 2 shown]
	s_waitcnt vmcnt(0)
	v_add_f64 v[4:5], v[228:229], -v[0:1]
	v_accvgpr_read_b32 v0, a98
	v_add_f64 v[6:7], v[230:231], -v[246:247]
	v_cmp_lt_u32_e32 vcc, 6, v0
	scratch_store_dwordx4 off, v[4:7], off offset:128
	s_and_saveexec_b64 s[0:1], vcc
	s_cbranch_execz .LBB48_295
; %bb.294:
	scratch_load_dwordx4 v[6:9], off, s64
	v_mov_b32_e32 v3, v2
	v_mov_b32_e32 v4, v2
	;; [unrolled: 1-line block ×3, first 2 shown]
	v_accvgpr_read_b32 v0, a99
	scratch_store_dwordx4 off, v[2:5], off offset:112
	s_waitcnt vmcnt(1)
	ds_write_b128 v0, v[6:9]
.LBB48_295:
	s_or_b64 exec, exec, s[0:1]
	s_waitcnt lgkmcnt(0)
	; wave barrier
	scratch_load_dwordx4 v[88:91], off, off offset:128
	scratch_load_dwordx4 v[92:95], off, off offset:144
	;; [unrolled: 1-line block ×17, first 2 shown]
	ds_read_b128 v[212:215], v2 offset:896
	ds_read_b128 v[204:207], v2 offset:912
	;; [unrolled: 1-line block ×3, first 2 shown]
	scratch_load_dwordx4 v[20:23], off, off offset:400
	ds_read_b128 v[216:219], v2 offset:944
	ds_read_b128 v[208:211], v2 offset:960
	;; [unrolled: 1-line block ×5, first 2 shown]
	scratch_load_dwordx4 v[24:27], off, off offset:416
	ds_read_b128 v[180:183], v2 offset:1024
	ds_read_b128 v[160:163], v2 offset:1040
	;; [unrolled: 1-line block ×3, first 2 shown]
	scratch_load_dwordx4 v[28:31], off, off offset:432
	ds_read_b128 v[172:175], v2 offset:1072
	ds_read_b128 v[148:151], v2 offset:1088
	;; [unrolled: 1-line block ×5, first 2 shown]
	scratch_load_dwordx4 v[36:39], off, off offset:448
	ds_read_b128 v[48:51], v2 offset:1152
	scratch_load_dwordx4 v[52:55], off, off offset:464
	scratch_load_dwordx4 v[56:59], off, off offset:480
	;; [unrolled: 1-line block ×9, first 2 shown]
	ds_read_b128 v[140:143], v2 offset:1168
	ds_read_b128 v[232:235], v2 offset:1232
	ds_read_b128 v[228:231], v2 offset:1216
	s_waitcnt vmcnt(29) lgkmcnt(14)
	v_mul_f64 v[0:1], v[212:213], v[90:91]
	s_waitcnt vmcnt(28)
	v_mul_f64 v[152:153], v[204:205], v[94:95]
	v_fmac_f64_e32 v[0:1], v[214:215], v[88:89]
	s_waitcnt vmcnt(27)
	v_mul_f64 v[154:155], v[196:197], v[98:99]
	v_fmac_f64_e32 v[152:153], v[206:207], v[92:93]
	v_add_f64 v[0:1], v[0:1], 0
	s_waitcnt vmcnt(26)
	v_mul_f64 v[164:165], v[216:217], v[102:103]
	v_fmac_f64_e32 v[154:155], v[198:199], v[96:97]
	v_add_f64 v[0:1], v[0:1], v[152:153]
	;; [unrolled: 4-line block ×4, first 2 shown]
	s_waitcnt vmcnt(23) lgkmcnt(13)
	v_mul_f64 v[170:171], v[184:185], v[114:115]
	v_fmac_f64_e32 v[168:169], v[202:203], v[108:109]
	v_add_f64 v[0:1], v[0:1], v[166:167]
	s_waitcnt vmcnt(22) lgkmcnt(12)
	v_mul_f64 v[176:177], v[156:157], v[118:119]
	v_fmac_f64_e32 v[170:171], v[186:187], v[112:113]
	v_add_f64 v[0:1], v[0:1], v[168:169]
	;; [unrolled: 4-line block ×10, first 2 shown]
	v_fmac_f64_e32 v[224:225], v[34:35], v[12:13]
	v_add_f64 v[0:1], v[0:1], v[222:223]
	ds_read_b128 v[220:223], v2 offset:1184
	v_add_f64 v[0:1], v[0:1], v[224:225]
	ds_read_b128 v[224:227], v2 offset:1200
	s_waitcnt vmcnt(13) lgkmcnt(5)
	v_mul_f64 v[164:165], v[48:49], v[18:19]
	scratch_load_dwordx4 v[152:155], off, off offset:608
	v_fmac_f64_e32 v[164:165], v[50:51], v[16:17]
	s_waitcnt vmcnt(13) lgkmcnt(4)
	v_mul_f64 v[168:169], v[140:141], v[22:23]
	v_add_f64 v[0:1], v[0:1], v[164:165]
	v_fmac_f64_e32 v[168:169], v[142:143], v[20:21]
	scratch_load_dwordx4 v[164:167], off, off offset:624
	v_add_f64 v[0:1], v[0:1], v[168:169]
	s_waitcnt vmcnt(13) lgkmcnt(1)
	v_mul_f64 v[176:177], v[220:221], v[26:27]
	scratch_load_dwordx4 v[168:171], off, off offset:640
	v_fmac_f64_e32 v[176:177], v[222:223], v[24:25]
	s_waitcnt vmcnt(13) lgkmcnt(0)
	v_mul_f64 v[188:189], v[224:225], v[30:31]
	v_add_f64 v[0:1], v[0:1], v[176:177]
	scratch_load_dwordx4 v[176:179], off, off offset:656
	v_fmac_f64_e32 v[188:189], v[226:227], v[28:29]
	v_add_f64 v[0:1], v[0:1], v[188:189]
	s_waitcnt vmcnt(13)
	v_mul_f64 v[188:189], v[228:229], v[38:39]
	v_fmac_f64_e32 v[188:189], v[230:231], v[36:37]
	v_add_f64 v[0:1], v[0:1], v[188:189]
	scratch_load_dwordx4 v[188:191], off, off offset:672
	s_waitcnt vmcnt(13)
	v_mul_f64 v[192:193], v[232:233], v[54:55]
	v_fmac_f64_e32 v[192:193], v[234:235], v[52:53]
	v_mul_f64 v[90:91], v[214:215], v[90:91]
	v_add_f64 v[0:1], v[0:1], v[192:193]
	scratch_load_dwordx4 v[192:195], off, off offset:688
	v_fma_f64 v[240:241], v[212:213], v[88:89], -v[90:91]
	v_mul_f64 v[88:89], v[206:207], v[94:95]
	ds_read_b128 v[236:239], v2 offset:1248
	ds_read_b128 v[212:215], v2 offset:1264
	v_fma_f64 v[246:247], v[204:205], v[92:93], -v[88:89]
	scratch_load_dwordx4 v[92:95], off, off offset:704
	scratch_load_dwordx4 v[88:91], off, off offset:720
	v_mul_f64 v[98:99], v[198:199], v[98:99]
	v_fma_f64 v[248:249], v[196:197], v[96:97], -v[98:99]
	scratch_load_dwordx4 v[96:99], off, off offset:736
	s_waitcnt vmcnt(16) lgkmcnt(1)
	v_mul_f64 v[204:205], v[236:237], v[58:59]
	v_mul_f64 v[102:103], v[218:219], v[102:103]
	v_fmac_f64_e32 v[204:205], v[238:239], v[56:57]
	v_fma_f64 v[216:217], v[216:217], v[100:101], -v[102:103]
	ds_read_b128 v[100:103], v2 offset:1280
	s_waitcnt vmcnt(15) lgkmcnt(1)
	v_mul_f64 v[196:197], v[212:213], v[62:63]
	v_add_f64 v[0:1], v[0:1], v[204:205]
	v_fmac_f64_e32 v[196:197], v[214:215], v[60:61]
	v_add_f64 v[0:1], v[0:1], v[196:197]
	ds_read_b128 v[196:199], v2 offset:1296
	v_mul_f64 v[106:107], v[210:211], v[106:107]
	v_fma_f64 v[218:219], v[208:209], v[104:105], -v[106:107]
	ds_read_b128 v[104:107], v2 offset:1312
	s_waitcnt vmcnt(14) lgkmcnt(2)
	v_mul_f64 v[204:205], v[100:101], v[66:67]
	v_fmac_f64_e32 v[204:205], v[102:103], v[64:65]
	v_add_f64 v[0:1], v[0:1], v[204:205]
	s_waitcnt vmcnt(13) lgkmcnt(1)
	v_mul_f64 v[204:205], v[196:197], v[70:71]
	v_mul_f64 v[110:111], v[202:203], v[110:111]
	v_fmac_f64_e32 v[204:205], v[198:199], v[68:69]
	v_fma_f64 v[250:251], v[200:201], v[108:109], -v[110:111]
	ds_read_b128 v[108:111], v2 offset:1328
	s_waitcnt vmcnt(12) lgkmcnt(1)
	v_mul_f64 v[200:201], v[104:105], v[74:75]
	v_add_f64 v[0:1], v[0:1], v[204:205]
	v_fmac_f64_e32 v[200:201], v[106:107], v[72:73]
	v_add_f64 v[0:1], v[0:1], v[200:201]
	ds_read_b128 v[200:203], v2 offset:1344
	v_mul_f64 v[114:115], v[186:187], v[114:115]
	v_fma_f64 v[252:253], v[184:185], v[112:113], -v[114:115]
	ds_read_b128 v[112:115], v2 offset:1360
	s_waitcnt vmcnt(11) lgkmcnt(2)
	v_mul_f64 v[184:185], v[108:109], v[78:79]
	v_fmac_f64_e32 v[184:185], v[110:111], v[76:77]
	v_add_f64 v[0:1], v[0:1], v[184:185]
	s_waitcnt vmcnt(10) lgkmcnt(1)
	v_mul_f64 v[184:185], v[200:201], v[82:83]
	v_mul_f64 v[118:119], v[158:159], v[118:119]
	v_fmac_f64_e32 v[184:185], v[202:203], v[80:81]
	v_fma_f64 v[254:255], v[156:157], v[116:117], -v[118:119]
	s_waitcnt vmcnt(9) lgkmcnt(0)
	v_mul_f64 v[156:157], v[112:113], v[86:87]
	v_add_f64 v[0:1], v[0:1], v[184:185]
	ds_read_b128 v[116:119], v2 offset:1376
	v_fmac_f64_e32 v[156:157], v[114:115], v[84:85]
	v_add_f64 v[0:1], v[0:1], v[156:157]
	ds_read_b128 v[156:159], v2 offset:1392
	v_mul_f64 v[122:123], v[182:183], v[122:123]
	v_fma_f64 v[242:243], v[180:181], v[120:121], -v[122:123]
	ds_read_b128 v[120:123], v2 offset:1408
	v_accvgpr_write_b32 a103, v7
	v_mul_f64 v[126:127], v[162:163], v[126:127]
	v_accvgpr_write_b32 a102, v6
	v_accvgpr_write_b32 a101, v5
	;; [unrolled: 1-line block ×3, first 2 shown]
	v_fma_f64 v[4:5], v[160:161], v[124:125], -v[126:127]
	ds_read_b128 v[124:127], v2 offset:1424
	s_waitcnt vmcnt(8) lgkmcnt(3)
	v_mul_f64 v[184:185], v[116:117], v[154:155]
	v_fmac_f64_e32 v[184:185], v[118:119], v[152:153]
	s_waitcnt vmcnt(7) lgkmcnt(2)
	v_mul_f64 v[180:181], v[156:157], v[166:167]
	v_add_f64 v[0:1], v[0:1], v[184:185]
	v_fmac_f64_e32 v[180:181], v[158:159], v[164:165]
	s_waitcnt vmcnt(6) lgkmcnt(1)
	v_mul_f64 v[6:7], v[120:121], v[170:171]
	ds_read_b128 v[160:163], v2 offset:1440
	v_add_f64 v[0:1], v[0:1], v[180:181]
	v_fmac_f64_e32 v[6:7], v[122:123], v[168:169]
	v_add_f64 v[0:1], v[0:1], v[6:7]
	s_waitcnt vmcnt(5) lgkmcnt(1)
	v_mul_f64 v[6:7], v[124:125], v[178:179]
	v_fmac_f64_e32 v[6:7], v[126:127], v[176:177]
	v_add_f64 v[0:1], v[0:1], v[6:7]
	v_mul_f64 v[6:7], v[146:147], v[130:131]
	v_fma_f64 v[6:7], v[144:145], v[128:129], -v[6:7]
	ds_read_b128 v[128:131], v2 offset:1456
	s_waitcnt vmcnt(4) lgkmcnt(1)
	v_mul_f64 v[144:145], v[160:161], v[190:191]
	v_fmac_f64_e32 v[144:145], v[162:163], v[188:189]
	v_add_f64 v[180:181], v[0:1], v[144:145]
	v_mul_f64 v[0:1], v[174:175], v[134:135]
	v_fma_f64 v[0:1], v[172:173], v[132:133], -v[0:1]
	ds_read_b128 v[132:135], v2 offset:1472
	ds_read_b128 v[144:147], v2 offset:1488
	v_mul_f64 v[138:139], v[150:151], v[138:139]
	v_fma_f64 v[244:245], v[148:149], v[136:137], -v[138:139]
	ds_read_b128 v[136:139], v2 offset:1504
	s_waitcnt vmcnt(3) lgkmcnt(3)
	v_mul_f64 v[172:173], v[128:129], v[194:195]
	v_fmac_f64_e32 v[172:173], v[130:131], v[192:193]
	s_waitcnt vmcnt(2) lgkmcnt(2)
	v_mul_f64 v[148:149], v[132:133], v[94:95]
	v_add_f64 v[172:173], v[180:181], v[172:173]
	v_fmac_f64_e32 v[148:149], v[134:135], v[92:93]
	s_waitcnt vmcnt(1) lgkmcnt(1)
	v_mul_f64 v[150:151], v[144:145], v[90:91]
	v_add_f64 v[148:149], v[172:173], v[148:149]
	v_fmac_f64_e32 v[150:151], v[146:147], v[88:89]
	v_add_f64 v[148:149], v[148:149], v[150:151]
	ds_read_b128 v[172:175], v2 offset:1520
	scratch_load_dwordx4 v[208:211], off, off offset:784
	s_waitcnt vmcnt(1) lgkmcnt(1)
	v_mul_f64 v[150:151], v[136:137], v[98:99]
	v_fmac_f64_e32 v[150:151], v[138:139], v[96:97]
	v_add_f64 v[180:181], v[148:149], v[150:151]
	scratch_load_dwordx4 v[148:151], off, off offset:752
	ds_read_b128 v[184:187], v2 offset:1536
	v_accvgpr_write_b32 a105, v1
	v_accvgpr_write_b32 a104, v0
	s_waitcnt vmcnt(0) lgkmcnt(1)
	v_mul_f64 v[182:183], v[172:173], v[150:151]
	v_fmac_f64_e32 v[182:183], v[174:175], v[148:149]
	v_add_f64 v[204:205], v[180:181], v[182:183]
	scratch_load_dwordx4 v[180:183], off, off offset:768
	s_waitcnt vmcnt(0) lgkmcnt(0)
	v_mul_f64 v[206:207], v[184:185], v[182:183]
	v_fmac_f64_e32 v[206:207], v[186:187], v[180:181]
	v_add_f64 v[0:1], v[204:205], v[206:207]
	ds_read_b128 v[204:207], v2 offset:1552
	s_waitcnt lgkmcnt(0)
	v_mul_f64 v[2:3], v[204:205], v[210:211]
	v_fmac_f64_e32 v[2:3], v[206:207], v[208:209]
	v_add_f64 v[2:3], v[0:1], v[2:3]
	v_add_f64 v[0:1], v[240:241], 0
	;; [unrolled: 1-line block ×6, first 2 shown]
	scratch_load_dwordx4 v[216:219], off, off offset:112
	v_add_f64 v[0:1], v[0:1], v[250:251]
	v_add_f64 v[0:1], v[0:1], v[252:253]
	;; [unrolled: 1-line block ×6, first 2 shown]
	v_accvgpr_read_b32 v0, a104
	v_accvgpr_read_b32 v243, a103
	;; [unrolled: 1-line block ×4, first 2 shown]
	v_add_f64 v[0:1], v[246:247], v[0:1]
	v_accvgpr_read_b32 v241, a101
	v_accvgpr_read_b32 v240, a100
	v_mul_f64 v[4:5], v[46:47], v[242:243]
	v_add_f64 v[0:1], v[0:1], v[244:245]
	v_fma_f64 v[4:5], v[44:45], v[240:241], -v[4:5]
	v_add_f64 v[0:1], v[0:1], v[4:5]
	v_mul_f64 v[4:5], v[42:43], v[10:11]
	v_fma_f64 v[4:5], v[40:41], v[8:9], -v[4:5]
	v_add_f64 v[0:1], v[0:1], v[4:5]
	v_mul_f64 v[4:5], v[34:35], v[14:15]
	;; [unrolled: 3-line block ×28, first 2 shown]
	v_fma_f64 v[4:5], v[204:205], v[208:209], -v[4:5]
	v_add_f64 v[0:1], v[0:1], v[4:5]
	s_waitcnt vmcnt(0)
	v_add_f64 v[4:5], v[216:217], -v[0:1]
	v_accvgpr_read_b32 v0, a98
	v_add_f64 v[6:7], v[218:219], -v[2:3]
	v_cmp_lt_u32_e32 vcc, 5, v0
	scratch_store_dwordx4 off, v[4:7], off offset:112
	s_and_saveexec_b64 s[0:1], vcc
	s_cbranch_execz .LBB48_297
; %bb.296:
	scratch_load_dwordx4 v[2:5], off, s63
	v_mov_b32_e32 v6, 0
	v_mov_b32_e32 v7, v6
	;; [unrolled: 1-line block ×4, first 2 shown]
	v_accvgpr_read_b32 v0, a99
	scratch_store_dwordx4 off, v[6:9], off offset:96
	s_waitcnt vmcnt(1)
	ds_write_b128 v0, v[2:5]
.LBB48_297:
	s_or_b64 exec, exec, s[0:1]
	s_waitcnt lgkmcnt(0)
	; wave barrier
	scratch_load_dwordx4 v[96:99], off, off offset:112
	scratch_load_dwordx4 v[100:103], off, off offset:128
	;; [unrolled: 1-line block ×30, first 2 shown]
	v_mov_b32_e32 v2, 0
	ds_read_b128 v[136:139], v2 offset:880
	ds_read_b128 v[144:147], v2 offset:896
	;; [unrolled: 1-line block ×20, first 2 shown]
	s_waitcnt vmcnt(29) lgkmcnt(14)
	v_mul_f64 v[0:1], v[136:137], v[98:99]
	s_waitcnt vmcnt(28)
	v_mul_f64 v[72:73], v[144:145], v[102:103]
	v_fmac_f64_e32 v[0:1], v[138:139], v[96:97]
	s_waitcnt vmcnt(27)
	v_mul_f64 v[74:75], v[148:149], v[106:107]
	v_fmac_f64_e32 v[72:73], v[146:147], v[100:101]
	v_add_f64 v[0:1], v[0:1], 0
	s_waitcnt vmcnt(26)
	v_mul_f64 v[76:77], v[164:165], v[110:111]
	v_fmac_f64_e32 v[74:75], v[150:151], v[104:105]
	v_add_f64 v[0:1], v[0:1], v[72:73]
	;; [unrolled: 4-line block ×4, first 2 shown]
	s_waitcnt vmcnt(23) lgkmcnt(13)
	v_mul_f64 v[82:83], v[200:201], v[158:159]
	v_fmac_f64_e32 v[80:81], v[190:191], v[152:153]
	v_add_f64 v[0:1], v[0:1], v[78:79]
	s_waitcnt vmcnt(22) lgkmcnt(12)
	v_mul_f64 v[84:85], v[208:209], v[162:163]
	v_fmac_f64_e32 v[82:83], v[202:203], v[156:157]
	v_add_f64 v[0:1], v[0:1], v[80:81]
	;; [unrolled: 4-line block ×9, first 2 shown]
	s_waitcnt vmcnt(14) lgkmcnt(4)
	v_mul_f64 v[120:121], v[68:69], v[6:7]
	v_fmac_f64_e32 v[118:119], v[248:249], v[204:205]
	v_accvgpr_write_b32 a103, v7
	v_add_f64 v[0:1], v[0:1], v[116:117]
	v_fmac_f64_e32 v[120:121], v[70:71], v[4:5]
	v_accvgpr_write_b32 a102, v6
	v_accvgpr_write_b32 a101, v5
	;; [unrolled: 1-line block ×3, first 2 shown]
	v_add_f64 v[0:1], v[0:1], v[118:119]
	ds_read_b128 v[116:119], v2 offset:1152
	s_waitcnt vmcnt(13)
	v_mov_b64_e32 v[4:5], v[8:9]
	v_mov_b64_e32 v[6:7], v[10:11]
	s_waitcnt lgkmcnt(4)
	v_mul_f64 v[76:77], v[64:65], v[6:7]
	scratch_load_dwordx4 v[72:75], off, off offset:592
	v_add_f64 v[0:1], v[0:1], v[120:121]
	v_fmac_f64_e32 v[76:77], v[66:67], v[4:5]
	s_waitcnt vmcnt(13)
	v_mov_b64_e32 v[4:5], v[12:13]
	v_add_f64 v[0:1], v[0:1], v[76:77]
	v_mov_b64_e32 v[6:7], v[14:15]
	scratch_load_dwordx4 v[76:79], off, off offset:608
	ds_read_b128 v[120:123], v2 offset:1168
	s_waitcnt lgkmcnt(1)
	v_mul_f64 v[80:81], v[116:117], v[6:7]
	v_fmac_f64_e32 v[80:81], v[118:119], v[4:5]
	v_add_f64 v[0:1], v[0:1], v[80:81]
	scratch_load_dwordx4 v[80:83], off, off offset:624
	s_waitcnt vmcnt(14) lgkmcnt(0)
	v_mul_f64 v[84:85], v[120:121], v[236:237]
	v_fmac_f64_e32 v[84:85], v[122:123], v[234:235]
	s_waitcnt vmcnt(13)
	v_mul_f64 v[88:89], v[124:125], v[22:23]
	v_add_f64 v[0:1], v[0:1], v[84:85]
	v_fmac_f64_e32 v[88:89], v[126:127], v[20:21]
	scratch_load_dwordx4 v[84:87], off, off offset:640
	v_add_f64 v[0:1], v[0:1], v[88:89]
	s_waitcnt vmcnt(13)
	v_mul_f64 v[88:89], v[128:129], v[26:27]
	v_fmac_f64_e32 v[88:89], v[130:131], v[24:25]
	v_add_f64 v[0:1], v[0:1], v[88:89]
	scratch_load_dwordx4 v[88:91], off, off offset:656
	s_waitcnt vmcnt(13)
	v_mul_f64 v[92:93], v[132:133], v[30:31]
	v_fmac_f64_e32 v[92:93], v[134:135], v[28:29]
	v_add_f64 v[0:1], v[0:1], v[92:93]
	scratch_load_dwordx4 v[92:95], off, off offset:672
	v_mul_f64 v[98:99], v[138:139], v[98:99]
	v_fma_f64 v[240:241], v[136:137], v[96:97], -v[98:99]
	v_mul_f64 v[96:97], v[146:147], v[102:103]
	ds_read_b128 v[140:143], v2 offset:1232
	ds_read_b128 v[136:139], v2 offset:1248
	v_fma_f64 v[250:251], v[144:145], v[100:101], -v[96:97]
	scratch_load_dwordx4 v[100:103], off, off offset:688
	scratch_load_dwordx4 v[96:99], off, off offset:704
	s_waitcnt vmcnt(15) lgkmcnt(1)
	v_mul_f64 v[144:145], v[140:141], v[34:35]
	v_fmac_f64_e32 v[144:145], v[142:143], v[32:33]
	v_mul_f64 v[106:107], v[150:151], v[106:107]
	v_add_f64 v[0:1], v[0:1], v[144:145]
	s_waitcnt vmcnt(14) lgkmcnt(0)
	v_mul_f64 v[144:145], v[136:137], v[38:39]
	v_fma_f64 v[252:253], v[148:149], v[104:105], -v[106:107]
	v_mul_f64 v[104:105], v[166:167], v[110:111]
	v_fmac_f64_e32 v[144:145], v[138:139], v[36:37]
	v_fma_f64 v[254:255], v[164:165], v[108:109], -v[104:105]
	scratch_load_dwordx4 v[104:107], off, off offset:720
	v_add_f64 v[0:1], v[0:1], v[144:145]
	ds_read_b128 v[144:147], v2 offset:1264
	ds_read_b128 v[148:151], v2 offset:1280
	v_mul_f64 v[108:109], v[178:179], v[114:115]
	v_fma_f64 v[232:233], v[176:177], v[112:113], -v[108:109]
	scratch_load_dwordx4 v[108:111], off, off offset:736
	s_waitcnt vmcnt(15) lgkmcnt(1)
	v_mul_f64 v[112:113], v[144:145], v[42:43]
	v_fmac_f64_e32 v[112:113], v[146:147], v[40:41]
	v_add_f64 v[0:1], v[0:1], v[112:113]
	v_mul_f64 v[112:113], v[190:191], v[154:155]
	v_fma_f64 v[16:17], v[188:189], v[152:153], -v[112:113]
	scratch_load_dwordx4 v[112:115], off, off offset:752
	ds_read_b128 v[152:155], v2 offset:1296
	s_waitcnt vmcnt(15) lgkmcnt(1)
	v_mul_f64 v[6:7], v[148:149], v[46:47]
	v_fmac_f64_e32 v[6:7], v[150:151], v[44:45]
	v_accvgpr_write_b32 a111, v15
	v_add_f64 v[0:1], v[0:1], v[6:7]
	v_mul_f64 v[6:7], v[202:203], v[158:159]
	v_accvgpr_write_b32 a110, v14
	v_accvgpr_write_b32 a109, v13
	;; [unrolled: 1-line block ×3, first 2 shown]
	v_fma_f64 v[12:13], v[200:201], v[156:157], -v[6:7]
	ds_read_b128 v[156:159], v2 offset:1312
	s_waitcnt vmcnt(14) lgkmcnt(1)
	v_mul_f64 v[6:7], v[152:153], v[50:51]
	v_fmac_f64_e32 v[6:7], v[154:155], v[48:49]
	v_accvgpr_write_b32 a107, v11
	v_add_f64 v[0:1], v[0:1], v[6:7]
	v_mul_f64 v[6:7], v[210:211], v[162:163]
	v_accvgpr_write_b32 a106, v10
	v_accvgpr_write_b32 a105, v9
	;; [unrolled: 1-line block ×3, first 2 shown]
	v_fma_f64 v[10:11], v[208:209], v[160:161], -v[6:7]
	ds_read_b128 v[160:163], v2 offset:1328
	ds_read_b128 v[164:167], v2 offset:1344
	s_waitcnt vmcnt(13) lgkmcnt(2)
	v_mul_f64 v[6:7], v[156:157], v[54:55]
	v_fmac_f64_e32 v[6:7], v[158:159], v[52:53]
	v_add_f64 v[0:1], v[0:1], v[6:7]
	s_waitcnt vmcnt(12) lgkmcnt(1)
	v_mul_f64 v[6:7], v[160:161], v[62:63]
	v_fmac_f64_e32 v[6:7], v[162:163], v[60:61]
	v_add_f64 v[0:1], v[0:1], v[6:7]
	v_mul_f64 v[6:7], v[214:215], v[170:171]
	v_fma_f64 v[8:9], v[212:213], v[168:169], -v[6:7]
	s_waitcnt vmcnt(11) lgkmcnt(0)
	v_mul_f64 v[6:7], v[164:165], v[58:59]
	v_fmac_f64_e32 v[6:7], v[166:167], v[56:57]
	ds_read_b128 v[168:171], v2 offset:1360
	v_add_f64 v[0:1], v[0:1], v[6:7]
	v_mul_f64 v[6:7], v[218:219], v[174:175]
	v_fma_f64 v[14:15], v[216:217], v[172:173], -v[6:7]
	ds_read_b128 v[172:175], v2 offset:1376
	s_waitcnt vmcnt(10) lgkmcnt(1)
	v_mul_f64 v[6:7], v[168:169], v[74:75]
	ds_read_b128 v[176:179], v2 offset:1392
	v_fmac_f64_e32 v[6:7], v[170:171], v[72:73]
	v_add_f64 v[0:1], v[0:1], v[6:7]
	s_waitcnt vmcnt(9) lgkmcnt(1)
	v_mul_f64 v[6:7], v[172:173], v[78:79]
	v_fmac_f64_e32 v[6:7], v[174:175], v[76:77]
	v_add_f64 v[0:1], v[0:1], v[6:7]
	v_mul_f64 v[6:7], v[222:223], v[182:183]
	v_fma_f64 v[4:5], v[220:221], v[180:181], -v[6:7]
	ds_read_b128 v[180:183], v2 offset:1408
	s_waitcnt vmcnt(8) lgkmcnt(1)
	v_mul_f64 v[6:7], v[176:177], v[82:83]
	v_fmac_f64_e32 v[6:7], v[178:179], v[80:81]
	v_add_f64 v[0:1], v[0:1], v[6:7]
	v_mul_f64 v[6:7], v[226:227], v[186:187]
	v_fma_f64 v[6:7], v[224:225], v[184:185], -v[6:7]
	ds_read_b128 v[184:187], v2 offset:1424
	ds_read_b128 v[188:191], v2 offset:1440
	s_waitcnt vmcnt(7) lgkmcnt(2)
	v_mul_f64 v[18:19], v[180:181], v[86:87]
	v_fmac_f64_e32 v[18:19], v[182:183], v[84:85]
	v_add_f64 v[0:1], v[0:1], v[18:19]
	s_waitcnt vmcnt(6) lgkmcnt(1)
	v_mul_f64 v[18:19], v[184:185], v[90:91]
	v_fmac_f64_e32 v[18:19], v[186:187], v[88:89]
	v_add_f64 v[18:19], v[0:1], v[18:19]
	v_mul_f64 v[0:1], v[230:231], v[194:195]
	v_fma_f64 v[0:1], v[228:229], v[192:193], -v[0:1]
	ds_read_b128 v[192:195], v2 offset:1456
	s_waitcnt vmcnt(5) lgkmcnt(1)
	v_mul_f64 v[200:201], v[188:189], v[94:95]
	v_fmac_f64_e32 v[200:201], v[190:191], v[92:93]
	v_mul_f64 v[198:199], v[244:245], v[198:199]
	v_fma_f64 v[238:239], v[242:243], v[196:197], -v[198:199]
	ds_read_b128 v[196:199], v2 offset:1472
	v_add_f64 v[18:19], v[18:19], v[200:201]
	s_waitcnt vmcnt(4) lgkmcnt(1)
	v_mul_f64 v[200:201], v[192:193], v[102:103]
	v_fmac_f64_e32 v[200:201], v[194:195], v[100:101]
	v_add_f64 v[18:19], v[18:19], v[200:201]
	ds_read_b128 v[200:203], v2 offset:1488
	v_mul_f64 v[206:207], v[248:249], v[206:207]
	v_fma_f64 v[242:243], v[246:247], v[204:205], -v[206:207]
	ds_read_b128 v[204:207], v2 offset:1504
	s_waitcnt vmcnt(3) lgkmcnt(2)
	v_mul_f64 v[208:209], v[196:197], v[98:99]
	v_fmac_f64_e32 v[208:209], v[198:199], v[96:97]
	v_add_f64 v[18:19], v[18:19], v[208:209]
	s_waitcnt vmcnt(2) lgkmcnt(1)
	v_mul_f64 v[208:209], v[200:201], v[106:107]
	v_fmac_f64_e32 v[208:209], v[202:203], v[104:105]
	v_add_f64 v[18:19], v[18:19], v[208:209]
	;; [unrolled: 4-line block ×3, first 2 shown]
	ds_read_b128 v[208:211], v2 offset:1520
	ds_read_b128 v[216:219], v2 offset:1536
	;; [unrolled: 1-line block ×3, first 2 shown]
	s_waitcnt vmcnt(0) lgkmcnt(2)
	v_mul_f64 v[212:213], v[208:209], v[114:115]
	v_fmac_f64_e32 v[212:213], v[210:211], v[112:113]
	v_add_f64 v[18:19], v[18:19], v[212:213]
	scratch_load_dwordx4 v[212:215], off, off offset:768
	s_waitcnt vmcnt(0) lgkmcnt(1)
	v_mul_f64 v[220:221], v[216:217], v[214:215]
	v_fmac_f64_e32 v[220:221], v[218:219], v[212:213]
	v_add_f64 v[18:19], v[18:19], v[220:221]
	scratch_load_dwordx4 v[220:223], off, off offset:784
	;; [unrolled: 5-line block ×3, first 2 shown]
	v_add_f64 v[18:19], v[240:241], 0
	v_add_f64 v[18:19], v[18:19], v[250:251]
	v_add_f64 v[18:19], v[18:19], v[252:253]
	v_add_f64 v[18:19], v[18:19], v[254:255]
	v_add_f64 v[18:19], v[18:19], v[232:233]
	v_add_f64 v[16:17], v[18:19], v[16:17]
	v_add_f64 v[12:13], v[16:17], v[12:13]
	v_add_f64 v[10:11], v[12:13], v[10:11]
	v_add_f64 v[8:9], v[10:11], v[8:9]
	v_add_f64 v[8:9], v[8:9], v[14:15]
	v_add_f64 v[244:245], v[8:9], v[4:5]
	v_add_f64 v[4:5], v[244:245], v[6:7]
	v_accvgpr_read_b32 v6, a100
	v_accvgpr_read_b32 v8, a102
	;; [unrolled: 1-line block ×3, first 2 shown]
	v_add_f64 v[0:1], v[4:5], v[0:1]
	v_accvgpr_read_b32 v7, a101
	v_mul_f64 v[4:5], v[70:71], v[8:9]
	v_add_f64 v[0:1], v[0:1], v[238:239]
	v_fma_f64 v[4:5], v[68:69], v[6:7], -v[4:5]
	v_accvgpr_read_b32 v6, a104
	v_add_f64 v[0:1], v[0:1], v[242:243]
	v_accvgpr_read_b32 v8, a106
	v_accvgpr_read_b32 v9, a107
	v_add_f64 v[0:1], v[0:1], v[4:5]
	v_accvgpr_read_b32 v7, a105
	v_mul_f64 v[4:5], v[66:67], v[8:9]
	v_fma_f64 v[4:5], v[64:65], v[6:7], -v[4:5]
	v_accvgpr_read_b32 v6, a108
	v_accvgpr_read_b32 v8, a110
	;; [unrolled: 1-line block ×3, first 2 shown]
	v_add_f64 v[0:1], v[0:1], v[4:5]
	v_accvgpr_read_b32 v7, a109
	v_mul_f64 v[4:5], v[118:119], v[8:9]
	v_fma_f64 v[4:5], v[116:117], v[6:7], -v[4:5]
	v_add_f64 v[0:1], v[0:1], v[4:5]
	v_mul_f64 v[4:5], v[122:123], v[236:237]
	v_fma_f64 v[4:5], v[120:121], v[234:235], -v[4:5]
	v_add_f64 v[0:1], v[0:1], v[4:5]
	;; [unrolled: 3-line block ×26, first 2 shown]
	s_waitcnt vmcnt(0)
	v_add_f64 v[4:5], v[228:229], -v[0:1]
	v_accvgpr_read_b32 v0, a98
	v_add_f64 v[6:7], v[230:231], -v[246:247]
	v_cmp_lt_u32_e32 vcc, 4, v0
	scratch_store_dwordx4 off, v[4:7], off offset:96
	s_and_saveexec_b64 s[0:1], vcc
	s_cbranch_execz .LBB48_299
; %bb.298:
	scratch_load_dwordx4 v[6:9], off, s27
	v_mov_b32_e32 v3, v2
	v_mov_b32_e32 v4, v2
	;; [unrolled: 1-line block ×3, first 2 shown]
	v_accvgpr_read_b32 v0, a99
	scratch_store_dwordx4 off, v[2:5], off offset:80
	s_waitcnt vmcnt(1)
	ds_write_b128 v0, v[6:9]
.LBB48_299:
	s_or_b64 exec, exec, s[0:1]
	s_waitcnt lgkmcnt(0)
	; wave barrier
	scratch_load_dwordx4 v[72:75], off, off offset:96
	scratch_load_dwordx4 v[76:79], off, off offset:112
	scratch_load_dwordx4 v[80:83], off, off offset:128
	scratch_load_dwordx4 v[84:87], off, off offset:144
	scratch_load_dwordx4 v[88:91], off, off offset:160
	scratch_load_dwordx4 v[92:95], off, off offset:176
	scratch_load_dwordx4 v[96:99], off, off offset:192
	scratch_load_dwordx4 v[100:103], off, off offset:208
	scratch_load_dwordx4 v[104:107], off, off offset:224
	scratch_load_dwordx4 v[108:111], off, off offset:240
	scratch_load_dwordx4 v[112:115], off, off offset:256
	scratch_load_dwordx4 v[116:119], off, off offset:272
	scratch_load_dwordx4 v[120:123], off, off offset:288
	scratch_load_dwordx4 v[124:127], off, off offset:304
	scratch_load_dwordx4 v[128:131], off, off offset:320
	scratch_load_dwordx4 v[4:7], off, off offset:336
	scratch_load_dwordx4 v[24:27], off, off offset:352
	ds_read_b128 v[176:179], v2 offset:864
	ds_read_b128 v[192:195], v2 offset:880
	;; [unrolled: 1-line block ×3, first 2 shown]
	scratch_load_dwordx4 v[20:23], off, off offset:368
	ds_read_b128 v[236:239], v2 offset:912
	ds_read_b128 v[232:235], v2 offset:928
	ds_read_b128 v[228:231], v2 offset:944
	ds_read_b128 v[220:223], v2 offset:960
	ds_read_b128 v[208:211], v2 offset:976
	scratch_load_dwordx4 v[168:171], off, off offset:384
	ds_read_b128 v[224:227], v2 offset:992
	ds_read_b128 v[212:215], v2 offset:1008
	;; [unrolled: 1-line block ×3, first 2 shown]
	scratch_load_dwordx4 v[12:15], off, off offset:400
	ds_read_b128 v[216:219], v2 offset:1040
	ds_read_b128 v[204:207], v2 offset:1056
	;; [unrolled: 1-line block ×5, first 2 shown]
	scratch_load_dwordx4 v[28:31], off, off offset:416
	ds_read_b128 v[32:35], v2 offset:1120
	scratch_load_dwordx4 v[36:39], off, off offset:432
	scratch_load_dwordx4 v[40:43], off, off offset:448
	scratch_load_dwordx4 v[44:47], off, off offset:464
	scratch_load_dwordx4 v[48:51], off, off offset:480
	scratch_load_dwordx4 v[52:55], off, off offset:496
	scratch_load_dwordx4 v[56:59], off, off offset:512
	scratch_load_dwordx4 v[60:63], off, off offset:528
	scratch_load_dwordx4 v[68:71], off, off offset:544
	scratch_load_dwordx4 v[64:67], off, off offset:560
	ds_read_b128 v[132:135], v2 offset:1136
	s_waitcnt lgkmcnt(2)
	v_accvgpr_write_b32 a107, v19
	v_accvgpr_write_b32 a106, v18
	;; [unrolled: 1-line block ×4, first 2 shown]
	ds_read_b128 v[172:175], v2 offset:1200
	s_waitcnt vmcnt(29)
	v_mul_f64 v[0:1], v[176:177], v[74:75]
	s_waitcnt vmcnt(28)
	v_mul_f64 v[136:137], v[192:193], v[78:79]
	v_fmac_f64_e32 v[0:1], v[178:179], v[72:73]
	s_waitcnt vmcnt(27)
	v_mul_f64 v[138:139], v[188:189], v[82:83]
	v_fmac_f64_e32 v[136:137], v[194:195], v[76:77]
	v_add_f64 v[0:1], v[0:1], 0
	s_waitcnt vmcnt(26)
	v_mul_f64 v[140:141], v[236:237], v[86:87]
	v_fmac_f64_e32 v[138:139], v[190:191], v[80:81]
	v_add_f64 v[0:1], v[0:1], v[136:137]
	;; [unrolled: 4-line block ×14, first 2 shown]
	v_fmac_f64_e32 v[164:165], v[18:19], v[4:5]
	v_add_f64 v[0:1], v[0:1], v[162:163]
	s_waitcnt vmcnt(13) lgkmcnt(2)
	v_mul_f64 v[140:141], v[32:33], v[26:27]
	scratch_load_dwordx4 v[136:139], off, off offset:576
	v_add_f64 v[0:1], v[0:1], v[164:165]
	v_fmac_f64_e32 v[140:141], v[34:35], v[24:25]
	v_add_f64 v[0:1], v[0:1], v[140:141]
	ds_read_b128 v[160:163], v2 offset:1152
	scratch_load_dwordx4 v[140:143], off, off offset:592
	ds_read_b128 v[164:167], v2 offset:1168
	s_waitcnt vmcnt(13)
	v_mov_b64_e32 v[16:17], v[168:169]
	v_mov_b64_e32 v[18:19], v[170:171]
	ds_read_b128 v[168:171], v2 offset:1184
	s_waitcnt lgkmcnt(4)
	v_mul_f64 v[144:145], v[132:133], v[22:23]
	v_fmac_f64_e32 v[144:145], v[134:135], v[20:21]
	s_waitcnt lgkmcnt(2)
	v_mul_f64 v[148:149], v[160:161], v[18:19]
	v_add_f64 v[0:1], v[0:1], v[144:145]
	v_fmac_f64_e32 v[148:149], v[162:163], v[16:17]
	s_waitcnt vmcnt(12) lgkmcnt(1)
	v_mul_f64 v[152:153], v[164:165], v[14:15]
	scratch_load_dwordx4 v[144:147], off, off offset:608
	v_add_f64 v[0:1], v[0:1], v[148:149]
	v_fmac_f64_e32 v[152:153], v[166:167], v[12:13]
	scratch_load_dwordx4 v[148:151], off, off offset:624
	v_add_f64 v[0:1], v[0:1], v[152:153]
	s_waitcnt vmcnt(13) lgkmcnt(0)
	v_mul_f64 v[152:153], v[168:169], v[30:31]
	v_fmac_f64_e32 v[152:153], v[170:171], v[28:29]
	v_add_f64 v[0:1], v[0:1], v[152:153]
	scratch_load_dwordx4 v[152:155], off, off offset:640
	s_waitcnt vmcnt(13)
	v_mul_f64 v[156:157], v[172:173], v[38:39]
	v_fmac_f64_e32 v[156:157], v[174:175], v[36:37]
	v_mul_f64 v[74:75], v[178:179], v[74:75]
	v_add_f64 v[0:1], v[0:1], v[156:157]
	scratch_load_dwordx4 v[156:159], off, off offset:656
	v_fma_f64 v[240:241], v[176:177], v[72:73], -v[74:75]
	v_mul_f64 v[72:73], v[194:195], v[78:79]
	ds_read_b128 v[180:183], v2 offset:1216
	ds_read_b128 v[176:179], v2 offset:1232
	v_fma_f64 v[246:247], v[192:193], v[76:77], -v[72:73]
	scratch_load_dwordx4 v[76:79], off, off offset:672
	scratch_load_dwordx4 v[72:75], off, off offset:688
	v_mul_f64 v[82:83], v[190:191], v[82:83]
	v_fma_f64 v[248:249], v[188:189], v[80:81], -v[82:83]
	v_mul_f64 v[80:81], v[238:239], v[86:87]
	v_fma_f64 v[236:237], v[236:237], v[84:85], -v[80:81]
	scratch_load_dwordx4 v[80:83], off, off offset:704
	ds_read_b128 v[188:191], v2 offset:1248
	v_mul_f64 v[84:85], v[234:235], v[90:91]
	s_waitcnt vmcnt(16) lgkmcnt(2)
	v_mul_f64 v[192:193], v[180:181], v[42:43]
	v_fma_f64 v[238:239], v[232:233], v[88:89], -v[84:85]
	scratch_load_dwordx4 v[84:87], off, off offset:720
	v_fmac_f64_e32 v[192:193], v[182:183], v[40:41]
	v_add_f64 v[0:1], v[0:1], v[192:193]
	s_waitcnt vmcnt(16) lgkmcnt(1)
	v_mul_f64 v[192:193], v[176:177], v[46:47]
	v_fmac_f64_e32 v[192:193], v[178:179], v[44:45]
	v_add_f64 v[0:1], v[0:1], v[192:193]
	ds_read_b128 v[192:195], v2 offset:1264
	s_waitcnt vmcnt(15) lgkmcnt(1)
	v_mul_f64 v[88:89], v[188:189], v[50:51]
	v_fmac_f64_e32 v[88:89], v[190:191], v[48:49]
	v_add_f64 v[0:1], v[0:1], v[88:89]
	v_mul_f64 v[88:89], v[230:231], v[94:95]
	v_fma_f64 v[250:251], v[228:229], v[92:93], -v[88:89]
	scratch_load_dwordx4 v[88:91], off, off offset:736
	scratch_load_dwordx4 v[232:235], off, off offset:784
	ds_read_b128 v[92:95], v2 offset:1280
	v_mul_f64 v[98:99], v[222:223], v[98:99]
	v_fma_f64 v[252:253], v[220:221], v[96:97], -v[98:99]
	ds_read_b128 v[96:99], v2 offset:1296
	v_mul_f64 v[102:103], v[210:211], v[102:103]
	s_waitcnt vmcnt(16) lgkmcnt(2)
	v_mul_f64 v[228:229], v[192:193], v[54:55]
	v_fma_f64 v[254:255], v[208:209], v[100:101], -v[102:103]
	ds_read_b128 v[100:103], v2 offset:1312
	ds_read_b128 v[208:211], v2 offset:1328
	v_fmac_f64_e32 v[228:229], v[194:195], v[52:53]
	s_waitcnt vmcnt(15) lgkmcnt(3)
	v_mul_f64 v[220:221], v[92:93], v[58:59]
	v_add_f64 v[0:1], v[0:1], v[228:229]
	v_fmac_f64_e32 v[220:221], v[94:95], v[56:57]
	v_mul_f64 v[106:107], v[226:227], v[106:107]
	v_add_f64 v[0:1], v[0:1], v[220:221]
	s_waitcnt vmcnt(14) lgkmcnt(2)
	v_mul_f64 v[220:221], v[96:97], v[62:63]
	v_fma_f64 v[242:243], v[224:225], v[104:105], -v[106:107]
	ds_read_b128 v[104:107], v2 offset:1344
	v_fmac_f64_e32 v[220:221], v[98:99], v[60:61]
	v_mul_f64 v[110:111], v[214:215], v[110:111]
	v_add_f64 v[0:1], v[0:1], v[220:221]
	s_waitcnt vmcnt(13) lgkmcnt(2)
	v_mul_f64 v[220:221], v[100:101], v[70:71]
	v_fma_f64 v[8:9], v[212:213], v[108:109], -v[110:111]
	ds_read_b128 v[108:111], v2 offset:1360
	v_fmac_f64_e32 v[220:221], v[102:103], v[68:69]
	v_accvgpr_write_b32 a103, v7
	v_add_f64 v[0:1], v[0:1], v[220:221]
	s_waitcnt vmcnt(12) lgkmcnt(2)
	v_mul_f64 v[220:221], v[208:209], v[66:67]
	v_accvgpr_write_b32 a102, v6
	v_accvgpr_write_b32 a101, v5
	;; [unrolled: 1-line block ×3, first 2 shown]
	v_fmac_f64_e32 v[220:221], v[210:211], v[64:65]
	s_waitcnt vmcnt(11) lgkmcnt(1)
	v_mul_f64 v[6:7], v[104:105], v[138:139]
	v_add_f64 v[0:1], v[0:1], v[220:221]
	v_fmac_f64_e32 v[6:7], v[106:107], v[136:137]
	v_add_f64 v[0:1], v[0:1], v[6:7]
	s_waitcnt vmcnt(10) lgkmcnt(0)
	v_mul_f64 v[6:7], v[108:109], v[142:143]
	v_fmac_f64_e32 v[6:7], v[110:111], v[140:141]
	ds_read_b128 v[212:215], v2 offset:1376
	v_add_f64 v[0:1], v[0:1], v[6:7]
	v_mul_f64 v[6:7], v[202:203], v[114:115]
	v_fma_f64 v[6:7], v[200:201], v[112:113], -v[6:7]
	ds_read_b128 v[112:115], v2 offset:1392
	v_mul_f64 v[118:119], v[218:219], v[118:119]
	v_fma_f64 v[4:5], v[216:217], v[116:117], -v[118:119]
	ds_read_b128 v[116:119], v2 offset:1408
	s_waitcnt vmcnt(9) lgkmcnt(2)
	v_mul_f64 v[200:201], v[212:213], v[146:147]
	v_fmac_f64_e32 v[200:201], v[214:215], v[144:145]
	s_waitcnt vmcnt(8) lgkmcnt(1)
	v_mul_f64 v[10:11], v[112:113], v[150:151]
	v_add_f64 v[0:1], v[0:1], v[200:201]
	v_fmac_f64_e32 v[10:11], v[114:115], v[148:149]
	v_add_f64 v[0:1], v[0:1], v[10:11]
	ds_read_b128 v[200:203], v2 offset:1424
	s_waitcnt vmcnt(7) lgkmcnt(1)
	v_mul_f64 v[10:11], v[116:117], v[154:155]
	v_fmac_f64_e32 v[10:11], v[118:119], v[152:153]
	v_add_f64 v[10:11], v[0:1], v[10:11]
	v_mul_f64 v[0:1], v[206:207], v[122:123]
	v_fma_f64 v[0:1], v[204:205], v[120:121], -v[0:1]
	ds_read_b128 v[120:123], v2 offset:1440
	v_mul_f64 v[126:127], v[198:199], v[126:127]
	v_fma_f64 v[124:125], v[196:197], v[124:125], -v[126:127]
	s_waitcnt vmcnt(6) lgkmcnt(1)
	v_mul_f64 v[204:205], v[200:201], v[158:159]
	v_accvgpr_write_b32 a108, v124
	v_fmac_f64_e32 v[204:205], v[202:203], v[156:157]
	v_accvgpr_write_b32 a109, v125
	ds_read_b128 v[124:127], v2 offset:1456
	s_waitcnt vmcnt(5) lgkmcnt(1)
	v_mul_f64 v[196:197], v[120:121], v[78:79]
	v_add_f64 v[10:11], v[10:11], v[204:205]
	v_fmac_f64_e32 v[196:197], v[122:123], v[76:77]
	v_add_f64 v[10:11], v[10:11], v[196:197]
	ds_read_b128 v[196:199], v2 offset:1472
	v_mul_f64 v[130:131], v[186:187], v[130:131]
	v_fma_f64 v[244:245], v[184:185], v[128:129], -v[130:131]
	ds_read_b128 v[128:131], v2 offset:1488
	s_waitcnt vmcnt(4) lgkmcnt(2)
	v_mul_f64 v[184:185], v[124:125], v[74:75]
	v_fmac_f64_e32 v[184:185], v[126:127], v[72:73]
	v_add_f64 v[10:11], v[10:11], v[184:185]
	s_waitcnt vmcnt(3) lgkmcnt(1)
	v_mul_f64 v[184:185], v[196:197], v[82:83]
	v_fmac_f64_e32 v[184:185], v[198:199], v[80:81]
	v_add_f64 v[10:11], v[10:11], v[184:185]
	;; [unrolled: 4-line block ×3, first 2 shown]
	ds_read_b128 v[184:187], v2 offset:1504
	ds_read_b128 v[216:219], v2 offset:1520
	;; [unrolled: 1-line block ×3, first 2 shown]
	s_waitcnt vmcnt(1) lgkmcnt(2)
	v_mul_f64 v[204:205], v[184:185], v[90:91]
	v_fmac_f64_e32 v[204:205], v[186:187], v[88:89]
	v_add_f64 v[10:11], v[10:11], v[204:205]
	scratch_load_dwordx4 v[204:207], off, off offset:752
	s_waitcnt vmcnt(0) lgkmcnt(1)
	v_mul_f64 v[220:221], v[216:217], v[206:207]
	v_fmac_f64_e32 v[220:221], v[218:219], v[204:205]
	v_add_f64 v[10:11], v[10:11], v[220:221]
	scratch_load_dwordx4 v[220:223], off, off offset:768
	s_waitcnt vmcnt(0) lgkmcnt(0)
	v_mul_f64 v[228:229], v[224:225], v[222:223]
	v_fmac_f64_e32 v[228:229], v[226:227], v[220:221]
	v_add_f64 v[10:11], v[10:11], v[228:229]
	ds_read_b128 v[228:231], v2 offset:1552
	s_waitcnt lgkmcnt(0)
	v_mul_f64 v[2:3], v[228:229], v[234:235]
	v_fmac_f64_e32 v[2:3], v[230:231], v[232:233]
	v_add_f64 v[2:3], v[10:11], v[2:3]
	v_add_f64 v[10:11], v[240:241], 0
	;; [unrolled: 1-line block ×6, first 2 shown]
	scratch_load_dwordx4 v[236:239], off, off offset:80
	v_add_f64 v[10:11], v[10:11], v[250:251]
	v_add_f64 v[10:11], v[10:11], v[252:253]
	;; [unrolled: 1-line block ×8, first 2 shown]
	v_accvgpr_read_b32 v0, a108
	v_accvgpr_read_b32 v6, a100
	;; [unrolled: 1-line block ×7, first 2 shown]
	v_add_f64 v[0:1], v[246:247], v[0:1]
	v_accvgpr_read_b32 v7, a101
	v_accvgpr_read_b32 v241, a105
	;; [unrolled: 1-line block ×3, first 2 shown]
	v_mul_f64 v[4:5], v[242:243], v[8:9]
	v_add_f64 v[0:1], v[0:1], v[244:245]
	v_fma_f64 v[4:5], v[240:241], v[6:7], -v[4:5]
	v_add_f64 v[0:1], v[0:1], v[4:5]
	v_mul_f64 v[4:5], v[34:35], v[26:27]
	v_fma_f64 v[4:5], v[32:33], v[24:25], -v[4:5]
	v_add_f64 v[0:1], v[0:1], v[4:5]
	v_mul_f64 v[4:5], v[134:135], v[22:23]
	;; [unrolled: 3-line block ×28, first 2 shown]
	v_fma_f64 v[4:5], v[228:229], v[232:233], -v[4:5]
	v_add_f64 v[0:1], v[0:1], v[4:5]
	s_waitcnt vmcnt(0)
	v_add_f64 v[4:5], v[236:237], -v[0:1]
	v_accvgpr_read_b32 v0, a98
	v_add_f64 v[6:7], v[238:239], -v[2:3]
	v_cmp_lt_u32_e32 vcc, 3, v0
	scratch_store_dwordx4 off, v[4:7], off offset:80
	s_and_saveexec_b64 s[0:1], vcc
	s_cbranch_execz .LBB48_301
; %bb.300:
	scratch_load_dwordx4 v[2:5], off, s23
	v_mov_b32_e32 v6, 0
	v_mov_b32_e32 v7, v6
	;; [unrolled: 1-line block ×4, first 2 shown]
	v_accvgpr_read_b32 v0, a99
	scratch_store_dwordx4 off, v[6:9], off offset:64
	s_waitcnt vmcnt(1)
	ds_write_b128 v0, v[2:5]
.LBB48_301:
	s_or_b64 exec, exec, s[0:1]
	s_waitcnt lgkmcnt(0)
	; wave barrier
	scratch_load_dwordx4 v[80:83], off, off offset:80
	scratch_load_dwordx4 v[84:87], off, off offset:96
	;; [unrolled: 1-line block ×29, first 2 shown]
	v_mov_b32_e32 v2, 0
	ds_read_b128 v[132:135], v2 offset:848
	ds_read_b128 v[136:139], v2 offset:864
	;; [unrolled: 1-line block ×22, first 2 shown]
	s_waitcnt vmcnt(28) lgkmcnt(14)
	v_mul_f64 v[0:1], v[132:133], v[82:83]
	s_waitcnt vmcnt(27)
	v_mul_f64 v[56:57], v[136:137], v[86:87]
	v_fmac_f64_e32 v[0:1], v[134:135], v[80:81]
	s_waitcnt vmcnt(26)
	v_mul_f64 v[58:59], v[140:141], v[90:91]
	v_fmac_f64_e32 v[56:57], v[138:139], v[84:85]
	v_add_f64 v[0:1], v[0:1], 0
	s_waitcnt vmcnt(25)
	v_mul_f64 v[60:61], v[148:149], v[94:95]
	v_fmac_f64_e32 v[58:59], v[142:143], v[88:89]
	v_add_f64 v[0:1], v[0:1], v[56:57]
	;; [unrolled: 4-line block ×6, first 2 shown]
	s_waitcnt vmcnt(20) lgkmcnt(13)
	v_mul_f64 v[70:71], v[204:205], v[154:155]
	v_fmac_f64_e32 v[68:69], v[198:199], v[144:145]
	v_add_f64 v[0:1], v[0:1], v[66:67]
	s_waitcnt vmcnt(19) lgkmcnt(12)
	v_mul_f64 v[72:73], v[208:209], v[158:159]
	v_fmac_f64_e32 v[70:71], v[206:207], v[152:153]
	v_add_f64 v[0:1], v[0:1], v[68:69]
	;; [unrolled: 4-line block ×8, first 2 shown]
	v_fmac_f64_e32 v[112:113], v[244:245], v[192:193]
	v_add_f64 v[0:1], v[0:1], v[110:111]
	s_waitcnt vmcnt(12) lgkmcnt(5)
	v_mul_f64 v[60:61], v[246:247], v[202:203]
	scratch_load_dwordx4 v[56:59], off, off offset:544
	ds_read_b128 v[108:111], v2 offset:1136
	v_add_f64 v[0:1], v[0:1], v[112:113]
	v_fmac_f64_e32 v[60:61], v[248:249], v[200:201]
	v_add_f64 v[0:1], v[0:1], v[60:61]
	s_waitcnt vmcnt(12) lgkmcnt(5)
	v_mul_f64 v[64:65], v[52:53], v[6:7]
	scratch_load_dwordx4 v[60:63], off, off offset:560
	v_accvgpr_write_b32 a103, v7
	v_fmac_f64_e32 v[64:65], v[54:55], v[4:5]
	v_accvgpr_write_b32 a102, v6
	v_accvgpr_write_b32 a101, v5
	;; [unrolled: 1-line block ×3, first 2 shown]
	ds_read_b128 v[112:115], v2 offset:1152
	s_waitcnt vmcnt(12)
	v_mov_b64_e32 v[4:5], v[8:9]
	v_mov_b64_e32 v[6:7], v[10:11]
	s_waitcnt lgkmcnt(1)
	v_mul_f64 v[68:69], v[108:109], v[6:7]
	v_fmac_f64_e32 v[68:69], v[110:111], v[4:5]
	s_waitcnt vmcnt(11)
	v_mov_b64_e32 v[4:5], v[12:13]
	v_add_f64 v[0:1], v[0:1], v[64:65]
	v_mov_b64_e32 v[6:7], v[14:15]
	scratch_load_dwordx4 v[64:67], off, off offset:576
	v_add_f64 v[0:1], v[0:1], v[68:69]
	s_waitcnt lgkmcnt(0)
	v_mul_f64 v[68:69], v[112:113], v[6:7]
	v_fmac_f64_e32 v[68:69], v[114:115], v[4:5]
	s_waitcnt vmcnt(11)
	v_mov_b64_e32 v[4:5], v[16:17]
	v_add_f64 v[0:1], v[0:1], v[68:69]
	scratch_load_dwordx4 v[68:71], off, off offset:592
	v_mov_b64_e32 v[6:7], v[18:19]
	v_mul_f64 v[76:77], v[116:117], v[6:7]
	scratch_load_dwordx4 v[72:75], off, off offset:608
	v_fmac_f64_e32 v[76:77], v[118:119], v[4:5]
	v_add_f64 v[0:1], v[0:1], v[76:77]
	s_waitcnt vmcnt(12)
	v_mul_f64 v[76:77], v[120:121], v[236:237]
	v_fmac_f64_e32 v[76:77], v[122:123], v[234:235]
	v_add_f64 v[0:1], v[0:1], v[76:77]
	scratch_load_dwordx4 v[76:79], off, off offset:624
	v_mul_f64 v[82:83], v[134:135], v[82:83]
	v_fma_f64 v[240:241], v[132:133], v[80:81], -v[82:83]
	scratch_load_dwordx4 v[80:83], off, off offset:640
	v_mul_f64 v[86:87], v[138:139], v[86:87]
	v_fma_f64 v[250:251], v[136:137], v[84:85], -v[86:87]
	scratch_load_dwordx4 v[84:87], off, off offset:656
	v_mul_f64 v[90:91], v[142:143], v[90:91]
	s_waitcnt vmcnt(14)
	v_mul_f64 v[132:133], v[124:125], v[26:27]
	v_fma_f64 v[252:253], v[140:141], v[88:89], -v[90:91]
	scratch_load_dwordx4 v[88:91], off, off offset:672
	v_fmac_f64_e32 v[132:133], v[126:127], v[24:25]
	s_waitcnt vmcnt(14)
	v_mul_f64 v[136:137], v[128:129], v[30:31]
	v_mul_f64 v[94:95], v[150:151], v[94:95]
	v_add_f64 v[0:1], v[0:1], v[132:133]
	v_fmac_f64_e32 v[136:137], v[130:131], v[28:29]
	v_fma_f64 v[254:255], v[148:149], v[92:93], -v[94:95]
	v_mul_f64 v[92:93], v[162:163], v[98:99]
	ds_read_b128 v[132:135], v2 offset:1232
	v_add_f64 v[0:1], v[0:1], v[136:137]
	ds_read_b128 v[136:139], v2 offset:1248
	v_fma_f64 v[232:233], v[160:161], v[96:97], -v[92:93]
	scratch_load_dwordx4 v[96:99], off, off offset:688
	scratch_load_dwordx4 v[92:95], off, off offset:704
	v_mul_f64 v[102:103], v[174:175], v[102:103]
	v_fma_f64 v[20:21], v[172:173], v[100:101], -v[102:103]
	scratch_load_dwordx4 v[100:103], off, off offset:720
	v_accvgpr_write_b32 a115, v19
	v_mul_f64 v[6:7], v[186:187], v[106:107]
	v_accvgpr_write_b32 a114, v18
	v_accvgpr_write_b32 a113, v17
	;; [unrolled: 1-line block ×3, first 2 shown]
	v_fma_f64 v[16:17], v[184:185], v[104:105], -v[6:7]
	scratch_load_dwordx4 v[104:107], off, off offset:736
	s_waitcnt vmcnt(17) lgkmcnt(1)
	v_mul_f64 v[140:141], v[132:133], v[34:35]
	v_fmac_f64_e32 v[140:141], v[134:135], v[32:33]
	v_add_f64 v[0:1], v[0:1], v[140:141]
	ds_read_b128 v[140:143], v2 offset:1264
	v_accvgpr_write_b32 a111, v15
	v_mul_f64 v[6:7], v[198:199], v[146:147]
	v_accvgpr_write_b32 a110, v14
	v_accvgpr_write_b32 a109, v13
	;; [unrolled: 1-line block ×3, first 2 shown]
	v_fma_f64 v[12:13], v[196:197], v[144:145], -v[6:7]
	ds_read_b128 v[144:147], v2 offset:1280
	s_waitcnt vmcnt(16) lgkmcnt(2)
	v_mul_f64 v[148:149], v[136:137], v[38:39]
	v_fmac_f64_e32 v[148:149], v[138:139], v[36:37]
	v_add_f64 v[0:1], v[0:1], v[148:149]
	s_waitcnt vmcnt(15) lgkmcnt(1)
	v_mul_f64 v[6:7], v[140:141], v[42:43]
	ds_read_b128 v[148:151], v2 offset:1296
	v_fmac_f64_e32 v[6:7], v[142:143], v[40:41]
	v_add_f64 v[0:1], v[0:1], v[6:7]
	s_waitcnt vmcnt(14) lgkmcnt(1)
	v_mul_f64 v[6:7], v[144:145], v[46:47]
	v_fmac_f64_e32 v[6:7], v[146:147], v[44:45]
	v_accvgpr_write_b32 a107, v11
	v_add_f64 v[0:1], v[0:1], v[6:7]
	v_mul_f64 v[6:7], v[206:207], v[154:155]
	v_accvgpr_write_b32 a106, v10
	v_accvgpr_write_b32 a105, v9
	;; [unrolled: 1-line block ×3, first 2 shown]
	v_fma_f64 v[10:11], v[204:205], v[152:153], -v[6:7]
	ds_read_b128 v[152:155], v2 offset:1312
	s_waitcnt vmcnt(13) lgkmcnt(1)
	v_mul_f64 v[6:7], v[148:149], v[50:51]
	v_fmac_f64_e32 v[6:7], v[150:151], v[48:49]
	v_add_f64 v[0:1], v[0:1], v[6:7]
	v_mul_f64 v[6:7], v[210:211], v[158:159]
	v_fma_f64 v[14:15], v[208:209], v[156:157], -v[6:7]
	ds_read_b128 v[156:159], v2 offset:1328
	ds_read_b128 v[160:163], v2 offset:1344
	s_waitcnt vmcnt(12) lgkmcnt(2)
	v_mul_f64 v[6:7], v[152:153], v[58:59]
	v_fmac_f64_e32 v[6:7], v[154:155], v[56:57]
	v_add_f64 v[0:1], v[0:1], v[6:7]
	s_waitcnt vmcnt(11) lgkmcnt(1)
	v_mul_f64 v[6:7], v[156:157], v[62:63]
	v_fmac_f64_e32 v[6:7], v[158:159], v[60:61]
	v_add_f64 v[0:1], v[0:1], v[6:7]
	v_mul_f64 v[6:7], v[214:215], v[166:167]
	v_fma_f64 v[8:9], v[212:213], v[164:165], -v[6:7]
	ds_read_b128 v[164:167], v2 offset:1360
	v_mul_f64 v[18:19], v[218:219], v[170:171]
	v_fma_f64 v[18:19], v[216:217], v[168:169], -v[18:19]
	ds_read_b128 v[168:171], v2 offset:1376
	s_waitcnt vmcnt(10) lgkmcnt(2)
	v_mul_f64 v[6:7], v[160:161], v[66:67]
	v_fmac_f64_e32 v[6:7], v[162:163], v[64:65]
	v_add_f64 v[0:1], v[0:1], v[6:7]
	s_waitcnt vmcnt(9) lgkmcnt(1)
	v_mul_f64 v[6:7], v[164:165], v[70:71]
	ds_read_b128 v[172:175], v2 offset:1392
	v_fmac_f64_e32 v[6:7], v[166:167], v[68:69]
	v_add_f64 v[0:1], v[0:1], v[6:7]
	s_waitcnt vmcnt(8) lgkmcnt(1)
	v_mul_f64 v[6:7], v[168:169], v[74:75]
	v_fmac_f64_e32 v[6:7], v[170:171], v[72:73]
	v_add_f64 v[0:1], v[0:1], v[6:7]
	v_mul_f64 v[6:7], v[222:223], v[178:179]
	v_fma_f64 v[4:5], v[220:221], v[176:177], -v[6:7]
	ds_read_b128 v[176:179], v2 offset:1408
	s_waitcnt vmcnt(7) lgkmcnt(1)
	v_mul_f64 v[6:7], v[172:173], v[78:79]
	v_fmac_f64_e32 v[6:7], v[174:175], v[76:77]
	v_add_f64 v[0:1], v[0:1], v[6:7]
	v_mul_f64 v[6:7], v[226:227], v[182:183]
	v_fma_f64 v[6:7], v[224:225], v[180:181], -v[6:7]
	ds_read_b128 v[180:183], v2 offset:1424
	ds_read_b128 v[184:187], v2 offset:1440
	s_waitcnt vmcnt(6) lgkmcnt(2)
	v_mul_f64 v[22:23], v[176:177], v[82:83]
	v_fmac_f64_e32 v[22:23], v[178:179], v[80:81]
	v_add_f64 v[0:1], v[0:1], v[22:23]
	s_waitcnt vmcnt(5) lgkmcnt(1)
	v_mul_f64 v[22:23], v[180:181], v[86:87]
	v_fmac_f64_e32 v[22:23], v[182:183], v[84:85]
	v_add_f64 v[22:23], v[0:1], v[22:23]
	v_mul_f64 v[0:1], v[230:231], v[190:191]
	v_fma_f64 v[0:1], v[228:229], v[188:189], -v[0:1]
	ds_read_b128 v[188:191], v2 offset:1456
	s_waitcnt vmcnt(4) lgkmcnt(1)
	v_mul_f64 v[196:197], v[184:185], v[90:91]
	v_fmac_f64_e32 v[196:197], v[186:187], v[88:89]
	v_mul_f64 v[194:195], v[244:245], v[194:195]
	v_fma_f64 v[238:239], v[242:243], v[192:193], -v[194:195]
	ds_read_b128 v[192:195], v2 offset:1472
	v_add_f64 v[22:23], v[22:23], v[196:197]
	s_waitcnt vmcnt(3) lgkmcnt(1)
	v_mul_f64 v[196:197], v[188:189], v[98:99]
	v_fmac_f64_e32 v[196:197], v[190:191], v[96:97]
	v_add_f64 v[22:23], v[22:23], v[196:197]
	ds_read_b128 v[196:199], v2 offset:1488
	v_mul_f64 v[202:203], v[248:249], v[202:203]
	v_fma_f64 v[242:243], v[246:247], v[200:201], -v[202:203]
	ds_read_b128 v[200:203], v2 offset:1504
	s_waitcnt vmcnt(2) lgkmcnt(2)
	v_mul_f64 v[204:205], v[192:193], v[94:95]
	v_fmac_f64_e32 v[204:205], v[194:195], v[92:93]
	v_add_f64 v[22:23], v[22:23], v[204:205]
	s_waitcnt vmcnt(1) lgkmcnt(1)
	v_mul_f64 v[204:205], v[196:197], v[102:103]
	v_fmac_f64_e32 v[204:205], v[198:199], v[100:101]
	v_add_f64 v[22:23], v[22:23], v[204:205]
	;; [unrolled: 4-line block ×3, first 2 shown]
	scratch_load_dwordx4 v[204:207], off, off offset:752
	ds_read_b128 v[208:211], v2 offset:1520
	ds_read_b128 v[216:219], v2 offset:1536
	;; [unrolled: 1-line block ×3, first 2 shown]
	s_waitcnt vmcnt(0) lgkmcnt(2)
	v_mul_f64 v[212:213], v[208:209], v[206:207]
	v_fmac_f64_e32 v[212:213], v[210:211], v[204:205]
	v_add_f64 v[22:23], v[22:23], v[212:213]
	scratch_load_dwordx4 v[212:215], off, off offset:768
	s_waitcnt vmcnt(0) lgkmcnt(1)
	v_mul_f64 v[220:221], v[216:217], v[214:215]
	v_fmac_f64_e32 v[220:221], v[218:219], v[212:213]
	v_add_f64 v[22:23], v[22:23], v[220:221]
	scratch_load_dwordx4 v[220:223], off, off offset:784
	;; [unrolled: 5-line block ×3, first 2 shown]
	v_add_f64 v[22:23], v[240:241], 0
	v_add_f64 v[22:23], v[22:23], v[250:251]
	;; [unrolled: 1-line block ×14, first 2 shown]
	v_accvgpr_read_b32 v6, a100
	v_accvgpr_read_b32 v8, a102
	;; [unrolled: 1-line block ×3, first 2 shown]
	v_add_f64 v[0:1], v[4:5], v[0:1]
	v_accvgpr_read_b32 v7, a101
	v_mul_f64 v[4:5], v[54:55], v[8:9]
	v_add_f64 v[0:1], v[0:1], v[238:239]
	v_fma_f64 v[4:5], v[52:53], v[6:7], -v[4:5]
	v_accvgpr_read_b32 v6, a104
	v_add_f64 v[0:1], v[0:1], v[242:243]
	v_accvgpr_read_b32 v8, a106
	v_accvgpr_read_b32 v9, a107
	v_add_f64 v[0:1], v[0:1], v[4:5]
	v_accvgpr_read_b32 v7, a105
	v_mul_f64 v[4:5], v[110:111], v[8:9]
	v_fma_f64 v[4:5], v[108:109], v[6:7], -v[4:5]
	v_accvgpr_read_b32 v6, a108
	v_accvgpr_read_b32 v8, a110
	;; [unrolled: 1-line block ×3, first 2 shown]
	v_add_f64 v[0:1], v[0:1], v[4:5]
	v_accvgpr_read_b32 v7, a109
	v_mul_f64 v[4:5], v[114:115], v[8:9]
	v_fma_f64 v[4:5], v[112:113], v[6:7], -v[4:5]
	v_accvgpr_read_b32 v6, a112
	v_accvgpr_read_b32 v8, a114
	;; [unrolled: 1-line block ×3, first 2 shown]
	v_add_f64 v[0:1], v[0:1], v[4:5]
	v_accvgpr_read_b32 v7, a113
	v_mul_f64 v[4:5], v[118:119], v[8:9]
	v_fma_f64 v[4:5], v[116:117], v[6:7], -v[4:5]
	v_add_f64 v[0:1], v[0:1], v[4:5]
	v_mul_f64 v[4:5], v[122:123], v[236:237]
	v_fma_f64 v[4:5], v[120:121], v[234:235], -v[4:5]
	v_add_f64 v[0:1], v[0:1], v[4:5]
	;; [unrolled: 3-line block ×25, first 2 shown]
	s_waitcnt vmcnt(0)
	v_add_f64 v[4:5], v[228:229], -v[0:1]
	v_accvgpr_read_b32 v0, a98
	v_add_f64 v[6:7], v[230:231], -v[246:247]
	v_cmp_lt_u32_e32 vcc, 2, v0
	scratch_store_dwordx4 off, v[4:7], off offset:64
	s_and_saveexec_b64 s[0:1], vcc
	s_cbranch_execz .LBB48_303
; %bb.302:
	scratch_load_dwordx4 v[6:9], off, s14
	v_mov_b32_e32 v3, v2
	v_mov_b32_e32 v4, v2
	;; [unrolled: 1-line block ×3, first 2 shown]
	v_accvgpr_read_b32 v0, a99
	scratch_store_dwordx4 off, v[2:5], off offset:48
	s_waitcnt vmcnt(1)
	ds_write_b128 v0, v[6:9]
.LBB48_303:
	s_or_b64 exec, exec, s[0:1]
	s_waitcnt lgkmcnt(0)
	; wave barrier
	scratch_load_dwordx4 v[80:83], off, off offset:64
	scratch_load_dwordx4 v[84:87], off, off offset:80
	scratch_load_dwordx4 v[88:91], off, off offset:96
	scratch_load_dwordx4 v[92:95], off, off offset:112
	scratch_load_dwordx4 v[96:99], off, off offset:128
	scratch_load_dwordx4 v[100:103], off, off offset:144
	scratch_load_dwordx4 v[104:107], off, off offset:160
	scratch_load_dwordx4 v[144:147], off, off offset:176
	scratch_load_dwordx4 v[152:155], off, off offset:192
	scratch_load_dwordx4 v[156:159], off, off offset:208
	scratch_load_dwordx4 v[164:167], off, off offset:224
	scratch_load_dwordx4 v[168:171], off, off offset:240
	scratch_load_dwordx4 v[176:179], off, off offset:256
	scratch_load_dwordx4 v[180:183], off, off offset:272
	scratch_load_dwordx4 v[188:191], off, off offset:288
	scratch_load_dwordx4 v[192:195], off, off offset:304
	scratch_load_dwordx4 v[200:203], off, off offset:320
	ds_read_b128 v[136:139], v2 offset:832
	ds_read_b128 v[132:135], v2 offset:848
	scratch_load_dwordx4 v[4:7], off, off offset:336
	ds_read_b128 v[236:239], v2 offset:864
	ds_read_b128 v[228:231], v2 offset:880
	;; [unrolled: 1-line block ×5, first 2 shown]
	scratch_load_dwordx4 v[8:11], off, off offset:352
	ds_read_b128 v[232:235], v2 offset:944
	ds_read_b128 v[216:219], v2 offset:960
	;; [unrolled: 1-line block ×3, first 2 shown]
	scratch_load_dwordx4 v[12:15], off, off offset:368
	ds_read_b128 v[220:223], v2 offset:992
	ds_read_b128 v[172:175], v2 offset:1008
	;; [unrolled: 1-line block ×5, first 2 shown]
	scratch_load_dwordx4 v[16:19], off, off offset:384
	ds_read_b128 v[208:211], v2 offset:1072
	ds_read_b128 v[204:207], v2 offset:1088
	;; [unrolled: 1-line block ×3, first 2 shown]
	scratch_load_dwordx4 v[24:27], off, off offset:400
	scratch_load_dwordx4 v[28:31], off, off offset:416
	;; [unrolled: 1-line block ×8, first 2 shown]
	ds_read_b128 v[116:119], v2 offset:1152
	ds_read_b128 v[120:123], v2 offset:1168
	;; [unrolled: 1-line block ×4, first 2 shown]
	s_waitcnt vmcnt(28) lgkmcnt(14)
	v_mul_f64 v[0:1], v[136:137], v[82:83]
	s_waitcnt vmcnt(27)
	v_mul_f64 v[56:57], v[132:133], v[86:87]
	v_fmac_f64_e32 v[0:1], v[138:139], v[80:81]
	s_waitcnt vmcnt(26)
	v_mul_f64 v[58:59], v[236:237], v[90:91]
	v_fmac_f64_e32 v[56:57], v[134:135], v[84:85]
	v_add_f64 v[0:1], v[0:1], 0
	s_waitcnt vmcnt(25)
	v_mul_f64 v[60:61], v[228:229], v[94:95]
	v_fmac_f64_e32 v[58:59], v[238:239], v[88:89]
	v_add_f64 v[0:1], v[0:1], v[56:57]
	;; [unrolled: 4-line block ×6, first 2 shown]
	s_waitcnt vmcnt(20) lgkmcnt(13)
	v_mul_f64 v[70:71], v[216:217], v[154:155]
	v_fmac_f64_e32 v[68:69], v[234:235], v[144:145]
	v_add_f64 v[0:1], v[0:1], v[66:67]
	s_waitcnt vmcnt(19) lgkmcnt(12)
	v_mul_f64 v[72:73], v[160:161], v[158:159]
	v_fmac_f64_e32 v[70:71], v[218:219], v[152:153]
	v_add_f64 v[0:1], v[0:1], v[68:69]
	;; [unrolled: 4-line block ×7, first 2 shown]
	v_fmac_f64_e32 v[110:111], v[198:199], v[188:189]
	v_add_f64 v[0:1], v[0:1], v[108:109]
	s_waitcnt vmcnt(13) lgkmcnt(6)
	v_mul_f64 v[112:113], v[208:209], v[194:195]
	v_add_f64 v[0:1], v[0:1], v[110:111]
	scratch_load_dwordx4 v[56:59], off, off offset:528
	scratch_load_dwordx4 v[60:63], off, off offset:544
	ds_read_b128 v[108:111], v2 offset:1120
	s_waitcnt vmcnt(14) lgkmcnt(6)
	v_mul_f64 v[114:115], v[204:205], v[202:203]
	v_fmac_f64_e32 v[112:113], v[210:211], v[192:193]
	v_add_f64 v[0:1], v[0:1], v[112:113]
	v_fmac_f64_e32 v[114:115], v[206:207], v[200:201]
	s_waitcnt vmcnt(13) lgkmcnt(5)
	v_mul_f64 v[64:65], v[20:21], v[6:7]
	v_accvgpr_write_b32 a103, v7
	v_add_f64 v[0:1], v[0:1], v[114:115]
	v_fmac_f64_e32 v[64:65], v[22:23], v[4:5]
	v_accvgpr_write_b32 a102, v6
	v_accvgpr_write_b32 a101, v5
	;; [unrolled: 1-line block ×3, first 2 shown]
	ds_read_b128 v[112:115], v2 offset:1136
	s_waitcnt vmcnt(12)
	v_mov_b64_e32 v[4:5], v[8:9]
	v_mov_b64_e32 v[6:7], v[10:11]
	s_waitcnt lgkmcnt(1)
	v_mul_f64 v[68:69], v[108:109], v[6:7]
	v_fmac_f64_e32 v[68:69], v[110:111], v[4:5]
	s_waitcnt vmcnt(11)
	v_mov_b64_e32 v[4:5], v[12:13]
	v_add_f64 v[0:1], v[0:1], v[64:65]
	v_mov_b64_e32 v[6:7], v[14:15]
	v_add_f64 v[0:1], v[0:1], v[68:69]
	s_waitcnt lgkmcnt(0)
	v_mul_f64 v[68:69], v[112:113], v[6:7]
	scratch_load_dwordx4 v[64:67], off, off offset:560
	v_fmac_f64_e32 v[68:69], v[114:115], v[4:5]
	v_add_f64 v[0:1], v[0:1], v[68:69]
	scratch_load_dwordx4 v[68:71], off, off offset:576
	scratch_load_dwordx4 v[72:75], off, off offset:592
	s_waitcnt vmcnt(13)
	v_mul_f64 v[76:77], v[116:117], v[18:19]
	v_fmac_f64_e32 v[76:77], v[118:119], v[16:17]
	v_add_f64 v[0:1], v[0:1], v[76:77]
	s_waitcnt vmcnt(12)
	v_mul_f64 v[76:77], v[120:121], v[26:27]
	v_fmac_f64_e32 v[76:77], v[122:123], v[24:25]
	v_add_f64 v[0:1], v[0:1], v[76:77]
	scratch_load_dwordx4 v[76:79], off, off offset:608
	v_mul_f64 v[82:83], v[138:139], v[82:83]
	v_fma_f64 v[240:241], v[136:137], v[80:81], -v[82:83]
	scratch_load_dwordx4 v[80:83], off, off offset:624
	v_mul_f64 v[86:87], v[134:135], v[86:87]
	v_fma_f64 v[246:247], v[132:133], v[84:85], -v[86:87]
	scratch_load_dwordx4 v[84:87], off, off offset:640
	s_waitcnt vmcnt(14)
	v_mul_f64 v[136:137], v[124:125], v[30:31]
	v_mul_f64 v[90:91], v[238:239], v[90:91]
	v_fmac_f64_e32 v[136:137], v[126:127], v[28:29]
	v_fma_f64 v[236:237], v[236:237], v[88:89], -v[90:91]
	scratch_load_dwordx4 v[88:91], off, off offset:656
	v_add_f64 v[0:1], v[0:1], v[136:137]
	s_waitcnt vmcnt(14)
	v_mul_f64 v[136:137], v[128:129], v[34:35]
	v_mul_f64 v[94:95], v[230:231], v[94:95]
	v_fmac_f64_e32 v[136:137], v[130:131], v[32:33]
	v_fma_f64 v[238:239], v[228:229], v[92:93], -v[94:95]
	v_mul_f64 v[92:93], v[226:227], v[98:99]
	ds_read_b128 v[132:135], v2 offset:1216
	v_add_f64 v[0:1], v[0:1], v[136:137]
	ds_read_b128 v[136:139], v2 offset:1232
	v_fma_f64 v[248:249], v[224:225], v[96:97], -v[92:93]
	scratch_load_dwordx4 v[96:99], off, off offset:672
	scratch_load_dwordx4 v[92:95], off, off offset:688
	v_mul_f64 v[102:103], v[150:151], v[102:103]
	v_fma_f64 v[250:251], v[148:149], v[100:101], -v[102:103]
	scratch_load_dwordx4 v[100:103], off, off offset:704
	v_mul_f64 v[106:107], v[142:143], v[106:107]
	v_fma_f64 v[252:253], v[140:141], v[104:105], -v[106:107]
	v_mul_f64 v[104:105], v[234:235], v[146:147]
	v_fma_f64 v[254:255], v[232:233], v[144:145], -v[104:105]
	scratch_load_dwordx4 v[104:107], off, off offset:720
	ds_read_b128 v[140:143], v2 offset:1248
	ds_read_b128 v[144:147], v2 offset:1264
	s_waitcnt vmcnt(17) lgkmcnt(3)
	v_mul_f64 v[228:229], v[132:133], v[38:39]
	v_fmac_f64_e32 v[228:229], v[134:135], v[36:37]
	s_waitcnt vmcnt(16) lgkmcnt(2)
	v_mul_f64 v[224:225], v[136:137], v[42:43]
	v_add_f64 v[0:1], v[0:1], v[228:229]
	v_fmac_f64_e32 v[224:225], v[138:139], v[40:41]
	s_waitcnt vmcnt(15) lgkmcnt(1)
	v_mul_f64 v[148:149], v[140:141], v[46:47]
	v_add_f64 v[0:1], v[0:1], v[224:225]
	v_fmac_f64_e32 v[148:149], v[142:143], v[44:45]
	v_add_f64 v[0:1], v[0:1], v[148:149]
	ds_read_b128 v[148:151], v2 offset:1280
	v_mul_f64 v[154:155], v[218:219], v[154:155]
	v_fma_f64 v[242:243], v[216:217], v[152:153], -v[154:155]
	ds_read_b128 v[152:155], v2 offset:1296
	v_accvgpr_write_b32 a111, v15
	v_mul_f64 v[158:159], v[162:163], v[158:159]
	v_accvgpr_write_b32 a110, v14
	v_accvgpr_write_b32 a109, v13
	;; [unrolled: 1-line block ×3, first 2 shown]
	v_fma_f64 v[12:13], v[160:161], v[156:157], -v[158:159]
	ds_read_b128 v[156:159], v2 offset:1312
	ds_read_b128 v[160:163], v2 offset:1328
	s_waitcnt vmcnt(14) lgkmcnt(4)
	v_mul_f64 v[224:225], v[144:145], v[50:51]
	v_fmac_f64_e32 v[224:225], v[146:147], v[48:49]
	s_waitcnt vmcnt(13) lgkmcnt(3)
	v_mul_f64 v[216:217], v[148:149], v[54:55]
	v_add_f64 v[0:1], v[0:1], v[224:225]
	v_fmac_f64_e32 v[216:217], v[150:151], v[52:53]
	s_waitcnt vmcnt(12) lgkmcnt(2)
	v_mul_f64 v[6:7], v[152:153], v[58:59]
	v_add_f64 v[0:1], v[0:1], v[216:217]
	v_fmac_f64_e32 v[6:7], v[154:155], v[56:57]
	v_add_f64 v[0:1], v[0:1], v[6:7]
	s_waitcnt vmcnt(11) lgkmcnt(1)
	v_mul_f64 v[6:7], v[156:157], v[62:63]
	v_fmac_f64_e32 v[6:7], v[158:159], v[60:61]
	v_accvgpr_write_b32 a107, v11
	v_add_f64 v[0:1], v[0:1], v[6:7]
	v_mul_f64 v[6:7], v[222:223], v[166:167]
	v_accvgpr_write_b32 a106, v10
	v_accvgpr_write_b32 a105, v9
	;; [unrolled: 1-line block ×3, first 2 shown]
	v_fma_f64 v[8:9], v[220:221], v[164:165], -v[6:7]
	ds_read_b128 v[164:167], v2 offset:1344
	v_mul_f64 v[170:171], v[174:175], v[170:171]
	v_fma_f64 v[6:7], v[172:173], v[168:169], -v[170:171]
	ds_read_b128 v[168:171], v2 offset:1360
	s_waitcnt vmcnt(10) lgkmcnt(2)
	v_mul_f64 v[216:217], v[160:161], v[66:67]
	v_fmac_f64_e32 v[216:217], v[162:163], v[64:65]
	s_waitcnt vmcnt(9) lgkmcnt(1)
	v_mul_f64 v[10:11], v[164:165], v[70:71]
	v_add_f64 v[0:1], v[0:1], v[216:217]
	v_fmac_f64_e32 v[10:11], v[166:167], v[68:69]
	v_add_f64 v[0:1], v[0:1], v[10:11]
	s_waitcnt vmcnt(8) lgkmcnt(0)
	v_mul_f64 v[10:11], v[168:169], v[74:75]
	v_fmac_f64_e32 v[10:11], v[170:171], v[72:73]
	ds_read_b128 v[172:175], v2 offset:1376
	v_add_f64 v[0:1], v[0:1], v[10:11]
	v_mul_f64 v[10:11], v[214:215], v[178:179]
	v_fma_f64 v[10:11], v[212:213], v[176:177], -v[10:11]
	ds_read_b128 v[176:179], v2 offset:1392
	v_mul_f64 v[182:183], v[186:187], v[182:183]
	v_fma_f64 v[4:5], v[184:185], v[180:181], -v[182:183]
	ds_read_b128 v[180:183], v2 offset:1408
	ds_read_b128 v[184:187], v2 offset:1424
	s_waitcnt vmcnt(7) lgkmcnt(3)
	v_mul_f64 v[212:213], v[172:173], v[78:79]
	v_fmac_f64_e32 v[212:213], v[174:175], v[76:77]
	s_waitcnt vmcnt(6) lgkmcnt(2)
	v_mul_f64 v[14:15], v[176:177], v[82:83]
	v_add_f64 v[0:1], v[0:1], v[212:213]
	v_fmac_f64_e32 v[14:15], v[178:179], v[80:81]
	v_add_f64 v[0:1], v[0:1], v[14:15]
	s_waitcnt vmcnt(5) lgkmcnt(1)
	v_mul_f64 v[14:15], v[180:181], v[86:87]
	v_fmac_f64_e32 v[14:15], v[182:183], v[84:85]
	v_add_f64 v[14:15], v[0:1], v[14:15]
	v_mul_f64 v[0:1], v[198:199], v[190:191]
	v_fma_f64 v[0:1], v[196:197], v[188:189], -v[0:1]
	ds_read_b128 v[188:191], v2 offset:1440
	v_mul_f64 v[194:195], v[210:211], v[194:195]
	s_waitcnt vmcnt(4) lgkmcnt(1)
	v_mul_f64 v[196:197], v[184:185], v[90:91]
	v_fma_f64 v[192:193], v[208:209], v[192:193], -v[194:195]
	v_fmac_f64_e32 v[196:197], v[186:187], v[88:89]
	v_accvgpr_write_b32 a112, v192
	v_accvgpr_write_b32 a113, v193
	ds_read_b128 v[192:195], v2 offset:1456
	v_add_f64 v[14:15], v[14:15], v[196:197]
	s_waitcnt vmcnt(3) lgkmcnt(1)
	v_mul_f64 v[196:197], v[188:189], v[98:99]
	v_fmac_f64_e32 v[196:197], v[190:191], v[96:97]
	v_add_f64 v[14:15], v[14:15], v[196:197]
	ds_read_b128 v[196:199], v2 offset:1472
	v_mul_f64 v[202:203], v[206:207], v[202:203]
	v_fma_f64 v[244:245], v[204:205], v[200:201], -v[202:203]
	ds_read_b128 v[200:203], v2 offset:1488
	s_waitcnt vmcnt(2) lgkmcnt(2)
	v_mul_f64 v[204:205], v[192:193], v[94:95]
	v_fmac_f64_e32 v[204:205], v[194:195], v[92:93]
	v_add_f64 v[14:15], v[14:15], v[204:205]
	s_waitcnt vmcnt(1) lgkmcnt(1)
	v_mul_f64 v[204:205], v[196:197], v[102:103]
	v_fmac_f64_e32 v[204:205], v[198:199], v[100:101]
	v_add_f64 v[14:15], v[14:15], v[204:205]
	;; [unrolled: 4-line block ×3, first 2 shown]
	scratch_load_dwordx4 v[204:207], off, off offset:736
	scratch_load_dwordx4 v[232:235], off, off offset:784
	ds_read_b128 v[208:211], v2 offset:1504
	ds_read_b128 v[216:219], v2 offset:1520
	;; [unrolled: 1-line block ×3, first 2 shown]
	s_waitcnt vmcnt(1) lgkmcnt(2)
	v_mul_f64 v[212:213], v[208:209], v[206:207]
	v_fmac_f64_e32 v[212:213], v[210:211], v[204:205]
	v_add_f64 v[14:15], v[14:15], v[212:213]
	scratch_load_dwordx4 v[212:215], off, off offset:752
	s_waitcnt vmcnt(0) lgkmcnt(1)
	v_mul_f64 v[220:221], v[216:217], v[214:215]
	v_fmac_f64_e32 v[220:221], v[218:219], v[212:213]
	v_add_f64 v[14:15], v[14:15], v[220:221]
	scratch_load_dwordx4 v[220:223], off, off offset:768
	s_waitcnt vmcnt(0) lgkmcnt(0)
	v_mul_f64 v[228:229], v[224:225], v[222:223]
	v_fmac_f64_e32 v[228:229], v[226:227], v[220:221]
	v_add_f64 v[14:15], v[14:15], v[228:229]
	ds_read_b128 v[228:231], v2 offset:1552
	s_waitcnt lgkmcnt(0)
	v_mul_f64 v[2:3], v[228:229], v[234:235]
	v_fmac_f64_e32 v[2:3], v[230:231], v[232:233]
	v_add_f64 v[2:3], v[14:15], v[2:3]
	v_add_f64 v[14:15], v[240:241], 0
	;; [unrolled: 1-line block ×5, first 2 shown]
	scratch_load_dwordx4 v[236:239], off, off offset:48
	v_add_f64 v[14:15], v[14:15], v[248:249]
	v_add_f64 v[14:15], v[14:15], v[250:251]
	;; [unrolled: 1-line block ×10, first 2 shown]
	v_accvgpr_read_b32 v6, a100
	v_add_f64 v[246:247], v[4:5], v[0:1]
	v_accvgpr_read_b32 v0, a112
	v_accvgpr_read_b32 v8, a102
	;; [unrolled: 1-line block ×5, first 2 shown]
	v_mul_f64 v[4:5], v[22:23], v[8:9]
	v_add_f64 v[0:1], v[246:247], v[0:1]
	v_fma_f64 v[4:5], v[20:21], v[6:7], -v[4:5]
	v_accvgpr_read_b32 v6, a104
	v_add_f64 v[0:1], v[0:1], v[244:245]
	v_accvgpr_read_b32 v8, a106
	v_accvgpr_read_b32 v9, a107
	v_add_f64 v[0:1], v[0:1], v[4:5]
	v_accvgpr_read_b32 v7, a105
	v_mul_f64 v[4:5], v[110:111], v[8:9]
	v_fma_f64 v[4:5], v[108:109], v[6:7], -v[4:5]
	v_accvgpr_read_b32 v6, a108
	v_accvgpr_read_b32 v8, a110
	;; [unrolled: 1-line block ×3, first 2 shown]
	v_add_f64 v[0:1], v[0:1], v[4:5]
	v_accvgpr_read_b32 v7, a109
	v_mul_f64 v[4:5], v[114:115], v[8:9]
	v_fma_f64 v[4:5], v[112:113], v[6:7], -v[4:5]
	v_add_f64 v[0:1], v[0:1], v[4:5]
	v_mul_f64 v[4:5], v[118:119], v[18:19]
	v_fma_f64 v[4:5], v[116:117], v[16:17], -v[4:5]
	v_add_f64 v[0:1], v[0:1], v[4:5]
	;; [unrolled: 3-line block ×27, first 2 shown]
	s_waitcnt vmcnt(0)
	v_add_f64 v[4:5], v[236:237], -v[0:1]
	v_accvgpr_read_b32 v0, a98
	v_add_f64 v[6:7], v[238:239], -v[2:3]
	v_cmp_lt_u32_e32 vcc, 1, v0
	scratch_store_dwordx4 off, v[4:7], off offset:48
	s_and_saveexec_b64 s[0:1], vcc
	s_cbranch_execz .LBB48_305
; %bb.304:
	scratch_load_dwordx4 v[2:5], off, s26
	v_mov_b32_e32 v6, 0
	v_mov_b32_e32 v7, v6
	;; [unrolled: 1-line block ×4, first 2 shown]
	v_accvgpr_read_b32 v0, a99
	scratch_store_dwordx4 off, v[6:9], off offset:32
	s_waitcnt vmcnt(1)
	ds_write_b128 v0, v[2:5]
.LBB48_305:
	s_or_b64 exec, exec, s[0:1]
	s_waitcnt lgkmcnt(0)
	; wave barrier
	scratch_load_dwordx4 v[68:71], off, off offset:48
	scratch_load_dwordx4 v[72:75], off, off offset:64
	;; [unrolled: 1-line block ×28, first 2 shown]
	v_mov_b32_e32 v2, 0
	ds_read_b128 v[124:127], v2 offset:816
	ds_read_b128 v[128:131], v2 offset:832
	;; [unrolled: 1-line block ×23, first 2 shown]
	s_waitcnt vmcnt(27) lgkmcnt(14)
	v_mul_f64 v[0:1], v[124:125], v[70:71]
	s_waitcnt vmcnt(26)
	v_mul_f64 v[40:41], v[128:129], v[74:75]
	v_fmac_f64_e32 v[0:1], v[126:127], v[68:69]
	s_waitcnt vmcnt(25)
	v_mul_f64 v[42:43], v[132:133], v[78:79]
	v_fmac_f64_e32 v[40:41], v[130:131], v[72:73]
	v_add_f64 v[0:1], v[0:1], 0
	s_waitcnt vmcnt(24)
	v_mul_f64 v[44:45], v[136:137], v[82:83]
	v_fmac_f64_e32 v[42:43], v[134:135], v[76:77]
	v_add_f64 v[0:1], v[0:1], v[40:41]
	;; [unrolled: 4-line block ×7, first 2 shown]
	s_waitcnt vmcnt(18) lgkmcnt(13)
	v_mul_f64 v[56:57], v[200:201], v[146:147]
	v_fmac_f64_e32 v[54:55], v[194:195], v[112:113]
	v_add_f64 v[0:1], v[0:1], v[52:53]
	s_waitcnt vmcnt(17) lgkmcnt(12)
	v_mul_f64 v[58:59], v[204:205], v[150:151]
	v_fmac_f64_e32 v[56:57], v[202:203], v[144:145]
	v_add_f64 v[0:1], v[0:1], v[54:55]
	;; [unrolled: 4-line block ×7, first 2 shown]
	scratch_load_dwordx4 v[40:43], off, off offset:496
	scratch_load_dwordx4 v[44:47], off, off offset:512
	s_waitcnt vmcnt(13) lgkmcnt(6)
	v_mul_f64 v[102:103], v[228:229], v[186:187]
	v_fmac_f64_e32 v[100:101], v[226:227], v[176:177]
	v_add_f64 v[0:1], v[0:1], v[66:67]
	v_add_f64 v[0:1], v[0:1], v[100:101]
	v_fmac_f64_e32 v[102:103], v[230:231], v[184:185]
	v_add_f64 v[0:1], v[0:1], v[102:103]
	ds_read_b128 v[100:103], v2 offset:1120
	s_waitcnt vmcnt(12) lgkmcnt(6)
	v_mul_f64 v[48:49], v[242:243], v[190:191]
	v_fmac_f64_e32 v[48:49], v[244:245], v[188:189]
	v_add_f64 v[0:1], v[0:1], v[48:49]
	s_waitcnt vmcnt(11) lgkmcnt(5)
	v_mul_f64 v[48:49], v[246:247], v[198:199]
	v_fmac_f64_e32 v[48:49], v[248:249], v[196:197]
	v_add_f64 v[0:1], v[0:1], v[48:49]
	scratch_load_dwordx4 v[48:51], off, off offset:528
	scratch_load_dwordx4 v[52:55], off, off offset:544
	s_waitcnt vmcnt(12) lgkmcnt(0)
	v_mul_f64 v[56:57], v[100:101], v[6:7]
	v_accvgpr_write_b32 a103, v7
	v_fmac_f64_e32 v[56:57], v[102:103], v[4:5]
	v_accvgpr_write_b32 a102, v6
	v_accvgpr_write_b32 a101, v5
	v_accvgpr_write_b32 a100, v4
	s_waitcnt vmcnt(11)
	v_mov_b64_e32 v[4:5], v[8:9]
	v_mov_b64_e32 v[6:7], v[10:11]
	v_add_f64 v[0:1], v[0:1], v[56:57]
	v_mul_f64 v[56:57], v[104:105], v[6:7]
	v_fmac_f64_e32 v[56:57], v[106:107], v[4:5]
	v_add_f64 v[0:1], v[0:1], v[56:57]
	scratch_load_dwordx4 v[56:59], off, off offset:560
	s_waitcnt vmcnt(11)
	v_mov_b64_e32 v[4:5], v[12:13]
	v_mov_b64_e32 v[6:7], v[14:15]
	v_mul_f64 v[60:61], v[108:109], v[6:7]
	v_fmac_f64_e32 v[60:61], v[110:111], v[4:5]
	s_waitcnt vmcnt(10)
	v_mov_b64_e32 v[4:5], v[16:17]
	v_mov_b64_e32 v[6:7], v[18:19]
	v_add_f64 v[0:1], v[0:1], v[60:61]
	scratch_load_dwordx4 v[60:63], off, off offset:576
	v_mul_f64 v[64:65], v[116:117], v[6:7]
	v_fmac_f64_e32 v[64:65], v[118:119], v[4:5]
	v_add_f64 v[0:1], v[0:1], v[64:65]
	scratch_load_dwordx4 v[64:67], off, off offset:592
	v_mul_f64 v[70:71], v[126:127], v[70:71]
	s_waitcnt vmcnt(11)
	v_mov_b64_e32 v[4:5], v[20:21]
	v_fma_f64 v[240:241], v[124:125], v[68:69], -v[70:71]
	v_mov_b64_e32 v[6:7], v[22:23]
	scratch_load_dwordx4 v[68:71], off, off offset:608
	v_mul_f64 v[124:125], v[120:121], v[6:7]
	v_mul_f64 v[74:75], v[130:131], v[74:75]
	v_fmac_f64_e32 v[124:125], v[122:123], v[4:5]
	v_fma_f64 v[250:251], v[128:129], v[72:73], -v[74:75]
	scratch_load_dwordx4 v[72:75], off, off offset:624
	v_mul_f64 v[78:79], v[134:135], v[78:79]
	v_add_f64 v[0:1], v[0:1], v[124:125]
	ds_read_b128 v[124:127], v2 offset:1200
	ds_read_b128 v[128:131], v2 offset:1216
	v_fma_f64 v[252:253], v[132:133], v[76:77], -v[78:79]
	v_mul_f64 v[76:77], v[138:139], v[82:83]
	v_fma_f64 v[254:255], v[136:137], v[80:81], -v[76:77]
	scratch_load_dwordx4 v[76:79], off, off offset:640
	s_waitcnt vmcnt(13) lgkmcnt(1)
	v_mul_f64 v[132:133], v[124:125], v[236:237]
	v_fmac_f64_e32 v[132:133], v[126:127], v[234:235]
	v_add_f64 v[0:1], v[0:1], v[132:133]
	s_waitcnt vmcnt(12) lgkmcnt(0)
	v_mul_f64 v[132:133], v[128:129], v[30:31]
	scratch_load_dwordx4 v[80:83], off, off offset:656
	v_fmac_f64_e32 v[132:133], v[130:131], v[28:29]
	v_mul_f64 v[86:87], v[142:143], v[86:87]
	v_add_f64 v[0:1], v[0:1], v[132:133]
	v_fma_f64 v[232:233], v[140:141], v[84:85], -v[86:87]
	ds_read_b128 v[132:135], v2 offset:1232
	v_mul_f64 v[84:85], v[158:159], v[90:91]
	v_fma_f64 v[24:25], v[156:157], v[88:89], -v[84:85]
	scratch_load_dwordx4 v[88:91], off, off offset:672
	scratch_load_dwordx4 v[84:87], off, off offset:688
	v_accvgpr_write_b32 a119, v23
	v_mul_f64 v[6:7], v[170:171], v[94:95]
	v_accvgpr_write_b32 a118, v22
	v_accvgpr_write_b32 a117, v21
	;; [unrolled: 1-line block ×3, first 2 shown]
	v_fma_f64 v[20:21], v[168:169], v[92:93], -v[6:7]
	s_waitcnt vmcnt(14) lgkmcnt(0)
	v_mul_f64 v[6:7], v[132:133], v[34:35]
	v_fmac_f64_e32 v[6:7], v[134:135], v[32:33]
	v_accvgpr_write_b32 a115, v19
	v_add_f64 v[0:1], v[0:1], v[6:7]
	v_mul_f64 v[6:7], v[182:183], v[98:99]
	v_accvgpr_write_b32 a114, v18
	v_accvgpr_write_b32 a113, v17
	;; [unrolled: 1-line block ×3, first 2 shown]
	ds_read_b128 v[136:139], v2 offset:1248
	v_fma_f64 v[16:17], v[180:181], v[96:97], -v[6:7]
	scratch_load_dwordx4 v[96:99], off, off offset:704
	scratch_load_dwordx4 v[92:95], off, off offset:720
	v_accvgpr_write_b32 a111, v15
	v_mul_f64 v[6:7], v[194:195], v[114:115]
	v_accvgpr_write_b32 a110, v14
	v_accvgpr_write_b32 a109, v13
	;; [unrolled: 1-line block ×3, first 2 shown]
	v_fma_f64 v[12:13], v[192:193], v[112:113], -v[6:7]
	scratch_load_dwordx4 v[112:115], off, off offset:736
	ds_read_b128 v[140:143], v2 offset:1264
	s_waitcnt vmcnt(16) lgkmcnt(1)
	v_mul_f64 v[6:7], v[136:137], v[38:39]
	v_fmac_f64_e32 v[6:7], v[138:139], v[36:37]
	v_add_f64 v[0:1], v[0:1], v[6:7]
	v_mul_f64 v[6:7], v[202:203], v[146:147]
	v_fma_f64 v[14:15], v[200:201], v[144:145], -v[6:7]
	ds_read_b128 v[144:147], v2 offset:1280
	s_waitcnt vmcnt(15) lgkmcnt(1)
	v_mul_f64 v[6:7], v[140:141], v[42:43]
	v_fmac_f64_e32 v[6:7], v[142:143], v[40:41]
	v_accvgpr_write_b32 a107, v11
	v_add_f64 v[0:1], v[0:1], v[6:7]
	v_mul_f64 v[6:7], v[206:207], v[150:151]
	v_accvgpr_write_b32 a106, v10
	v_accvgpr_write_b32 a105, v9
	;; [unrolled: 1-line block ×3, first 2 shown]
	v_fma_f64 v[10:11], v[204:205], v[148:149], -v[6:7]
	ds_read_b128 v[148:151], v2 offset:1296
	v_mul_f64 v[18:19], v[210:211], v[154:155]
	v_fma_f64 v[18:19], v[208:209], v[152:153], -v[18:19]
	ds_read_b128 v[152:155], v2 offset:1312
	s_waitcnt vmcnt(14) lgkmcnt(2)
	v_mul_f64 v[6:7], v[144:145], v[46:47]
	v_fmac_f64_e32 v[6:7], v[146:147], v[44:45]
	v_add_f64 v[0:1], v[0:1], v[6:7]
	s_waitcnt vmcnt(13) lgkmcnt(1)
	v_mul_f64 v[6:7], v[148:149], v[50:51]
	ds_read_b128 v[156:159], v2 offset:1328
	v_fmac_f64_e32 v[6:7], v[150:151], v[48:49]
	v_add_f64 v[0:1], v[0:1], v[6:7]
	s_waitcnt vmcnt(12) lgkmcnt(1)
	v_mul_f64 v[6:7], v[152:153], v[54:55]
	v_fmac_f64_e32 v[6:7], v[154:155], v[52:53]
	v_add_f64 v[0:1], v[0:1], v[6:7]
	v_mul_f64 v[6:7], v[214:215], v[162:163]
	v_fma_f64 v[8:9], v[212:213], v[160:161], -v[6:7]
	ds_read_b128 v[160:163], v2 offset:1344
	s_waitcnt vmcnt(11) lgkmcnt(1)
	v_mul_f64 v[6:7], v[156:157], v[58:59]
	v_fmac_f64_e32 v[6:7], v[158:159], v[56:57]
	v_add_f64 v[0:1], v[0:1], v[6:7]
	v_mul_f64 v[6:7], v[218:219], v[166:167]
	v_fma_f64 v[22:23], v[216:217], v[164:165], -v[6:7]
	ds_read_b128 v[164:167], v2 offset:1360
	ds_read_b128 v[168:171], v2 offset:1376
	s_waitcnt vmcnt(10) lgkmcnt(2)
	v_mul_f64 v[6:7], v[160:161], v[62:63]
	v_fmac_f64_e32 v[6:7], v[162:163], v[60:61]
	v_add_f64 v[0:1], v[0:1], v[6:7]
	s_waitcnt vmcnt(9) lgkmcnt(1)
	v_mul_f64 v[6:7], v[164:165], v[66:67]
	v_fmac_f64_e32 v[6:7], v[166:167], v[64:65]
	v_add_f64 v[0:1], v[0:1], v[6:7]
	v_mul_f64 v[6:7], v[222:223], v[174:175]
	v_fma_f64 v[4:5], v[220:221], v[172:173], -v[6:7]
	ds_read_b128 v[172:175], v2 offset:1392
	v_mul_f64 v[6:7], v[226:227], v[178:179]
	v_fma_f64 v[6:7], v[224:225], v[176:177], -v[6:7]
	ds_read_b128 v[176:179], v2 offset:1408
	s_waitcnt vmcnt(8) lgkmcnt(2)
	v_mul_f64 v[26:27], v[168:169], v[70:71]
	v_fmac_f64_e32 v[26:27], v[170:171], v[68:69]
	v_add_f64 v[0:1], v[0:1], v[26:27]
	s_waitcnt vmcnt(7) lgkmcnt(1)
	v_mul_f64 v[26:27], v[172:173], v[74:75]
	v_fmac_f64_e32 v[26:27], v[174:175], v[72:73]
	v_add_f64 v[0:1], v[0:1], v[26:27]
	s_waitcnt vmcnt(6) lgkmcnt(0)
	v_mul_f64 v[26:27], v[176:177], v[78:79]
	v_fmac_f64_e32 v[26:27], v[178:179], v[76:77]
	ds_read_b128 v[180:183], v2 offset:1424
	v_add_f64 v[26:27], v[0:1], v[26:27]
	v_mul_f64 v[0:1], v[230:231], v[186:187]
	v_fma_f64 v[0:1], v[228:229], v[184:185], -v[0:1]
	ds_read_b128 v[184:187], v2 offset:1440
	s_waitcnt vmcnt(5) lgkmcnt(1)
	v_mul_f64 v[192:193], v[180:181], v[82:83]
	v_fmac_f64_e32 v[192:193], v[182:183], v[80:81]
	v_mul_f64 v[190:191], v[244:245], v[190:191]
	v_add_f64 v[26:27], v[26:27], v[192:193]
	v_fma_f64 v[238:239], v[242:243], v[188:189], -v[190:191]
	ds_read_b128 v[188:191], v2 offset:1456
	s_waitcnt vmcnt(4) lgkmcnt(1)
	v_mul_f64 v[192:193], v[184:185], v[90:91]
	v_fmac_f64_e32 v[192:193], v[186:187], v[88:89]
	v_add_f64 v[26:27], v[26:27], v[192:193]
	ds_read_b128 v[192:195], v2 offset:1472
	v_mul_f64 v[198:199], v[248:249], v[198:199]
	v_fma_f64 v[242:243], v[246:247], v[196:197], -v[198:199]
	ds_read_b128 v[196:199], v2 offset:1488
	ds_read_b128 v[208:211], v2 offset:1520
	s_waitcnt vmcnt(3) lgkmcnt(3)
	v_mul_f64 v[200:201], v[188:189], v[86:87]
	v_fmac_f64_e32 v[200:201], v[190:191], v[84:85]
	v_add_f64 v[26:27], v[26:27], v[200:201]
	s_waitcnt vmcnt(2) lgkmcnt(2)
	v_mul_f64 v[200:201], v[192:193], v[98:99]
	v_fmac_f64_e32 v[200:201], v[194:195], v[96:97]
	v_add_f64 v[26:27], v[26:27], v[200:201]
	;; [unrolled: 4-line block ×3, first 2 shown]
	ds_read_b128 v[200:203], v2 offset:1504
	ds_read_b128 v[216:219], v2 offset:1536
	;; [unrolled: 1-line block ×3, first 2 shown]
	s_waitcnt vmcnt(0) lgkmcnt(2)
	v_mul_f64 v[204:205], v[200:201], v[114:115]
	v_fmac_f64_e32 v[204:205], v[202:203], v[112:113]
	v_add_f64 v[26:27], v[26:27], v[204:205]
	scratch_load_dwordx4 v[204:207], off, off offset:752
	s_waitcnt vmcnt(0)
	v_mul_f64 v[212:213], v[208:209], v[206:207]
	v_fmac_f64_e32 v[212:213], v[210:211], v[204:205]
	v_add_f64 v[26:27], v[26:27], v[212:213]
	scratch_load_dwordx4 v[212:215], off, off offset:768
	s_waitcnt vmcnt(0) lgkmcnt(1)
	v_mul_f64 v[220:221], v[216:217], v[214:215]
	v_fmac_f64_e32 v[220:221], v[218:219], v[212:213]
	v_add_f64 v[26:27], v[26:27], v[220:221]
	scratch_load_dwordx4 v[220:223], off, off offset:784
	s_waitcnt vmcnt(0) lgkmcnt(0)
	v_mul_f64 v[228:229], v[224:225], v[222:223]
	v_fmac_f64_e32 v[228:229], v[226:227], v[220:221]
	v_add_f64 v[246:247], v[26:27], v[228:229]
	scratch_load_dwordx4 v[228:231], off, off offset:32
	v_add_f64 v[26:27], v[240:241], 0
	v_add_f64 v[26:27], v[26:27], v[250:251]
	;; [unrolled: 1-line block ×16, first 2 shown]
	v_accvgpr_read_b32 v6, a100
	v_accvgpr_read_b32 v8, a102
	;; [unrolled: 1-line block ×3, first 2 shown]
	v_add_f64 v[0:1], v[4:5], v[0:1]
	v_accvgpr_read_b32 v7, a101
	v_mul_f64 v[4:5], v[102:103], v[8:9]
	v_add_f64 v[0:1], v[0:1], v[238:239]
	v_fma_f64 v[4:5], v[100:101], v[6:7], -v[4:5]
	v_accvgpr_read_b32 v6, a104
	v_add_f64 v[0:1], v[0:1], v[242:243]
	v_accvgpr_read_b32 v8, a106
	v_accvgpr_read_b32 v9, a107
	v_add_f64 v[0:1], v[0:1], v[4:5]
	v_accvgpr_read_b32 v7, a105
	v_mul_f64 v[4:5], v[106:107], v[8:9]
	v_fma_f64 v[4:5], v[104:105], v[6:7], -v[4:5]
	v_accvgpr_read_b32 v6, a108
	v_accvgpr_read_b32 v8, a110
	v_accvgpr_read_b32 v9, a111
	v_add_f64 v[0:1], v[0:1], v[4:5]
	v_accvgpr_read_b32 v7, a109
	v_mul_f64 v[4:5], v[110:111], v[8:9]
	v_fma_f64 v[4:5], v[108:109], v[6:7], -v[4:5]
	v_accvgpr_read_b32 v6, a112
	;; [unrolled: 7-line block ×3, first 2 shown]
	v_accvgpr_read_b32 v8, a118
	v_accvgpr_read_b32 v9, a119
	v_add_f64 v[0:1], v[0:1], v[4:5]
	v_accvgpr_read_b32 v7, a117
	v_mul_f64 v[4:5], v[122:123], v[8:9]
	v_fma_f64 v[4:5], v[120:121], v[6:7], -v[4:5]
	v_add_f64 v[0:1], v[0:1], v[4:5]
	v_mul_f64 v[4:5], v[126:127], v[236:237]
	v_fma_f64 v[4:5], v[124:125], v[234:235], -v[4:5]
	v_add_f64 v[0:1], v[0:1], v[4:5]
	;; [unrolled: 3-line block ×24, first 2 shown]
	s_waitcnt vmcnt(0)
	v_add_f64 v[4:5], v[228:229], -v[0:1]
	v_accvgpr_read_b32 v0, a98
	v_add_f64 v[6:7], v[230:231], -v[246:247]
	v_cmp_ne_u32_e32 vcc, 0, v0
	scratch_store_dwordx4 off, v[4:7], off offset:32
	s_and_saveexec_b64 s[0:1], vcc
	s_cbranch_execz .LBB48_307
; %bb.306:
	scratch_load_dwordx4 v[6:9], off, off offset:16
	v_mov_b32_e32 v3, v2
	v_mov_b32_e32 v4, v2
	;; [unrolled: 1-line block ×3, first 2 shown]
	v_accvgpr_read_b32 v0, a99
	scratch_store_dwordx4 off, v[2:5], off offset:16
	s_waitcnt vmcnt(1)
	ds_write_b128 v0, v[6:9]
.LBB48_307:
	s_or_b64 exec, exec, s[0:1]
	s_waitcnt lgkmcnt(0)
	; wave barrier
	scratch_load_dwordx4 v[40:43], off, off offset:32
	scratch_load_dwordx4 v[44:47], off, off offset:48
	;; [unrolled: 1-line block ×18, first 2 shown]
	ds_read_b128 v[164:167], v2 offset:800
	ds_read_b128 v[232:235], v2 offset:816
	;; [unrolled: 1-line block ×6, first 2 shown]
	scratch_load_dwordx4 v[152:155], off, off offset:320
	ds_read_b128 v[224:227], v2 offset:896
	ds_read_b128 v[212:215], v2 offset:912
	;; [unrolled: 1-line block ×3, first 2 shown]
	scratch_load_dwordx4 v[4:7], off, off offset:336
	ds_read_b128 v[228:231], v2 offset:944
	ds_read_b128 v[216:219], v2 offset:960
	;; [unrolled: 1-line block ×5, first 2 shown]
	scratch_load_dwordx4 v[8:11], off, off offset:352
	ds_read_b128 v[204:207], v2 offset:1024
	ds_read_b128 v[196:199], v2 offset:1040
	;; [unrolled: 1-line block ×3, first 2 shown]
	scratch_load_dwordx4 v[12:15], off, off offset:368
	ds_read_b128 v[200:203], v2 offset:1072
	scratch_load_dwordx4 v[16:19], off, off offset:384
	scratch_load_dwordx4 v[20:23], off, off offset:400
	;; [unrolled: 1-line block ×7, first 2 shown]
	ds_read_b128 v[242:245], v2 offset:1088
	ds_read_b128 v[156:159], v2 offset:1152
	;; [unrolled: 1-line block ×3, first 2 shown]
	s_and_b64 vcc, exec, s[18:19]
	ds_read_b128 v[148:151], v2 offset:1136
	s_waitcnt vmcnt(28) lgkmcnt(14)
	v_mul_f64 v[0:1], v[164:165], v[42:43]
	s_waitcnt vmcnt(27)
	v_mul_f64 v[100:101], v[232:233], v[46:47]
	v_fmac_f64_e32 v[0:1], v[166:167], v[40:41]
	s_waitcnt vmcnt(26)
	v_mul_f64 v[102:103], v[168:169], v[50:51]
	v_fmac_f64_e32 v[100:101], v[234:235], v[44:45]
	v_add_f64 v[0:1], v[0:1], 0
	s_waitcnt vmcnt(25)
	v_mul_f64 v[108:109], v[220:221], v[54:55]
	v_fmac_f64_e32 v[102:103], v[170:171], v[48:49]
	v_add_f64 v[0:1], v[0:1], v[100:101]
	;; [unrolled: 4-line block ×6, first 2 shown]
	s_waitcnt vmcnt(20) lgkmcnt(13)
	v_mul_f64 v[118:119], v[180:181], v[78:79]
	v_fmac_f64_e32 v[116:117], v[214:215], v[72:73]
	v_add_f64 v[0:1], v[0:1], v[114:115]
	s_waitcnt vmcnt(19) lgkmcnt(12)
	v_mul_f64 v[120:121], v[228:229], v[82:83]
	v_fmac_f64_e32 v[118:119], v[182:183], v[76:77]
	v_add_f64 v[0:1], v[0:1], v[116:117]
	;; [unrolled: 4-line block ×9, first 2 shown]
	scratch_load_dwordx4 v[100:103], off, off offset:496
	v_add_f64 v[0:1], v[0:1], v[144:145]
	v_fmac_f64_e32 v[146:147], v[194:195], v[132:133]
	s_waitcnt vmcnt(12) lgkmcnt(4)
	v_mul_f64 v[108:109], v[200:201], v[138:139]
	ds_read_b128 v[140:143], v2 offset:1104
	v_add_f64 v[0:1], v[0:1], v[146:147]
	v_fmac_f64_e32 v[108:109], v[202:203], v[136:137]
	v_add_f64 v[0:1], v[0:1], v[108:109]
	scratch_load_dwordx4 v[108:111], off, off offset:512
	ds_read_b128 v[144:147], v2 offset:1120
	s_waitcnt vmcnt(12) lgkmcnt(5)
	v_mul_f64 v[112:113], v[242:243], v[154:155]
	v_fmac_f64_e32 v[112:113], v[244:245], v[152:153]
	s_waitcnt vmcnt(11) lgkmcnt(1)
	v_mul_f64 v[116:117], v[140:141], v[6:7]
	v_add_f64 v[0:1], v[0:1], v[112:113]
	v_fmac_f64_e32 v[116:117], v[142:143], v[4:5]
	scratch_load_dwordx4 v[112:115], off, off offset:528
	v_add_f64 v[0:1], v[0:1], v[116:117]
	s_waitcnt vmcnt(11) lgkmcnt(0)
	v_mul_f64 v[116:117], v[144:145], v[10:11]
	v_fmac_f64_e32 v[116:117], v[146:147], v[8:9]
	v_add_f64 v[0:1], v[0:1], v[116:117]
	scratch_load_dwordx4 v[116:119], off, off offset:544
	scratch_load_dwordx4 v[120:123], off, off offset:560
	s_waitcnt vmcnt(12)
	v_mul_f64 v[128:129], v[148:149], v[14:15]
	v_fmac_f64_e32 v[128:129], v[150:151], v[12:13]
	v_add_f64 v[0:1], v[0:1], v[128:129]
	s_waitcnt vmcnt(11)
	v_mul_f64 v[128:129], v[156:157], v[18:19]
	v_fmac_f64_e32 v[128:129], v[158:159], v[16:17]
	v_add_f64 v[0:1], v[0:1], v[128:129]
	scratch_load_dwordx4 v[128:131], off, off offset:576
	v_mul_f64 v[42:43], v[166:167], v[42:43]
	v_fma_f64 v[240:241], v[164:165], v[40:41], -v[42:43]
	scratch_load_dwordx4 v[40:43], off, off offset:592
	v_mul_f64 v[46:47], v[234:235], v[46:47]
	v_fma_f64 v[232:233], v[232:233], v[44:45], -v[46:47]
	;; [unrolled: 3-line block ×3, first 2 shown]
	v_mul_f64 v[48:49], v[222:223], v[54:55]
	ds_read_b128 v[164:167], v2 offset:1184
	ds_read_b128 v[168:171], v2 offset:1200
	v_fma_f64 v[246:247], v[220:221], v[52:53], -v[48:49]
	scratch_load_dwordx4 v[48:51], off, off offset:624
	v_mul_f64 v[52:53], v[178:179], v[58:59]
	v_fma_f64 v[248:249], v[176:177], v[56:57], -v[52:53]
	scratch_load_dwordx4 v[56:59], off, off offset:640
	scratch_load_dwordx4 v[52:55], off, off offset:656
	ds_read_b128 v[176:179], v2 offset:1216
	s_waitcnt vmcnt(16)
	v_mul_f64 v[236:237], v[160:161], v[22:23]
	v_fmac_f64_e32 v[236:237], v[162:163], v[20:21]
	v_add_f64 v[0:1], v[0:1], v[236:237]
	s_waitcnt vmcnt(15) lgkmcnt(2)
	v_mul_f64 v[236:237], v[164:165], v[34:35]
	v_mul_f64 v[62:63], v[174:175], v[62:63]
	v_fmac_f64_e32 v[236:237], v[166:167], v[32:33]
	s_waitcnt vmcnt(14) lgkmcnt(1)
	v_mul_f64 v[220:221], v[168:169], v[38:39]
	v_fma_f64 v[250:251], v[172:173], v[60:61], -v[62:63]
	v_mul_f64 v[60:61], v[226:227], v[66:67]
	v_add_f64 v[0:1], v[0:1], v[236:237]
	v_fmac_f64_e32 v[220:221], v[170:171], v[36:37]
	ds_read_b128 v[172:175], v2 offset:1232
	v_fma_f64 v[252:253], v[224:225], v[64:65], -v[60:61]
	s_waitcnt vmcnt(13) lgkmcnt(1)
	v_mul_f64 v[64:65], v[176:177], v[30:31]
	v_add_f64 v[0:1], v[0:1], v[220:221]
	scratch_load_dwordx4 v[60:63], off, off offset:672
	v_fmac_f64_e32 v[64:65], v[178:179], v[28:29]
	v_add_f64 v[0:1], v[0:1], v[64:65]
	v_mul_f64 v[64:65], v[214:215], v[74:75]
	v_accvgpr_write_b32 a125, v23
	v_fma_f64 v[254:255], v[212:213], v[72:73], -v[64:65]
	scratch_load_dwordx4 v[64:67], off, off offset:688
	v_mul_f64 v[72:73], v[182:183], v[78:79]
	v_accvgpr_write_b32 a124, v22
	v_accvgpr_write_b32 a123, v21
	;; [unrolled: 1-line block ×3, first 2 shown]
	v_fma_f64 v[20:21], v[180:181], v[76:77], -v[72:73]
	ds_read_b128 v[180:183], v2 offset:1248
	scratch_load_dwordx4 v[72:75], off, off offset:704
	scratch_load_dwordx4 v[76:79], off, off offset:720
	v_accvgpr_write_b32 a109, v7
	v_accvgpr_write_b32 a108, v6
	;; [unrolled: 1-line block ×5, first 2 shown]
	s_waitcnt vmcnt(16) lgkmcnt(1)
	v_mul_f64 v[220:221], v[172:173], v[26:27]
	v_mul_f64 v[6:7], v[230:231], v[82:83]
	v_mul_f64 v[106:107], v[206:207], v[106:107]
	v_accvgpr_write_b32 a120, v18
	v_accvgpr_write_b32 a119, v17
	;; [unrolled: 1-line block ×3, first 2 shown]
	v_fmac_f64_e32 v[220:221], v[174:175], v[24:25]
	v_fma_f64 v[16:17], v[228:229], v[80:81], -v[6:7]
	ds_read_b128 v[80:83], v2 offset:1264
	s_waitcnt vmcnt(15) lgkmcnt(1)
	v_mul_f64 v[212:213], v[180:181], v[70:71]
	v_fma_f64 v[6:7], v[204:205], v[104:105], -v[106:107]
	scratch_load_dwordx4 v[204:207], off, off offset:736
	v_add_f64 v[0:1], v[0:1], v[220:221]
	v_fmac_f64_e32 v[212:213], v[182:183], v[68:69]
	v_add_f64 v[0:1], v[0:1], v[212:213]
	scratch_load_dwordx4 v[212:215], off, off offset:752
	scratch_load_dwordx4 v[220:223], off, off offset:768
	;; [unrolled: 1-line block ×3, first 2 shown]
	v_accvgpr_write_b32 a117, v15
	v_mul_f64 v[86:87], v[218:219], v[86:87]
	v_accvgpr_write_b32 a116, v14
	v_accvgpr_write_b32 a115, v13
	v_accvgpr_write_b32 a114, v12
	v_fma_f64 v[12:13], v[216:217], v[84:85], -v[86:87]
	ds_read_b128 v[84:87], v2 offset:1280
	v_accvgpr_write_b32 a113, v11
	v_accvgpr_write_b32 a112, v10
	;; [unrolled: 1-line block ×4, first 2 shown]
	s_waitcnt vmcnt(18) lgkmcnt(1)
	v_mul_f64 v[10:11], v[80:81], v[102:103]
	v_fmac_f64_e32 v[10:11], v[82:83], v[100:101]
	v_add_f64 v[0:1], v[0:1], v[10:11]
	v_mul_f64 v[10:11], v[186:187], v[90:91]
	v_fma_f64 v[10:11], v[184:185], v[88:89], -v[10:11]
	ds_read_b128 v[88:91], v2 offset:1296
	s_waitcnt vmcnt(17) lgkmcnt(1)
	v_mul_f64 v[184:185], v[84:85], v[110:111]
	v_fmac_f64_e32 v[184:185], v[86:87], v[108:109]
	v_add_f64 v[0:1], v[0:1], v[184:185]
	ds_read_b128 v[184:187], v2 offset:1312
	v_mul_f64 v[94:95], v[210:211], v[94:95]
	v_fma_f64 v[8:9], v[208:209], v[92:93], -v[94:95]
	s_waitcnt vmcnt(16) lgkmcnt(1)
	v_mul_f64 v[14:15], v[88:89], v[114:115]
	ds_read_b128 v[92:95], v2 offset:1328
	v_fmac_f64_e32 v[14:15], v[90:91], v[112:113]
	v_add_f64 v[0:1], v[0:1], v[14:15]
	s_waitcnt vmcnt(15) lgkmcnt(1)
	v_mul_f64 v[14:15], v[184:185], v[118:119]
	v_fmac_f64_e32 v[14:15], v[186:187], v[116:117]
	v_add_f64 v[0:1], v[0:1], v[14:15]
	v_mul_f64 v[14:15], v[190:191], v[98:99]
	v_fma_f64 v[14:15], v[188:189], v[96:97], -v[14:15]
	s_waitcnt vmcnt(14) lgkmcnt(0)
	v_mul_f64 v[188:189], v[92:93], v[122:123]
	ds_read_b128 v[96:99], v2 offset:1344
	v_fmac_f64_e32 v[188:189], v[94:95], v[120:121]
	v_add_f64 v[0:1], v[0:1], v[188:189]
	ds_read_b128 v[188:191], v2 offset:1360
	ds_read_b128 v[104:107], v2 offset:1376
	s_waitcnt vmcnt(13) lgkmcnt(2)
	v_mul_f64 v[208:209], v[96:97], v[130:131]
	v_fmac_f64_e32 v[208:209], v[98:99], v[128:129]
	v_add_f64 v[0:1], v[0:1], v[208:209]
	s_waitcnt vmcnt(12) lgkmcnt(1)
	v_mul_f64 v[18:19], v[188:189], v[42:43]
	v_fmac_f64_e32 v[18:19], v[190:191], v[40:41]
	v_add_f64 v[0:1], v[0:1], v[18:19]
	v_mul_f64 v[18:19], v[198:199], v[126:127]
	v_fma_f64 v[18:19], v[196:197], v[124:125], -v[18:19]
	ds_read_b128 v[124:127], v2 offset:1392
	s_waitcnt vmcnt(11) lgkmcnt(1)
	v_mul_f64 v[196:197], v[104:105], v[46:47]
	v_fmac_f64_e32 v[196:197], v[106:107], v[44:45]
	v_add_f64 v[0:1], v[0:1], v[196:197]
	ds_read_b128 v[196:199], v2 offset:1408
	v_mul_f64 v[134:135], v[194:195], v[134:135]
	v_fma_f64 v[4:5], v[192:193], v[132:133], -v[134:135]
	ds_read_b128 v[132:135], v2 offset:1424
	s_waitcnt vmcnt(10) lgkmcnt(2)
	v_mul_f64 v[22:23], v[124:125], v[50:51]
	v_fmac_f64_e32 v[22:23], v[126:127], v[48:49]
	v_add_f64 v[0:1], v[0:1], v[22:23]
	s_waitcnt vmcnt(9) lgkmcnt(1)
	v_mul_f64 v[22:23], v[196:197], v[58:59]
	v_fmac_f64_e32 v[22:23], v[198:199], v[56:57]
	ds_read_b128 v[192:195], v2 offset:1440
	v_add_f64 v[0:1], v[0:1], v[22:23]
	s_waitcnt vmcnt(8) lgkmcnt(1)
	v_mul_f64 v[22:23], v[132:133], v[54:55]
	v_mul_f64 v[138:139], v[202:203], v[138:139]
	v_fmac_f64_e32 v[22:23], v[134:135], v[52:53]
	v_fma_f64 v[238:239], v[200:201], v[136:137], -v[138:139]
	ds_read_b128 v[136:139], v2 offset:1456
	v_add_f64 v[0:1], v[0:1], v[22:23]
	v_mul_f64 v[22:23], v[244:245], v[154:155]
	v_fma_f64 v[242:243], v[242:243], v[152:153], -v[22:23]
	ds_read_b128 v[152:155], v2 offset:1472
	ds_read_b128 v[200:203], v2 offset:1488
	s_waitcnt vmcnt(7) lgkmcnt(3)
	v_mul_f64 v[22:23], v[192:193], v[62:63]
	v_fmac_f64_e32 v[22:23], v[194:195], v[60:61]
	v_add_f64 v[0:1], v[0:1], v[22:23]
	s_waitcnt vmcnt(6) lgkmcnt(2)
	v_mul_f64 v[22:23], v[136:137], v[66:67]
	v_fmac_f64_e32 v[22:23], v[138:139], v[64:65]
	ds_read_b128 v[208:211], v2 offset:1504
	ds_read_b128 v[216:219], v2 offset:1520
	v_add_f64 v[0:1], v[0:1], v[22:23]
	s_waitcnt vmcnt(5) lgkmcnt(3)
	v_mul_f64 v[22:23], v[152:153], v[74:75]
	v_fmac_f64_e32 v[22:23], v[154:155], v[72:73]
	v_add_f64 v[0:1], v[0:1], v[22:23]
	s_waitcnt vmcnt(4) lgkmcnt(2)
	v_mul_f64 v[22:23], v[200:201], v[78:79]
	v_fmac_f64_e32 v[22:23], v[202:203], v[76:77]
	ds_read_b128 v[224:227], v2 offset:1536
	v_add_f64 v[0:1], v[0:1], v[22:23]
	s_waitcnt vmcnt(3) lgkmcnt(2)
	v_mul_f64 v[22:23], v[208:209], v[206:207]
	v_fmac_f64_e32 v[22:23], v[210:211], v[204:205]
	v_add_f64 v[0:1], v[0:1], v[22:23]
	s_waitcnt vmcnt(2) lgkmcnt(1)
	v_mul_f64 v[22:23], v[216:217], v[214:215]
	v_fmac_f64_e32 v[22:23], v[218:219], v[212:213]
	;; [unrolled: 4-line block ×3, first 2 shown]
	v_add_f64 v[22:23], v[0:1], v[22:23]
	ds_read_b128 v[0:3], v2 offset:1552
	s_waitcnt vmcnt(0) lgkmcnt(0)
	v_mul_f64 v[236:237], v[0:1], v[230:231]
	v_fmac_f64_e32 v[236:237], v[2:3], v[228:229]
	v_add_f64 v[236:237], v[22:23], v[236:237]
	v_add_f64 v[22:23], v[240:241], 0
	;; [unrolled: 1-line block ×4, first 2 shown]
	scratch_load_dwordx4 v[232:235], off, off offset:16
	v_add_f64 v[22:23], v[22:23], v[246:247]
	v_add_f64 v[22:23], v[22:23], v[248:249]
	;; [unrolled: 1-line block ×12, first 2 shown]
	v_accvgpr_read_b32 v8, a106
	v_add_f64 v[6:7], v[6:7], v[18:19]
	v_accvgpr_read_b32 v10, a108
	v_accvgpr_read_b32 v11, a109
	v_add_f64 v[244:245], v[6:7], v[4:5]
	v_accvgpr_read_b32 v9, a107
	v_mul_f64 v[6:7], v[142:143], v[10:11]
	v_add_f64 v[4:5], v[244:245], v[238:239]
	v_fma_f64 v[6:7], v[140:141], v[8:9], -v[6:7]
	v_accvgpr_read_b32 v8, a110
	v_add_f64 v[4:5], v[4:5], v[242:243]
	v_accvgpr_read_b32 v10, a112
	v_accvgpr_read_b32 v11, a113
	v_add_f64 v[4:5], v[4:5], v[6:7]
	v_accvgpr_read_b32 v9, a111
	v_mul_f64 v[6:7], v[146:147], v[10:11]
	v_fma_f64 v[6:7], v[144:145], v[8:9], -v[6:7]
	v_accvgpr_read_b32 v8, a114
	v_accvgpr_read_b32 v10, a116
	v_accvgpr_read_b32 v11, a117
	v_add_f64 v[4:5], v[4:5], v[6:7]
	v_accvgpr_read_b32 v9, a115
	v_mul_f64 v[6:7], v[150:151], v[10:11]
	v_fma_f64 v[6:7], v[148:149], v[8:9], -v[6:7]
	v_accvgpr_read_b32 v8, a118
	;; [unrolled: 7-line block ×3, first 2 shown]
	v_accvgpr_read_b32 v10, a124
	v_accvgpr_read_b32 v11, a125
	v_add_f64 v[4:5], v[4:5], v[6:7]
	v_accvgpr_read_b32 v9, a123
	v_mul_f64 v[6:7], v[162:163], v[10:11]
	v_fma_f64 v[6:7], v[160:161], v[8:9], -v[6:7]
	v_add_f64 v[4:5], v[4:5], v[6:7]
	v_mul_f64 v[6:7], v[166:167], v[34:35]
	v_fma_f64 v[6:7], v[164:165], v[32:33], -v[6:7]
	v_add_f64 v[4:5], v[4:5], v[6:7]
	;; [unrolled: 3-line block ×23, first 2 shown]
	v_mul_f64 v[6:7], v[226:227], v[222:223]
	v_fma_f64 v[6:7], v[224:225], v[220:221], -v[6:7]
	v_mul_f64 v[2:3], v[2:3], v[230:231]
	v_add_f64 v[4:5], v[4:5], v[6:7]
	v_fma_f64 v[0:1], v[0:1], v[228:229], -v[2:3]
	v_add_f64 v[0:1], v[4:5], v[0:1]
	s_waitcnt vmcnt(0)
	v_add_f64 v[0:1], v[232:233], -v[0:1]
	v_add_f64 v[2:3], v[234:235], -v[236:237]
	scratch_store_dwordx4 off, v[0:3], off offset:16
	s_cbranch_vccz .LBB48_404
; %bb.308:
	s_nop 0
	v_mov_b32_e32 v0, 0
	global_load_dword v1, v0, s[16:17] offset:188
	s_waitcnt vmcnt(0)
	v_readfirstlane_b32 s0, v1
	s_add_i32 s0, s0, -1
	s_cmp_lg_u32 s0, 47
	s_cbranch_scc0 .LBB48_310
; %bb.309:
	s_lshl_b32 s0, s0, 4
	s_add_i32 s0, s0, 16
	scratch_load_dwordx4 v[2:5], off, s0
	scratch_load_dwordx4 v[6:9], off, s12
	s_waitcnt vmcnt(1)
	scratch_store_dwordx4 off, v[2:5], s12
	s_waitcnt vmcnt(1)
	scratch_store_dwordx4 off, v[6:9], s0
.LBB48_310:
	global_load_dword v0, v0, s[16:17] offset:184
	s_waitcnt vmcnt(0)
	v_readfirstlane_b32 s0, v0
	s_add_i32 s0, s0, -1
	s_cmp_eq_u32 s0, 46
	s_cbranch_scc1 .LBB48_312
; %bb.311:
	s_lshl_b32 s0, s0, 4
	s_add_i32 s0, s0, 16
	scratch_load_dwordx4 v[0:3], off, s0
	scratch_load_dwordx4 v[4:7], off, s20
	s_waitcnt vmcnt(1)
	scratch_store_dwordx4 off, v[0:3], s20
	s_waitcnt vmcnt(1)
	scratch_store_dwordx4 off, v[4:7], s0
.LBB48_312:
	v_mov_b32_e32 v0, 0
	global_load_dword v1, v0, s[16:17] offset:180
	s_waitcnt vmcnt(0)
	v_readfirstlane_b32 s0, v1
	s_add_i32 s0, s0, -1
	s_cmp_eq_u32 s0, 45
	s_cbranch_scc1 .LBB48_314
; %bb.313:
	s_lshl_b32 s0, s0, 4
	s_add_i32 s0, s0, 16
	scratch_load_dwordx4 v[2:5], off, s0
	scratch_load_dwordx4 v[6:9], off, s15
	s_waitcnt vmcnt(1)
	scratch_store_dwordx4 off, v[2:5], s15
	s_waitcnt vmcnt(1)
	scratch_store_dwordx4 off, v[6:9], s0
.LBB48_314:
	global_load_dword v0, v0, s[16:17] offset:176
	s_waitcnt vmcnt(0)
	v_readfirstlane_b32 s0, v0
	s_add_i32 s0, s0, -1
	s_cmp_eq_u32 s0, 44
	s_cbranch_scc1 .LBB48_316
; %bb.315:
	s_lshl_b32 s0, s0, 4
	s_add_i32 s0, s0, 16
	scratch_load_dwordx4 v[0:3], off, s0
	scratch_load_dwordx4 v[4:7], off, s22
	s_waitcnt vmcnt(1)
	scratch_store_dwordx4 off, v[0:3], s22
	s_waitcnt vmcnt(1)
	scratch_store_dwordx4 off, v[4:7], s0
.LBB48_316:
	v_mov_b32_e32 v0, 0
	global_load_dword v1, v0, s[16:17] offset:172
	s_waitcnt vmcnt(0)
	v_readfirstlane_b32 s0, v1
	s_add_i32 s0, s0, -1
	s_cmp_eq_u32 s0, 43
	s_cbranch_scc1 .LBB48_318
; %bb.317:
	s_lshl_b32 s0, s0, 4
	s_add_i32 s0, s0, 16
	scratch_load_dwordx4 v[2:5], off, s0
	scratch_load_dwordx4 v[6:9], off, s21
	s_waitcnt vmcnt(1)
	scratch_store_dwordx4 off, v[2:5], s21
	s_waitcnt vmcnt(1)
	scratch_store_dwordx4 off, v[6:9], s0
.LBB48_318:
	;; [unrolled: 33-line block ×23, first 2 shown]
	global_load_dword v0, v0, s[16:17]
	s_waitcnt vmcnt(0)
	v_readfirstlane_b32 s0, v0
	s_add_i32 s0, s0, -1
	s_cmp_eq_u32 s0, 0
	s_cbranch_scc1 .LBB48_404
; %bb.403:
	s_lshl_b32 s0, s0, 4
	s_add_i32 s0, s0, 16
	scratch_load_dwordx4 v[0:3], off, s0
	scratch_load_dwordx4 v[4:7], off, off offset:16
	s_waitcnt vmcnt(1)
	scratch_store_dwordx4 off, v[0:3], off offset:16
	s_waitcnt vmcnt(1)
	scratch_store_dwordx4 off, v[4:7], s0
.LBB48_404:
	scratch_load_dwordx4 v[0:3], off, off offset:16
	s_nop 0
	scratch_load_dwordx4 v[4:7], off, s26
	scratch_load_dwordx4 v[8:11], off, s14
	;; [unrolled: 1-line block ×6, first 2 shown]
                                        ; kill: killed $sgpr26
                                        ; kill: killed $sgpr64
                                        ; kill: killed $sgpr63
                                        ; kill: killed $sgpr27
                                        ; kill: killed $sgpr23
                                        ; kill: killed $sgpr14
	scratch_load_dwordx4 v[28:31], off, s33
	scratch_load_dwordx4 v[32:35], off, s34
	;; [unrolled: 1-line block ×30, first 2 shown]
	v_accvgpr_read_b32 v149, a1
	v_accvgpr_read_b32 v148, a0
	;; [unrolled: 1-line block ×12, first 2 shown]
	s_waitcnt vmcnt(36)
	global_store_dwordx4 v[148:149], v[0:3], off
	scratch_load_dwordx4 v[0:3], off, s30
	s_nop 0
	scratch_load_dwordx4 v[148:151], off, s31
	s_waitcnt vmcnt(38)
	global_store_dwordx4 v[152:153], v[4:7], off
	scratch_load_dwordx4 v[4:7], off, s28
	s_nop 0
	scratch_load_dwordx4 v[152:155], off, s29
	s_waitcnt vmcnt(40)
	global_store_dwordx4 v[156:157], v[8:11], off
	scratch_load_dwordx4 v[8:11], off, s24
	s_nop 0
	scratch_load_dwordx4 v[156:159], off, s25
	s_waitcnt vmcnt(42)
	global_store_dwordx4 v[160:161], v[12:15], off
	v_accvgpr_read_b32 v161, a11
	v_accvgpr_read_b32 v160, a10
	;; [unrolled: 1-line block ×4, first 2 shown]
	s_waitcnt vmcnt(42)
	global_store_dwordx4 v[12:13], v[16:19], off
	scratch_load_dwordx4 v[12:15], off, s21
	s_nop 0
	scratch_load_dwordx4 v[16:19], off, s22
	s_waitcnt vmcnt(44)
	global_store_dwordx4 v[160:161], v[20:23], off
	scratch_load_dwordx4 v[20:23], off, s15
	s_nop 0
	scratch_load_dwordx4 v[160:163], off, s20
	;; [unrolled: 5-line block ×3, first 2 shown]
	s_waitcnt vmcnt(48)
	global_store_dwordx4 v[168:169], v[28:31], off
	s_nop 1
	v_accvgpr_read_b32 v29, a17
	v_accvgpr_read_b32 v28, a16
	s_waitcnt vmcnt(48)
	global_store_dwordx4 v[28:29], v[32:35], off
	v_accvgpr_read_b32 v29, a19
	v_accvgpr_read_b32 v28, a18
	s_waitcnt vmcnt(48)
	global_store_dwordx4 v[28:29], v[36:39], off
	;; [unrolled: 4-line block ×30, first 2 shown]
	s_nop 1
	v_accvgpr_read_b32 v0, a76
	v_accvgpr_read_b32 v1, a77
	s_waitcnt vmcnt(47)
	global_store_dwordx4 v[0:1], v[148:151], off
	v_accvgpr_read_b32 v0, a78
	v_accvgpr_read_b32 v1, a79
	s_waitcnt vmcnt(46)
	global_store_dwordx4 v[0:1], v[4:7], off
	;; [unrolled: 4-line block ×11, first 2 shown]
	s_endpgm
	.section	.rodata,"a",@progbits
	.p2align	6, 0x0
	.amdhsa_kernel _ZN9rocsolver6v33100L18getri_kernel_smallILi49E19rocblas_complex_numIdEPS3_EEvT1_iilPiilS6_bb
		.amdhsa_group_segment_fixed_size 1576
		.amdhsa_private_segment_fixed_size 816
		.amdhsa_kernarg_size 60
		.amdhsa_user_sgpr_count 2
		.amdhsa_user_sgpr_dispatch_ptr 0
		.amdhsa_user_sgpr_queue_ptr 0
		.amdhsa_user_sgpr_kernarg_segment_ptr 1
		.amdhsa_user_sgpr_dispatch_id 0
		.amdhsa_user_sgpr_kernarg_preload_length 0
		.amdhsa_user_sgpr_kernarg_preload_offset 0
		.amdhsa_user_sgpr_private_segment_size 0
		.amdhsa_uses_dynamic_stack 0
		.amdhsa_enable_private_segment 1
		.amdhsa_system_sgpr_workgroup_id_x 1
		.amdhsa_system_sgpr_workgroup_id_y 0
		.amdhsa_system_sgpr_workgroup_id_z 0
		.amdhsa_system_sgpr_workgroup_info 0
		.amdhsa_system_vgpr_workitem_id 0
		.amdhsa_next_free_vgpr 382
		.amdhsa_next_free_sgpr 65
		.amdhsa_accum_offset 256
		.amdhsa_reserve_vcc 1
		.amdhsa_float_round_mode_32 0
		.amdhsa_float_round_mode_16_64 0
		.amdhsa_float_denorm_mode_32 3
		.amdhsa_float_denorm_mode_16_64 3
		.amdhsa_dx10_clamp 1
		.amdhsa_ieee_mode 1
		.amdhsa_fp16_overflow 0
		.amdhsa_tg_split 0
		.amdhsa_exception_fp_ieee_invalid_op 0
		.amdhsa_exception_fp_denorm_src 0
		.amdhsa_exception_fp_ieee_div_zero 0
		.amdhsa_exception_fp_ieee_overflow 0
		.amdhsa_exception_fp_ieee_underflow 0
		.amdhsa_exception_fp_ieee_inexact 0
		.amdhsa_exception_int_div_zero 0
	.end_amdhsa_kernel
	.section	.text._ZN9rocsolver6v33100L18getri_kernel_smallILi49E19rocblas_complex_numIdEPS3_EEvT1_iilPiilS6_bb,"axG",@progbits,_ZN9rocsolver6v33100L18getri_kernel_smallILi49E19rocblas_complex_numIdEPS3_EEvT1_iilPiilS6_bb,comdat
.Lfunc_end48:
	.size	_ZN9rocsolver6v33100L18getri_kernel_smallILi49E19rocblas_complex_numIdEPS3_EEvT1_iilPiilS6_bb, .Lfunc_end48-_ZN9rocsolver6v33100L18getri_kernel_smallILi49E19rocblas_complex_numIdEPS3_EEvT1_iilPiilS6_bb
                                        ; -- End function
	.set _ZN9rocsolver6v33100L18getri_kernel_smallILi49E19rocblas_complex_numIdEPS3_EEvT1_iilPiilS6_bb.num_vgpr, 256
	.set _ZN9rocsolver6v33100L18getri_kernel_smallILi49E19rocblas_complex_numIdEPS3_EEvT1_iilPiilS6_bb.num_agpr, 126
	.set _ZN9rocsolver6v33100L18getri_kernel_smallILi49E19rocblas_complex_numIdEPS3_EEvT1_iilPiilS6_bb.numbered_sgpr, 65
	.set _ZN9rocsolver6v33100L18getri_kernel_smallILi49E19rocblas_complex_numIdEPS3_EEvT1_iilPiilS6_bb.num_named_barrier, 0
	.set _ZN9rocsolver6v33100L18getri_kernel_smallILi49E19rocblas_complex_numIdEPS3_EEvT1_iilPiilS6_bb.private_seg_size, 816
	.set _ZN9rocsolver6v33100L18getri_kernel_smallILi49E19rocblas_complex_numIdEPS3_EEvT1_iilPiilS6_bb.uses_vcc, 1
	.set _ZN9rocsolver6v33100L18getri_kernel_smallILi49E19rocblas_complex_numIdEPS3_EEvT1_iilPiilS6_bb.uses_flat_scratch, 0
	.set _ZN9rocsolver6v33100L18getri_kernel_smallILi49E19rocblas_complex_numIdEPS3_EEvT1_iilPiilS6_bb.has_dyn_sized_stack, 0
	.set _ZN9rocsolver6v33100L18getri_kernel_smallILi49E19rocblas_complex_numIdEPS3_EEvT1_iilPiilS6_bb.has_recursion, 0
	.set _ZN9rocsolver6v33100L18getri_kernel_smallILi49E19rocblas_complex_numIdEPS3_EEvT1_iilPiilS6_bb.has_indirect_call, 0
	.section	.AMDGPU.csdata,"",@progbits
; Kernel info:
; codeLenInByte = 102144
; TotalNumSgprs: 71
; NumVgprs: 256
; NumAgprs: 126
; TotalNumVgprs: 382
; ScratchSize: 816
; MemoryBound: 0
; FloatMode: 240
; IeeeMode: 1
; LDSByteSize: 1576 bytes/workgroup (compile time only)
; SGPRBlocks: 8
; VGPRBlocks: 47
; NumSGPRsForWavesPerEU: 71
; NumVGPRsForWavesPerEU: 382
; AccumOffset: 256
; Occupancy: 1
; WaveLimiterHint : 1
; COMPUTE_PGM_RSRC2:SCRATCH_EN: 1
; COMPUTE_PGM_RSRC2:USER_SGPR: 2
; COMPUTE_PGM_RSRC2:TRAP_HANDLER: 0
; COMPUTE_PGM_RSRC2:TGID_X_EN: 1
; COMPUTE_PGM_RSRC2:TGID_Y_EN: 0
; COMPUTE_PGM_RSRC2:TGID_Z_EN: 0
; COMPUTE_PGM_RSRC2:TIDIG_COMP_CNT: 0
; COMPUTE_PGM_RSRC3_GFX90A:ACCUM_OFFSET: 63
; COMPUTE_PGM_RSRC3_GFX90A:TG_SPLIT: 0
	.section	.text._ZN9rocsolver6v33100L18getri_kernel_smallILi50E19rocblas_complex_numIdEPS3_EEvT1_iilPiilS6_bb,"axG",@progbits,_ZN9rocsolver6v33100L18getri_kernel_smallILi50E19rocblas_complex_numIdEPS3_EEvT1_iilPiilS6_bb,comdat
	.globl	_ZN9rocsolver6v33100L18getri_kernel_smallILi50E19rocblas_complex_numIdEPS3_EEvT1_iilPiilS6_bb ; -- Begin function _ZN9rocsolver6v33100L18getri_kernel_smallILi50E19rocblas_complex_numIdEPS3_EEvT1_iilPiilS6_bb
	.p2align	8
	.type	_ZN9rocsolver6v33100L18getri_kernel_smallILi50E19rocblas_complex_numIdEPS3_EEvT1_iilPiilS6_bb,@function
_ZN9rocsolver6v33100L18getri_kernel_smallILi50E19rocblas_complex_numIdEPS3_EEvT1_iilPiilS6_bb: ; @_ZN9rocsolver6v33100L18getri_kernel_smallILi50E19rocblas_complex_numIdEPS3_EEvT1_iilPiilS6_bb
; %bb.0:
	v_mov_b32_e32 v242, v0
	v_cmp_gt_u32_e32 vcc, 50, v242
	s_and_saveexec_b64 s[4:5], vcc
	s_cbranch_execz .LBB49_214
; %bb.1:
	s_load_dword s8, s[0:1], 0x38
	s_load_dwordx4 s[12:15], s[0:1], 0x10
	s_load_dwordx4 s[4:7], s[0:1], 0x28
                                        ; implicit-def: $sgpr16_sgpr17
	s_waitcnt lgkmcnt(0)
	s_bitcmp1_b32 s8, 8
	s_cselect_b64 s[18:19], -1, 0
	s_ashr_i32 s3, s2, 31
	s_bfe_u32 s8, s8, 0x10008
	s_cmp_eq_u32 s8, 0
	s_cbranch_scc1 .LBB49_3
; %bb.2:
	s_load_dword s8, s[0:1], 0x20
	s_mul_i32 s9, s4, s3
	s_mul_hi_u32 s10, s4, s2
	s_mul_i32 s5, s5, s2
	s_add_i32 s10, s10, s9
	s_add_i32 s5, s10, s5
	s_mul_i32 s4, s4, s2
	s_waitcnt lgkmcnt(0)
	s_ashr_i32 s9, s8, 31
	s_lshl_b64 s[4:5], s[4:5], 2
	s_add_u32 s10, s14, s4
	s_addc_u32 s11, s15, s5
	s_lshl_b64 s[4:5], s[8:9], 2
	s_add_u32 s16, s10, s4
	s_addc_u32 s17, s11, s5
.LBB49_3:
	s_load_dwordx4 s[8:11], s[0:1], 0x0
	s_load_dword s4, s[0:1], 0x38
	s_mul_i32 s5, s12, s3
	s_mul_hi_u32 s14, s12, s2
	s_add_i32 s5, s14, s5
	s_waitcnt lgkmcnt(0)
	s_ashr_i32 s1, s10, 31
	s_mov_b32 s0, s10
	s_mul_i32 s10, s13, s2
	s_add_i32 s13, s5, s10
	s_mul_i32 s12, s12, s2
	s_lshl_b64 s[12:13], s[12:13], 4
	s_add_u32 s5, s8, s12
	s_addc_u32 s8, s9, s13
	s_lshl_b64 s[0:1], s[0:1], 4
	s_add_u32 s0, s5, s0
	s_addc_u32 s1, s8, s1
	v_lshlrev_b32_e32 v50, 4, v242
	v_mov_b32_e32 v51, 0
	s_add_i32 s5, s11, s11
	v_lshl_add_u64 v[0:1], s[0:1], 0, v[50:51]
	v_add_u32_e32 v2, s5, v242
	s_ashr_i32 s9, s11, 31
	s_mov_b32 s8, s11
	v_accvgpr_write_b32 a0, v0
	v_ashrrev_i32_e32 v3, 31, v2
	v_accvgpr_write_b32 a1, v1
	v_lshl_add_u64 v[0:1], s[8:9], 4, v[0:1]
	v_lshl_add_u64 v[4:5], v[2:3], 4, s[0:1]
	v_add_u32_e32 v2, s11, v2
	v_accvgpr_write_b32 a3, v1
	v_ashrrev_i32_e32 v3, 31, v2
	global_load_dwordx4 v[18:21], v50, s[0:1]
	global_load_dwordx4 v[22:25], v[0:1], off
	v_accvgpr_write_b32 a2, v0
	v_lshl_add_u64 v[0:1], v[2:3], 4, s[0:1]
	v_add_u32_e32 v2, s11, v2
	v_accvgpr_write_b32 a4, v4
	v_ashrrev_i32_e32 v3, 31, v2
	v_accvgpr_write_b32 a5, v5
	global_load_dwordx4 v[26:29], v[4:5], off
	global_load_dwordx4 v[30:33], v[0:1], off
	v_lshl_add_u64 v[4:5], v[2:3], 4, s[0:1]
	v_add_u32_e32 v2, s11, v2
	v_accvgpr_write_b32 a7, v1
	v_ashrrev_i32_e32 v3, 31, v2
	v_accvgpr_write_b32 a6, v0
	v_lshl_add_u64 v[0:1], v[2:3], 4, s[0:1]
	v_add_u32_e32 v2, s11, v2
	v_accvgpr_write_b32 a9, v5
	v_ashrrev_i32_e32 v3, 31, v2
	v_accvgpr_write_b32 a8, v4
	global_load_dwordx4 v[34:37], v[4:5], off
	global_load_dwordx4 v[38:41], v[0:1], off
	v_lshl_add_u64 v[4:5], v[2:3], 4, s[0:1]
	v_add_u32_e32 v2, s11, v2
	v_accvgpr_write_b32 a11, v1
	v_ashrrev_i32_e32 v3, 31, v2
	v_accvgpr_write_b32 a10, v0
	v_accvgpr_write_b32 a13, v5
	v_lshl_add_u64 v[0:1], v[2:3], 4, s[0:1]
	v_add_u32_e32 v2, s11, v2
	v_accvgpr_write_b32 a12, v4
	global_load_dwordx4 v[42:45], v[4:5], off
	global_load_dwordx4 v[46:49], v[0:1], off
	v_ashrrev_i32_e32 v3, 31, v2
	v_add_u32_e32 v4, s11, v2
	v_lshl_add_u64 v[6:7], v[2:3], 4, s[0:1]
	v_ashrrev_i32_e32 v5, 31, v4
	v_add_u32_e32 v2, s11, v4
	v_accvgpr_write_b32 a15, v1
	v_accvgpr_write_b32 a14, v0
	;; [unrolled: 1-line block ×3, first 2 shown]
	global_load_dwordx4 v[52:55], v[6:7], off
	v_lshl_add_u64 v[0:1], v[4:5], 4, s[0:1]
	v_ashrrev_i32_e32 v3, 31, v2
	v_add_u32_e32 v4, s11, v2
	v_accvgpr_write_b32 a16, v6
	v_ashrrev_i32_e32 v5, 31, v4
	v_accvgpr_write_b32 a19, v1
	global_load_dwordx4 v[56:59], v[0:1], off
	v_lshl_add_u64 v[6:7], v[2:3], 4, s[0:1]
	v_add_u32_e32 v2, s11, v4
	v_accvgpr_write_b32 a18, v0
	global_load_dwordx4 v[60:63], v[6:7], off
	v_lshl_add_u64 v[0:1], v[4:5], 4, s[0:1]
	v_ashrrev_i32_e32 v3, 31, v2
	v_lshl_add_u64 v[4:5], v[2:3], 4, s[0:1]
	global_load_dwordx4 v[64:67], v[0:1], off
	global_load_dwordx4 v[68:71], v[4:5], off
	v_accvgpr_write_b32 a25, v5
	v_add_u32_e32 v2, s11, v2
	v_accvgpr_write_b32 a24, v4
	v_add_u32_e32 v4, s11, v2
	v_add_u32_e32 v10, s11, v4
	v_accvgpr_write_b32 a21, v7
	v_accvgpr_write_b32 a23, v1
	v_ashrrev_i32_e32 v3, 31, v2
	v_ashrrev_i32_e32 v5, 31, v4
	v_add_u32_e32 v12, s11, v10
	v_accvgpr_write_b32 a20, v6
	v_accvgpr_write_b32 a22, v0
	v_lshl_add_u64 v[0:1], v[2:3], 4, s[0:1]
	v_lshl_add_u64 v[6:7], v[4:5], 4, s[0:1]
	v_ashrrev_i32_e32 v13, 31, v12
	v_ashrrev_i32_e32 v11, 31, v10
	v_accvgpr_write_b32 a27, v1
	v_accvgpr_write_b32 a29, v7
	v_add_u32_e32 v72, s11, v12
	v_lshl_add_u64 v[14:15], v[12:13], 4, s[0:1]
	v_accvgpr_write_b32 a26, v0
	global_load_dwordx4 v[2:5], v[0:1], off
	v_accvgpr_write_b32 a28, v6
	global_load_dwordx4 v[6:9], v[6:7], off
	v_lshl_add_u64 v[0:1], v[10:11], 4, s[0:1]
	v_add_u32_e32 v74, s11, v72
	v_accvgpr_write_b32 a33, v15
	global_load_dwordx4 v[10:13], v[0:1], off
	v_accvgpr_write_b32 a32, v14
	global_load_dwordx4 v[14:17], v[14:15], off
	s_waitcnt vmcnt(16)
	scratch_store_dwordx4 off, v[18:21], off offset:16
	s_waitcnt vmcnt(16)
	scratch_store_dwordx4 off, v[22:25], off offset:32
	;; [unrolled: 2-line block ×13, first 2 shown]
	v_add_u32_e32 v26, s11, v74
	v_add_u32_e32 v34, s11, v26
	v_ashrrev_i32_e32 v35, 31, v34
	v_lshl_add_u64 v[30:31], v[34:35], 4, s[0:1]
	v_add_u32_e32 v34, s11, v34
	v_add_u32_e32 v42, s11, v34
	v_ashrrev_i32_e32 v43, 31, v42
	v_ashrrev_i32_e32 v73, 31, v72
	v_accvgpr_write_b32 a31, v1
	v_lshl_add_u64 v[38:39], v[42:43], 4, s[0:1]
	v_add_u32_e32 v42, s11, v42
	v_accvgpr_write_b32 a30, v0
	v_lshl_add_u64 v[0:1], v[72:73], 4, s[0:1]
	v_add_u32_e32 v52, s11, v42
	v_accvgpr_write_b32 a35, v1
	v_ashrrev_i32_e32 v27, 31, v26
	v_accvgpr_write_b32 a41, v31
	v_ashrrev_i32_e32 v53, 31, v52
	v_accvgpr_write_b32 a34, v0
	global_load_dwordx4 v[18:21], v[0:1], off
	v_accvgpr_write_b32 a40, v30
	global_load_dwordx4 v[30:33], v[30:31], off
	v_lshl_add_u64 v[0:1], v[26:27], 4, s[0:1]
	v_lshl_add_u64 v[46:47], v[52:53], 4, s[0:1]
	v_add_u32_e32 v52, s11, v52
	v_accvgpr_write_b32 a39, v1
	v_ashrrev_i32_e32 v35, 31, v34
	v_accvgpr_write_b32 a45, v39
	v_add_u32_e32 v60, s11, v52
	v_accvgpr_write_b32 a38, v0
	global_load_dwordx4 v[26:29], v[0:1], off
	v_accvgpr_write_b32 a44, v38
	global_load_dwordx4 v[38:41], v[38:39], off
	v_lshl_add_u64 v[0:1], v[34:35], 4, s[0:1]
	v_ashrrev_i32_e32 v61, 31, v60
	v_accvgpr_write_b32 a43, v1
	v_ashrrev_i32_e32 v43, 31, v42
	v_accvgpr_write_b32 a49, v47
	v_lshl_add_u64 v[56:57], v[60:61], 4, s[0:1]
	v_add_u32_e32 v60, s11, v60
	v_accvgpr_write_b32 a42, v0
	global_load_dwordx4 v[34:37], v[0:1], off
	v_accvgpr_write_b32 a48, v46
	global_load_dwordx4 v[46:49], v[46:47], off
	v_lshl_add_u64 v[0:1], v[42:43], 4, s[0:1]
	v_add_u32_e32 v68, s11, v60
	v_accvgpr_write_b32 a47, v1
	v_ashrrev_i32_e32 v53, 31, v52
	v_accvgpr_write_b32 a52, v56
	v_ashrrev_i32_e32 v69, 31, v68
	v_ashrrev_i32_e32 v75, 31, v74
	v_accvgpr_write_b32 a46, v0
	global_load_dwordx4 v[42:45], v[0:1], off
	v_accvgpr_write_b32 a53, v57
	global_load_dwordx4 v[56:59], v[56:57], off
	v_lshl_add_u64 v[0:1], v[52:53], 4, s[0:1]
	v_lshl_add_u64 v[64:65], v[68:69], 4, s[0:1]
	v_add_u32_e32 v68, s11, v68
	v_lshl_add_u64 v[72:73], v[74:75], 4, s[0:1]
	v_accvgpr_write_b32 a51, v1
	v_ashrrev_i32_e32 v61, 31, v60
	v_accvgpr_write_b32 a56, v64
	v_add_u32_e32 v76, s11, v68
	v_accvgpr_write_b32 a36, v72
	v_accvgpr_write_b32 a50, v0
	global_load_dwordx4 v[52:55], v[0:1], off
	v_accvgpr_write_b32 a57, v65
	global_load_dwordx4 v[64:67], v[64:65], off
	v_lshl_add_u64 v[0:1], v[60:61], 4, s[0:1]
	v_ashrrev_i32_e32 v77, 31, v76
	v_accvgpr_write_b32 a37, v73
	global_load_dwordx4 v[22:25], v[72:73], off
	global_load_dwordx4 v[60:63], v[0:1], off
	v_lshl_add_u64 v[72:73], v[76:77], 4, s[0:1]
	v_add_u32_e32 v76, s11, v76
	v_add_u32_e32 v84, s11, v76
	v_ashrrev_i32_e32 v85, 31, v84
	v_lshl_add_u64 v[80:81], v[84:85], 4, s[0:1]
	v_add_u32_e32 v84, s11, v84
	v_add_u32_e32 v92, s11, v84
	v_ashrrev_i32_e32 v93, 31, v92
	v_lshl_add_u64 v[88:89], v[92:93], 4, s[0:1]
	v_add_u32_e32 v92, s11, v92
	v_add_u32_e32 v100, s11, v92
	v_accvgpr_write_b32 a55, v1
	v_ashrrev_i32_e32 v69, 31, v68
	v_ashrrev_i32_e32 v101, 31, v100
	v_accvgpr_write_b32 a54, v0
	v_lshl_add_u64 v[0:1], v[68:69], 4, s[0:1]
	v_lshl_add_u64 v[96:97], v[100:101], 4, s[0:1]
	v_add_u32_e32 v100, s11, v100
	v_accvgpr_write_b32 a59, v1
	v_accvgpr_write_b32 a60, v72
	v_ashrrev_i32_e32 v77, 31, v76
	v_add_u32_e32 v108, s11, v100
	v_accvgpr_write_b32 a58, v0
	global_load_dwordx4 v[68:71], v[0:1], off
	v_accvgpr_write_b32 a61, v73
	global_load_dwordx4 v[72:75], v[72:73], off
	v_lshl_add_u64 v[0:1], v[76:77], 4, s[0:1]
	v_ashrrev_i32_e32 v109, 31, v108
	v_accvgpr_write_b32 a63, v1
	v_accvgpr_write_b32 a64, v80
	v_ashrrev_i32_e32 v85, 31, v84
	v_lshl_add_u64 v[104:105], v[108:109], 4, s[0:1]
	v_add_u32_e32 v108, s11, v108
	v_accvgpr_write_b32 a62, v0
	global_load_dwordx4 v[76:79], v[0:1], off
	v_accvgpr_write_b32 a65, v81
	global_load_dwordx4 v[80:83], v[80:81], off
	v_lshl_add_u64 v[0:1], v[84:85], 4, s[0:1]
	v_add_u32_e32 v116, s11, v108
	v_accvgpr_write_b32 a67, v1
	v_accvgpr_write_b32 a68, v88
	v_ashrrev_i32_e32 v93, 31, v92
	v_ashrrev_i32_e32 v117, 31, v116
	v_accvgpr_write_b32 a66, v0
	global_load_dwordx4 v[84:87], v[0:1], off
	v_accvgpr_write_b32 a69, v89
	global_load_dwordx4 v[88:91], v[88:89], off
	v_lshl_add_u64 v[0:1], v[92:93], 4, s[0:1]
	v_lshl_add_u64 v[112:113], v[116:117], 4, s[0:1]
	v_add_u32_e32 v116, s11, v116
	v_accvgpr_write_b32 a71, v1
	v_accvgpr_write_b32 a72, v96
	v_ashrrev_i32_e32 v101, 31, v100
	v_add_u32_e32 v124, s11, v116
	v_accvgpr_write_b32 a70, v0
	global_load_dwordx4 v[92:95], v[0:1], off
	v_accvgpr_write_b32 a73, v97
	global_load_dwordx4 v[96:99], v[96:97], off
	v_lshl_add_u64 v[0:1], v[100:101], 4, s[0:1]
	v_ashrrev_i32_e32 v125, 31, v124
	v_accvgpr_write_b32 a75, v1
	v_accvgpr_write_b32 a76, v104
	v_ashrrev_i32_e32 v109, 31, v108
	v_lshl_add_u64 v[120:121], v[124:125], 4, s[0:1]
	v_add_u32_e32 v124, s11, v124
	v_accvgpr_write_b32 a74, v0
	global_load_dwordx4 v[100:103], v[0:1], off
	v_accvgpr_write_b32 a77, v105
	global_load_dwordx4 v[104:107], v[104:105], off
	v_lshl_add_u64 v[0:1], v[108:109], 4, s[0:1]
	v_add_u32_e32 v132, s11, v124
	v_accvgpr_write_b32 a79, v1
	v_accvgpr_write_b32 a80, v112
	v_ashrrev_i32_e32 v117, 31, v116
	v_ashrrev_i32_e32 v133, 31, v132
	v_accvgpr_write_b32 a78, v0
	global_load_dwordx4 v[108:111], v[0:1], off
	v_accvgpr_write_b32 a81, v113
	global_load_dwordx4 v[112:115], v[112:113], off
	;; [unrolled: 32-line block ×3, first 2 shown]
	v_lshl_add_u64 v[0:1], v[140:141], 4, s[0:1]
	v_lshl_add_u64 v[144:145], v[148:149], 4, s[0:1]
	v_add_u32_e32 v148, s11, v148
	v_accvgpr_write_b32 a95, v1
	v_accvgpr_write_b32 a96, v144
	v_ashrrev_i32_e32 v149, 31, v148
	v_accvgpr_write_b32 a94, v0
	global_load_dwordx4 v[140:143], v[0:1], off
	v_accvgpr_write_b32 a97, v145
	global_load_dwordx4 v[144:147], v[144:145], off
	v_lshl_add_u64 v[0:1], v[148:149], 4, s[0:1]
	s_movk_i32 s0, 0x50
	s_add_i32 s64, s0, 16
	s_movk_i32 s0, 0x60
	s_add_i32 s65, s0, 16
	s_movk_i32 s0, 0x70
	global_load_dwordx4 v[148:151], v[0:1], off
	s_add_i32 s33, s0, 16
	s_movk_i32 s0, 0x80
	s_add_i32 s34, s0, 16
	s_movk_i32 s0, 0x90
	;; [unrolled: 2-line block ×42, first 2 shown]
	v_accvgpr_write_b32 a99, v1
	s_add_i32 s63, s0, 16
	v_accvgpr_write_b32 a98, v0
	s_mov_b32 s30, 32
	s_mov_b32 s28, 48
	;; [unrolled: 1-line block ×3, first 2 shown]
	s_movk_i32 s31, 0x50
	s_bitcmp0_b32 s4, 0
	s_mov_b64 s[4:5], -1
	s_waitcnt vmcnt(49)
	scratch_store_dwordx4 off, v[2:5], off offset:224
	s_waitcnt vmcnt(49)
	scratch_store_dwordx4 off, v[6:9], off offset:240
	s_waitcnt vmcnt(49)
	scratch_store_dwordx4 off, v[10:13], off offset:256
	s_waitcnt vmcnt(49)
	scratch_store_dwordx4 off, v[14:17], off offset:272
	s_waitcnt vmcnt(36)
	scratch_store_dwordx4 off, v[18:21], off offset:288
	s_waitcnt vmcnt(27)
	scratch_store_dwordx4 off, v[22:25], off offset:304
	scratch_store_dwordx4 off, v[26:29], off offset:320
	scratch_store_dwordx4 off, v[30:33], off offset:336
	;; [unrolled: 1-line block ×8, first 2 shown]
	s_waitcnt vmcnt(35)
	scratch_store_dwordx4 off, v[60:63], off offset:448
	scratch_store_dwordx4 off, v[64:67], off offset:464
	s_waitcnt vmcnt(36)
	scratch_store_dwordx4 off, v[68:71], off offset:480
	s_waitcnt vmcnt(36)
	;; [unrolled: 2-line block ×21, first 2 shown]
	scratch_store_dwordx4 off, v[148:151], off offset:800
	s_cbranch_scc1 .LBB49_212
; %bb.4:
	v_cmp_eq_u32_e64 s[0:1], 0, v242
	s_and_saveexec_b64 s[4:5], s[0:1]
; %bb.5:
	v_mov_b32_e32 v0, 0
	ds_write_b32 v0, v0 offset:1600
; %bb.6:
	s_or_b64 exec, exec, s[4:5]
	s_waitcnt lgkmcnt(0)
	; wave barrier
	scratch_load_dwordx4 v[2:5], v50, off offset:16
	s_waitcnt vmcnt(0)
	v_cmp_eq_f64_e32 vcc, 0, v[2:3]
	v_cmp_eq_f64_e64 s[4:5], 0, v[4:5]
	s_and_b64 s[4:5], vcc, s[4:5]
	s_and_saveexec_b64 s[8:9], s[4:5]
	s_cbranch_execz .LBB49_10
; %bb.7:
	v_mov_b32_e32 v1, 0
	ds_read_b32 v0, v1 offset:1600
	v_add_u32_e32 v2, 1, v242
	s_waitcnt lgkmcnt(0)
	v_readfirstlane_b32 s4, v0
	s_cmp_eq_u32 s4, 0
	s_cselect_b64 s[10:11], -1, 0
	v_cmp_gt_i32_e32 vcc, s4, v2
	s_or_b64 s[10:11], s[10:11], vcc
	s_and_b64 exec, exec, s[10:11]
	s_cbranch_execz .LBB49_10
; %bb.8:
	s_mov_b64 s[10:11], 0
	v_mov_b32_e32 v3, s4
.LBB49_9:                               ; =>This Inner Loop Header: Depth=1
	ds_cmpst_rtn_b32 v3, v1, v3, v2 offset:1600
	s_waitcnt lgkmcnt(0)
	v_cmp_ne_u32_e32 vcc, 0, v3
	v_cmp_le_i32_e64 s[4:5], v3, v2
	s_and_b64 s[4:5], vcc, s[4:5]
	s_and_b64 s[4:5], exec, s[4:5]
	s_or_b64 s[10:11], s[4:5], s[10:11]
	s_andn2_b64 exec, exec, s[10:11]
	s_cbranch_execnz .LBB49_9
.LBB49_10:
	s_or_b64 exec, exec, s[8:9]
	v_mov_b32_e32 v2, 0
	; wave barrier
	ds_read_b32 v1, v2 offset:1600
	s_and_saveexec_b64 s[4:5], s[0:1]
	s_cbranch_execz .LBB49_12
; %bb.11:
	s_lshl_b64 s[8:9], s[2:3], 2
	s_add_u32 s8, s6, s8
	s_addc_u32 s9, s7, s9
	s_waitcnt lgkmcnt(0)
	global_store_dword v2, v1, s[8:9]
.LBB49_12:
	s_or_b64 exec, exec, s[4:5]
	s_waitcnt lgkmcnt(0)
	v_cmp_ne_u32_e32 vcc, 0, v1
	s_mov_b64 s[4:5], 0
	s_cbranch_vccnz .LBB49_212
; %bb.13:
	v_add_u32_e32 v14, 16, v50
	scratch_load_dwordx4 v[2:5], v14, off
                                        ; implicit-def: $vgpr6_vgpr7
                                        ; implicit-def: $vgpr10_vgpr11
	s_waitcnt vmcnt(0)
	v_cmp_ngt_f64_e64 s[4:5], |v[2:3]|, |v[4:5]|
	s_and_saveexec_b64 s[8:9], s[4:5]
	s_xor_b64 s[4:5], exec, s[8:9]
	s_cbranch_execz .LBB49_15
; %bb.14:
	v_div_scale_f64 v[6:7], s[8:9], v[4:5], v[4:5], v[2:3]
	v_rcp_f64_e32 v[8:9], v[6:7]
	v_div_scale_f64 v[10:11], vcc, v[2:3], v[4:5], v[2:3]
	v_fma_f64 v[12:13], -v[6:7], v[8:9], 1.0
	v_fmac_f64_e32 v[8:9], v[8:9], v[12:13]
	v_fma_f64 v[12:13], -v[6:7], v[8:9], 1.0
	v_fmac_f64_e32 v[8:9], v[8:9], v[12:13]
	v_mul_f64 v[12:13], v[10:11], v[8:9]
	v_fma_f64 v[6:7], -v[6:7], v[12:13], v[10:11]
	v_div_fmas_f64 v[6:7], v[6:7], v[8:9], v[12:13]
	v_div_fixup_f64 v[6:7], v[6:7], v[4:5], v[2:3]
	v_fmac_f64_e32 v[4:5], v[2:3], v[6:7]
	v_div_scale_f64 v[2:3], s[8:9], v[4:5], v[4:5], 1.0
	v_rcp_f64_e32 v[8:9], v[2:3]
	s_nop 0
	v_fma_f64 v[10:11], -v[2:3], v[8:9], 1.0
	v_fmac_f64_e32 v[8:9], v[8:9], v[10:11]
	v_fma_f64 v[10:11], -v[2:3], v[8:9], 1.0
	v_fmac_f64_e32 v[8:9], v[8:9], v[10:11]
	v_div_scale_f64 v[10:11], vcc, 1.0, v[4:5], 1.0
	v_mul_f64 v[12:13], v[10:11], v[8:9]
	v_fma_f64 v[2:3], -v[2:3], v[12:13], v[10:11]
	s_nop 1
	v_div_fmas_f64 v[2:3], v[2:3], v[8:9], v[12:13]
	v_div_fixup_f64 v[8:9], v[2:3], v[4:5], 1.0
	v_mul_f64 v[6:7], v[6:7], v[8:9]
	v_xor_b32_e32 v9, 0x80000000, v9
	v_xor_b32_e32 v11, 0x80000000, v7
	v_mov_b32_e32 v10, v6
                                        ; implicit-def: $vgpr2_vgpr3
.LBB49_15:
	s_andn2_saveexec_b64 s[4:5], s[4:5]
	s_cbranch_execz .LBB49_17
; %bb.16:
	v_div_scale_f64 v[6:7], s[8:9], v[2:3], v[2:3], v[4:5]
	v_rcp_f64_e32 v[8:9], v[6:7]
	v_div_scale_f64 v[10:11], vcc, v[4:5], v[2:3], v[4:5]
	v_fma_f64 v[12:13], -v[6:7], v[8:9], 1.0
	v_fmac_f64_e32 v[8:9], v[8:9], v[12:13]
	v_fma_f64 v[12:13], -v[6:7], v[8:9], 1.0
	v_fmac_f64_e32 v[8:9], v[8:9], v[12:13]
	v_mul_f64 v[12:13], v[10:11], v[8:9]
	v_fma_f64 v[6:7], -v[6:7], v[12:13], v[10:11]
	v_div_fmas_f64 v[6:7], v[6:7], v[8:9], v[12:13]
	v_div_fixup_f64 v[8:9], v[6:7], v[2:3], v[4:5]
	v_fmac_f64_e32 v[2:3], v[4:5], v[8:9]
	v_div_scale_f64 v[4:5], s[8:9], v[2:3], v[2:3], 1.0
	v_rcp_f64_e32 v[6:7], v[4:5]
	s_nop 0
	v_fma_f64 v[10:11], -v[4:5], v[6:7], 1.0
	v_fmac_f64_e32 v[6:7], v[6:7], v[10:11]
	v_fma_f64 v[10:11], -v[4:5], v[6:7], 1.0
	v_fmac_f64_e32 v[6:7], v[6:7], v[10:11]
	v_div_scale_f64 v[10:11], vcc, 1.0, v[2:3], 1.0
	v_mul_f64 v[12:13], v[10:11], v[6:7]
	v_fma_f64 v[4:5], -v[4:5], v[12:13], v[10:11]
	s_nop 1
	v_div_fmas_f64 v[4:5], v[4:5], v[6:7], v[12:13]
	v_div_fixup_f64 v[6:7], v[4:5], v[2:3], 1.0
	v_xor_b32_e32 v11, 0x80000000, v7
	v_mov_b32_e32 v10, v6
	v_mul_f64 v[8:9], v[8:9], -v[6:7]
.LBB49_17:
	s_or_b64 exec, exec, s[4:5]
	scratch_store_dwordx4 v14, v[6:9], off
	scratch_load_dwordx4 v[2:5], off, s30
	v_xor_b32_e32 v13, 0x80000000, v9
	v_mov_b32_e32 v12, v8
	v_add_u32_e32 v1, 0x320, v50
	ds_write_b128 v50, v[10:13]
	s_waitcnt vmcnt(0)
	ds_write_b128 v50, v[2:5] offset:800
	s_waitcnt lgkmcnt(0)
	; wave barrier
	s_and_saveexec_b64 s[4:5], s[0:1]
	s_cbranch_execz .LBB49_19
; %bb.18:
	scratch_load_dwordx4 v[2:5], v14, off
	ds_read_b128 v[6:9], v1
	v_mov_b32_e32 v0, 0
	ds_read_b128 v[10:13], v0 offset:16
	s_waitcnt vmcnt(0) lgkmcnt(1)
	v_mul_f64 v[16:17], v[8:9], v[4:5]
	v_mul_f64 v[4:5], v[6:7], v[4:5]
	v_fma_f64 v[6:7], v[6:7], v[2:3], -v[16:17]
	v_fmac_f64_e32 v[4:5], v[8:9], v[2:3]
	v_add_f64 v[2:3], v[6:7], 0
	v_add_f64 v[6:7], v[4:5], 0
	s_waitcnt lgkmcnt(0)
	v_mul_f64 v[8:9], v[6:7], v[12:13]
	v_mul_f64 v[4:5], v[2:3], v[12:13]
	v_fma_f64 v[2:3], v[2:3], v[10:11], -v[8:9]
	v_fmac_f64_e32 v[4:5], v[6:7], v[10:11]
	scratch_store_dwordx4 off, v[2:5], off offset:32
.LBB49_19:
	s_or_b64 exec, exec, s[4:5]
	; wave barrier
	scratch_load_dwordx4 v[2:5], off, s28
	v_cmp_gt_u32_e32 vcc, 2, v242
	s_waitcnt vmcnt(0)
	ds_write_b128 v1, v[2:5]
	s_waitcnt lgkmcnt(0)
	; wave barrier
	s_and_saveexec_b64 s[4:5], vcc
	s_cbranch_execz .LBB49_23
; %bb.20:
	scratch_load_dwordx4 v[2:5], v14, off
	ds_read_b128 v[6:9], v1
	s_waitcnt vmcnt(0) lgkmcnt(0)
	v_mul_f64 v[10:11], v[8:9], v[4:5]
	v_mul_f64 v[12:13], v[6:7], v[4:5]
	v_fma_f64 v[4:5], v[6:7], v[2:3], -v[10:11]
	v_fmac_f64_e32 v[12:13], v[8:9], v[2:3]
	v_add_f64 v[4:5], v[4:5], 0
	v_add_f64 v[2:3], v[12:13], 0
	s_and_saveexec_b64 s[8:9], s[0:1]
	s_cbranch_execz .LBB49_22
; %bb.21:
	scratch_load_dwordx4 v[6:9], off, off offset:32
	v_mov_b32_e32 v0, 0
	ds_read_b128 v[10:13], v0 offset:816
	s_waitcnt vmcnt(0) lgkmcnt(0)
	v_mul_f64 v[14:15], v[10:11], v[8:9]
	v_mul_f64 v[8:9], v[12:13], v[8:9]
	v_fmac_f64_e32 v[14:15], v[12:13], v[6:7]
	v_fma_f64 v[6:7], v[10:11], v[6:7], -v[8:9]
	v_add_f64 v[2:3], v[2:3], v[14:15]
	v_add_f64 v[4:5], v[4:5], v[6:7]
.LBB49_22:
	s_or_b64 exec, exec, s[8:9]
	v_mov_b32_e32 v0, 0
	ds_read_b128 v[6:9], v0 offset:32
	s_waitcnt lgkmcnt(0)
	v_mul_f64 v[12:13], v[2:3], v[8:9]
	v_mul_f64 v[10:11], v[4:5], v[8:9]
	v_fma_f64 v[8:9], v[4:5], v[6:7], -v[12:13]
	v_fmac_f64_e32 v[10:11], v[2:3], v[6:7]
	scratch_store_dwordx4 off, v[8:11], off offset:48
.LBB49_23:
	s_or_b64 exec, exec, s[4:5]
	; wave barrier
	scratch_load_dwordx4 v[2:5], off, s29
	v_cmp_gt_u32_e32 vcc, 3, v242
	v_add_u32_e32 v6, -1, v242
	s_waitcnt vmcnt(0)
	ds_write_b128 v1, v[2:5]
	s_waitcnt lgkmcnt(0)
	; wave barrier
	s_and_saveexec_b64 s[0:1], vcc
	s_cbranch_execz .LBB49_27
; %bb.24:
	v_add_u32_e32 v7, -1, v242
	v_add_u32_e32 v8, 0x320, v50
	v_add_u32_e32 v9, 16, v50
	v_mov_b64_e32 v[2:3], 0
	s_mov_b64 s[4:5], 0
	v_mov_b64_e32 v[4:5], 0
.LBB49_25:                              ; =>This Inner Loop Header: Depth=1
	scratch_load_dwordx4 v[10:13], v9, off
	ds_read_b128 v[14:17], v8
	v_add_u32_e32 v7, 1, v7
	v_cmp_lt_u32_e32 vcc, 1, v7
	v_add_u32_e32 v8, 16, v8
	v_add_u32_e32 v9, 16, v9
	s_or_b64 s[4:5], vcc, s[4:5]
	s_waitcnt vmcnt(0) lgkmcnt(0)
	v_mul_f64 v[18:19], v[16:17], v[12:13]
	v_mul_f64 v[12:13], v[14:15], v[12:13]
	v_fma_f64 v[14:15], v[14:15], v[10:11], -v[18:19]
	v_fmac_f64_e32 v[12:13], v[16:17], v[10:11]
	v_add_f64 v[4:5], v[4:5], v[14:15]
	v_add_f64 v[2:3], v[2:3], v[12:13]
	s_andn2_b64 exec, exec, s[4:5]
	s_cbranch_execnz .LBB49_25
; %bb.26:
	s_or_b64 exec, exec, s[4:5]
	v_mov_b32_e32 v0, 0
	ds_read_b128 v[8:11], v0 offset:48
	s_waitcnt lgkmcnt(0)
	v_mul_f64 v[14:15], v[2:3], v[10:11]
	v_mul_f64 v[12:13], v[4:5], v[10:11]
	v_fma_f64 v[10:11], v[4:5], v[8:9], -v[14:15]
	v_fmac_f64_e32 v[12:13], v[2:3], v[8:9]
	scratch_store_dwordx4 off, v[10:13], off offset:64
.LBB49_27:
	s_or_b64 exec, exec, s[0:1]
	; wave barrier
	scratch_load_dwordx4 v[2:5], off, s31
	v_cmp_gt_u32_e32 vcc, 4, v242
	s_waitcnt vmcnt(0)
	ds_write_b128 v1, v[2:5]
	s_waitcnt lgkmcnt(0)
	; wave barrier
	s_and_saveexec_b64 s[0:1], vcc
	s_cbranch_execz .LBB49_31
; %bb.28:
	v_add_u32_e32 v7, -1, v242
	v_add_u32_e32 v8, 0x320, v50
	v_add_u32_e32 v9, 16, v50
	v_mov_b64_e32 v[2:3], 0
	s_mov_b64 s[4:5], 0
	v_mov_b64_e32 v[4:5], 0
.LBB49_29:                              ; =>This Inner Loop Header: Depth=1
	scratch_load_dwordx4 v[10:13], v9, off
	ds_read_b128 v[14:17], v8
	v_add_u32_e32 v7, 1, v7
	v_cmp_lt_u32_e32 vcc, 2, v7
	v_add_u32_e32 v8, 16, v8
	v_add_u32_e32 v9, 16, v9
	s_or_b64 s[4:5], vcc, s[4:5]
	s_waitcnt vmcnt(0) lgkmcnt(0)
	v_mul_f64 v[18:19], v[16:17], v[12:13]
	v_mul_f64 v[12:13], v[14:15], v[12:13]
	v_fma_f64 v[14:15], v[14:15], v[10:11], -v[18:19]
	v_fmac_f64_e32 v[12:13], v[16:17], v[10:11]
	v_add_f64 v[4:5], v[4:5], v[14:15]
	v_add_f64 v[2:3], v[2:3], v[12:13]
	s_andn2_b64 exec, exec, s[4:5]
	s_cbranch_execnz .LBB49_29
; %bb.30:
	s_or_b64 exec, exec, s[4:5]
	v_mov_b32_e32 v0, 0
	ds_read_b128 v[8:11], v0 offset:64
	s_waitcnt lgkmcnt(0)
	v_mul_f64 v[14:15], v[2:3], v[10:11]
	v_mul_f64 v[12:13], v[4:5], v[10:11]
	v_fma_f64 v[10:11], v[4:5], v[8:9], -v[14:15]
	v_fmac_f64_e32 v[12:13], v[2:3], v[8:9]
	scratch_store_dwordx4 off, v[10:13], off offset:80
.LBB49_31:
	s_or_b64 exec, exec, s[0:1]
	; wave barrier
	scratch_load_dwordx4 v[2:5], off, s64
	v_cmp_gt_u32_e32 vcc, 5, v242
	s_waitcnt vmcnt(0)
	ds_write_b128 v1, v[2:5]
	s_waitcnt lgkmcnt(0)
	; wave barrier
	s_and_saveexec_b64 s[0:1], vcc
	s_cbranch_execz .LBB49_35
; %bb.32:
	v_add_u32_e32 v7, -1, v242
	v_add_u32_e32 v8, 0x320, v50
	v_add_u32_e32 v9, 16, v50
	v_mov_b64_e32 v[2:3], 0
	s_mov_b64 s[4:5], 0
	v_mov_b64_e32 v[4:5], 0
.LBB49_33:                              ; =>This Inner Loop Header: Depth=1
	scratch_load_dwordx4 v[10:13], v9, off
	ds_read_b128 v[14:17], v8
	v_add_u32_e32 v7, 1, v7
	v_cmp_lt_u32_e32 vcc, 3, v7
	v_add_u32_e32 v8, 16, v8
	v_add_u32_e32 v9, 16, v9
	s_or_b64 s[4:5], vcc, s[4:5]
	s_waitcnt vmcnt(0) lgkmcnt(0)
	v_mul_f64 v[18:19], v[16:17], v[12:13]
	v_mul_f64 v[12:13], v[14:15], v[12:13]
	v_fma_f64 v[14:15], v[14:15], v[10:11], -v[18:19]
	v_fmac_f64_e32 v[12:13], v[16:17], v[10:11]
	v_add_f64 v[4:5], v[4:5], v[14:15]
	v_add_f64 v[2:3], v[2:3], v[12:13]
	s_andn2_b64 exec, exec, s[4:5]
	s_cbranch_execnz .LBB49_33
; %bb.34:
	s_or_b64 exec, exec, s[4:5]
	v_mov_b32_e32 v0, 0
	ds_read_b128 v[8:11], v0 offset:80
	s_waitcnt lgkmcnt(0)
	v_mul_f64 v[14:15], v[2:3], v[10:11]
	v_mul_f64 v[12:13], v[4:5], v[10:11]
	v_fma_f64 v[10:11], v[4:5], v[8:9], -v[14:15]
	v_fmac_f64_e32 v[12:13], v[2:3], v[8:9]
	scratch_store_dwordx4 off, v[10:13], off offset:96
.LBB49_35:
	s_or_b64 exec, exec, s[0:1]
	; wave barrier
	scratch_load_dwordx4 v[2:5], off, s65
	v_cmp_gt_u32_e32 vcc, 6, v242
	s_waitcnt vmcnt(0)
	ds_write_b128 v1, v[2:5]
	s_waitcnt lgkmcnt(0)
	; wave barrier
	s_and_saveexec_b64 s[0:1], vcc
	s_cbranch_execz .LBB49_39
; %bb.36:
	v_add_u32_e32 v7, -1, v242
	v_add_u32_e32 v8, 0x320, v50
	v_add_u32_e32 v9, 16, v50
	v_mov_b64_e32 v[2:3], 0
	s_mov_b64 s[4:5], 0
	v_mov_b64_e32 v[4:5], 0
.LBB49_37:                              ; =>This Inner Loop Header: Depth=1
	scratch_load_dwordx4 v[10:13], v9, off
	ds_read_b128 v[14:17], v8
	v_add_u32_e32 v7, 1, v7
	v_cmp_lt_u32_e32 vcc, 4, v7
	v_add_u32_e32 v8, 16, v8
	v_add_u32_e32 v9, 16, v9
	s_or_b64 s[4:5], vcc, s[4:5]
	s_waitcnt vmcnt(0) lgkmcnt(0)
	v_mul_f64 v[18:19], v[16:17], v[12:13]
	v_mul_f64 v[12:13], v[14:15], v[12:13]
	v_fma_f64 v[14:15], v[14:15], v[10:11], -v[18:19]
	v_fmac_f64_e32 v[12:13], v[16:17], v[10:11]
	v_add_f64 v[4:5], v[4:5], v[14:15]
	v_add_f64 v[2:3], v[2:3], v[12:13]
	s_andn2_b64 exec, exec, s[4:5]
	s_cbranch_execnz .LBB49_37
; %bb.38:
	s_or_b64 exec, exec, s[4:5]
	v_mov_b32_e32 v0, 0
	ds_read_b128 v[8:11], v0 offset:96
	s_waitcnt lgkmcnt(0)
	v_mul_f64 v[14:15], v[2:3], v[10:11]
	v_mul_f64 v[12:13], v[4:5], v[10:11]
	v_fma_f64 v[10:11], v[4:5], v[8:9], -v[14:15]
	v_fmac_f64_e32 v[12:13], v[2:3], v[8:9]
	scratch_store_dwordx4 off, v[10:13], off offset:112
.LBB49_39:
	s_or_b64 exec, exec, s[0:1]
	; wave barrier
	scratch_load_dwordx4 v[2:5], off, s33
	v_cmp_gt_u32_e32 vcc, 7, v242
	s_waitcnt vmcnt(0)
	ds_write_b128 v1, v[2:5]
	s_waitcnt lgkmcnt(0)
	; wave barrier
	s_and_saveexec_b64 s[0:1], vcc
	s_cbranch_execz .LBB49_43
; %bb.40:
	v_add_u32_e32 v7, -1, v242
	v_add_u32_e32 v8, 0x320, v50
	v_add_u32_e32 v9, 16, v50
	v_mov_b64_e32 v[2:3], 0
	s_mov_b64 s[4:5], 0
	v_mov_b64_e32 v[4:5], 0
.LBB49_41:                              ; =>This Inner Loop Header: Depth=1
	scratch_load_dwordx4 v[10:13], v9, off
	ds_read_b128 v[14:17], v8
	v_add_u32_e32 v7, 1, v7
	v_cmp_lt_u32_e32 vcc, 5, v7
	v_add_u32_e32 v8, 16, v8
	v_add_u32_e32 v9, 16, v9
	s_or_b64 s[4:5], vcc, s[4:5]
	s_waitcnt vmcnt(0) lgkmcnt(0)
	v_mul_f64 v[18:19], v[16:17], v[12:13]
	v_mul_f64 v[12:13], v[14:15], v[12:13]
	v_fma_f64 v[14:15], v[14:15], v[10:11], -v[18:19]
	v_fmac_f64_e32 v[12:13], v[16:17], v[10:11]
	v_add_f64 v[4:5], v[4:5], v[14:15]
	v_add_f64 v[2:3], v[2:3], v[12:13]
	s_andn2_b64 exec, exec, s[4:5]
	s_cbranch_execnz .LBB49_41
; %bb.42:
	s_or_b64 exec, exec, s[4:5]
	v_mov_b32_e32 v0, 0
	ds_read_b128 v[8:11], v0 offset:112
	s_waitcnt lgkmcnt(0)
	v_mul_f64 v[14:15], v[2:3], v[10:11]
	v_mul_f64 v[12:13], v[4:5], v[10:11]
	v_fma_f64 v[10:11], v[4:5], v[8:9], -v[14:15]
	v_fmac_f64_e32 v[12:13], v[2:3], v[8:9]
	scratch_store_dwordx4 off, v[10:13], off offset:128
.LBB49_43:
	s_or_b64 exec, exec, s[0:1]
	; wave barrier
	scratch_load_dwordx4 v[2:5], off, s34
	v_cmp_gt_u32_e32 vcc, 8, v242
	s_waitcnt vmcnt(0)
	ds_write_b128 v1, v[2:5]
	s_waitcnt lgkmcnt(0)
	; wave barrier
	s_and_saveexec_b64 s[0:1], vcc
	s_cbranch_execz .LBB49_47
; %bb.44:
	v_add_u32_e32 v7, -1, v242
	v_add_u32_e32 v8, 0x320, v50
	v_add_u32_e32 v9, 16, v50
	v_mov_b64_e32 v[2:3], 0
	s_mov_b64 s[4:5], 0
	v_mov_b64_e32 v[4:5], 0
.LBB49_45:                              ; =>This Inner Loop Header: Depth=1
	scratch_load_dwordx4 v[10:13], v9, off
	ds_read_b128 v[14:17], v8
	v_add_u32_e32 v7, 1, v7
	v_cmp_lt_u32_e32 vcc, 6, v7
	v_add_u32_e32 v8, 16, v8
	v_add_u32_e32 v9, 16, v9
	s_or_b64 s[4:5], vcc, s[4:5]
	s_waitcnt vmcnt(0) lgkmcnt(0)
	v_mul_f64 v[18:19], v[16:17], v[12:13]
	v_mul_f64 v[12:13], v[14:15], v[12:13]
	v_fma_f64 v[14:15], v[14:15], v[10:11], -v[18:19]
	v_fmac_f64_e32 v[12:13], v[16:17], v[10:11]
	v_add_f64 v[4:5], v[4:5], v[14:15]
	v_add_f64 v[2:3], v[2:3], v[12:13]
	s_andn2_b64 exec, exec, s[4:5]
	s_cbranch_execnz .LBB49_45
; %bb.46:
	s_or_b64 exec, exec, s[4:5]
	v_mov_b32_e32 v0, 0
	ds_read_b128 v[8:11], v0 offset:128
	s_waitcnt lgkmcnt(0)
	v_mul_f64 v[14:15], v[2:3], v[10:11]
	v_mul_f64 v[12:13], v[4:5], v[10:11]
	v_fma_f64 v[10:11], v[4:5], v[8:9], -v[14:15]
	v_fmac_f64_e32 v[12:13], v[2:3], v[8:9]
	scratch_store_dwordx4 off, v[10:13], off offset:144
.LBB49_47:
	s_or_b64 exec, exec, s[0:1]
	; wave barrier
	scratch_load_dwordx4 v[2:5], off, s35
	v_cmp_gt_u32_e32 vcc, 9, v242
	s_waitcnt vmcnt(0)
	ds_write_b128 v1, v[2:5]
	s_waitcnt lgkmcnt(0)
	; wave barrier
	s_and_saveexec_b64 s[0:1], vcc
	s_cbranch_execz .LBB49_51
; %bb.48:
	v_add_u32_e32 v7, -1, v242
	v_add_u32_e32 v8, 0x320, v50
	v_add_u32_e32 v9, 16, v50
	v_mov_b64_e32 v[2:3], 0
	s_mov_b64 s[4:5], 0
	v_mov_b64_e32 v[4:5], 0
.LBB49_49:                              ; =>This Inner Loop Header: Depth=1
	scratch_load_dwordx4 v[10:13], v9, off
	ds_read_b128 v[14:17], v8
	v_add_u32_e32 v7, 1, v7
	v_cmp_lt_u32_e32 vcc, 7, v7
	v_add_u32_e32 v8, 16, v8
	v_add_u32_e32 v9, 16, v9
	s_or_b64 s[4:5], vcc, s[4:5]
	s_waitcnt vmcnt(0) lgkmcnt(0)
	v_mul_f64 v[18:19], v[16:17], v[12:13]
	v_mul_f64 v[12:13], v[14:15], v[12:13]
	v_fma_f64 v[14:15], v[14:15], v[10:11], -v[18:19]
	v_fmac_f64_e32 v[12:13], v[16:17], v[10:11]
	v_add_f64 v[4:5], v[4:5], v[14:15]
	v_add_f64 v[2:3], v[2:3], v[12:13]
	s_andn2_b64 exec, exec, s[4:5]
	s_cbranch_execnz .LBB49_49
; %bb.50:
	s_or_b64 exec, exec, s[4:5]
	v_mov_b32_e32 v0, 0
	ds_read_b128 v[8:11], v0 offset:144
	s_waitcnt lgkmcnt(0)
	v_mul_f64 v[14:15], v[2:3], v[10:11]
	v_mul_f64 v[12:13], v[4:5], v[10:11]
	v_fma_f64 v[10:11], v[4:5], v[8:9], -v[14:15]
	v_fmac_f64_e32 v[12:13], v[2:3], v[8:9]
	scratch_store_dwordx4 off, v[10:13], off offset:160
.LBB49_51:
	s_or_b64 exec, exec, s[0:1]
	; wave barrier
	scratch_load_dwordx4 v[2:5], off, s36
	v_cmp_gt_u32_e32 vcc, 10, v242
	s_waitcnt vmcnt(0)
	ds_write_b128 v1, v[2:5]
	s_waitcnt lgkmcnt(0)
	; wave barrier
	s_and_saveexec_b64 s[0:1], vcc
	s_cbranch_execz .LBB49_55
; %bb.52:
	v_add_u32_e32 v7, -1, v242
	v_add_u32_e32 v8, 0x320, v50
	v_add_u32_e32 v9, 16, v50
	v_mov_b64_e32 v[2:3], 0
	s_mov_b64 s[4:5], 0
	v_mov_b64_e32 v[4:5], 0
.LBB49_53:                              ; =>This Inner Loop Header: Depth=1
	scratch_load_dwordx4 v[10:13], v9, off
	ds_read_b128 v[14:17], v8
	v_add_u32_e32 v7, 1, v7
	v_cmp_lt_u32_e32 vcc, 8, v7
	v_add_u32_e32 v8, 16, v8
	v_add_u32_e32 v9, 16, v9
	s_or_b64 s[4:5], vcc, s[4:5]
	s_waitcnt vmcnt(0) lgkmcnt(0)
	v_mul_f64 v[18:19], v[16:17], v[12:13]
	v_mul_f64 v[12:13], v[14:15], v[12:13]
	v_fma_f64 v[14:15], v[14:15], v[10:11], -v[18:19]
	v_fmac_f64_e32 v[12:13], v[16:17], v[10:11]
	v_add_f64 v[4:5], v[4:5], v[14:15]
	v_add_f64 v[2:3], v[2:3], v[12:13]
	s_andn2_b64 exec, exec, s[4:5]
	s_cbranch_execnz .LBB49_53
; %bb.54:
	s_or_b64 exec, exec, s[4:5]
	v_mov_b32_e32 v0, 0
	ds_read_b128 v[8:11], v0 offset:160
	s_waitcnt lgkmcnt(0)
	v_mul_f64 v[14:15], v[2:3], v[10:11]
	v_mul_f64 v[12:13], v[4:5], v[10:11]
	v_fma_f64 v[10:11], v[4:5], v[8:9], -v[14:15]
	v_fmac_f64_e32 v[12:13], v[2:3], v[8:9]
	scratch_store_dwordx4 off, v[10:13], off offset:176
.LBB49_55:
	s_or_b64 exec, exec, s[0:1]
	; wave barrier
	scratch_load_dwordx4 v[2:5], off, s37
	v_cmp_gt_u32_e32 vcc, 11, v242
	s_waitcnt vmcnt(0)
	ds_write_b128 v1, v[2:5]
	s_waitcnt lgkmcnt(0)
	; wave barrier
	s_and_saveexec_b64 s[0:1], vcc
	s_cbranch_execz .LBB49_59
; %bb.56:
	v_add_u32_e32 v7, -1, v242
	v_add_u32_e32 v8, 0x320, v50
	v_add_u32_e32 v9, 16, v50
	v_mov_b64_e32 v[2:3], 0
	s_mov_b64 s[4:5], 0
	v_mov_b64_e32 v[4:5], 0
.LBB49_57:                              ; =>This Inner Loop Header: Depth=1
	scratch_load_dwordx4 v[10:13], v9, off
	ds_read_b128 v[14:17], v8
	v_add_u32_e32 v7, 1, v7
	v_cmp_lt_u32_e32 vcc, 9, v7
	v_add_u32_e32 v8, 16, v8
	v_add_u32_e32 v9, 16, v9
	s_or_b64 s[4:5], vcc, s[4:5]
	s_waitcnt vmcnt(0) lgkmcnt(0)
	v_mul_f64 v[18:19], v[16:17], v[12:13]
	v_mul_f64 v[12:13], v[14:15], v[12:13]
	v_fma_f64 v[14:15], v[14:15], v[10:11], -v[18:19]
	v_fmac_f64_e32 v[12:13], v[16:17], v[10:11]
	v_add_f64 v[4:5], v[4:5], v[14:15]
	v_add_f64 v[2:3], v[2:3], v[12:13]
	s_andn2_b64 exec, exec, s[4:5]
	s_cbranch_execnz .LBB49_57
; %bb.58:
	s_or_b64 exec, exec, s[4:5]
	v_mov_b32_e32 v0, 0
	ds_read_b128 v[8:11], v0 offset:176
	s_waitcnt lgkmcnt(0)
	v_mul_f64 v[14:15], v[2:3], v[10:11]
	v_mul_f64 v[12:13], v[4:5], v[10:11]
	v_fma_f64 v[10:11], v[4:5], v[8:9], -v[14:15]
	v_fmac_f64_e32 v[12:13], v[2:3], v[8:9]
	scratch_store_dwordx4 off, v[10:13], off offset:192
.LBB49_59:
	s_or_b64 exec, exec, s[0:1]
	; wave barrier
	scratch_load_dwordx4 v[2:5], off, s38
	v_cmp_gt_u32_e32 vcc, 12, v242
	s_waitcnt vmcnt(0)
	ds_write_b128 v1, v[2:5]
	s_waitcnt lgkmcnt(0)
	; wave barrier
	s_and_saveexec_b64 s[0:1], vcc
	s_cbranch_execz .LBB49_63
; %bb.60:
	v_add_u32_e32 v7, -1, v242
	v_add_u32_e32 v8, 0x320, v50
	v_add_u32_e32 v9, 16, v50
	v_mov_b64_e32 v[2:3], 0
	s_mov_b64 s[4:5], 0
	v_mov_b64_e32 v[4:5], 0
.LBB49_61:                              ; =>This Inner Loop Header: Depth=1
	scratch_load_dwordx4 v[10:13], v9, off
	ds_read_b128 v[14:17], v8
	v_add_u32_e32 v7, 1, v7
	v_cmp_lt_u32_e32 vcc, 10, v7
	v_add_u32_e32 v8, 16, v8
	v_add_u32_e32 v9, 16, v9
	s_or_b64 s[4:5], vcc, s[4:5]
	s_waitcnt vmcnt(0) lgkmcnt(0)
	v_mul_f64 v[18:19], v[16:17], v[12:13]
	v_mul_f64 v[12:13], v[14:15], v[12:13]
	v_fma_f64 v[14:15], v[14:15], v[10:11], -v[18:19]
	v_fmac_f64_e32 v[12:13], v[16:17], v[10:11]
	v_add_f64 v[4:5], v[4:5], v[14:15]
	v_add_f64 v[2:3], v[2:3], v[12:13]
	s_andn2_b64 exec, exec, s[4:5]
	s_cbranch_execnz .LBB49_61
; %bb.62:
	s_or_b64 exec, exec, s[4:5]
	v_mov_b32_e32 v0, 0
	ds_read_b128 v[8:11], v0 offset:192
	s_waitcnt lgkmcnt(0)
	v_mul_f64 v[14:15], v[2:3], v[10:11]
	v_mul_f64 v[12:13], v[4:5], v[10:11]
	v_fma_f64 v[10:11], v[4:5], v[8:9], -v[14:15]
	v_fmac_f64_e32 v[12:13], v[2:3], v[8:9]
	scratch_store_dwordx4 off, v[10:13], off offset:208
.LBB49_63:
	s_or_b64 exec, exec, s[0:1]
	; wave barrier
	scratch_load_dwordx4 v[2:5], off, s39
	v_cmp_gt_u32_e32 vcc, 13, v242
	s_waitcnt vmcnt(0)
	ds_write_b128 v1, v[2:5]
	s_waitcnt lgkmcnt(0)
	; wave barrier
	s_and_saveexec_b64 s[0:1], vcc
	s_cbranch_execz .LBB49_67
; %bb.64:
	v_add_u32_e32 v7, -1, v242
	v_add_u32_e32 v8, 0x320, v50
	v_add_u32_e32 v9, 16, v50
	v_mov_b64_e32 v[2:3], 0
	s_mov_b64 s[4:5], 0
	v_mov_b64_e32 v[4:5], 0
.LBB49_65:                              ; =>This Inner Loop Header: Depth=1
	scratch_load_dwordx4 v[10:13], v9, off
	ds_read_b128 v[14:17], v8
	v_add_u32_e32 v7, 1, v7
	v_cmp_lt_u32_e32 vcc, 11, v7
	v_add_u32_e32 v8, 16, v8
	v_add_u32_e32 v9, 16, v9
	s_or_b64 s[4:5], vcc, s[4:5]
	s_waitcnt vmcnt(0) lgkmcnt(0)
	v_mul_f64 v[18:19], v[16:17], v[12:13]
	v_mul_f64 v[12:13], v[14:15], v[12:13]
	v_fma_f64 v[14:15], v[14:15], v[10:11], -v[18:19]
	v_fmac_f64_e32 v[12:13], v[16:17], v[10:11]
	v_add_f64 v[4:5], v[4:5], v[14:15]
	v_add_f64 v[2:3], v[2:3], v[12:13]
	s_andn2_b64 exec, exec, s[4:5]
	s_cbranch_execnz .LBB49_65
; %bb.66:
	s_or_b64 exec, exec, s[4:5]
	v_mov_b32_e32 v0, 0
	ds_read_b128 v[8:11], v0 offset:208
	s_waitcnt lgkmcnt(0)
	v_mul_f64 v[14:15], v[2:3], v[10:11]
	v_mul_f64 v[12:13], v[4:5], v[10:11]
	v_fma_f64 v[10:11], v[4:5], v[8:9], -v[14:15]
	v_fmac_f64_e32 v[12:13], v[2:3], v[8:9]
	scratch_store_dwordx4 off, v[10:13], off offset:224
.LBB49_67:
	s_or_b64 exec, exec, s[0:1]
	; wave barrier
	scratch_load_dwordx4 v[2:5], off, s40
	v_cmp_gt_u32_e32 vcc, 14, v242
	s_waitcnt vmcnt(0)
	ds_write_b128 v1, v[2:5]
	s_waitcnt lgkmcnt(0)
	; wave barrier
	s_and_saveexec_b64 s[0:1], vcc
	s_cbranch_execz .LBB49_71
; %bb.68:
	v_add_u32_e32 v7, -1, v242
	v_add_u32_e32 v8, 0x320, v50
	v_add_u32_e32 v9, 16, v50
	v_mov_b64_e32 v[2:3], 0
	s_mov_b64 s[4:5], 0
	v_mov_b64_e32 v[4:5], 0
.LBB49_69:                              ; =>This Inner Loop Header: Depth=1
	scratch_load_dwordx4 v[10:13], v9, off
	ds_read_b128 v[14:17], v8
	v_add_u32_e32 v7, 1, v7
	v_cmp_lt_u32_e32 vcc, 12, v7
	v_add_u32_e32 v8, 16, v8
	v_add_u32_e32 v9, 16, v9
	s_or_b64 s[4:5], vcc, s[4:5]
	s_waitcnt vmcnt(0) lgkmcnt(0)
	v_mul_f64 v[18:19], v[16:17], v[12:13]
	v_mul_f64 v[12:13], v[14:15], v[12:13]
	v_fma_f64 v[14:15], v[14:15], v[10:11], -v[18:19]
	v_fmac_f64_e32 v[12:13], v[16:17], v[10:11]
	v_add_f64 v[4:5], v[4:5], v[14:15]
	v_add_f64 v[2:3], v[2:3], v[12:13]
	s_andn2_b64 exec, exec, s[4:5]
	s_cbranch_execnz .LBB49_69
; %bb.70:
	s_or_b64 exec, exec, s[4:5]
	v_mov_b32_e32 v0, 0
	ds_read_b128 v[8:11], v0 offset:224
	s_waitcnt lgkmcnt(0)
	v_mul_f64 v[14:15], v[2:3], v[10:11]
	v_mul_f64 v[12:13], v[4:5], v[10:11]
	v_fma_f64 v[10:11], v[4:5], v[8:9], -v[14:15]
	v_fmac_f64_e32 v[12:13], v[2:3], v[8:9]
	scratch_store_dwordx4 off, v[10:13], off offset:240
.LBB49_71:
	s_or_b64 exec, exec, s[0:1]
	; wave barrier
	scratch_load_dwordx4 v[2:5], off, s41
	v_cmp_gt_u32_e32 vcc, 15, v242
	s_waitcnt vmcnt(0)
	ds_write_b128 v1, v[2:5]
	s_waitcnt lgkmcnt(0)
	; wave barrier
	s_and_saveexec_b64 s[0:1], vcc
	s_cbranch_execz .LBB49_75
; %bb.72:
	v_add_u32_e32 v7, -1, v242
	v_add_u32_e32 v8, 0x320, v50
	v_add_u32_e32 v9, 16, v50
	v_mov_b64_e32 v[2:3], 0
	s_mov_b64 s[4:5], 0
	v_mov_b64_e32 v[4:5], 0
.LBB49_73:                              ; =>This Inner Loop Header: Depth=1
	scratch_load_dwordx4 v[10:13], v9, off
	ds_read_b128 v[14:17], v8
	v_add_u32_e32 v7, 1, v7
	v_cmp_lt_u32_e32 vcc, 13, v7
	v_add_u32_e32 v8, 16, v8
	v_add_u32_e32 v9, 16, v9
	s_or_b64 s[4:5], vcc, s[4:5]
	s_waitcnt vmcnt(0) lgkmcnt(0)
	v_mul_f64 v[18:19], v[16:17], v[12:13]
	v_mul_f64 v[12:13], v[14:15], v[12:13]
	v_fma_f64 v[14:15], v[14:15], v[10:11], -v[18:19]
	v_fmac_f64_e32 v[12:13], v[16:17], v[10:11]
	v_add_f64 v[4:5], v[4:5], v[14:15]
	v_add_f64 v[2:3], v[2:3], v[12:13]
	s_andn2_b64 exec, exec, s[4:5]
	s_cbranch_execnz .LBB49_73
; %bb.74:
	s_or_b64 exec, exec, s[4:5]
	v_mov_b32_e32 v0, 0
	ds_read_b128 v[8:11], v0 offset:240
	s_waitcnt lgkmcnt(0)
	v_mul_f64 v[14:15], v[2:3], v[10:11]
	v_mul_f64 v[12:13], v[4:5], v[10:11]
	v_fma_f64 v[10:11], v[4:5], v[8:9], -v[14:15]
	v_fmac_f64_e32 v[12:13], v[2:3], v[8:9]
	scratch_store_dwordx4 off, v[10:13], off offset:256
.LBB49_75:
	s_or_b64 exec, exec, s[0:1]
	; wave barrier
	scratch_load_dwordx4 v[2:5], off, s42
	v_cmp_gt_u32_e32 vcc, 16, v242
	s_waitcnt vmcnt(0)
	ds_write_b128 v1, v[2:5]
	s_waitcnt lgkmcnt(0)
	; wave barrier
	s_and_saveexec_b64 s[0:1], vcc
	s_cbranch_execz .LBB49_79
; %bb.76:
	v_add_u32_e32 v7, -1, v242
	v_add_u32_e32 v8, 0x320, v50
	v_add_u32_e32 v9, 16, v50
	v_mov_b64_e32 v[2:3], 0
	s_mov_b64 s[4:5], 0
	v_mov_b64_e32 v[4:5], 0
.LBB49_77:                              ; =>This Inner Loop Header: Depth=1
	scratch_load_dwordx4 v[10:13], v9, off
	ds_read_b128 v[14:17], v8
	v_add_u32_e32 v7, 1, v7
	v_cmp_lt_u32_e32 vcc, 14, v7
	v_add_u32_e32 v8, 16, v8
	v_add_u32_e32 v9, 16, v9
	s_or_b64 s[4:5], vcc, s[4:5]
	s_waitcnt vmcnt(0) lgkmcnt(0)
	v_mul_f64 v[18:19], v[16:17], v[12:13]
	v_mul_f64 v[12:13], v[14:15], v[12:13]
	v_fma_f64 v[14:15], v[14:15], v[10:11], -v[18:19]
	v_fmac_f64_e32 v[12:13], v[16:17], v[10:11]
	v_add_f64 v[4:5], v[4:5], v[14:15]
	v_add_f64 v[2:3], v[2:3], v[12:13]
	s_andn2_b64 exec, exec, s[4:5]
	s_cbranch_execnz .LBB49_77
; %bb.78:
	s_or_b64 exec, exec, s[4:5]
	v_mov_b32_e32 v0, 0
	ds_read_b128 v[8:11], v0 offset:256
	s_waitcnt lgkmcnt(0)
	v_mul_f64 v[14:15], v[2:3], v[10:11]
	v_mul_f64 v[12:13], v[4:5], v[10:11]
	v_fma_f64 v[10:11], v[4:5], v[8:9], -v[14:15]
	v_fmac_f64_e32 v[12:13], v[2:3], v[8:9]
	scratch_store_dwordx4 off, v[10:13], off offset:272
.LBB49_79:
	s_or_b64 exec, exec, s[0:1]
	; wave barrier
	scratch_load_dwordx4 v[2:5], off, s43
	v_cmp_gt_u32_e32 vcc, 17, v242
	s_waitcnt vmcnt(0)
	ds_write_b128 v1, v[2:5]
	s_waitcnt lgkmcnt(0)
	; wave barrier
	s_and_saveexec_b64 s[0:1], vcc
	s_cbranch_execz .LBB49_83
; %bb.80:
	v_add_u32_e32 v7, -1, v242
	v_add_u32_e32 v8, 0x320, v50
	v_add_u32_e32 v9, 16, v50
	v_mov_b64_e32 v[2:3], 0
	s_mov_b64 s[4:5], 0
	v_mov_b64_e32 v[4:5], 0
.LBB49_81:                              ; =>This Inner Loop Header: Depth=1
	scratch_load_dwordx4 v[10:13], v9, off
	ds_read_b128 v[14:17], v8
	v_add_u32_e32 v7, 1, v7
	v_cmp_lt_u32_e32 vcc, 15, v7
	v_add_u32_e32 v8, 16, v8
	v_add_u32_e32 v9, 16, v9
	s_or_b64 s[4:5], vcc, s[4:5]
	s_waitcnt vmcnt(0) lgkmcnt(0)
	v_mul_f64 v[18:19], v[16:17], v[12:13]
	v_mul_f64 v[12:13], v[14:15], v[12:13]
	v_fma_f64 v[14:15], v[14:15], v[10:11], -v[18:19]
	v_fmac_f64_e32 v[12:13], v[16:17], v[10:11]
	v_add_f64 v[4:5], v[4:5], v[14:15]
	v_add_f64 v[2:3], v[2:3], v[12:13]
	s_andn2_b64 exec, exec, s[4:5]
	s_cbranch_execnz .LBB49_81
; %bb.82:
	s_or_b64 exec, exec, s[4:5]
	v_mov_b32_e32 v0, 0
	ds_read_b128 v[8:11], v0 offset:272
	s_waitcnt lgkmcnt(0)
	v_mul_f64 v[14:15], v[2:3], v[10:11]
	v_mul_f64 v[12:13], v[4:5], v[10:11]
	v_fma_f64 v[10:11], v[4:5], v[8:9], -v[14:15]
	v_fmac_f64_e32 v[12:13], v[2:3], v[8:9]
	scratch_store_dwordx4 off, v[10:13], off offset:288
.LBB49_83:
	s_or_b64 exec, exec, s[0:1]
	; wave barrier
	scratch_load_dwordx4 v[2:5], off, s44
	v_cmp_gt_u32_e32 vcc, 18, v242
	s_waitcnt vmcnt(0)
	ds_write_b128 v1, v[2:5]
	s_waitcnt lgkmcnt(0)
	; wave barrier
	s_and_saveexec_b64 s[0:1], vcc
	s_cbranch_execz .LBB49_87
; %bb.84:
	v_add_u32_e32 v7, -1, v242
	v_add_u32_e32 v8, 0x320, v50
	v_add_u32_e32 v9, 16, v50
	v_mov_b64_e32 v[2:3], 0
	s_mov_b64 s[4:5], 0
	v_mov_b64_e32 v[4:5], 0
.LBB49_85:                              ; =>This Inner Loop Header: Depth=1
	scratch_load_dwordx4 v[10:13], v9, off
	ds_read_b128 v[14:17], v8
	v_add_u32_e32 v7, 1, v7
	v_cmp_lt_u32_e32 vcc, 16, v7
	v_add_u32_e32 v8, 16, v8
	v_add_u32_e32 v9, 16, v9
	s_or_b64 s[4:5], vcc, s[4:5]
	s_waitcnt vmcnt(0) lgkmcnt(0)
	v_mul_f64 v[18:19], v[16:17], v[12:13]
	v_mul_f64 v[12:13], v[14:15], v[12:13]
	v_fma_f64 v[14:15], v[14:15], v[10:11], -v[18:19]
	v_fmac_f64_e32 v[12:13], v[16:17], v[10:11]
	v_add_f64 v[4:5], v[4:5], v[14:15]
	v_add_f64 v[2:3], v[2:3], v[12:13]
	s_andn2_b64 exec, exec, s[4:5]
	s_cbranch_execnz .LBB49_85
; %bb.86:
	s_or_b64 exec, exec, s[4:5]
	v_mov_b32_e32 v0, 0
	ds_read_b128 v[8:11], v0 offset:288
	s_waitcnt lgkmcnt(0)
	v_mul_f64 v[14:15], v[2:3], v[10:11]
	v_mul_f64 v[12:13], v[4:5], v[10:11]
	v_fma_f64 v[10:11], v[4:5], v[8:9], -v[14:15]
	v_fmac_f64_e32 v[12:13], v[2:3], v[8:9]
	scratch_store_dwordx4 off, v[10:13], off offset:304
.LBB49_87:
	s_or_b64 exec, exec, s[0:1]
	; wave barrier
	scratch_load_dwordx4 v[2:5], off, s45
	v_cmp_gt_u32_e32 vcc, 19, v242
	s_waitcnt vmcnt(0)
	ds_write_b128 v1, v[2:5]
	s_waitcnt lgkmcnt(0)
	; wave barrier
	s_and_saveexec_b64 s[0:1], vcc
	s_cbranch_execz .LBB49_91
; %bb.88:
	v_add_u32_e32 v7, -1, v242
	v_add_u32_e32 v8, 0x320, v50
	v_add_u32_e32 v9, 16, v50
	v_mov_b64_e32 v[2:3], 0
	s_mov_b64 s[4:5], 0
	v_mov_b64_e32 v[4:5], 0
.LBB49_89:                              ; =>This Inner Loop Header: Depth=1
	scratch_load_dwordx4 v[10:13], v9, off
	ds_read_b128 v[14:17], v8
	v_add_u32_e32 v7, 1, v7
	v_cmp_lt_u32_e32 vcc, 17, v7
	v_add_u32_e32 v8, 16, v8
	v_add_u32_e32 v9, 16, v9
	s_or_b64 s[4:5], vcc, s[4:5]
	s_waitcnt vmcnt(0) lgkmcnt(0)
	v_mul_f64 v[18:19], v[16:17], v[12:13]
	v_mul_f64 v[12:13], v[14:15], v[12:13]
	v_fma_f64 v[14:15], v[14:15], v[10:11], -v[18:19]
	v_fmac_f64_e32 v[12:13], v[16:17], v[10:11]
	v_add_f64 v[4:5], v[4:5], v[14:15]
	v_add_f64 v[2:3], v[2:3], v[12:13]
	s_andn2_b64 exec, exec, s[4:5]
	s_cbranch_execnz .LBB49_89
; %bb.90:
	s_or_b64 exec, exec, s[4:5]
	v_mov_b32_e32 v0, 0
	ds_read_b128 v[8:11], v0 offset:304
	s_waitcnt lgkmcnt(0)
	v_mul_f64 v[14:15], v[2:3], v[10:11]
	v_mul_f64 v[12:13], v[4:5], v[10:11]
	v_fma_f64 v[10:11], v[4:5], v[8:9], -v[14:15]
	v_fmac_f64_e32 v[12:13], v[2:3], v[8:9]
	scratch_store_dwordx4 off, v[10:13], off offset:320
.LBB49_91:
	s_or_b64 exec, exec, s[0:1]
	; wave barrier
	scratch_load_dwordx4 v[2:5], off, s46
	v_cmp_gt_u32_e32 vcc, 20, v242
	s_waitcnt vmcnt(0)
	ds_write_b128 v1, v[2:5]
	s_waitcnt lgkmcnt(0)
	; wave barrier
	s_and_saveexec_b64 s[0:1], vcc
	s_cbranch_execz .LBB49_95
; %bb.92:
	v_add_u32_e32 v7, -1, v242
	v_add_u32_e32 v8, 0x320, v50
	v_add_u32_e32 v9, 16, v50
	v_mov_b64_e32 v[2:3], 0
	s_mov_b64 s[4:5], 0
	v_mov_b64_e32 v[4:5], 0
.LBB49_93:                              ; =>This Inner Loop Header: Depth=1
	scratch_load_dwordx4 v[10:13], v9, off
	ds_read_b128 v[14:17], v8
	v_add_u32_e32 v7, 1, v7
	v_cmp_lt_u32_e32 vcc, 18, v7
	v_add_u32_e32 v8, 16, v8
	v_add_u32_e32 v9, 16, v9
	s_or_b64 s[4:5], vcc, s[4:5]
	s_waitcnt vmcnt(0) lgkmcnt(0)
	v_mul_f64 v[18:19], v[16:17], v[12:13]
	v_mul_f64 v[12:13], v[14:15], v[12:13]
	v_fma_f64 v[14:15], v[14:15], v[10:11], -v[18:19]
	v_fmac_f64_e32 v[12:13], v[16:17], v[10:11]
	v_add_f64 v[4:5], v[4:5], v[14:15]
	v_add_f64 v[2:3], v[2:3], v[12:13]
	s_andn2_b64 exec, exec, s[4:5]
	s_cbranch_execnz .LBB49_93
; %bb.94:
	s_or_b64 exec, exec, s[4:5]
	v_mov_b32_e32 v0, 0
	ds_read_b128 v[8:11], v0 offset:320
	s_waitcnt lgkmcnt(0)
	v_mul_f64 v[14:15], v[2:3], v[10:11]
	v_mul_f64 v[12:13], v[4:5], v[10:11]
	v_fma_f64 v[10:11], v[4:5], v[8:9], -v[14:15]
	v_fmac_f64_e32 v[12:13], v[2:3], v[8:9]
	scratch_store_dwordx4 off, v[10:13], off offset:336
.LBB49_95:
	s_or_b64 exec, exec, s[0:1]
	; wave barrier
	scratch_load_dwordx4 v[2:5], off, s47
	v_cmp_gt_u32_e32 vcc, 21, v242
	s_waitcnt vmcnt(0)
	ds_write_b128 v1, v[2:5]
	s_waitcnt lgkmcnt(0)
	; wave barrier
	s_and_saveexec_b64 s[0:1], vcc
	s_cbranch_execz .LBB49_99
; %bb.96:
	v_add_u32_e32 v7, -1, v242
	v_add_u32_e32 v8, 0x320, v50
	v_add_u32_e32 v9, 16, v50
	v_mov_b64_e32 v[2:3], 0
	s_mov_b64 s[4:5], 0
	v_mov_b64_e32 v[4:5], 0
.LBB49_97:                              ; =>This Inner Loop Header: Depth=1
	scratch_load_dwordx4 v[10:13], v9, off
	ds_read_b128 v[14:17], v8
	v_add_u32_e32 v7, 1, v7
	v_cmp_lt_u32_e32 vcc, 19, v7
	v_add_u32_e32 v8, 16, v8
	v_add_u32_e32 v9, 16, v9
	s_or_b64 s[4:5], vcc, s[4:5]
	s_waitcnt vmcnt(0) lgkmcnt(0)
	v_mul_f64 v[18:19], v[16:17], v[12:13]
	v_mul_f64 v[12:13], v[14:15], v[12:13]
	v_fma_f64 v[14:15], v[14:15], v[10:11], -v[18:19]
	v_fmac_f64_e32 v[12:13], v[16:17], v[10:11]
	v_add_f64 v[4:5], v[4:5], v[14:15]
	v_add_f64 v[2:3], v[2:3], v[12:13]
	s_andn2_b64 exec, exec, s[4:5]
	s_cbranch_execnz .LBB49_97
; %bb.98:
	s_or_b64 exec, exec, s[4:5]
	v_mov_b32_e32 v0, 0
	ds_read_b128 v[8:11], v0 offset:336
	s_waitcnt lgkmcnt(0)
	v_mul_f64 v[14:15], v[2:3], v[10:11]
	v_mul_f64 v[12:13], v[4:5], v[10:11]
	v_fma_f64 v[10:11], v[4:5], v[8:9], -v[14:15]
	v_fmac_f64_e32 v[12:13], v[2:3], v[8:9]
	scratch_store_dwordx4 off, v[10:13], off offset:352
.LBB49_99:
	s_or_b64 exec, exec, s[0:1]
	; wave barrier
	scratch_load_dwordx4 v[2:5], off, s48
	v_cmp_gt_u32_e32 vcc, 22, v242
	s_waitcnt vmcnt(0)
	ds_write_b128 v1, v[2:5]
	s_waitcnt lgkmcnt(0)
	; wave barrier
	s_and_saveexec_b64 s[0:1], vcc
	s_cbranch_execz .LBB49_103
; %bb.100:
	v_add_u32_e32 v7, -1, v242
	v_add_u32_e32 v8, 0x320, v50
	v_add_u32_e32 v9, 16, v50
	v_mov_b64_e32 v[2:3], 0
	s_mov_b64 s[4:5], 0
	v_mov_b64_e32 v[4:5], 0
.LBB49_101:                             ; =>This Inner Loop Header: Depth=1
	scratch_load_dwordx4 v[10:13], v9, off
	ds_read_b128 v[14:17], v8
	v_add_u32_e32 v7, 1, v7
	v_cmp_lt_u32_e32 vcc, 20, v7
	v_add_u32_e32 v8, 16, v8
	v_add_u32_e32 v9, 16, v9
	s_or_b64 s[4:5], vcc, s[4:5]
	s_waitcnt vmcnt(0) lgkmcnt(0)
	v_mul_f64 v[18:19], v[16:17], v[12:13]
	v_mul_f64 v[12:13], v[14:15], v[12:13]
	v_fma_f64 v[14:15], v[14:15], v[10:11], -v[18:19]
	v_fmac_f64_e32 v[12:13], v[16:17], v[10:11]
	v_add_f64 v[4:5], v[4:5], v[14:15]
	v_add_f64 v[2:3], v[2:3], v[12:13]
	s_andn2_b64 exec, exec, s[4:5]
	s_cbranch_execnz .LBB49_101
; %bb.102:
	s_or_b64 exec, exec, s[4:5]
	v_mov_b32_e32 v0, 0
	ds_read_b128 v[8:11], v0 offset:352
	s_waitcnt lgkmcnt(0)
	v_mul_f64 v[14:15], v[2:3], v[10:11]
	v_mul_f64 v[12:13], v[4:5], v[10:11]
	v_fma_f64 v[10:11], v[4:5], v[8:9], -v[14:15]
	v_fmac_f64_e32 v[12:13], v[2:3], v[8:9]
	scratch_store_dwordx4 off, v[10:13], off offset:368
.LBB49_103:
	s_or_b64 exec, exec, s[0:1]
	; wave barrier
	scratch_load_dwordx4 v[2:5], off, s49
	v_cmp_gt_u32_e32 vcc, 23, v242
	s_waitcnt vmcnt(0)
	ds_write_b128 v1, v[2:5]
	s_waitcnt lgkmcnt(0)
	; wave barrier
	s_and_saveexec_b64 s[0:1], vcc
	s_cbranch_execz .LBB49_107
; %bb.104:
	v_add_u32_e32 v7, -1, v242
	v_add_u32_e32 v8, 0x320, v50
	v_add_u32_e32 v9, 16, v50
	v_mov_b64_e32 v[2:3], 0
	s_mov_b64 s[4:5], 0
	v_mov_b64_e32 v[4:5], 0
.LBB49_105:                             ; =>This Inner Loop Header: Depth=1
	scratch_load_dwordx4 v[10:13], v9, off
	ds_read_b128 v[14:17], v8
	v_add_u32_e32 v7, 1, v7
	v_cmp_lt_u32_e32 vcc, 21, v7
	v_add_u32_e32 v8, 16, v8
	v_add_u32_e32 v9, 16, v9
	s_or_b64 s[4:5], vcc, s[4:5]
	s_waitcnt vmcnt(0) lgkmcnt(0)
	v_mul_f64 v[18:19], v[16:17], v[12:13]
	v_mul_f64 v[12:13], v[14:15], v[12:13]
	v_fma_f64 v[14:15], v[14:15], v[10:11], -v[18:19]
	v_fmac_f64_e32 v[12:13], v[16:17], v[10:11]
	v_add_f64 v[4:5], v[4:5], v[14:15]
	v_add_f64 v[2:3], v[2:3], v[12:13]
	s_andn2_b64 exec, exec, s[4:5]
	s_cbranch_execnz .LBB49_105
; %bb.106:
	s_or_b64 exec, exec, s[4:5]
	v_mov_b32_e32 v0, 0
	ds_read_b128 v[8:11], v0 offset:368
	s_waitcnt lgkmcnt(0)
	v_mul_f64 v[14:15], v[2:3], v[10:11]
	v_mul_f64 v[12:13], v[4:5], v[10:11]
	v_fma_f64 v[10:11], v[4:5], v[8:9], -v[14:15]
	v_fmac_f64_e32 v[12:13], v[2:3], v[8:9]
	scratch_store_dwordx4 off, v[10:13], off offset:384
.LBB49_107:
	s_or_b64 exec, exec, s[0:1]
	; wave barrier
	scratch_load_dwordx4 v[2:5], off, s50
	v_cmp_gt_u32_e32 vcc, 24, v242
	;; [unrolled: 45-line block ×26, first 2 shown]
	s_waitcnt vmcnt(0)
	ds_write_b128 v1, v[2:5]
	s_waitcnt lgkmcnt(0)
	; wave barrier
	s_and_saveexec_b64 s[0:1], vcc
	s_cbranch_execz .LBB49_207
; %bb.204:
	v_add_u32_e32 v7, -1, v242
	v_add_u32_e32 v8, 0x320, v50
	v_add_u32_e32 v9, 16, v50
	v_mov_b64_e32 v[2:3], 0
	s_mov_b64 s[4:5], 0
	v_mov_b64_e32 v[4:5], 0
.LBB49_205:                             ; =>This Inner Loop Header: Depth=1
	scratch_load_dwordx4 v[10:13], v9, off
	ds_read_b128 v[14:17], v8
	v_add_u32_e32 v7, 1, v7
	v_cmp_lt_u32_e32 vcc, 46, v7
	v_add_u32_e32 v8, 16, v8
	v_add_u32_e32 v9, 16, v9
	s_or_b64 s[4:5], vcc, s[4:5]
	s_waitcnt vmcnt(0) lgkmcnt(0)
	v_mul_f64 v[18:19], v[16:17], v[12:13]
	v_mul_f64 v[12:13], v[14:15], v[12:13]
	v_fma_f64 v[14:15], v[14:15], v[10:11], -v[18:19]
	v_fmac_f64_e32 v[12:13], v[16:17], v[10:11]
	v_add_f64 v[4:5], v[4:5], v[14:15]
	v_add_f64 v[2:3], v[2:3], v[12:13]
	s_andn2_b64 exec, exec, s[4:5]
	s_cbranch_execnz .LBB49_205
; %bb.206:
	s_or_b64 exec, exec, s[4:5]
	v_mov_b32_e32 v0, 0
	ds_read_b128 v[8:11], v0 offset:768
	s_waitcnt lgkmcnt(0)
	v_mul_f64 v[14:15], v[2:3], v[10:11]
	v_mul_f64 v[12:13], v[4:5], v[10:11]
	v_fma_f64 v[10:11], v[4:5], v[8:9], -v[14:15]
	v_fmac_f64_e32 v[12:13], v[2:3], v[8:9]
	scratch_store_dwordx4 off, v[10:13], off offset:784
.LBB49_207:
	s_or_b64 exec, exec, s[0:1]
	; wave barrier
	scratch_load_dwordx4 v[2:5], off, s63
	v_cmp_ne_u32_e32 vcc, 49, v242
	s_waitcnt vmcnt(0)
	ds_write_b128 v1, v[2:5]
	s_waitcnt lgkmcnt(0)
	; wave barrier
	s_and_saveexec_b64 s[0:1], vcc
	s_cbranch_execz .LBB49_211
; %bb.208:
	v_add_u32_e32 v1, 0x320, v50
	v_add_u32_e32 v7, 16, v50
	v_mov_b64_e32 v[2:3], 0
	s_mov_b64 s[4:5], 0
	v_mov_b64_e32 v[4:5], 0
.LBB49_209:                             ; =>This Inner Loop Header: Depth=1
	scratch_load_dwordx4 v[8:11], v7, off
	ds_read_b128 v[12:15], v1
	v_add_u32_e32 v6, 1, v6
	v_cmp_lt_u32_e32 vcc, 47, v6
	v_add_u32_e32 v1, 16, v1
	v_add_u32_e32 v7, 16, v7
	s_or_b64 s[4:5], vcc, s[4:5]
	s_waitcnt vmcnt(0) lgkmcnt(0)
	v_mul_f64 v[16:17], v[14:15], v[10:11]
	v_mul_f64 v[10:11], v[12:13], v[10:11]
	v_fma_f64 v[12:13], v[12:13], v[8:9], -v[16:17]
	v_fmac_f64_e32 v[10:11], v[14:15], v[8:9]
	v_add_f64 v[4:5], v[4:5], v[12:13]
	v_add_f64 v[2:3], v[2:3], v[10:11]
	s_andn2_b64 exec, exec, s[4:5]
	s_cbranch_execnz .LBB49_209
; %bb.210:
	s_or_b64 exec, exec, s[4:5]
	v_mov_b32_e32 v0, 0
	ds_read_b128 v[6:9], v0 offset:784
	s_waitcnt lgkmcnt(0)
	v_mul_f64 v[12:13], v[2:3], v[8:9]
	v_mul_f64 v[10:11], v[4:5], v[8:9]
	v_fma_f64 v[8:9], v[4:5], v[6:7], -v[12:13]
	v_fmac_f64_e32 v[10:11], v[2:3], v[6:7]
	scratch_store_dwordx4 off, v[8:11], off offset:800
.LBB49_211:
	s_or_b64 exec, exec, s[0:1]
	s_mov_b64 s[4:5], -1
	; wave barrier
.LBB49_212:
	s_and_b64 vcc, exec, s[4:5]
	s_cbranch_vccz .LBB49_214
; %bb.213:
	s_lshl_b64 s[0:1], s[2:3], 2
	s_add_u32 s0, s6, s0
	s_addc_u32 s1, s7, s1
	v_mov_b32_e32 v0, 0
	global_load_dword v0, v0, s[0:1]
	s_waitcnt vmcnt(0)
	v_cmp_ne_u32_e32 vcc, 0, v0
	s_cbranch_vccz .LBB49_215
.LBB49_214:
	s_endpgm
.LBB49_215:
	v_mov_b32_e32 v0, 0x320
	v_lshl_add_u32 v0, v242, 4, v0
	v_accvgpr_write_b32 a101, v0
	v_cmp_eq_u32_e32 vcc, 49, v242
	s_and_saveexec_b64 s[0:1], vcc
	s_cbranch_execz .LBB49_217
; %bb.216:
	scratch_load_dwordx4 v[2:5], off, s27
	v_mov_b32_e32 v6, 0
	v_mov_b32_e32 v7, v6
	;; [unrolled: 1-line block ×4, first 2 shown]
	v_accvgpr_read_b32 v0, a101
	scratch_store_dwordx4 off, v[6:9], off offset:784
	s_waitcnt vmcnt(1)
	ds_write_b128 v0, v[2:5]
.LBB49_217:
	s_or_b64 exec, exec, s[0:1]
	s_waitcnt lgkmcnt(0)
	; wave barrier
	scratch_load_dwordx4 v[4:7], off, off offset:800
	scratch_load_dwordx4 v[8:11], off, off offset:784
	v_mov_b32_e32 v2, 0
	ds_read_b128 v[12:15], v2 offset:1584
	v_cmp_lt_u32_e32 vcc, 47, v242
	s_waitcnt vmcnt(1) lgkmcnt(0)
	v_mul_f64 v[16:17], v[12:13], v[6:7]
	v_mul_f64 v[6:7], v[14:15], v[6:7]
	v_fmac_f64_e32 v[16:17], v[14:15], v[4:5]
	v_fma_f64 v[4:5], v[12:13], v[4:5], -v[6:7]
	v_add_f64 v[6:7], v[16:17], 0
	v_add_f64 v[4:5], v[4:5], 0
	s_waitcnt vmcnt(0)
	v_add_f64 v[4:5], v[8:9], -v[4:5]
	v_add_f64 v[6:7], v[10:11], -v[6:7]
	scratch_store_dwordx4 off, v[4:7], off offset:784
	s_and_saveexec_b64 s[0:1], vcc
	s_cbranch_execz .LBB49_219
; %bb.218:
	scratch_load_dwordx4 v[6:9], off, s26
	v_mov_b32_e32 v3, v2
	v_mov_b32_e32 v4, v2
	;; [unrolled: 1-line block ×3, first 2 shown]
	v_accvgpr_read_b32 v0, a101
	scratch_store_dwordx4 off, v[2:5], off offset:768
	s_waitcnt vmcnt(1)
	ds_write_b128 v0, v[6:9]
.LBB49_219:
	s_or_b64 exec, exec, s[0:1]
	s_waitcnt lgkmcnt(0)
	; wave barrier
	scratch_load_dwordx4 v[4:7], off, off offset:784
	scratch_load_dwordx4 v[8:11], off, off offset:800
	;; [unrolled: 1-line block ×3, first 2 shown]
	ds_read_b128 v[16:19], v2 offset:1568
	ds_read_b128 v[20:23], v2 offset:1584
	v_cmp_lt_u32_e32 vcc, 46, v242
	s_waitcnt vmcnt(2) lgkmcnt(1)
	v_mul_f64 v[2:3], v[16:17], v[6:7]
	v_mul_f64 v[6:7], v[18:19], v[6:7]
	s_waitcnt vmcnt(1) lgkmcnt(0)
	v_mul_f64 v[24:25], v[20:21], v[10:11]
	v_mul_f64 v[10:11], v[22:23], v[10:11]
	v_fmac_f64_e32 v[2:3], v[18:19], v[4:5]
	v_fma_f64 v[4:5], v[16:17], v[4:5], -v[6:7]
	v_fmac_f64_e32 v[24:25], v[22:23], v[8:9]
	v_fma_f64 v[6:7], v[20:21], v[8:9], -v[10:11]
	v_add_f64 v[2:3], v[2:3], 0
	v_add_f64 v[4:5], v[4:5], 0
	v_add_f64 v[8:9], v[2:3], v[24:25]
	v_add_f64 v[2:3], v[4:5], v[6:7]
	s_waitcnt vmcnt(0)
	v_add_f64 v[2:3], v[12:13], -v[2:3]
	v_add_f64 v[4:5], v[14:15], -v[8:9]
	scratch_store_dwordx4 off, v[2:5], off offset:768
	s_and_saveexec_b64 s[0:1], vcc
	s_cbranch_execz .LBB49_221
; %bb.220:
	scratch_load_dwordx4 v[2:5], off, s25
	v_mov_b32_e32 v6, 0
	v_mov_b32_e32 v7, v6
	;; [unrolled: 1-line block ×4, first 2 shown]
	v_accvgpr_read_b32 v0, a101
	scratch_store_dwordx4 off, v[6:9], off offset:752
	s_waitcnt vmcnt(1)
	ds_write_b128 v0, v[2:5]
.LBB49_221:
	s_or_b64 exec, exec, s[0:1]
	s_waitcnt lgkmcnt(0)
	; wave barrier
	scratch_load_dwordx4 v[4:7], off, off offset:768
	scratch_load_dwordx4 v[8:11], off, off offset:784
	;; [unrolled: 1-line block ×4, first 2 shown]
	v_mov_b32_e32 v2, 0
	ds_read_b128 v[20:23], v2 offset:1552
	ds_read_b128 v[24:27], v2 offset:1568
	;; [unrolled: 1-line block ×3, first 2 shown]
	v_cmp_lt_u32_e32 vcc, 45, v242
	s_waitcnt vmcnt(3) lgkmcnt(2)
	v_mul_f64 v[32:33], v[20:21], v[6:7]
	v_mul_f64 v[6:7], v[22:23], v[6:7]
	s_waitcnt vmcnt(2) lgkmcnt(1)
	v_mul_f64 v[34:35], v[24:25], v[10:11]
	v_mul_f64 v[10:11], v[26:27], v[10:11]
	v_fmac_f64_e32 v[32:33], v[22:23], v[4:5]
	v_fma_f64 v[4:5], v[20:21], v[4:5], -v[6:7]
	s_waitcnt vmcnt(1) lgkmcnt(0)
	v_mul_f64 v[36:37], v[28:29], v[14:15]
	v_mul_f64 v[14:15], v[30:31], v[14:15]
	v_fmac_f64_e32 v[34:35], v[26:27], v[8:9]
	v_fma_f64 v[6:7], v[24:25], v[8:9], -v[10:11]
	v_add_f64 v[10:11], v[32:33], 0
	v_add_f64 v[4:5], v[4:5], 0
	v_fmac_f64_e32 v[36:37], v[30:31], v[12:13]
	v_fma_f64 v[8:9], v[28:29], v[12:13], -v[14:15]
	v_add_f64 v[10:11], v[10:11], v[34:35]
	v_add_f64 v[4:5], v[4:5], v[6:7]
	;; [unrolled: 1-line block ×4, first 2 shown]
	s_waitcnt vmcnt(0)
	v_add_f64 v[4:5], v[16:17], -v[4:5]
	v_add_f64 v[6:7], v[18:19], -v[6:7]
	scratch_store_dwordx4 off, v[4:7], off offset:752
	s_and_saveexec_b64 s[0:1], vcc
	s_cbranch_execz .LBB49_223
; %bb.222:
	scratch_load_dwordx4 v[6:9], off, s24
	v_mov_b32_e32 v3, v2
	v_mov_b32_e32 v4, v2
	;; [unrolled: 1-line block ×3, first 2 shown]
	v_accvgpr_read_b32 v0, a101
	scratch_store_dwordx4 off, v[2:5], off offset:736
	s_waitcnt vmcnt(1)
	ds_write_b128 v0, v[6:9]
.LBB49_223:
	s_or_b64 exec, exec, s[0:1]
	s_waitcnt lgkmcnt(0)
	; wave barrier
	scratch_load_dwordx4 v[4:7], off, off offset:752
	scratch_load_dwordx4 v[8:11], off, off offset:768
	;; [unrolled: 1-line block ×5, first 2 shown]
	ds_read_b128 v[24:27], v2 offset:1536
	ds_read_b128 v[28:31], v2 offset:1552
	ds_read_b128 v[32:35], v2 offset:1568
	ds_read_b128 v[36:39], v2 offset:1584
	v_cmp_lt_u32_e32 vcc, 44, v242
	s_waitcnt vmcnt(4) lgkmcnt(3)
	v_mul_f64 v[2:3], v[24:25], v[6:7]
	v_mul_f64 v[6:7], v[26:27], v[6:7]
	s_waitcnt vmcnt(3) lgkmcnt(2)
	v_mul_f64 v[40:41], v[28:29], v[10:11]
	v_mul_f64 v[10:11], v[30:31], v[10:11]
	v_fmac_f64_e32 v[2:3], v[26:27], v[4:5]
	v_fma_f64 v[4:5], v[24:25], v[4:5], -v[6:7]
	s_waitcnt vmcnt(2) lgkmcnt(1)
	v_mul_f64 v[42:43], v[32:33], v[14:15]
	v_mul_f64 v[14:15], v[34:35], v[14:15]
	v_fmac_f64_e32 v[40:41], v[30:31], v[8:9]
	v_fma_f64 v[6:7], v[28:29], v[8:9], -v[10:11]
	v_add_f64 v[2:3], v[2:3], 0
	v_add_f64 v[4:5], v[4:5], 0
	s_waitcnt vmcnt(1) lgkmcnt(0)
	v_mul_f64 v[44:45], v[36:37], v[18:19]
	v_mul_f64 v[18:19], v[38:39], v[18:19]
	v_fmac_f64_e32 v[42:43], v[34:35], v[12:13]
	v_fma_f64 v[8:9], v[32:33], v[12:13], -v[14:15]
	v_add_f64 v[2:3], v[2:3], v[40:41]
	v_add_f64 v[4:5], v[4:5], v[6:7]
	v_fmac_f64_e32 v[44:45], v[38:39], v[16:17]
	v_fma_f64 v[10:11], v[36:37], v[16:17], -v[18:19]
	v_add_f64 v[2:3], v[2:3], v[42:43]
	v_add_f64 v[4:5], v[4:5], v[8:9]
	;; [unrolled: 1-line block ×4, first 2 shown]
	s_waitcnt vmcnt(0)
	v_add_f64 v[2:3], v[20:21], -v[2:3]
	v_add_f64 v[4:5], v[22:23], -v[6:7]
	scratch_store_dwordx4 off, v[2:5], off offset:736
	s_and_saveexec_b64 s[0:1], vcc
	s_cbranch_execz .LBB49_225
; %bb.224:
	scratch_load_dwordx4 v[2:5], off, s23
	v_mov_b32_e32 v6, 0
	v_mov_b32_e32 v7, v6
	;; [unrolled: 1-line block ×4, first 2 shown]
	v_accvgpr_read_b32 v0, a101
	scratch_store_dwordx4 off, v[6:9], off offset:720
	s_waitcnt vmcnt(1)
	ds_write_b128 v0, v[2:5]
.LBB49_225:
	s_or_b64 exec, exec, s[0:1]
	s_waitcnt lgkmcnt(0)
	; wave barrier
	scratch_load_dwordx4 v[4:7], off, off offset:736
	scratch_load_dwordx4 v[8:11], off, off offset:752
	;; [unrolled: 1-line block ×6, first 2 shown]
	v_mov_b32_e32 v2, 0
	ds_read_b128 v[28:31], v2 offset:1520
	ds_read_b128 v[32:35], v2 offset:1536
	;; [unrolled: 1-line block ×5, first 2 shown]
	v_cmp_lt_u32_e32 vcc, 43, v242
	s_waitcnt vmcnt(5) lgkmcnt(4)
	v_mul_f64 v[48:49], v[28:29], v[6:7]
	v_mul_f64 v[6:7], v[30:31], v[6:7]
	s_waitcnt vmcnt(4) lgkmcnt(3)
	v_mul_f64 v[50:51], v[32:33], v[10:11]
	s_waitcnt vmcnt(3) lgkmcnt(2)
	v_mul_f64 v[52:53], v[36:37], v[14:15]
	v_mul_f64 v[10:11], v[34:35], v[10:11]
	;; [unrolled: 1-line block ×3, first 2 shown]
	v_fmac_f64_e32 v[48:49], v[30:31], v[4:5]
	v_fma_f64 v[4:5], v[28:29], v[4:5], -v[6:7]
	v_fmac_f64_e32 v[50:51], v[34:35], v[8:9]
	v_fma_f64 v[6:7], v[32:33], v[8:9], -v[10:11]
	v_fma_f64 v[8:9], v[36:37], v[12:13], -v[14:15]
	v_add_f64 v[14:15], v[48:49], 0
	v_add_f64 v[4:5], v[4:5], 0
	s_waitcnt vmcnt(2) lgkmcnt(1)
	v_mul_f64 v[54:55], v[40:41], v[18:19]
	v_mul_f64 v[18:19], v[42:43], v[18:19]
	v_fmac_f64_e32 v[52:53], v[38:39], v[12:13]
	v_add_f64 v[14:15], v[14:15], v[50:51]
	v_add_f64 v[4:5], v[4:5], v[6:7]
	s_waitcnt vmcnt(1) lgkmcnt(0)
	v_mul_f64 v[56:57], v[44:45], v[22:23]
	v_mul_f64 v[22:23], v[46:47], v[22:23]
	v_fmac_f64_e32 v[54:55], v[42:43], v[16:17]
	v_fma_f64 v[10:11], v[40:41], v[16:17], -v[18:19]
	v_add_f64 v[6:7], v[14:15], v[52:53]
	v_add_f64 v[4:5], v[4:5], v[8:9]
	v_fmac_f64_e32 v[56:57], v[46:47], v[20:21]
	v_fma_f64 v[12:13], v[44:45], v[20:21], -v[22:23]
	v_add_f64 v[6:7], v[6:7], v[54:55]
	v_add_f64 v[4:5], v[4:5], v[10:11]
	;; [unrolled: 1-line block ×4, first 2 shown]
	s_waitcnt vmcnt(0)
	v_add_f64 v[4:5], v[24:25], -v[4:5]
	v_add_f64 v[6:7], v[26:27], -v[6:7]
	scratch_store_dwordx4 off, v[4:7], off offset:720
	s_and_saveexec_b64 s[0:1], vcc
	s_cbranch_execz .LBB49_227
; %bb.226:
	scratch_load_dwordx4 v[6:9], off, s21
	v_mov_b32_e32 v3, v2
	v_mov_b32_e32 v4, v2
	;; [unrolled: 1-line block ×3, first 2 shown]
	v_accvgpr_read_b32 v0, a101
	scratch_store_dwordx4 off, v[2:5], off offset:704
	s_waitcnt vmcnt(1)
	ds_write_b128 v0, v[6:9]
.LBB49_227:
	s_or_b64 exec, exec, s[0:1]
	s_waitcnt lgkmcnt(0)
	; wave barrier
	scratch_load_dwordx4 v[4:7], off, off offset:720
	scratch_load_dwordx4 v[8:11], off, off offset:736
	;; [unrolled: 1-line block ×7, first 2 shown]
	ds_read_b128 v[32:35], v2 offset:1504
	ds_read_b128 v[36:39], v2 offset:1520
	;; [unrolled: 1-line block ×6, first 2 shown]
	v_cmp_lt_u32_e32 vcc, 42, v242
	s_waitcnt vmcnt(6) lgkmcnt(5)
	v_mul_f64 v[2:3], v[32:33], v[6:7]
	v_mul_f64 v[6:7], v[34:35], v[6:7]
	s_waitcnt vmcnt(5) lgkmcnt(4)
	v_mul_f64 v[56:57], v[36:37], v[10:11]
	v_mul_f64 v[10:11], v[38:39], v[10:11]
	v_fmac_f64_e32 v[2:3], v[34:35], v[4:5]
	v_fma_f64 v[4:5], v[32:33], v[4:5], -v[6:7]
	s_waitcnt vmcnt(4) lgkmcnt(3)
	v_mul_f64 v[58:59], v[40:41], v[14:15]
	v_mul_f64 v[14:15], v[42:43], v[14:15]
	v_fmac_f64_e32 v[56:57], v[38:39], v[8:9]
	v_fma_f64 v[6:7], v[36:37], v[8:9], -v[10:11]
	v_add_f64 v[2:3], v[2:3], 0
	v_add_f64 v[4:5], v[4:5], 0
	s_waitcnt vmcnt(3) lgkmcnt(2)
	v_mul_f64 v[60:61], v[44:45], v[18:19]
	v_mul_f64 v[18:19], v[46:47], v[18:19]
	v_fmac_f64_e32 v[58:59], v[42:43], v[12:13]
	v_fma_f64 v[8:9], v[40:41], v[12:13], -v[14:15]
	v_add_f64 v[2:3], v[2:3], v[56:57]
	v_add_f64 v[4:5], v[4:5], v[6:7]
	;; [unrolled: 7-line block ×4, first 2 shown]
	v_fmac_f64_e32 v[64:65], v[54:55], v[24:25]
	v_fma_f64 v[14:15], v[52:53], v[24:25], -v[26:27]
	v_add_f64 v[2:3], v[2:3], v[62:63]
	v_add_f64 v[4:5], v[4:5], v[12:13]
	;; [unrolled: 1-line block ×4, first 2 shown]
	s_waitcnt vmcnt(0)
	v_add_f64 v[2:3], v[28:29], -v[2:3]
	v_add_f64 v[4:5], v[30:31], -v[6:7]
	scratch_store_dwordx4 off, v[2:5], off offset:704
	s_and_saveexec_b64 s[0:1], vcc
	s_cbranch_execz .LBB49_229
; %bb.228:
	scratch_load_dwordx4 v[2:5], off, s22
	v_mov_b32_e32 v6, 0
	v_mov_b32_e32 v7, v6
	;; [unrolled: 1-line block ×4, first 2 shown]
	v_accvgpr_read_b32 v0, a101
	scratch_store_dwordx4 off, v[6:9], off offset:688
	s_waitcnt vmcnt(1)
	ds_write_b128 v0, v[2:5]
.LBB49_229:
	s_or_b64 exec, exec, s[0:1]
	v_mov_b32_e32 v2, 0
	s_waitcnt lgkmcnt(0)
	; wave barrier
	ds_read_b128 v[4:7], v2 offset:1488
	ds_read_b128 v[8:11], v2 offset:1504
	;; [unrolled: 1-line block ×4, first 2 shown]
	scratch_load_dwordx4 v[20:23], off, off offset:704
	scratch_load_dwordx4 v[40:43], off, off offset:768
	v_cmp_lt_u32_e32 vcc, 41, v242
	scratch_load_dwordx4 v[48:51], off, off offset:784
	scratch_load_dwordx4 v[56:59], off, off offset:800
	s_waitcnt vmcnt(3) lgkmcnt(3)
	v_mul_f64 v[24:25], v[4:5], v[22:23]
	v_fmac_f64_e32 v[24:25], v[6:7], v[20:21]
	v_add_f64 v[28:29], v[24:25], 0
	scratch_load_dwordx4 v[24:27], off, off offset:720
	v_mul_f64 v[6:7], v[6:7], v[22:23]
	v_fma_f64 v[4:5], v[4:5], v[20:21], -v[6:7]
	v_add_f64 v[4:5], v[4:5], 0
	s_waitcnt vmcnt(0) lgkmcnt(2)
	v_mul_f64 v[30:31], v[8:9], v[26:27]
	v_fmac_f64_e32 v[30:31], v[10:11], v[24:25]
	v_add_f64 v[32:33], v[28:29], v[30:31]
	scratch_load_dwordx4 v[28:31], off, off offset:736
	v_mul_f64 v[6:7], v[10:11], v[26:27]
	v_fma_f64 v[6:7], v[8:9], v[24:25], -v[6:7]
	v_add_f64 v[4:5], v[4:5], v[6:7]
	;; [unrolled: 8-line block ×3, first 2 shown]
	s_waitcnt vmcnt(0) lgkmcnt(0)
	v_mul_f64 v[38:39], v[16:17], v[34:35]
	v_fmac_f64_e32 v[38:39], v[18:19], v[32:33]
	v_add_f64 v[44:45], v[36:37], v[38:39]
	ds_read_b128 v[36:39], v2 offset:1552
	v_mul_f64 v[6:7], v[18:19], v[34:35]
	v_fma_f64 v[6:7], v[16:17], v[32:33], -v[6:7]
	v_add_f64 v[4:5], v[4:5], v[6:7]
	s_waitcnt lgkmcnt(0)
	v_mul_f64 v[46:47], v[36:37], v[42:43]
	v_fmac_f64_e32 v[46:47], v[38:39], v[40:41]
	v_add_f64 v[52:53], v[44:45], v[46:47]
	ds_read_b128 v[44:47], v2 offset:1568
	v_mul_f64 v[6:7], v[38:39], v[42:43]
	v_fma_f64 v[6:7], v[36:37], v[40:41], -v[6:7]
	v_add_f64 v[4:5], v[4:5], v[6:7]
	s_waitcnt lgkmcnt(0)
	;; [unrolled: 8-line block ×3, first 2 shown]
	v_mul_f64 v[6:7], v[54:55], v[58:59]
	v_fma_f64 v[6:7], v[52:53], v[56:57], -v[6:7]
	v_add_f64 v[8:9], v[4:5], v[6:7]
	scratch_load_dwordx4 v[4:7], off, off offset:688
	v_mul_f64 v[62:63], v[52:53], v[58:59]
	v_fmac_f64_e32 v[62:63], v[54:55], v[56:57]
	v_add_f64 v[60:61], v[60:61], v[62:63]
	s_waitcnt vmcnt(0)
	v_add_f64 v[4:5], v[4:5], -v[8:9]
	v_add_f64 v[6:7], v[6:7], -v[60:61]
	scratch_store_dwordx4 off, v[4:7], off offset:688
	s_and_saveexec_b64 s[0:1], vcc
	s_cbranch_execz .LBB49_231
; %bb.230:
	scratch_load_dwordx4 v[6:9], off, s20
	v_mov_b32_e32 v3, v2
	v_mov_b32_e32 v4, v2
	;; [unrolled: 1-line block ×3, first 2 shown]
	v_accvgpr_read_b32 v0, a101
	scratch_store_dwordx4 off, v[2:5], off offset:672
	s_waitcnt vmcnt(1)
	ds_write_b128 v0, v[6:9]
.LBB49_231:
	s_or_b64 exec, exec, s[0:1]
	s_waitcnt lgkmcnt(0)
	; wave barrier
	scratch_load_dwordx4 v[4:7], off, off offset:688
	scratch_load_dwordx4 v[8:11], off, off offset:704
	;; [unrolled: 1-line block ×9, first 2 shown]
	ds_read_b128 v[40:43], v2 offset:1472
	ds_read_b128 v[44:47], v2 offset:1488
	ds_read_b128 v[48:51], v2 offset:1504
	ds_read_b128 v[52:55], v2 offset:1520
	ds_read_b128 v[56:59], v2 offset:1536
	ds_read_b128 v[60:63], v2 offset:1552
	ds_read_b128 v[64:67], v2 offset:1568
	ds_read_b128 v[68:71], v2 offset:1584
	v_cmp_lt_u32_e32 vcc, 40, v242
	s_waitcnt vmcnt(8) lgkmcnt(7)
	v_mul_f64 v[2:3], v[40:41], v[6:7]
	v_mul_f64 v[6:7], v[42:43], v[6:7]
	s_waitcnt vmcnt(7) lgkmcnt(6)
	v_mul_f64 v[72:73], v[44:45], v[10:11]
	v_mul_f64 v[10:11], v[46:47], v[10:11]
	v_fmac_f64_e32 v[2:3], v[42:43], v[4:5]
	v_fma_f64 v[4:5], v[40:41], v[4:5], -v[6:7]
	s_waitcnt vmcnt(6) lgkmcnt(5)
	v_mul_f64 v[74:75], v[48:49], v[14:15]
	v_mul_f64 v[14:15], v[50:51], v[14:15]
	v_fmac_f64_e32 v[72:73], v[46:47], v[8:9]
	v_fma_f64 v[6:7], v[44:45], v[8:9], -v[10:11]
	v_add_f64 v[2:3], v[2:3], 0
	v_add_f64 v[4:5], v[4:5], 0
	s_waitcnt vmcnt(5) lgkmcnt(4)
	v_mul_f64 v[76:77], v[52:53], v[18:19]
	v_mul_f64 v[18:19], v[54:55], v[18:19]
	v_fmac_f64_e32 v[74:75], v[50:51], v[12:13]
	v_fma_f64 v[8:9], v[48:49], v[12:13], -v[14:15]
	v_add_f64 v[2:3], v[2:3], v[72:73]
	v_add_f64 v[4:5], v[4:5], v[6:7]
	;; [unrolled: 7-line block ×6, first 2 shown]
	v_fmac_f64_e32 v[84:85], v[70:71], v[32:33]
	v_fma_f64 v[18:19], v[68:69], v[32:33], -v[34:35]
	v_add_f64 v[2:3], v[2:3], v[82:83]
	v_add_f64 v[4:5], v[4:5], v[16:17]
	;; [unrolled: 1-line block ×4, first 2 shown]
	s_waitcnt vmcnt(0)
	v_add_f64 v[2:3], v[36:37], -v[2:3]
	v_add_f64 v[4:5], v[38:39], -v[6:7]
	scratch_store_dwordx4 off, v[2:5], off offset:672
	s_and_saveexec_b64 s[0:1], vcc
	s_cbranch_execz .LBB49_233
; %bb.232:
	scratch_load_dwordx4 v[2:5], off, s15
	v_mov_b32_e32 v6, 0
	v_mov_b32_e32 v7, v6
	;; [unrolled: 1-line block ×4, first 2 shown]
	v_accvgpr_read_b32 v0, a101
	scratch_store_dwordx4 off, v[6:9], off offset:656
	s_waitcnt vmcnt(1)
	ds_write_b128 v0, v[2:5]
.LBB49_233:
	s_or_b64 exec, exec, s[0:1]
	s_waitcnt lgkmcnt(0)
	; wave barrier
	scratch_load_dwordx4 v[4:7], off, off offset:672
	scratch_load_dwordx4 v[8:11], off, off offset:688
	;; [unrolled: 1-line block ×10, first 2 shown]
	v_mov_b32_e32 v2, 0
	ds_read_b128 v[44:47], v2 offset:1456
	ds_read_b128 v[48:51], v2 offset:1472
	;; [unrolled: 1-line block ×9, first 2 shown]
	v_cmp_lt_u32_e32 vcc, 39, v242
	s_waitcnt vmcnt(9) lgkmcnt(8)
	v_mul_f64 v[80:81], v[44:45], v[6:7]
	v_mul_f64 v[6:7], v[46:47], v[6:7]
	s_waitcnt vmcnt(8) lgkmcnt(7)
	v_mul_f64 v[82:83], v[48:49], v[10:11]
	s_waitcnt vmcnt(7) lgkmcnt(6)
	;; [unrolled: 2-line block ×3, first 2 shown]
	v_mul_f64 v[88:89], v[60:61], v[22:23]
	v_mul_f64 v[10:11], v[50:51], v[10:11]
	;; [unrolled: 1-line block ×4, first 2 shown]
	v_fmac_f64_e32 v[80:81], v[46:47], v[4:5]
	v_fma_f64 v[4:5], v[44:45], v[4:5], -v[6:7]
	v_fmac_f64_e32 v[82:83], v[50:51], v[8:9]
	v_fmac_f64_e32 v[84:85], v[54:55], v[12:13]
	v_fma_f64 v[6:7], v[48:49], v[8:9], -v[10:11]
	v_fma_f64 v[8:9], v[52:53], v[12:13], -v[14:15]
	;; [unrolled: 1-line block ×3, first 2 shown]
	v_add_f64 v[22:23], v[80:81], 0
	v_add_f64 v[4:5], v[4:5], 0
	v_mul_f64 v[86:87], v[56:57], v[18:19]
	v_mul_f64 v[18:19], v[58:59], v[18:19]
	v_add_f64 v[22:23], v[22:23], v[82:83]
	v_add_f64 v[4:5], v[4:5], v[6:7]
	v_fmac_f64_e32 v[86:87], v[58:59], v[16:17]
	v_fma_f64 v[10:11], v[56:57], v[16:17], -v[18:19]
	v_add_f64 v[6:7], v[22:23], v[84:85]
	v_add_f64 v[4:5], v[4:5], v[8:9]
	s_waitcnt vmcnt(4) lgkmcnt(3)
	v_mul_f64 v[90:91], v[64:65], v[26:27]
	v_mul_f64 v[26:27], v[66:67], v[26:27]
	v_fmac_f64_e32 v[88:89], v[62:63], v[20:21]
	v_add_f64 v[6:7], v[6:7], v[86:87]
	v_add_f64 v[4:5], v[4:5], v[10:11]
	s_waitcnt vmcnt(3) lgkmcnt(2)
	v_mul_f64 v[92:93], v[68:69], v[30:31]
	v_mul_f64 v[30:31], v[70:71], v[30:31]
	v_fmac_f64_e32 v[90:91], v[66:67], v[24:25]
	v_fma_f64 v[14:15], v[64:65], v[24:25], -v[26:27]
	v_add_f64 v[6:7], v[6:7], v[88:89]
	v_add_f64 v[4:5], v[4:5], v[12:13]
	s_waitcnt vmcnt(2) lgkmcnt(1)
	v_mul_f64 v[94:95], v[72:73], v[34:35]
	v_mul_f64 v[34:35], v[74:75], v[34:35]
	v_fmac_f64_e32 v[92:93], v[70:71], v[28:29]
	v_fma_f64 v[16:17], v[68:69], v[28:29], -v[30:31]
	;; [unrolled: 7-line block ×3, first 2 shown]
	v_add_f64 v[6:7], v[6:7], v[92:93]
	v_add_f64 v[4:5], v[4:5], v[16:17]
	v_fmac_f64_e32 v[96:97], v[78:79], v[36:37]
	v_fma_f64 v[20:21], v[76:77], v[36:37], -v[38:39]
	v_add_f64 v[6:7], v[6:7], v[94:95]
	v_add_f64 v[4:5], v[4:5], v[18:19]
	;; [unrolled: 1-line block ×4, first 2 shown]
	s_waitcnt vmcnt(0)
	v_add_f64 v[4:5], v[40:41], -v[4:5]
	v_add_f64 v[6:7], v[42:43], -v[6:7]
	scratch_store_dwordx4 off, v[4:7], off offset:656
	s_and_saveexec_b64 s[0:1], vcc
	s_cbranch_execz .LBB49_235
; %bb.234:
	scratch_load_dwordx4 v[6:9], off, s14
	v_mov_b32_e32 v3, v2
	v_mov_b32_e32 v4, v2
	;; [unrolled: 1-line block ×3, first 2 shown]
	v_accvgpr_read_b32 v0, a101
	scratch_store_dwordx4 off, v[2:5], off offset:640
	s_waitcnt vmcnt(1)
	ds_write_b128 v0, v[6:9]
.LBB49_235:
	s_or_b64 exec, exec, s[0:1]
	s_waitcnt lgkmcnt(0)
	; wave barrier
	scratch_load_dwordx4 v[4:7], off, off offset:656
	scratch_load_dwordx4 v[8:11], off, off offset:672
	scratch_load_dwordx4 v[12:15], off, off offset:688
	scratch_load_dwordx4 v[16:19], off, off offset:704
	scratch_load_dwordx4 v[20:23], off, off offset:720
	scratch_load_dwordx4 v[24:27], off, off offset:736
	scratch_load_dwordx4 v[28:31], off, off offset:752
	scratch_load_dwordx4 v[32:35], off, off offset:768
	scratch_load_dwordx4 v[36:39], off, off offset:784
	scratch_load_dwordx4 v[40:43], off, off offset:800
	scratch_load_dwordx4 v[44:47], off, off offset:640
	ds_read_b128 v[48:51], v2 offset:1440
	ds_read_b128 v[52:55], v2 offset:1456
	;; [unrolled: 1-line block ×10, first 2 shown]
	v_cmp_lt_u32_e32 vcc, 38, v242
	s_waitcnt vmcnt(10) lgkmcnt(9)
	v_mul_f64 v[2:3], v[48:49], v[6:7]
	v_mul_f64 v[6:7], v[50:51], v[6:7]
	s_waitcnt vmcnt(9) lgkmcnt(8)
	v_mul_f64 v[88:89], v[52:53], v[10:11]
	v_mul_f64 v[10:11], v[54:55], v[10:11]
	v_fmac_f64_e32 v[2:3], v[50:51], v[4:5]
	v_fma_f64 v[4:5], v[48:49], v[4:5], -v[6:7]
	s_waitcnt vmcnt(8) lgkmcnt(7)
	v_mul_f64 v[90:91], v[56:57], v[14:15]
	v_mul_f64 v[14:15], v[58:59], v[14:15]
	v_fmac_f64_e32 v[88:89], v[54:55], v[8:9]
	v_fma_f64 v[6:7], v[52:53], v[8:9], -v[10:11]
	v_add_f64 v[2:3], v[2:3], 0
	v_add_f64 v[4:5], v[4:5], 0
	s_waitcnt vmcnt(7) lgkmcnt(6)
	v_mul_f64 v[92:93], v[60:61], v[18:19]
	v_mul_f64 v[18:19], v[62:63], v[18:19]
	v_fmac_f64_e32 v[90:91], v[58:59], v[12:13]
	v_fma_f64 v[8:9], v[56:57], v[12:13], -v[14:15]
	v_add_f64 v[2:3], v[2:3], v[88:89]
	v_add_f64 v[4:5], v[4:5], v[6:7]
	;; [unrolled: 7-line block ×8, first 2 shown]
	v_fmac_f64_e32 v[104:105], v[86:87], v[40:41]
	v_fma_f64 v[22:23], v[84:85], v[40:41], -v[42:43]
	v_add_f64 v[2:3], v[2:3], v[102:103]
	v_add_f64 v[4:5], v[4:5], v[20:21]
	;; [unrolled: 1-line block ×4, first 2 shown]
	s_waitcnt vmcnt(0)
	v_add_f64 v[2:3], v[44:45], -v[2:3]
	v_add_f64 v[4:5], v[46:47], -v[6:7]
	scratch_store_dwordx4 off, v[2:5], off offset:640
	s_and_saveexec_b64 s[0:1], vcc
	s_cbranch_execz .LBB49_237
; %bb.236:
	scratch_load_dwordx4 v[2:5], off, s13
	v_mov_b32_e32 v6, 0
	v_mov_b32_e32 v7, v6
	;; [unrolled: 1-line block ×4, first 2 shown]
	v_accvgpr_read_b32 v0, a101
	scratch_store_dwordx4 off, v[6:9], off offset:624
	s_waitcnt vmcnt(1)
	ds_write_b128 v0, v[2:5]
.LBB49_237:
	s_or_b64 exec, exec, s[0:1]
	s_waitcnt lgkmcnt(0)
	; wave barrier
	scratch_load_dwordx4 v[4:7], off, off offset:640
	scratch_load_dwordx4 v[8:11], off, off offset:656
	;; [unrolled: 1-line block ×12, first 2 shown]
	v_mov_b32_e32 v2, 0
	ds_read_b128 v[52:55], v2 offset:1424
	ds_read_b128 v[56:59], v2 offset:1440
	;; [unrolled: 1-line block ×11, first 2 shown]
	v_cmp_lt_u32_e32 vcc, 37, v242
	s_waitcnt vmcnt(11) lgkmcnt(10)
	v_mul_f64 v[96:97], v[52:53], v[6:7]
	v_mul_f64 v[6:7], v[54:55], v[6:7]
	s_waitcnt vmcnt(10) lgkmcnt(9)
	v_mul_f64 v[98:99], v[56:57], v[10:11]
	s_waitcnt vmcnt(9) lgkmcnt(8)
	v_mul_f64 v[100:101], v[60:61], v[14:15]
	v_mul_f64 v[10:11], v[58:59], v[10:11]
	s_waitcnt vmcnt(6) lgkmcnt(5)
	v_mul_f64 v[106:107], v[72:73], v[26:27]
	v_mul_f64 v[14:15], v[62:63], v[14:15]
	;; [unrolled: 1-line block ×3, first 2 shown]
	v_fmac_f64_e32 v[96:97], v[54:55], v[4:5]
	v_fma_f64 v[4:5], v[52:53], v[4:5], -v[6:7]
	v_fmac_f64_e32 v[98:99], v[58:59], v[8:9]
	v_fma_f64 v[6:7], v[56:57], v[8:9], -v[10:11]
	v_fma_f64 v[8:9], v[60:61], v[12:13], -v[14:15]
	;; [unrolled: 1-line block ×3, first 2 shown]
	v_add_f64 v[26:27], v[96:97], 0
	v_add_f64 v[4:5], v[4:5], 0
	v_mul_f64 v[102:103], v[64:65], v[18:19]
	v_mul_f64 v[18:19], v[66:67], v[18:19]
	v_fmac_f64_e32 v[100:101], v[62:63], v[12:13]
	v_add_f64 v[26:27], v[26:27], v[98:99]
	v_add_f64 v[4:5], v[4:5], v[6:7]
	v_mul_f64 v[104:105], v[68:69], v[22:23]
	v_mul_f64 v[22:23], v[70:71], v[22:23]
	v_fmac_f64_e32 v[102:103], v[66:67], v[16:17]
	v_fma_f64 v[10:11], v[64:65], v[16:17], -v[18:19]
	v_add_f64 v[6:7], v[26:27], v[100:101]
	v_add_f64 v[4:5], v[4:5], v[8:9]
	v_fmac_f64_e32 v[104:105], v[70:71], v[20:21]
	v_fma_f64 v[12:13], v[68:69], v[20:21], -v[22:23]
	v_add_f64 v[6:7], v[6:7], v[102:103]
	v_add_f64 v[4:5], v[4:5], v[10:11]
	s_waitcnt vmcnt(5) lgkmcnt(4)
	v_mul_f64 v[108:109], v[76:77], v[30:31]
	v_mul_f64 v[30:31], v[78:79], v[30:31]
	v_fmac_f64_e32 v[106:107], v[74:75], v[24:25]
	v_add_f64 v[6:7], v[6:7], v[104:105]
	v_add_f64 v[4:5], v[4:5], v[12:13]
	s_waitcnt vmcnt(4) lgkmcnt(3)
	v_mul_f64 v[110:111], v[80:81], v[34:35]
	v_mul_f64 v[34:35], v[82:83], v[34:35]
	v_fmac_f64_e32 v[108:109], v[78:79], v[28:29]
	v_fma_f64 v[16:17], v[76:77], v[28:29], -v[30:31]
	v_add_f64 v[6:7], v[6:7], v[106:107]
	v_add_f64 v[4:5], v[4:5], v[14:15]
	s_waitcnt vmcnt(3) lgkmcnt(2)
	v_mul_f64 v[112:113], v[84:85], v[38:39]
	v_mul_f64 v[38:39], v[86:87], v[38:39]
	v_fmac_f64_e32 v[110:111], v[82:83], v[32:33]
	v_fma_f64 v[18:19], v[80:81], v[32:33], -v[34:35]
	;; [unrolled: 7-line block ×4, first 2 shown]
	v_add_f64 v[6:7], v[6:7], v[112:113]
	v_add_f64 v[4:5], v[4:5], v[20:21]
	v_fmac_f64_e32 v[116:117], v[94:95], v[44:45]
	v_fma_f64 v[24:25], v[92:93], v[44:45], -v[46:47]
	v_add_f64 v[6:7], v[6:7], v[114:115]
	v_add_f64 v[4:5], v[4:5], v[22:23]
	;; [unrolled: 1-line block ×4, first 2 shown]
	s_waitcnt vmcnt(0)
	v_add_f64 v[4:5], v[48:49], -v[4:5]
	v_add_f64 v[6:7], v[50:51], -v[6:7]
	scratch_store_dwordx4 off, v[4:7], off offset:624
	s_and_saveexec_b64 s[0:1], vcc
	s_cbranch_execz .LBB49_239
; %bb.238:
	scratch_load_dwordx4 v[6:9], off, s12
	v_mov_b32_e32 v3, v2
	v_mov_b32_e32 v4, v2
	;; [unrolled: 1-line block ×3, first 2 shown]
	v_accvgpr_read_b32 v0, a101
	scratch_store_dwordx4 off, v[2:5], off offset:608
	s_waitcnt vmcnt(1)
	ds_write_b128 v0, v[6:9]
.LBB49_239:
	s_or_b64 exec, exec, s[0:1]
	s_waitcnt lgkmcnt(0)
	; wave barrier
	scratch_load_dwordx4 v[4:7], off, off offset:624
	scratch_load_dwordx4 v[8:11], off, off offset:640
	;; [unrolled: 1-line block ×12, first 2 shown]
	ds_read_b128 v[52:55], v2 offset:1408
	ds_read_b128 v[56:59], v2 offset:1424
	;; [unrolled: 1-line block ×4, first 2 shown]
	scratch_load_dwordx4 v[68:71], off, off offset:608
	ds_read_b128 v[72:75], v2 offset:1472
	ds_read_b128 v[76:79], v2 offset:1488
	;; [unrolled: 1-line block ×8, first 2 shown]
	v_cmp_lt_u32_e32 vcc, 36, v242
	s_waitcnt vmcnt(12) lgkmcnt(11)
	v_mul_f64 v[2:3], v[52:53], v[6:7]
	s_waitcnt vmcnt(11) lgkmcnt(10)
	v_mul_f64 v[104:105], v[56:57], v[10:11]
	v_fmac_f64_e32 v[2:3], v[54:55], v[4:5]
	s_waitcnt vmcnt(10) lgkmcnt(9)
	v_mul_f64 v[106:107], v[60:61], v[14:15]
	v_mul_f64 v[6:7], v[54:55], v[6:7]
	v_fmac_f64_e32 v[104:105], v[58:59], v[8:9]
	v_add_f64 v[2:3], v[2:3], 0
	s_waitcnt vmcnt(9) lgkmcnt(8)
	v_mul_f64 v[108:109], v[64:65], v[18:19]
	v_mul_f64 v[10:11], v[58:59], v[10:11]
	v_fmac_f64_e32 v[106:107], v[62:63], v[12:13]
	v_fma_f64 v[4:5], v[52:53], v[4:5], -v[6:7]
	v_add_f64 v[2:3], v[2:3], v[104:105]
	s_waitcnt vmcnt(8) lgkmcnt(7)
	v_mul_f64 v[110:111], v[72:73], v[22:23]
	v_mul_f64 v[14:15], v[62:63], v[14:15]
	v_fmac_f64_e32 v[108:109], v[66:67], v[16:17]
	v_fma_f64 v[6:7], v[56:57], v[8:9], -v[10:11]
	v_add_f64 v[4:5], v[4:5], 0
	v_add_f64 v[2:3], v[2:3], v[106:107]
	s_waitcnt vmcnt(7) lgkmcnt(6)
	v_mul_f64 v[112:113], v[76:77], v[26:27]
	v_mul_f64 v[18:19], v[66:67], v[18:19]
	v_fmac_f64_e32 v[110:111], v[74:75], v[20:21]
	v_fma_f64 v[8:9], v[60:61], v[12:13], -v[14:15]
	v_add_f64 v[4:5], v[4:5], v[6:7]
	;; [unrolled: 7-line block ×8, first 2 shown]
	v_add_f64 v[2:3], v[2:3], v[120:121]
	v_mul_f64 v[46:47], v[98:99], v[46:47]
	v_fmac_f64_e32 v[124:125], v[102:103], v[48:49]
	v_fma_f64 v[22:23], v[92:93], v[40:41], -v[42:43]
	v_add_f64 v[4:5], v[4:5], v[20:21]
	v_add_f64 v[2:3], v[2:3], v[122:123]
	v_add_f64 v[4:5], v[4:5], v[22:23]
	v_add_f64 v[6:7], v[2:3], v[124:125]
	v_fma_f64 v[2:3], v[96:97], v[44:45], -v[46:47]
	v_add_f64 v[2:3], v[4:5], v[2:3]
	v_mul_f64 v[4:5], v[102:103], v[50:51]
	v_fma_f64 v[4:5], v[100:101], v[48:49], -v[4:5]
	v_add_f64 v[2:3], v[2:3], v[4:5]
	s_waitcnt vmcnt(0)
	v_add_f64 v[2:3], v[68:69], -v[2:3]
	v_add_f64 v[4:5], v[70:71], -v[6:7]
	scratch_store_dwordx4 off, v[2:5], off offset:608
	s_and_saveexec_b64 s[0:1], vcc
	s_cbranch_execz .LBB49_241
; %bb.240:
	scratch_load_dwordx4 v[2:5], off, s62
	v_mov_b32_e32 v6, 0
	v_mov_b32_e32 v7, v6
	v_mov_b32_e32 v8, v6
	v_mov_b32_e32 v9, v6
	v_accvgpr_read_b32 v0, a101
	scratch_store_dwordx4 off, v[6:9], off offset:592
	s_waitcnt vmcnt(1)
	ds_write_b128 v0, v[2:5]
.LBB49_241:
	s_or_b64 exec, exec, s[0:1]
	s_waitcnt lgkmcnt(0)
	; wave barrier
	scratch_load_dwordx4 v[4:7], off, off offset:608
	scratch_load_dwordx4 v[8:11], off, off offset:624
	;; [unrolled: 1-line block ×14, first 2 shown]
	v_mov_b32_e32 v2, 0
	ds_read_b128 v[60:63], v2 offset:1392
	ds_read_b128 v[64:67], v2 offset:1408
	;; [unrolled: 1-line block ×13, first 2 shown]
	v_cmp_lt_u32_e32 vcc, 35, v242
	s_waitcnt vmcnt(13) lgkmcnt(12)
	v_mul_f64 v[112:113], v[60:61], v[6:7]
	v_mul_f64 v[6:7], v[62:63], v[6:7]
	s_waitcnt vmcnt(12) lgkmcnt(11)
	v_mul_f64 v[114:115], v[64:65], v[10:11]
	v_mul_f64 v[10:11], v[66:67], v[10:11]
	v_fmac_f64_e32 v[112:113], v[62:63], v[4:5]
	v_fma_f64 v[4:5], v[60:61], v[4:5], -v[6:7]
	s_waitcnt vmcnt(11) lgkmcnt(10)
	v_mul_f64 v[116:117], v[68:69], v[14:15]
	v_mul_f64 v[14:15], v[70:71], v[14:15]
	v_fma_f64 v[6:7], v[64:65], v[8:9], -v[10:11]
	v_add_f64 v[4:5], v[4:5], 0
	s_waitcnt vmcnt(10) lgkmcnt(9)
	v_mul_f64 v[118:119], v[72:73], v[18:19]
	v_mul_f64 v[18:19], v[74:75], v[18:19]
	v_fmac_f64_e32 v[114:115], v[66:67], v[8:9]
	v_fma_f64 v[8:9], v[68:69], v[12:13], -v[14:15]
	v_add_f64 v[4:5], v[4:5], v[6:7]
	s_waitcnt vmcnt(9) lgkmcnt(8)
	v_mul_f64 v[120:121], v[76:77], v[22:23]
	v_mul_f64 v[22:23], v[78:79], v[22:23]
	v_fma_f64 v[10:11], v[72:73], v[16:17], -v[18:19]
	v_add_f64 v[4:5], v[4:5], v[8:9]
	s_waitcnt vmcnt(8) lgkmcnt(7)
	v_mul_f64 v[122:123], v[80:81], v[26:27]
	v_mul_f64 v[26:27], v[82:83], v[26:27]
	v_fmac_f64_e32 v[116:117], v[70:71], v[12:13]
	v_fma_f64 v[12:13], v[76:77], v[20:21], -v[22:23]
	v_add_f64 v[22:23], v[112:113], 0
	v_add_f64 v[4:5], v[4:5], v[10:11]
	s_waitcnt vmcnt(7) lgkmcnt(6)
	v_mul_f64 v[124:125], v[84:85], v[30:31]
	v_mul_f64 v[30:31], v[86:87], v[30:31]
	v_fma_f64 v[14:15], v[80:81], v[24:25], -v[26:27]
	v_add_f64 v[22:23], v[22:23], v[114:115]
	v_add_f64 v[4:5], v[4:5], v[12:13]
	s_waitcnt vmcnt(6) lgkmcnt(5)
	v_mul_f64 v[126:127], v[88:89], v[34:35]
	v_mul_f64 v[34:35], v[90:91], v[34:35]
	v_fmac_f64_e32 v[118:119], v[74:75], v[16:17]
	v_fma_f64 v[16:17], v[84:85], v[28:29], -v[30:31]
	v_add_f64 v[6:7], v[22:23], v[116:117]
	v_add_f64 v[4:5], v[4:5], v[14:15]
	s_waitcnt vmcnt(5) lgkmcnt(4)
	v_mul_f64 v[128:129], v[92:93], v[38:39]
	v_mul_f64 v[38:39], v[94:95], v[38:39]
	v_fmac_f64_e32 v[120:121], v[78:79], v[20:21]
	v_fma_f64 v[18:19], v[88:89], v[32:33], -v[34:35]
	v_add_f64 v[6:7], v[6:7], v[118:119]
	v_add_f64 v[4:5], v[4:5], v[16:17]
	v_fmac_f64_e32 v[122:123], v[82:83], v[24:25]
	v_fma_f64 v[20:21], v[92:93], v[36:37], -v[38:39]
	v_add_f64 v[6:7], v[6:7], v[120:121]
	v_add_f64 v[4:5], v[4:5], v[18:19]
	s_waitcnt vmcnt(4) lgkmcnt(3)
	v_mul_f64 v[8:9], v[98:99], v[42:43]
	v_fmac_f64_e32 v[124:125], v[86:87], v[28:29]
	v_add_f64 v[6:7], v[6:7], v[122:123]
	v_add_f64 v[4:5], v[4:5], v[20:21]
	v_fma_f64 v[8:9], v[96:97], v[40:41], -v[8:9]
	v_fmac_f64_e32 v[126:127], v[90:91], v[32:33]
	v_add_f64 v[6:7], v[6:7], v[124:125]
	v_add_f64 v[4:5], v[4:5], v[8:9]
	s_waitcnt vmcnt(3) lgkmcnt(2)
	v_mul_f64 v[8:9], v[102:103], v[46:47]
	v_mul_f64 v[130:131], v[96:97], v[42:43]
	v_fmac_f64_e32 v[128:129], v[94:95], v[36:37]
	v_add_f64 v[6:7], v[6:7], v[126:127]
	v_fma_f64 v[8:9], v[100:101], v[44:45], -v[8:9]
	v_mul_f64 v[132:133], v[100:101], v[46:47]
	v_fmac_f64_e32 v[130:131], v[98:99], v[40:41]
	v_add_f64 v[6:7], v[6:7], v[128:129]
	v_add_f64 v[4:5], v[4:5], v[8:9]
	s_waitcnt vmcnt(2) lgkmcnt(1)
	v_mul_f64 v[8:9], v[106:107], v[50:51]
	v_mul_f64 v[134:135], v[104:105], v[50:51]
	v_fmac_f64_e32 v[132:133], v[102:103], v[44:45]
	v_add_f64 v[6:7], v[6:7], v[130:131]
	v_fma_f64 v[8:9], v[104:105], v[48:49], -v[8:9]
	s_waitcnt vmcnt(1) lgkmcnt(0)
	v_mul_f64 v[136:137], v[108:109], v[54:55]
	v_fmac_f64_e32 v[134:135], v[106:107], v[48:49]
	v_add_f64 v[6:7], v[6:7], v[132:133]
	v_add_f64 v[4:5], v[4:5], v[8:9]
	v_mul_f64 v[8:9], v[110:111], v[54:55]
	v_fmac_f64_e32 v[136:137], v[110:111], v[52:53]
	v_add_f64 v[6:7], v[6:7], v[134:135]
	v_fma_f64 v[8:9], v[108:109], v[52:53], -v[8:9]
	v_add_f64 v[6:7], v[6:7], v[136:137]
	v_add_f64 v[4:5], v[4:5], v[8:9]
	s_waitcnt vmcnt(0)
	v_add_f64 v[4:5], v[56:57], -v[4:5]
	v_add_f64 v[6:7], v[58:59], -v[6:7]
	scratch_store_dwordx4 off, v[4:7], off offset:592
	s_and_saveexec_b64 s[0:1], vcc
	s_cbranch_execz .LBB49_243
; %bb.242:
	scratch_load_dwordx4 v[6:9], off, s61
	v_mov_b32_e32 v3, v2
	v_mov_b32_e32 v4, v2
	;; [unrolled: 1-line block ×3, first 2 shown]
	v_accvgpr_read_b32 v0, a101
	scratch_store_dwordx4 off, v[2:5], off offset:576
	s_waitcnt vmcnt(1)
	ds_write_b128 v0, v[6:9]
.LBB49_243:
	s_or_b64 exec, exec, s[0:1]
	s_waitcnt lgkmcnt(0)
	; wave barrier
	scratch_load_dwordx4 v[4:7], off, off offset:592
	scratch_load_dwordx4 v[8:11], off, off offset:608
	;; [unrolled: 1-line block ×14, first 2 shown]
	ds_read_b128 v[60:63], v2 offset:1376
	ds_read_b128 v[64:67], v2 offset:1392
	;; [unrolled: 1-line block ×14, first 2 shown]
	scratch_load_dwordx4 v[116:119], off, off offset:576
	v_cmp_lt_u32_e32 vcc, 34, v242
	s_waitcnt vmcnt(14) lgkmcnt(13)
	v_mul_f64 v[2:3], v[60:61], v[6:7]
	s_waitcnt vmcnt(13) lgkmcnt(12)
	v_mul_f64 v[120:121], v[64:65], v[10:11]
	v_fmac_f64_e32 v[2:3], v[62:63], v[4:5]
	s_waitcnt vmcnt(12) lgkmcnt(11)
	v_mul_f64 v[122:123], v[68:69], v[14:15]
	v_fmac_f64_e32 v[120:121], v[66:67], v[8:9]
	v_add_f64 v[2:3], v[2:3], 0
	s_waitcnt vmcnt(11) lgkmcnt(10)
	v_mul_f64 v[124:125], v[72:73], v[18:19]
	v_fmac_f64_e32 v[122:123], v[70:71], v[12:13]
	v_add_f64 v[2:3], v[2:3], v[120:121]
	;; [unrolled: 4-line block ×4, first 2 shown]
	s_waitcnt vmcnt(8) lgkmcnt(7)
	v_mul_f64 v[130:131], v[84:85], v[30:31]
	v_mul_f64 v[6:7], v[62:63], v[6:7]
	v_fmac_f64_e32 v[128:129], v[82:83], v[24:25]
	v_add_f64 v[2:3], v[2:3], v[126:127]
	s_waitcnt vmcnt(7) lgkmcnt(6)
	v_mul_f64 v[132:133], v[88:89], v[34:35]
	v_mul_f64 v[10:11], v[66:67], v[10:11]
	v_fmac_f64_e32 v[130:131], v[86:87], v[28:29]
	v_fma_f64 v[4:5], v[60:61], v[4:5], -v[6:7]
	v_add_f64 v[2:3], v[2:3], v[128:129]
	s_waitcnt vmcnt(6) lgkmcnt(5)
	v_mul_f64 v[134:135], v[92:93], v[38:39]
	v_mul_f64 v[14:15], v[70:71], v[14:15]
	v_fmac_f64_e32 v[132:133], v[90:91], v[32:33]
	v_fma_f64 v[6:7], v[64:65], v[8:9], -v[10:11]
	v_add_f64 v[4:5], v[4:5], 0
	v_add_f64 v[2:3], v[2:3], v[130:131]
	s_waitcnt vmcnt(5) lgkmcnt(4)
	v_mul_f64 v[136:137], v[96:97], v[42:43]
	v_mul_f64 v[18:19], v[74:75], v[18:19]
	v_fmac_f64_e32 v[134:135], v[94:95], v[36:37]
	v_fma_f64 v[8:9], v[68:69], v[12:13], -v[14:15]
	v_add_f64 v[4:5], v[4:5], v[6:7]
	;; [unrolled: 7-line block ×6, first 2 shown]
	v_add_f64 v[2:3], v[2:3], v[140:141]
	v_fmac_f64_e32 v[144:145], v[114:115], v[56:57]
	v_fma_f64 v[18:19], v[88:89], v[32:33], -v[34:35]
	v_add_f64 v[4:5], v[4:5], v[16:17]
	v_add_f64 v[2:3], v[2:3], v[142:143]
	;; [unrolled: 1-line block ×4, first 2 shown]
	v_mul_f64 v[4:5], v[94:95], v[38:39]
	v_fma_f64 v[4:5], v[92:93], v[36:37], -v[4:5]
	v_add_f64 v[2:3], v[2:3], v[4:5]
	v_mul_f64 v[4:5], v[98:99], v[42:43]
	v_fma_f64 v[4:5], v[96:97], v[40:41], -v[4:5]
	v_add_f64 v[2:3], v[2:3], v[4:5]
	;; [unrolled: 3-line block ×6, first 2 shown]
	s_waitcnt vmcnt(0)
	v_add_f64 v[2:3], v[116:117], -v[2:3]
	v_add_f64 v[4:5], v[118:119], -v[6:7]
	scratch_store_dwordx4 off, v[2:5], off offset:576
	s_and_saveexec_b64 s[0:1], vcc
	s_cbranch_execz .LBB49_245
; %bb.244:
	scratch_load_dwordx4 v[2:5], off, s60
	v_mov_b32_e32 v6, 0
	v_mov_b32_e32 v7, v6
	;; [unrolled: 1-line block ×4, first 2 shown]
	v_accvgpr_read_b32 v0, a101
	scratch_store_dwordx4 off, v[6:9], off offset:560
	s_waitcnt vmcnt(1)
	ds_write_b128 v0, v[2:5]
.LBB49_245:
	s_or_b64 exec, exec, s[0:1]
	v_mov_b32_e32 v2, 0
	s_waitcnt lgkmcnt(0)
	; wave barrier
	ds_read_b128 v[16:19], v2 offset:1360
	ds_read_b128 v[12:15], v2 offset:1376
	ds_read_b128 v[8:11], v2 offset:1392
	ds_read_b128 v[4:7], v2 offset:1408
	scratch_load_dwordx4 v[20:23], off, off offset:576
	scratch_load_dwordx4 v[40:43], off, off offset:640
	;; [unrolled: 1-line block ×9, first 2 shown]
	v_cmp_lt_u32_e32 vcc, 33, v242
	scratch_load_dwordx4 v[50:53], off, off offset:656
	scratch_load_dwordx4 v[58:61], off, off offset:672
	scratch_load_dwordx4 v[66:69], off, off offset:688
	s_waitcnt vmcnt(11) lgkmcnt(3)
	v_mul_f64 v[24:25], v[16:17], v[22:23]
	v_fmac_f64_e32 v[24:25], v[18:19], v[20:21]
	v_add_f64 v[28:29], v[24:25], 0
	scratch_load_dwordx4 v[24:27], off, off offset:592
	v_mul_f64 v[18:19], v[18:19], v[22:23]
	v_fma_f64 v[16:17], v[16:17], v[20:21], -v[18:19]
	v_add_f64 v[16:17], v[16:17], 0
	s_waitcnt vmcnt(0) lgkmcnt(2)
	v_mul_f64 v[30:31], v[12:13], v[26:27]
	v_fmac_f64_e32 v[30:31], v[14:15], v[24:25]
	v_add_f64 v[32:33], v[28:29], v[30:31]
	scratch_load_dwordx4 v[28:31], off, off offset:608
	v_mul_f64 v[14:15], v[14:15], v[26:27]
	v_fma_f64 v[12:13], v[12:13], v[24:25], -v[14:15]
	v_add_f64 v[12:13], v[16:17], v[12:13]
	;; [unrolled: 8-line block ×3, first 2 shown]
	s_waitcnt vmcnt(0) lgkmcnt(0)
	v_mul_f64 v[38:39], v[4:5], v[34:35]
	v_fmac_f64_e32 v[38:39], v[6:7], v[32:33]
	v_add_f64 v[44:45], v[36:37], v[38:39]
	ds_read_b128 v[36:39], v2 offset:1424
	v_mul_f64 v[6:7], v[6:7], v[34:35]
	v_fma_f64 v[4:5], v[4:5], v[32:33], -v[6:7]
	v_add_f64 v[4:5], v[8:9], v[4:5]
	s_waitcnt lgkmcnt(0)
	v_mul_f64 v[46:47], v[36:37], v[42:43]
	v_fmac_f64_e32 v[46:47], v[38:39], v[40:41]
	v_add_f64 v[48:49], v[44:45], v[46:47]
	ds_read_b128 v[44:47], v2 offset:1440
	v_mul_f64 v[6:7], v[38:39], v[42:43]
	v_fma_f64 v[6:7], v[36:37], v[40:41], -v[6:7]
	v_add_f64 v[4:5], v[4:5], v[6:7]
	s_waitcnt lgkmcnt(0)
	;; [unrolled: 8-line block ×11, first 2 shown]
	v_mul_f64 v[6:7], v[120:121], v[124:125]
	v_fma_f64 v[6:7], v[118:119], v[122:123], -v[6:7]
	v_add_f64 v[8:9], v[4:5], v[6:7]
	scratch_load_dwordx4 v[4:7], off, off offset:560
	v_mul_f64 v[126:127], v[118:119], v[124:125]
	v_fmac_f64_e32 v[126:127], v[120:121], v[122:123]
	v_add_f64 v[48:49], v[48:49], v[126:127]
	s_waitcnt vmcnt(0)
	v_add_f64 v[4:5], v[4:5], -v[8:9]
	v_add_f64 v[6:7], v[6:7], -v[48:49]
	scratch_store_dwordx4 off, v[4:7], off offset:560
	s_and_saveexec_b64 s[0:1], vcc
	s_cbranch_execz .LBB49_247
; %bb.246:
	scratch_load_dwordx4 v[6:9], off, s59
	v_mov_b32_e32 v3, v2
	v_mov_b32_e32 v4, v2
	;; [unrolled: 1-line block ×3, first 2 shown]
	v_accvgpr_read_b32 v0, a101
	scratch_store_dwordx4 off, v[2:5], off offset:544
	s_waitcnt vmcnt(1)
	ds_write_b128 v0, v[6:9]
.LBB49_247:
	s_or_b64 exec, exec, s[0:1]
	s_waitcnt lgkmcnt(0)
	; wave barrier
	ds_read_b128 v[16:19], v2 offset:1344
	ds_read_b128 v[12:15], v2 offset:1360
	;; [unrolled: 1-line block ×4, first 2 shown]
	scratch_load_dwordx4 v[20:23], off, off offset:560
	scratch_load_dwordx4 v[40:43], off, off offset:624
	scratch_load_dwordx4 v[74:77], off, off offset:688
	scratch_load_dwordx4 v[82:85], off, off offset:704
	scratch_load_dwordx4 v[90:93], off, off offset:720
	scratch_load_dwordx4 v[98:101], off, off offset:736
	scratch_load_dwordx4 v[106:109], off, off offset:752
	scratch_load_dwordx4 v[114:117], off, off offset:768
	scratch_load_dwordx4 v[122:125], off, off offset:784
	scratch_load_dwordx4 v[130:133], off, off offset:800
	v_cmp_lt_u32_e32 vcc, 32, v242
	scratch_load_dwordx4 v[48:51], off, off offset:640
	scratch_load_dwordx4 v[56:59], off, off offset:656
	;; [unrolled: 1-line block ×3, first 2 shown]
	s_waitcnt vmcnt(12) lgkmcnt(3)
	v_mul_f64 v[24:25], v[16:17], v[22:23]
	v_fmac_f64_e32 v[24:25], v[18:19], v[20:21]
	v_add_f64 v[28:29], v[24:25], 0
	scratch_load_dwordx4 v[24:27], off, off offset:576
	s_waitcnt vmcnt(0) lgkmcnt(2)
	v_mul_f64 v[30:31], v[12:13], v[26:27]
	v_fmac_f64_e32 v[30:31], v[14:15], v[24:25]
	v_add_f64 v[32:33], v[28:29], v[30:31]
	scratch_load_dwordx4 v[28:31], off, off offset:592
	v_mul_f64 v[14:15], v[14:15], v[26:27]
	v_fma_f64 v[12:13], v[12:13], v[24:25], -v[14:15]
	s_waitcnt vmcnt(0) lgkmcnt(1)
	v_mul_f64 v[34:35], v[8:9], v[30:31]
	v_fmac_f64_e32 v[34:35], v[10:11], v[28:29]
	v_add_f64 v[36:37], v[32:33], v[34:35]
	scratch_load_dwordx4 v[32:35], off, off offset:608
	v_mul_f64 v[10:11], v[10:11], v[30:31]
	v_fma_f64 v[8:9], v[8:9], v[28:29], -v[10:11]
	s_waitcnt vmcnt(0) lgkmcnt(0)
	v_mul_f64 v[38:39], v[4:5], v[34:35]
	v_fmac_f64_e32 v[38:39], v[6:7], v[32:33]
	v_add_f64 v[44:45], v[36:37], v[38:39]
	ds_read_b128 v[36:39], v2 offset:1408
	v_mul_f64 v[6:7], v[6:7], v[34:35]
	v_fma_f64 v[4:5], v[4:5], v[32:33], -v[6:7]
	s_waitcnt lgkmcnt(0)
	v_mul_f64 v[46:47], v[36:37], v[42:43]
	v_fmac_f64_e32 v[46:47], v[38:39], v[40:41]
	v_add_f64 v[52:53], v[44:45], v[46:47]
	ds_read_b128 v[44:47], v2 offset:1424
	s_waitcnt lgkmcnt(0)
	v_mul_f64 v[54:55], v[44:45], v[50:51]
	v_fmac_f64_e32 v[54:55], v[46:47], v[48:49]
	v_add_f64 v[60:61], v[52:53], v[54:55]
	ds_read_b128 v[52:55], v2 offset:1440
	s_waitcnt lgkmcnt(0)
	v_mul_f64 v[62:63], v[52:53], v[58:59]
	v_fmac_f64_e32 v[62:63], v[54:55], v[56:57]
	v_add_f64 v[64:65], v[60:61], v[62:63]
	ds_read_b128 v[60:63], v2 offset:1456
	s_waitcnt lgkmcnt(0)
	v_mul_f64 v[70:71], v[60:61], v[68:69]
	v_fmac_f64_e32 v[70:71], v[62:63], v[66:67]
	v_add_f64 v[64:65], v[64:65], v[70:71]
	ds_read_b128 v[70:73], v2 offset:1472
	s_waitcnt lgkmcnt(0)
	v_mul_f64 v[78:79], v[70:71], v[76:77]
	v_fmac_f64_e32 v[78:79], v[72:73], v[74:75]
	v_add_f64 v[64:65], v[64:65], v[78:79]
	ds_read_b128 v[78:81], v2 offset:1488
	s_waitcnt lgkmcnt(0)
	v_mul_f64 v[86:87], v[78:79], v[84:85]
	v_fmac_f64_e32 v[86:87], v[80:81], v[82:83]
	v_add_f64 v[64:65], v[64:65], v[86:87]
	ds_read_b128 v[86:89], v2 offset:1504
	s_waitcnt lgkmcnt(0)
	v_mul_f64 v[94:95], v[86:87], v[92:93]
	v_fmac_f64_e32 v[94:95], v[88:89], v[90:91]
	v_add_f64 v[64:65], v[64:65], v[94:95]
	ds_read_b128 v[94:97], v2 offset:1520
	s_waitcnt lgkmcnt(0)
	v_mul_f64 v[102:103], v[94:95], v[100:101]
	v_fmac_f64_e32 v[102:103], v[96:97], v[98:99]
	v_add_f64 v[64:65], v[64:65], v[102:103]
	ds_read_b128 v[102:105], v2 offset:1536
	s_waitcnt lgkmcnt(0)
	v_mul_f64 v[110:111], v[102:103], v[108:109]
	v_fmac_f64_e32 v[110:111], v[104:105], v[106:107]
	v_add_f64 v[64:65], v[64:65], v[110:111]
	ds_read_b128 v[110:113], v2 offset:1552
	s_waitcnt lgkmcnt(0)
	v_mul_f64 v[118:119], v[110:111], v[116:117]
	v_fmac_f64_e32 v[118:119], v[112:113], v[114:115]
	v_add_f64 v[64:65], v[64:65], v[118:119]
	ds_read_b128 v[118:121], v2 offset:1568
	s_waitcnt lgkmcnt(0)
	v_mul_f64 v[126:127], v[118:119], v[124:125]
	v_fmac_f64_e32 v[126:127], v[120:121], v[122:123]
	v_add_f64 v[64:65], v[64:65], v[126:127]
	ds_read_b128 v[126:129], v2 offset:1584
	s_waitcnt lgkmcnt(0)
	v_mul_f64 v[2:3], v[126:127], v[132:133]
	v_fmac_f64_e32 v[2:3], v[128:129], v[130:131]
	v_add_f64 v[64:65], v[64:65], v[2:3]
	v_mul_f64 v[2:3], v[18:19], v[22:23]
	v_fma_f64 v[2:3], v[16:17], v[20:21], -v[2:3]
	v_add_f64 v[2:3], v[2:3], 0
	v_add_f64 v[2:3], v[2:3], v[12:13]
	;; [unrolled: 1-line block ×4, first 2 shown]
	v_mul_f64 v[4:5], v[38:39], v[42:43]
	v_fma_f64 v[4:5], v[36:37], v[40:41], -v[4:5]
	v_add_f64 v[2:3], v[2:3], v[4:5]
	v_mul_f64 v[4:5], v[46:47], v[50:51]
	v_fma_f64 v[4:5], v[44:45], v[48:49], -v[4:5]
	v_add_f64 v[2:3], v[2:3], v[4:5]
	;; [unrolled: 3-line block ×12, first 2 shown]
	scratch_load_dwordx4 v[2:5], off, off offset:544
	s_waitcnt vmcnt(0)
	v_add_f64 v[2:3], v[2:3], -v[6:7]
	v_add_f64 v[4:5], v[4:5], -v[64:65]
	scratch_store_dwordx4 off, v[2:5], off offset:544
	s_and_saveexec_b64 s[0:1], vcc
	s_cbranch_execz .LBB49_249
; %bb.248:
	scratch_load_dwordx4 v[2:5], off, s58
	v_mov_b32_e32 v6, 0
	v_mov_b32_e32 v7, v6
	;; [unrolled: 1-line block ×4, first 2 shown]
	v_accvgpr_read_b32 v0, a101
	scratch_store_dwordx4 off, v[6:9], off offset:528
	s_waitcnt vmcnt(1)
	ds_write_b128 v0, v[2:5]
.LBB49_249:
	s_or_b64 exec, exec, s[0:1]
	v_mov_b32_e32 v2, 0
	s_waitcnt lgkmcnt(0)
	; wave barrier
	ds_read_b128 v[16:19], v2 offset:1328
	ds_read_b128 v[12:15], v2 offset:1344
	;; [unrolled: 1-line block ×4, first 2 shown]
	scratch_load_dwordx4 v[20:23], off, off offset:544
	scratch_load_dwordx4 v[40:43], off, off offset:608
	;; [unrolled: 1-line block ×11, first 2 shown]
	v_cmp_lt_u32_e32 vcc, 31, v242
	scratch_load_dwordx4 v[48:51], off, off offset:624
	scratch_load_dwordx4 v[56:59], off, off offset:640
	;; [unrolled: 1-line block ×3, first 2 shown]
	s_waitcnt vmcnt(13) lgkmcnt(3)
	v_mul_f64 v[24:25], v[16:17], v[22:23]
	v_fmac_f64_e32 v[24:25], v[18:19], v[20:21]
	v_add_f64 v[28:29], v[24:25], 0
	scratch_load_dwordx4 v[24:27], off, off offset:560
	v_mul_f64 v[18:19], v[18:19], v[22:23]
	v_fma_f64 v[16:17], v[16:17], v[20:21], -v[18:19]
	v_add_f64 v[16:17], v[16:17], 0
	s_waitcnt vmcnt(0) lgkmcnt(2)
	v_mul_f64 v[30:31], v[12:13], v[26:27]
	v_fmac_f64_e32 v[30:31], v[14:15], v[24:25]
	v_add_f64 v[32:33], v[28:29], v[30:31]
	scratch_load_dwordx4 v[28:31], off, off offset:576
	v_mul_f64 v[14:15], v[14:15], v[26:27]
	v_fma_f64 v[12:13], v[12:13], v[24:25], -v[14:15]
	v_add_f64 v[12:13], v[16:17], v[12:13]
	;; [unrolled: 8-line block ×3, first 2 shown]
	s_waitcnt vmcnt(0) lgkmcnt(0)
	v_mul_f64 v[38:39], v[4:5], v[34:35]
	v_fmac_f64_e32 v[38:39], v[6:7], v[32:33]
	v_add_f64 v[44:45], v[36:37], v[38:39]
	ds_read_b128 v[36:39], v2 offset:1392
	v_mul_f64 v[6:7], v[6:7], v[34:35]
	v_fma_f64 v[4:5], v[4:5], v[32:33], -v[6:7]
	v_add_f64 v[4:5], v[8:9], v[4:5]
	s_waitcnt lgkmcnt(0)
	v_mul_f64 v[46:47], v[36:37], v[42:43]
	v_fmac_f64_e32 v[46:47], v[38:39], v[40:41]
	v_add_f64 v[52:53], v[44:45], v[46:47]
	ds_read_b128 v[44:47], v2 offset:1408
	v_mul_f64 v[6:7], v[38:39], v[42:43]
	v_fma_f64 v[6:7], v[36:37], v[40:41], -v[6:7]
	v_add_f64 v[4:5], v[4:5], v[6:7]
	s_waitcnt lgkmcnt(0)
	v_mul_f64 v[54:55], v[44:45], v[50:51]
	v_fmac_f64_e32 v[54:55], v[46:47], v[48:49]
	v_add_f64 v[60:61], v[52:53], v[54:55]
	ds_read_b128 v[52:55], v2 offset:1424
	v_mul_f64 v[6:7], v[46:47], v[50:51]
	v_fma_f64 v[6:7], v[44:45], v[48:49], -v[6:7]
	v_add_f64 v[4:5], v[4:5], v[6:7]
	s_waitcnt lgkmcnt(0)
	v_mul_f64 v[62:63], v[52:53], v[58:59]
	v_fmac_f64_e32 v[62:63], v[54:55], v[56:57]
	v_add_f64 v[68:69], v[60:61], v[62:63]
	ds_read_b128 v[60:63], v2 offset:1440
	v_mul_f64 v[6:7], v[54:55], v[58:59]
	v_fma_f64 v[6:7], v[52:53], v[56:57], -v[6:7]
	v_add_f64 v[4:5], v[4:5], v[6:7]
	s_waitcnt lgkmcnt(0)
	v_mul_f64 v[70:71], v[60:61], v[66:67]
	v_fmac_f64_e32 v[70:71], v[62:63], v[64:65]
	v_add_f64 v[72:73], v[68:69], v[70:71]
	ds_read_b128 v[68:71], v2 offset:1456
	v_mul_f64 v[6:7], v[62:63], v[66:67]
	v_fma_f64 v[6:7], v[60:61], v[64:65], -v[6:7]
	v_add_f64 v[4:5], v[4:5], v[6:7]
	s_waitcnt lgkmcnt(0)
	v_mul_f64 v[78:79], v[68:69], v[76:77]
	v_fmac_f64_e32 v[78:79], v[70:71], v[74:75]
	v_add_f64 v[72:73], v[72:73], v[78:79]
	ds_read_b128 v[78:81], v2 offset:1472
	v_mul_f64 v[6:7], v[70:71], v[76:77]
	v_fma_f64 v[6:7], v[68:69], v[74:75], -v[6:7]
	v_add_f64 v[4:5], v[4:5], v[6:7]
	s_waitcnt lgkmcnt(0)
	v_mul_f64 v[86:87], v[78:79], v[84:85]
	v_fmac_f64_e32 v[86:87], v[80:81], v[82:83]
	v_add_f64 v[72:73], v[72:73], v[86:87]
	ds_read_b128 v[86:89], v2 offset:1488
	v_mul_f64 v[6:7], v[80:81], v[84:85]
	v_fma_f64 v[6:7], v[78:79], v[82:83], -v[6:7]
	v_add_f64 v[4:5], v[4:5], v[6:7]
	s_waitcnt lgkmcnt(0)
	v_mul_f64 v[94:95], v[86:87], v[92:93]
	v_fmac_f64_e32 v[94:95], v[88:89], v[90:91]
	v_add_f64 v[72:73], v[72:73], v[94:95]
	ds_read_b128 v[94:97], v2 offset:1504
	v_mul_f64 v[6:7], v[88:89], v[92:93]
	v_fma_f64 v[6:7], v[86:87], v[90:91], -v[6:7]
	v_add_f64 v[4:5], v[4:5], v[6:7]
	s_waitcnt lgkmcnt(0)
	v_mul_f64 v[102:103], v[94:95], v[100:101]
	v_fmac_f64_e32 v[102:103], v[96:97], v[98:99]
	v_add_f64 v[72:73], v[72:73], v[102:103]
	ds_read_b128 v[102:105], v2 offset:1520
	v_mul_f64 v[6:7], v[96:97], v[100:101]
	v_fma_f64 v[6:7], v[94:95], v[98:99], -v[6:7]
	v_add_f64 v[4:5], v[4:5], v[6:7]
	s_waitcnt lgkmcnt(0)
	v_mul_f64 v[110:111], v[102:103], v[108:109]
	v_fmac_f64_e32 v[110:111], v[104:105], v[106:107]
	v_add_f64 v[72:73], v[72:73], v[110:111]
	ds_read_b128 v[110:113], v2 offset:1536
	v_mul_f64 v[6:7], v[104:105], v[108:109]
	v_fma_f64 v[6:7], v[102:103], v[106:107], -v[6:7]
	v_add_f64 v[4:5], v[4:5], v[6:7]
	s_waitcnt lgkmcnt(0)
	v_mul_f64 v[118:119], v[110:111], v[116:117]
	v_fmac_f64_e32 v[118:119], v[112:113], v[114:115]
	v_add_f64 v[72:73], v[72:73], v[118:119]
	ds_read_b128 v[118:121], v2 offset:1552
	v_mul_f64 v[6:7], v[112:113], v[116:117]
	v_fma_f64 v[6:7], v[110:111], v[114:115], -v[6:7]
	v_add_f64 v[4:5], v[4:5], v[6:7]
	s_waitcnt lgkmcnt(0)
	v_mul_f64 v[126:127], v[118:119], v[124:125]
	v_fmac_f64_e32 v[126:127], v[120:121], v[122:123]
	v_add_f64 v[72:73], v[72:73], v[126:127]
	ds_read_b128 v[126:129], v2 offset:1568
	v_mul_f64 v[6:7], v[120:121], v[124:125]
	v_fma_f64 v[6:7], v[118:119], v[122:123], -v[6:7]
	v_add_f64 v[4:5], v[4:5], v[6:7]
	s_waitcnt lgkmcnt(0)
	v_mul_f64 v[134:135], v[126:127], v[132:133]
	v_fmac_f64_e32 v[134:135], v[128:129], v[130:131]
	v_add_f64 v[72:73], v[72:73], v[134:135]
	ds_read_b128 v[134:137], v2 offset:1584
	v_mul_f64 v[6:7], v[128:129], v[132:133]
	v_fma_f64 v[6:7], v[126:127], v[130:131], -v[6:7]
	v_add_f64 v[4:5], v[4:5], v[6:7]
	s_waitcnt lgkmcnt(0)
	v_mul_f64 v[6:7], v[136:137], v[140:141]
	v_fma_f64 v[6:7], v[134:135], v[138:139], -v[6:7]
	v_add_f64 v[8:9], v[4:5], v[6:7]
	scratch_load_dwordx4 v[4:7], off, off offset:528
	v_mul_f64 v[142:143], v[134:135], v[140:141]
	v_fmac_f64_e32 v[142:143], v[136:137], v[138:139]
	v_add_f64 v[72:73], v[72:73], v[142:143]
	s_waitcnt vmcnt(0)
	v_add_f64 v[4:5], v[4:5], -v[8:9]
	v_add_f64 v[6:7], v[6:7], -v[72:73]
	scratch_store_dwordx4 off, v[4:7], off offset:528
	s_and_saveexec_b64 s[0:1], vcc
	s_cbranch_execz .LBB49_251
; %bb.250:
	scratch_load_dwordx4 v[6:9], off, s57
	v_mov_b32_e32 v3, v2
	v_mov_b32_e32 v4, v2
	v_mov_b32_e32 v5, v2
	v_accvgpr_read_b32 v0, a101
	scratch_store_dwordx4 off, v[2:5], off offset:512
	s_waitcnt vmcnt(1)
	ds_write_b128 v0, v[6:9]
.LBB49_251:
	s_or_b64 exec, exec, s[0:1]
	s_waitcnt lgkmcnt(0)
	; wave barrier
	ds_read_b128 v[16:19], v2 offset:1312
	ds_read_b128 v[12:15], v2 offset:1328
	;; [unrolled: 1-line block ×4, first 2 shown]
	scratch_load_dwordx4 v[20:23], off, off offset:528
	scratch_load_dwordx4 v[40:43], off, off offset:592
	scratch_load_dwordx4 v[72:75], off, off offset:656
	scratch_load_dwordx4 v[82:85], off, off offset:672
	scratch_load_dwordx4 v[90:93], off, off offset:688
	scratch_load_dwordx4 v[98:101], off, off offset:704
	scratch_load_dwordx4 v[106:109], off, off offset:720
	scratch_load_dwordx4 v[114:117], off, off offset:736
	scratch_load_dwordx4 v[122:125], off, off offset:752
	scratch_load_dwordx4 v[130:133], off, off offset:768
	scratch_load_dwordx4 v[138:141], off, off offset:784
	scratch_load_dwordx4 v[146:149], off, off offset:800
	v_cmp_lt_u32_e32 vcc, 30, v242
	scratch_load_dwordx4 v[48:51], off, off offset:608
	scratch_load_dwordx4 v[56:59], off, off offset:624
	;; [unrolled: 1-line block ×3, first 2 shown]
	s_waitcnt vmcnt(14) lgkmcnt(3)
	v_mul_f64 v[24:25], v[16:17], v[22:23]
	v_fmac_f64_e32 v[24:25], v[18:19], v[20:21]
	v_add_f64 v[28:29], v[24:25], 0
	scratch_load_dwordx4 v[24:27], off, off offset:544
	s_waitcnt vmcnt(0) lgkmcnt(2)
	v_mul_f64 v[30:31], v[12:13], v[26:27]
	v_fmac_f64_e32 v[30:31], v[14:15], v[24:25]
	v_add_f64 v[32:33], v[28:29], v[30:31]
	scratch_load_dwordx4 v[28:31], off, off offset:560
	v_mul_f64 v[14:15], v[14:15], v[26:27]
	v_fma_f64 v[12:13], v[12:13], v[24:25], -v[14:15]
	s_waitcnt vmcnt(0) lgkmcnt(1)
	v_mul_f64 v[34:35], v[8:9], v[30:31]
	v_fmac_f64_e32 v[34:35], v[10:11], v[28:29]
	v_add_f64 v[36:37], v[32:33], v[34:35]
	scratch_load_dwordx4 v[32:35], off, off offset:576
	v_mul_f64 v[10:11], v[10:11], v[30:31]
	v_fma_f64 v[8:9], v[8:9], v[28:29], -v[10:11]
	s_waitcnt vmcnt(0) lgkmcnt(0)
	v_mul_f64 v[38:39], v[4:5], v[34:35]
	v_fmac_f64_e32 v[38:39], v[6:7], v[32:33]
	v_add_f64 v[44:45], v[36:37], v[38:39]
	ds_read_b128 v[36:39], v2 offset:1376
	v_mul_f64 v[6:7], v[6:7], v[34:35]
	v_fma_f64 v[4:5], v[4:5], v[32:33], -v[6:7]
	s_waitcnt lgkmcnt(0)
	v_mul_f64 v[46:47], v[36:37], v[42:43]
	v_fmac_f64_e32 v[46:47], v[38:39], v[40:41]
	v_add_f64 v[52:53], v[44:45], v[46:47]
	ds_read_b128 v[44:47], v2 offset:1392
	s_waitcnt lgkmcnt(0)
	v_mul_f64 v[54:55], v[44:45], v[50:51]
	v_fmac_f64_e32 v[54:55], v[46:47], v[48:49]
	v_add_f64 v[60:61], v[52:53], v[54:55]
	ds_read_b128 v[52:55], v2 offset:1408
	;; [unrolled: 5-line block ×13, first 2 shown]
	s_waitcnt lgkmcnt(0)
	v_mul_f64 v[2:3], v[142:143], v[148:149]
	v_fmac_f64_e32 v[2:3], v[144:145], v[146:147]
	v_add_f64 v[80:81], v[80:81], v[2:3]
	v_mul_f64 v[2:3], v[18:19], v[22:23]
	v_fma_f64 v[2:3], v[16:17], v[20:21], -v[2:3]
	v_add_f64 v[2:3], v[2:3], 0
	v_add_f64 v[2:3], v[2:3], v[12:13]
	;; [unrolled: 1-line block ×4, first 2 shown]
	v_mul_f64 v[4:5], v[38:39], v[42:43]
	v_fma_f64 v[4:5], v[36:37], v[40:41], -v[4:5]
	v_add_f64 v[2:3], v[2:3], v[4:5]
	v_mul_f64 v[4:5], v[46:47], v[50:51]
	v_fma_f64 v[4:5], v[44:45], v[48:49], -v[4:5]
	v_add_f64 v[2:3], v[2:3], v[4:5]
	;; [unrolled: 3-line block ×14, first 2 shown]
	scratch_load_dwordx4 v[2:5], off, off offset:512
	s_waitcnt vmcnt(0)
	v_add_f64 v[2:3], v[2:3], -v[6:7]
	v_add_f64 v[4:5], v[4:5], -v[80:81]
	scratch_store_dwordx4 off, v[2:5], off offset:512
	s_and_saveexec_b64 s[0:1], vcc
	s_cbranch_execz .LBB49_253
; %bb.252:
	scratch_load_dwordx4 v[2:5], off, s56
	v_mov_b32_e32 v6, 0
	v_mov_b32_e32 v7, v6
	v_mov_b32_e32 v8, v6
	v_mov_b32_e32 v9, v6
	v_accvgpr_read_b32 v0, a101
	scratch_store_dwordx4 off, v[6:9], off offset:496
	s_waitcnt vmcnt(1)
	ds_write_b128 v0, v[2:5]
.LBB49_253:
	s_or_b64 exec, exec, s[0:1]
	v_mov_b32_e32 v2, 0
	s_waitcnt lgkmcnt(0)
	; wave barrier
	ds_read_b128 v[16:19], v2 offset:1296
	ds_read_b128 v[12:15], v2 offset:1312
	;; [unrolled: 1-line block ×4, first 2 shown]
	scratch_load_dwordx4 v[20:23], off, off offset:512
	scratch_load_dwordx4 v[40:43], off, off offset:576
	scratch_load_dwordx4 v[72:75], off, off offset:640
	scratch_load_dwordx4 v[80:83], off, off offset:656
	scratch_load_dwordx4 v[90:93], off, off offset:672
	scratch_load_dwordx4 v[98:101], off, off offset:688
	scratch_load_dwordx4 v[106:109], off, off offset:704
	scratch_load_dwordx4 v[114:117], off, off offset:720
	scratch_load_dwordx4 v[122:125], off, off offset:736
	scratch_load_dwordx4 v[130:133], off, off offset:752
	scratch_load_dwordx4 v[138:141], off, off offset:768
	scratch_load_dwordx4 v[146:149], off, off offset:784
	scratch_load_dwordx4 v[154:157], off, off offset:800
	v_cmp_lt_u32_e32 vcc, 29, v242
	scratch_load_dwordx4 v[48:51], off, off offset:592
	scratch_load_dwordx4 v[56:59], off, off offset:608
	;; [unrolled: 1-line block ×3, first 2 shown]
	s_waitcnt vmcnt(15) lgkmcnt(3)
	v_mul_f64 v[24:25], v[16:17], v[22:23]
	v_fmac_f64_e32 v[24:25], v[18:19], v[20:21]
	v_add_f64 v[28:29], v[24:25], 0
	scratch_load_dwordx4 v[24:27], off, off offset:528
	v_mul_f64 v[18:19], v[18:19], v[22:23]
	v_fma_f64 v[16:17], v[16:17], v[20:21], -v[18:19]
	v_add_f64 v[16:17], v[16:17], 0
	s_waitcnt vmcnt(0) lgkmcnt(2)
	v_mul_f64 v[30:31], v[12:13], v[26:27]
	v_fmac_f64_e32 v[30:31], v[14:15], v[24:25]
	v_add_f64 v[32:33], v[28:29], v[30:31]
	scratch_load_dwordx4 v[28:31], off, off offset:544
	v_mul_f64 v[14:15], v[14:15], v[26:27]
	v_fma_f64 v[12:13], v[12:13], v[24:25], -v[14:15]
	v_add_f64 v[12:13], v[16:17], v[12:13]
	;; [unrolled: 8-line block ×3, first 2 shown]
	s_waitcnt vmcnt(0) lgkmcnt(0)
	v_mul_f64 v[38:39], v[4:5], v[34:35]
	v_fmac_f64_e32 v[38:39], v[6:7], v[32:33]
	v_add_f64 v[44:45], v[36:37], v[38:39]
	ds_read_b128 v[36:39], v2 offset:1360
	v_mul_f64 v[6:7], v[6:7], v[34:35]
	v_fma_f64 v[4:5], v[4:5], v[32:33], -v[6:7]
	v_add_f64 v[4:5], v[8:9], v[4:5]
	s_waitcnt lgkmcnt(0)
	v_mul_f64 v[46:47], v[36:37], v[42:43]
	v_fmac_f64_e32 v[46:47], v[38:39], v[40:41]
	v_add_f64 v[52:53], v[44:45], v[46:47]
	ds_read_b128 v[44:47], v2 offset:1376
	v_mul_f64 v[6:7], v[38:39], v[42:43]
	v_fma_f64 v[6:7], v[36:37], v[40:41], -v[6:7]
	v_add_f64 v[4:5], v[4:5], v[6:7]
	s_waitcnt lgkmcnt(0)
	v_mul_f64 v[54:55], v[44:45], v[50:51]
	v_fmac_f64_e32 v[54:55], v[46:47], v[48:49]
	v_add_f64 v[60:61], v[52:53], v[54:55]
	ds_read_b128 v[52:55], v2 offset:1392
	v_mul_f64 v[6:7], v[46:47], v[50:51]
	v_fma_f64 v[6:7], v[44:45], v[48:49], -v[6:7]
	v_add_f64 v[4:5], v[4:5], v[6:7]
	s_waitcnt lgkmcnt(0)
	v_mul_f64 v[62:63], v[52:53], v[58:59]
	v_fmac_f64_e32 v[62:63], v[54:55], v[56:57]
	v_add_f64 v[68:69], v[60:61], v[62:63]
	ds_read_b128 v[60:63], v2 offset:1408
	v_mul_f64 v[6:7], v[54:55], v[58:59]
	v_fma_f64 v[6:7], v[52:53], v[56:57], -v[6:7]
	v_add_f64 v[4:5], v[4:5], v[6:7]
	s_waitcnt lgkmcnt(0)
	v_mul_f64 v[70:71], v[60:61], v[66:67]
	v_fmac_f64_e32 v[70:71], v[62:63], v[64:65]
	v_add_f64 v[76:77], v[68:69], v[70:71]
	ds_read_b128 v[68:71], v2 offset:1424
	v_mul_f64 v[6:7], v[62:63], v[66:67]
	v_fma_f64 v[6:7], v[60:61], v[64:65], -v[6:7]
	v_add_f64 v[4:5], v[4:5], v[6:7]
	s_waitcnt lgkmcnt(0)
	v_mul_f64 v[78:79], v[68:69], v[74:75]
	v_fmac_f64_e32 v[78:79], v[70:71], v[72:73]
	v_add_f64 v[84:85], v[76:77], v[78:79]
	ds_read_b128 v[76:79], v2 offset:1440
	v_mul_f64 v[6:7], v[70:71], v[74:75]
	v_fma_f64 v[6:7], v[68:69], v[72:73], -v[6:7]
	v_add_f64 v[4:5], v[4:5], v[6:7]
	s_waitcnt lgkmcnt(0)
	v_mul_f64 v[86:87], v[76:77], v[82:83]
	v_fmac_f64_e32 v[86:87], v[78:79], v[80:81]
	v_add_f64 v[88:89], v[84:85], v[86:87]
	ds_read_b128 v[84:87], v2 offset:1456
	v_mul_f64 v[6:7], v[78:79], v[82:83]
	v_fma_f64 v[6:7], v[76:77], v[80:81], -v[6:7]
	v_add_f64 v[4:5], v[4:5], v[6:7]
	s_waitcnt lgkmcnt(0)
	v_mul_f64 v[94:95], v[84:85], v[92:93]
	v_fmac_f64_e32 v[94:95], v[86:87], v[90:91]
	v_add_f64 v[88:89], v[88:89], v[94:95]
	ds_read_b128 v[94:97], v2 offset:1472
	v_mul_f64 v[6:7], v[86:87], v[92:93]
	v_fma_f64 v[6:7], v[84:85], v[90:91], -v[6:7]
	v_add_f64 v[4:5], v[4:5], v[6:7]
	s_waitcnt lgkmcnt(0)
	v_mul_f64 v[102:103], v[94:95], v[100:101]
	v_fmac_f64_e32 v[102:103], v[96:97], v[98:99]
	v_add_f64 v[88:89], v[88:89], v[102:103]
	ds_read_b128 v[102:105], v2 offset:1488
	v_mul_f64 v[6:7], v[96:97], v[100:101]
	v_fma_f64 v[6:7], v[94:95], v[98:99], -v[6:7]
	v_add_f64 v[4:5], v[4:5], v[6:7]
	s_waitcnt lgkmcnt(0)
	v_mul_f64 v[110:111], v[102:103], v[108:109]
	v_fmac_f64_e32 v[110:111], v[104:105], v[106:107]
	v_add_f64 v[88:89], v[88:89], v[110:111]
	ds_read_b128 v[110:113], v2 offset:1504
	v_mul_f64 v[6:7], v[104:105], v[108:109]
	v_fma_f64 v[6:7], v[102:103], v[106:107], -v[6:7]
	v_add_f64 v[4:5], v[4:5], v[6:7]
	s_waitcnt lgkmcnt(0)
	v_mul_f64 v[118:119], v[110:111], v[116:117]
	v_fmac_f64_e32 v[118:119], v[112:113], v[114:115]
	v_add_f64 v[88:89], v[88:89], v[118:119]
	ds_read_b128 v[118:121], v2 offset:1520
	v_mul_f64 v[6:7], v[112:113], v[116:117]
	v_fma_f64 v[6:7], v[110:111], v[114:115], -v[6:7]
	v_add_f64 v[4:5], v[4:5], v[6:7]
	s_waitcnt lgkmcnt(0)
	v_mul_f64 v[126:127], v[118:119], v[124:125]
	v_fmac_f64_e32 v[126:127], v[120:121], v[122:123]
	v_add_f64 v[88:89], v[88:89], v[126:127]
	ds_read_b128 v[126:129], v2 offset:1536
	v_mul_f64 v[6:7], v[120:121], v[124:125]
	v_fma_f64 v[6:7], v[118:119], v[122:123], -v[6:7]
	v_add_f64 v[4:5], v[4:5], v[6:7]
	s_waitcnt lgkmcnt(0)
	v_mul_f64 v[134:135], v[126:127], v[132:133]
	v_fmac_f64_e32 v[134:135], v[128:129], v[130:131]
	v_add_f64 v[88:89], v[88:89], v[134:135]
	ds_read_b128 v[134:137], v2 offset:1552
	v_mul_f64 v[6:7], v[128:129], v[132:133]
	v_fma_f64 v[6:7], v[126:127], v[130:131], -v[6:7]
	v_add_f64 v[4:5], v[4:5], v[6:7]
	s_waitcnt lgkmcnt(0)
	v_mul_f64 v[142:143], v[134:135], v[140:141]
	v_fmac_f64_e32 v[142:143], v[136:137], v[138:139]
	v_add_f64 v[88:89], v[88:89], v[142:143]
	ds_read_b128 v[142:145], v2 offset:1568
	v_mul_f64 v[6:7], v[136:137], v[140:141]
	v_fma_f64 v[6:7], v[134:135], v[138:139], -v[6:7]
	v_add_f64 v[4:5], v[4:5], v[6:7]
	s_waitcnt lgkmcnt(0)
	v_mul_f64 v[150:151], v[142:143], v[148:149]
	v_fmac_f64_e32 v[150:151], v[144:145], v[146:147]
	v_add_f64 v[88:89], v[88:89], v[150:151]
	ds_read_b128 v[150:153], v2 offset:1584
	v_mul_f64 v[6:7], v[144:145], v[148:149]
	v_fma_f64 v[6:7], v[142:143], v[146:147], -v[6:7]
	v_add_f64 v[4:5], v[4:5], v[6:7]
	s_waitcnt lgkmcnt(0)
	v_mul_f64 v[6:7], v[152:153], v[156:157]
	v_fma_f64 v[6:7], v[150:151], v[154:155], -v[6:7]
	v_add_f64 v[8:9], v[4:5], v[6:7]
	scratch_load_dwordx4 v[4:7], off, off offset:496
	v_mul_f64 v[158:159], v[150:151], v[156:157]
	v_fmac_f64_e32 v[158:159], v[152:153], v[154:155]
	v_add_f64 v[88:89], v[88:89], v[158:159]
	s_waitcnt vmcnt(0)
	v_add_f64 v[4:5], v[4:5], -v[8:9]
	v_add_f64 v[6:7], v[6:7], -v[88:89]
	scratch_store_dwordx4 off, v[4:7], off offset:496
	s_and_saveexec_b64 s[0:1], vcc
	s_cbranch_execz .LBB49_255
; %bb.254:
	scratch_load_dwordx4 v[6:9], off, s55
	v_mov_b32_e32 v3, v2
	v_mov_b32_e32 v4, v2
	v_mov_b32_e32 v5, v2
	v_accvgpr_read_b32 v0, a101
	scratch_store_dwordx4 off, v[2:5], off offset:480
	s_waitcnt vmcnt(1)
	ds_write_b128 v0, v[6:9]
.LBB49_255:
	s_or_b64 exec, exec, s[0:1]
	s_waitcnt lgkmcnt(0)
	; wave barrier
	ds_read_b128 v[16:19], v2 offset:1280
	ds_read_b128 v[12:15], v2 offset:1296
	;; [unrolled: 1-line block ×4, first 2 shown]
	scratch_load_dwordx4 v[20:23], off, off offset:496
	scratch_load_dwordx4 v[40:43], off, off offset:560
	;; [unrolled: 1-line block ×14, first 2 shown]
	v_cmp_lt_u32_e32 vcc, 28, v242
	scratch_load_dwordx4 v[48:51], off, off offset:576
	scratch_load_dwordx4 v[56:59], off, off offset:592
	;; [unrolled: 1-line block ×3, first 2 shown]
	s_waitcnt vmcnt(16) lgkmcnt(3)
	v_mul_f64 v[24:25], v[16:17], v[22:23]
	v_fmac_f64_e32 v[24:25], v[18:19], v[20:21]
	v_add_f64 v[28:29], v[24:25], 0
	scratch_load_dwordx4 v[24:27], off, off offset:512
	s_waitcnt vmcnt(0) lgkmcnt(2)
	v_mul_f64 v[30:31], v[12:13], v[26:27]
	v_fmac_f64_e32 v[30:31], v[14:15], v[24:25]
	v_add_f64 v[32:33], v[28:29], v[30:31]
	scratch_load_dwordx4 v[28:31], off, off offset:528
	v_mul_f64 v[14:15], v[14:15], v[26:27]
	v_fma_f64 v[12:13], v[12:13], v[24:25], -v[14:15]
	s_waitcnt vmcnt(0) lgkmcnt(1)
	v_mul_f64 v[34:35], v[8:9], v[30:31]
	v_fmac_f64_e32 v[34:35], v[10:11], v[28:29]
	v_add_f64 v[36:37], v[32:33], v[34:35]
	scratch_load_dwordx4 v[32:35], off, off offset:544
	v_mul_f64 v[10:11], v[10:11], v[30:31]
	v_fma_f64 v[8:9], v[8:9], v[28:29], -v[10:11]
	s_waitcnt vmcnt(0) lgkmcnt(0)
	v_mul_f64 v[38:39], v[4:5], v[34:35]
	v_fmac_f64_e32 v[38:39], v[6:7], v[32:33]
	v_add_f64 v[44:45], v[36:37], v[38:39]
	ds_read_b128 v[36:39], v2 offset:1344
	v_mul_f64 v[6:7], v[6:7], v[34:35]
	v_fma_f64 v[4:5], v[4:5], v[32:33], -v[6:7]
	s_waitcnt lgkmcnt(0)
	v_mul_f64 v[46:47], v[36:37], v[42:43]
	v_fmac_f64_e32 v[46:47], v[38:39], v[40:41]
	v_add_f64 v[52:53], v[44:45], v[46:47]
	ds_read_b128 v[44:47], v2 offset:1360
	s_waitcnt lgkmcnt(0)
	v_mul_f64 v[54:55], v[44:45], v[50:51]
	v_fmac_f64_e32 v[54:55], v[46:47], v[48:49]
	v_add_f64 v[60:61], v[52:53], v[54:55]
	ds_read_b128 v[52:55], v2 offset:1376
	;; [unrolled: 5-line block ×15, first 2 shown]
	s_waitcnt lgkmcnt(0)
	v_mul_f64 v[2:3], v[158:159], v[164:165]
	v_fmac_f64_e32 v[2:3], v[160:161], v[162:163]
	v_add_f64 v[96:97], v[96:97], v[2:3]
	v_mul_f64 v[2:3], v[18:19], v[22:23]
	v_fma_f64 v[2:3], v[16:17], v[20:21], -v[2:3]
	v_add_f64 v[2:3], v[2:3], 0
	v_add_f64 v[2:3], v[2:3], v[12:13]
	;; [unrolled: 1-line block ×4, first 2 shown]
	v_mul_f64 v[4:5], v[38:39], v[42:43]
	v_fma_f64 v[4:5], v[36:37], v[40:41], -v[4:5]
	v_add_f64 v[2:3], v[2:3], v[4:5]
	v_mul_f64 v[4:5], v[46:47], v[50:51]
	v_fma_f64 v[4:5], v[44:45], v[48:49], -v[4:5]
	v_add_f64 v[2:3], v[2:3], v[4:5]
	;; [unrolled: 3-line block ×16, first 2 shown]
	scratch_load_dwordx4 v[2:5], off, off offset:480
	s_waitcnt vmcnt(0)
	v_add_f64 v[2:3], v[2:3], -v[6:7]
	v_add_f64 v[4:5], v[4:5], -v[96:97]
	scratch_store_dwordx4 off, v[2:5], off offset:480
	s_and_saveexec_b64 s[0:1], vcc
	s_cbranch_execz .LBB49_257
; %bb.256:
	scratch_load_dwordx4 v[2:5], off, s54
	v_mov_b32_e32 v6, 0
	v_mov_b32_e32 v7, v6
	;; [unrolled: 1-line block ×4, first 2 shown]
	v_accvgpr_read_b32 v0, a101
	scratch_store_dwordx4 off, v[6:9], off offset:464
	s_waitcnt vmcnt(1)
	ds_write_b128 v0, v[2:5]
.LBB49_257:
	s_or_b64 exec, exec, s[0:1]
	v_mov_b32_e32 v2, 0
	s_waitcnt lgkmcnt(0)
	; wave barrier
	ds_read_b128 v[16:19], v2 offset:1264
	ds_read_b128 v[12:15], v2 offset:1280
	;; [unrolled: 1-line block ×4, first 2 shown]
	scratch_load_dwordx4 v[20:23], off, off offset:480
	scratch_load_dwordx4 v[40:43], off, off offset:544
	;; [unrolled: 1-line block ×15, first 2 shown]
	v_cmp_lt_u32_e32 vcc, 27, v242
	scratch_load_dwordx4 v[48:51], off, off offset:560
	scratch_load_dwordx4 v[56:59], off, off offset:576
	;; [unrolled: 1-line block ×3, first 2 shown]
	s_waitcnt vmcnt(17) lgkmcnt(3)
	v_mul_f64 v[24:25], v[16:17], v[22:23]
	v_fmac_f64_e32 v[24:25], v[18:19], v[20:21]
	v_add_f64 v[28:29], v[24:25], 0
	scratch_load_dwordx4 v[24:27], off, off offset:496
	v_mul_f64 v[18:19], v[18:19], v[22:23]
	v_fma_f64 v[16:17], v[16:17], v[20:21], -v[18:19]
	v_add_f64 v[16:17], v[16:17], 0
	s_waitcnt vmcnt(0) lgkmcnt(2)
	v_mul_f64 v[30:31], v[12:13], v[26:27]
	v_fmac_f64_e32 v[30:31], v[14:15], v[24:25]
	v_add_f64 v[32:33], v[28:29], v[30:31]
	scratch_load_dwordx4 v[28:31], off, off offset:512
	v_mul_f64 v[14:15], v[14:15], v[26:27]
	v_fma_f64 v[12:13], v[12:13], v[24:25], -v[14:15]
	v_add_f64 v[12:13], v[16:17], v[12:13]
	s_waitcnt vmcnt(0) lgkmcnt(1)
	v_mul_f64 v[34:35], v[8:9], v[30:31]
	v_fmac_f64_e32 v[34:35], v[10:11], v[28:29]
	v_add_f64 v[36:37], v[32:33], v[34:35]
	scratch_load_dwordx4 v[32:35], off, off offset:528
	v_mul_f64 v[10:11], v[10:11], v[30:31]
	v_fma_f64 v[8:9], v[8:9], v[28:29], -v[10:11]
	v_add_f64 v[8:9], v[12:13], v[8:9]
	s_waitcnt vmcnt(0) lgkmcnt(0)
	v_mul_f64 v[38:39], v[4:5], v[34:35]
	v_fmac_f64_e32 v[38:39], v[6:7], v[32:33]
	v_add_f64 v[44:45], v[36:37], v[38:39]
	ds_read_b128 v[36:39], v2 offset:1328
	v_mul_f64 v[6:7], v[6:7], v[34:35]
	v_fma_f64 v[4:5], v[4:5], v[32:33], -v[6:7]
	v_add_f64 v[4:5], v[8:9], v[4:5]
	s_waitcnt lgkmcnt(0)
	v_mul_f64 v[46:47], v[36:37], v[42:43]
	v_fmac_f64_e32 v[46:47], v[38:39], v[40:41]
	v_add_f64 v[52:53], v[44:45], v[46:47]
	ds_read_b128 v[44:47], v2 offset:1344
	v_mul_f64 v[6:7], v[38:39], v[42:43]
	v_fma_f64 v[6:7], v[36:37], v[40:41], -v[6:7]
	v_add_f64 v[4:5], v[4:5], v[6:7]
	s_waitcnt lgkmcnt(0)
	;; [unrolled: 8-line block ×17, first 2 shown]
	v_mul_f64 v[6:7], v[168:169], v[172:173]
	v_fma_f64 v[6:7], v[166:167], v[170:171], -v[6:7]
	v_add_f64 v[8:9], v[4:5], v[6:7]
	scratch_load_dwordx4 v[4:7], off, off offset:464
	v_mul_f64 v[174:175], v[166:167], v[172:173]
	v_fmac_f64_e32 v[174:175], v[168:169], v[170:171]
	v_add_f64 v[104:105], v[104:105], v[174:175]
	s_waitcnt vmcnt(0)
	v_add_f64 v[4:5], v[4:5], -v[8:9]
	v_add_f64 v[6:7], v[6:7], -v[104:105]
	scratch_store_dwordx4 off, v[4:7], off offset:464
	s_and_saveexec_b64 s[0:1], vcc
	s_cbranch_execz .LBB49_259
; %bb.258:
	scratch_load_dwordx4 v[6:9], off, s53
	v_mov_b32_e32 v3, v2
	v_mov_b32_e32 v4, v2
	;; [unrolled: 1-line block ×3, first 2 shown]
	v_accvgpr_read_b32 v0, a101
	scratch_store_dwordx4 off, v[2:5], off offset:448
	s_waitcnt vmcnt(1)
	ds_write_b128 v0, v[6:9]
.LBB49_259:
	s_or_b64 exec, exec, s[0:1]
	s_waitcnt lgkmcnt(0)
	; wave barrier
	ds_read_b128 v[16:19], v2 offset:1248
	ds_read_b128 v[12:15], v2 offset:1264
	ds_read_b128 v[8:11], v2 offset:1280
	ds_read_b128 v[4:7], v2 offset:1296
	scratch_load_dwordx4 v[20:23], off, off offset:464
	scratch_load_dwordx4 v[40:43], off, off offset:528
	;; [unrolled: 1-line block ×16, first 2 shown]
	v_cmp_lt_u32_e32 vcc, 26, v242
	scratch_load_dwordx4 v[48:51], off, off offset:544
	scratch_load_dwordx4 v[56:59], off, off offset:560
	;; [unrolled: 1-line block ×3, first 2 shown]
	s_waitcnt vmcnt(18) lgkmcnt(3)
	v_mul_f64 v[24:25], v[16:17], v[22:23]
	v_fmac_f64_e32 v[24:25], v[18:19], v[20:21]
	v_add_f64 v[28:29], v[24:25], 0
	scratch_load_dwordx4 v[24:27], off, off offset:480
	s_waitcnt vmcnt(0) lgkmcnt(2)
	v_mul_f64 v[30:31], v[12:13], v[26:27]
	v_fmac_f64_e32 v[30:31], v[14:15], v[24:25]
	v_add_f64 v[32:33], v[28:29], v[30:31]
	scratch_load_dwordx4 v[28:31], off, off offset:496
	v_mul_f64 v[14:15], v[14:15], v[26:27]
	v_fma_f64 v[12:13], v[12:13], v[24:25], -v[14:15]
	s_waitcnt vmcnt(0) lgkmcnt(1)
	v_mul_f64 v[34:35], v[8:9], v[30:31]
	v_fmac_f64_e32 v[34:35], v[10:11], v[28:29]
	v_add_f64 v[36:37], v[32:33], v[34:35]
	scratch_load_dwordx4 v[32:35], off, off offset:512
	v_mul_f64 v[10:11], v[10:11], v[30:31]
	v_fma_f64 v[8:9], v[8:9], v[28:29], -v[10:11]
	s_waitcnt vmcnt(0) lgkmcnt(0)
	v_mul_f64 v[38:39], v[4:5], v[34:35]
	v_fmac_f64_e32 v[38:39], v[6:7], v[32:33]
	v_add_f64 v[44:45], v[36:37], v[38:39]
	ds_read_b128 v[36:39], v2 offset:1312
	v_mul_f64 v[6:7], v[6:7], v[34:35]
	v_fma_f64 v[4:5], v[4:5], v[32:33], -v[6:7]
	s_waitcnt lgkmcnt(0)
	v_mul_f64 v[46:47], v[36:37], v[42:43]
	v_fmac_f64_e32 v[46:47], v[38:39], v[40:41]
	v_add_f64 v[52:53], v[44:45], v[46:47]
	ds_read_b128 v[44:47], v2 offset:1328
	s_waitcnt lgkmcnt(0)
	v_mul_f64 v[54:55], v[44:45], v[50:51]
	v_fmac_f64_e32 v[54:55], v[46:47], v[48:49]
	v_add_f64 v[60:61], v[52:53], v[54:55]
	ds_read_b128 v[52:55], v2 offset:1344
	;; [unrolled: 5-line block ×17, first 2 shown]
	s_waitcnt lgkmcnt(0)
	v_mul_f64 v[2:3], v[174:175], v[180:181]
	v_fmac_f64_e32 v[2:3], v[176:177], v[178:179]
	v_add_f64 v[120:121], v[120:121], v[2:3]
	v_mul_f64 v[2:3], v[18:19], v[22:23]
	v_fma_f64 v[2:3], v[16:17], v[20:21], -v[2:3]
	v_add_f64 v[2:3], v[2:3], 0
	v_add_f64 v[2:3], v[2:3], v[12:13]
	v_add_f64 v[2:3], v[2:3], v[8:9]
	v_add_f64 v[2:3], v[2:3], v[4:5]
	v_mul_f64 v[4:5], v[38:39], v[42:43]
	v_fma_f64 v[4:5], v[36:37], v[40:41], -v[4:5]
	v_add_f64 v[2:3], v[2:3], v[4:5]
	v_mul_f64 v[4:5], v[46:47], v[50:51]
	v_fma_f64 v[4:5], v[44:45], v[48:49], -v[4:5]
	v_add_f64 v[2:3], v[2:3], v[4:5]
	;; [unrolled: 3-line block ×18, first 2 shown]
	scratch_load_dwordx4 v[2:5], off, off offset:448
	s_waitcnt vmcnt(0)
	v_add_f64 v[2:3], v[2:3], -v[6:7]
	v_add_f64 v[4:5], v[4:5], -v[120:121]
	scratch_store_dwordx4 off, v[2:5], off offset:448
	s_and_saveexec_b64 s[0:1], vcc
	s_cbranch_execz .LBB49_261
; %bb.260:
	scratch_load_dwordx4 v[2:5], off, s52
	v_mov_b32_e32 v6, 0
	v_mov_b32_e32 v7, v6
	;; [unrolled: 1-line block ×4, first 2 shown]
	v_accvgpr_read_b32 v0, a101
	scratch_store_dwordx4 off, v[6:9], off offset:432
	s_waitcnt vmcnt(1)
	ds_write_b128 v0, v[2:5]
.LBB49_261:
	s_or_b64 exec, exec, s[0:1]
	v_mov_b32_e32 v2, 0
	s_waitcnt lgkmcnt(0)
	; wave barrier
	ds_read_b128 v[16:19], v2 offset:1232
	ds_read_b128 v[12:15], v2 offset:1248
	;; [unrolled: 1-line block ×4, first 2 shown]
	scratch_load_dwordx4 v[20:23], off, off offset:448
	scratch_load_dwordx4 v[40:43], off, off offset:512
	;; [unrolled: 1-line block ×17, first 2 shown]
	v_cmp_lt_u32_e32 vcc, 25, v242
	scratch_load_dwordx4 v[48:51], off, off offset:528
	scratch_load_dwordx4 v[56:59], off, off offset:544
	;; [unrolled: 1-line block ×3, first 2 shown]
	s_waitcnt vmcnt(19) lgkmcnt(3)
	v_mul_f64 v[24:25], v[16:17], v[22:23]
	v_fmac_f64_e32 v[24:25], v[18:19], v[20:21]
	v_add_f64 v[28:29], v[24:25], 0
	scratch_load_dwordx4 v[24:27], off, off offset:464
	v_mul_f64 v[18:19], v[18:19], v[22:23]
	v_fma_f64 v[16:17], v[16:17], v[20:21], -v[18:19]
	v_add_f64 v[16:17], v[16:17], 0
	s_waitcnt vmcnt(0) lgkmcnt(2)
	v_mul_f64 v[30:31], v[12:13], v[26:27]
	v_fmac_f64_e32 v[30:31], v[14:15], v[24:25]
	v_add_f64 v[32:33], v[28:29], v[30:31]
	scratch_load_dwordx4 v[28:31], off, off offset:480
	v_mul_f64 v[14:15], v[14:15], v[26:27]
	v_fma_f64 v[12:13], v[12:13], v[24:25], -v[14:15]
	v_add_f64 v[12:13], v[16:17], v[12:13]
	;; [unrolled: 8-line block ×3, first 2 shown]
	s_waitcnt vmcnt(0) lgkmcnt(0)
	v_mul_f64 v[38:39], v[4:5], v[34:35]
	v_fmac_f64_e32 v[38:39], v[6:7], v[32:33]
	v_add_f64 v[44:45], v[36:37], v[38:39]
	ds_read_b128 v[36:39], v2 offset:1296
	v_mul_f64 v[6:7], v[6:7], v[34:35]
	v_fma_f64 v[4:5], v[4:5], v[32:33], -v[6:7]
	v_add_f64 v[4:5], v[8:9], v[4:5]
	s_waitcnt lgkmcnt(0)
	v_mul_f64 v[46:47], v[36:37], v[42:43]
	v_fmac_f64_e32 v[46:47], v[38:39], v[40:41]
	v_add_f64 v[52:53], v[44:45], v[46:47]
	ds_read_b128 v[44:47], v2 offset:1312
	v_mul_f64 v[6:7], v[38:39], v[42:43]
	v_fma_f64 v[6:7], v[36:37], v[40:41], -v[6:7]
	v_add_f64 v[4:5], v[4:5], v[6:7]
	s_waitcnt lgkmcnt(0)
	;; [unrolled: 8-line block ×19, first 2 shown]
	v_mul_f64 v[6:7], v[184:185], v[188:189]
	v_fma_f64 v[6:7], v[182:183], v[186:187], -v[6:7]
	v_add_f64 v[8:9], v[4:5], v[6:7]
	scratch_load_dwordx4 v[4:7], off, off offset:432
	v_mul_f64 v[190:191], v[182:183], v[188:189]
	v_fmac_f64_e32 v[190:191], v[184:185], v[186:187]
	v_add_f64 v[128:129], v[128:129], v[190:191]
	s_waitcnt vmcnt(0)
	v_add_f64 v[4:5], v[4:5], -v[8:9]
	v_add_f64 v[6:7], v[6:7], -v[128:129]
	scratch_store_dwordx4 off, v[4:7], off offset:432
	s_and_saveexec_b64 s[0:1], vcc
	s_cbranch_execz .LBB49_263
; %bb.262:
	scratch_load_dwordx4 v[6:9], off, s51
	v_mov_b32_e32 v3, v2
	v_mov_b32_e32 v4, v2
	;; [unrolled: 1-line block ×3, first 2 shown]
	v_accvgpr_read_b32 v0, a101
	scratch_store_dwordx4 off, v[2:5], off offset:416
	s_waitcnt vmcnt(1)
	ds_write_b128 v0, v[6:9]
.LBB49_263:
	s_or_b64 exec, exec, s[0:1]
	s_waitcnt lgkmcnt(0)
	; wave barrier
	ds_read_b128 v[16:19], v2 offset:1216
	ds_read_b128 v[12:15], v2 offset:1232
	;; [unrolled: 1-line block ×4, first 2 shown]
	scratch_load_dwordx4 v[20:23], off, off offset:432
	scratch_load_dwordx4 v[40:43], off, off offset:496
	;; [unrolled: 1-line block ×18, first 2 shown]
	v_cmp_lt_u32_e32 vcc, 24, v242
	scratch_load_dwordx4 v[48:51], off, off offset:512
	scratch_load_dwordx4 v[56:59], off, off offset:528
	;; [unrolled: 1-line block ×3, first 2 shown]
	s_waitcnt vmcnt(20) lgkmcnt(3)
	v_mul_f64 v[24:25], v[16:17], v[22:23]
	v_fmac_f64_e32 v[24:25], v[18:19], v[20:21]
	v_add_f64 v[28:29], v[24:25], 0
	scratch_load_dwordx4 v[24:27], off, off offset:448
	s_waitcnt vmcnt(0) lgkmcnt(2)
	v_mul_f64 v[30:31], v[12:13], v[26:27]
	v_fmac_f64_e32 v[30:31], v[14:15], v[24:25]
	v_add_f64 v[32:33], v[28:29], v[30:31]
	scratch_load_dwordx4 v[28:31], off, off offset:464
	v_mul_f64 v[14:15], v[14:15], v[26:27]
	v_fma_f64 v[12:13], v[12:13], v[24:25], -v[14:15]
	s_waitcnt vmcnt(0) lgkmcnt(1)
	v_mul_f64 v[34:35], v[8:9], v[30:31]
	v_fmac_f64_e32 v[34:35], v[10:11], v[28:29]
	v_add_f64 v[36:37], v[32:33], v[34:35]
	scratch_load_dwordx4 v[32:35], off, off offset:480
	v_mul_f64 v[10:11], v[10:11], v[30:31]
	v_fma_f64 v[8:9], v[8:9], v[28:29], -v[10:11]
	s_waitcnt vmcnt(0) lgkmcnt(0)
	v_mul_f64 v[38:39], v[4:5], v[34:35]
	v_fmac_f64_e32 v[38:39], v[6:7], v[32:33]
	v_add_f64 v[44:45], v[36:37], v[38:39]
	ds_read_b128 v[36:39], v2 offset:1280
	v_mul_f64 v[6:7], v[6:7], v[34:35]
	v_fma_f64 v[4:5], v[4:5], v[32:33], -v[6:7]
	s_waitcnt lgkmcnt(0)
	v_mul_f64 v[46:47], v[36:37], v[42:43]
	v_fmac_f64_e32 v[46:47], v[38:39], v[40:41]
	v_add_f64 v[52:53], v[44:45], v[46:47]
	ds_read_b128 v[44:47], v2 offset:1296
	s_waitcnt lgkmcnt(0)
	v_mul_f64 v[54:55], v[44:45], v[50:51]
	v_fmac_f64_e32 v[54:55], v[46:47], v[48:49]
	v_add_f64 v[60:61], v[52:53], v[54:55]
	ds_read_b128 v[52:55], v2 offset:1312
	;; [unrolled: 5-line block ×19, first 2 shown]
	s_waitcnt lgkmcnt(0)
	v_mul_f64 v[2:3], v[190:191], v[196:197]
	v_fmac_f64_e32 v[2:3], v[192:193], v[194:195]
	v_add_f64 v[148:149], v[148:149], v[2:3]
	v_mul_f64 v[2:3], v[18:19], v[22:23]
	v_fma_f64 v[2:3], v[16:17], v[20:21], -v[2:3]
	v_add_f64 v[2:3], v[2:3], 0
	v_add_f64 v[2:3], v[2:3], v[12:13]
	v_add_f64 v[2:3], v[2:3], v[8:9]
	v_add_f64 v[2:3], v[2:3], v[4:5]
	v_mul_f64 v[4:5], v[38:39], v[42:43]
	v_fma_f64 v[4:5], v[36:37], v[40:41], -v[4:5]
	v_add_f64 v[2:3], v[2:3], v[4:5]
	v_mul_f64 v[4:5], v[46:47], v[50:51]
	v_fma_f64 v[4:5], v[44:45], v[48:49], -v[4:5]
	v_add_f64 v[2:3], v[2:3], v[4:5]
	;; [unrolled: 3-line block ×20, first 2 shown]
	scratch_load_dwordx4 v[2:5], off, off offset:416
	s_waitcnt vmcnt(0)
	v_add_f64 v[2:3], v[2:3], -v[6:7]
	v_add_f64 v[4:5], v[4:5], -v[148:149]
	scratch_store_dwordx4 off, v[2:5], off offset:416
	s_and_saveexec_b64 s[0:1], vcc
	s_cbranch_execz .LBB49_265
; %bb.264:
	scratch_load_dwordx4 v[2:5], off, s50
	v_mov_b32_e32 v6, 0
	v_mov_b32_e32 v7, v6
	;; [unrolled: 1-line block ×4, first 2 shown]
	v_accvgpr_read_b32 v0, a101
	scratch_store_dwordx4 off, v[6:9], off offset:400
	s_waitcnt vmcnt(1)
	ds_write_b128 v0, v[2:5]
.LBB49_265:
	s_or_b64 exec, exec, s[0:1]
	v_mov_b32_e32 v2, 0
	s_waitcnt lgkmcnt(0)
	; wave barrier
	ds_read_b128 v[16:19], v2 offset:1200
	ds_read_b128 v[12:15], v2 offset:1216
	;; [unrolled: 1-line block ×4, first 2 shown]
	scratch_load_dwordx4 v[20:23], off, off offset:416
	scratch_load_dwordx4 v[40:43], off, off offset:480
	;; [unrolled: 1-line block ×19, first 2 shown]
	v_cmp_lt_u32_e32 vcc, 23, v242
	scratch_load_dwordx4 v[48:51], off, off offset:496
	scratch_load_dwordx4 v[56:59], off, off offset:512
	;; [unrolled: 1-line block ×3, first 2 shown]
	s_waitcnt vmcnt(21) lgkmcnt(3)
	v_mul_f64 v[24:25], v[16:17], v[22:23]
	v_fmac_f64_e32 v[24:25], v[18:19], v[20:21]
	v_add_f64 v[28:29], v[24:25], 0
	scratch_load_dwordx4 v[24:27], off, off offset:432
	v_mul_f64 v[18:19], v[18:19], v[22:23]
	v_fma_f64 v[16:17], v[16:17], v[20:21], -v[18:19]
	v_add_f64 v[16:17], v[16:17], 0
	s_waitcnt vmcnt(0) lgkmcnt(2)
	v_mul_f64 v[30:31], v[12:13], v[26:27]
	v_fmac_f64_e32 v[30:31], v[14:15], v[24:25]
	v_add_f64 v[32:33], v[28:29], v[30:31]
	scratch_load_dwordx4 v[28:31], off, off offset:448
	v_mul_f64 v[14:15], v[14:15], v[26:27]
	v_fma_f64 v[12:13], v[12:13], v[24:25], -v[14:15]
	v_add_f64 v[12:13], v[16:17], v[12:13]
	;; [unrolled: 8-line block ×3, first 2 shown]
	s_waitcnt vmcnt(0) lgkmcnt(0)
	v_mul_f64 v[38:39], v[4:5], v[34:35]
	v_fmac_f64_e32 v[38:39], v[6:7], v[32:33]
	v_add_f64 v[44:45], v[36:37], v[38:39]
	ds_read_b128 v[36:39], v2 offset:1264
	v_mul_f64 v[6:7], v[6:7], v[34:35]
	v_fma_f64 v[4:5], v[4:5], v[32:33], -v[6:7]
	v_add_f64 v[4:5], v[8:9], v[4:5]
	s_waitcnt lgkmcnt(0)
	v_mul_f64 v[46:47], v[36:37], v[42:43]
	v_fmac_f64_e32 v[46:47], v[38:39], v[40:41]
	v_add_f64 v[52:53], v[44:45], v[46:47]
	ds_read_b128 v[44:47], v2 offset:1280
	v_mul_f64 v[6:7], v[38:39], v[42:43]
	v_fma_f64 v[6:7], v[36:37], v[40:41], -v[6:7]
	v_add_f64 v[4:5], v[4:5], v[6:7]
	s_waitcnt lgkmcnt(0)
	;; [unrolled: 8-line block ×21, first 2 shown]
	v_mul_f64 v[6:7], v[200:201], v[204:205]
	v_fma_f64 v[6:7], v[198:199], v[202:203], -v[6:7]
	v_add_f64 v[8:9], v[4:5], v[6:7]
	scratch_load_dwordx4 v[4:7], off, off offset:400
	v_mul_f64 v[206:207], v[198:199], v[204:205]
	v_fmac_f64_e32 v[206:207], v[200:201], v[202:203]
	v_add_f64 v[144:145], v[144:145], v[206:207]
	s_waitcnt vmcnt(0)
	v_add_f64 v[4:5], v[4:5], -v[8:9]
	v_add_f64 v[6:7], v[6:7], -v[144:145]
	scratch_store_dwordx4 off, v[4:7], off offset:400
	s_and_saveexec_b64 s[0:1], vcc
	s_cbranch_execz .LBB49_267
; %bb.266:
	scratch_load_dwordx4 v[6:9], off, s49
	v_mov_b32_e32 v3, v2
	v_mov_b32_e32 v4, v2
	;; [unrolled: 1-line block ×3, first 2 shown]
	v_accvgpr_read_b32 v0, a101
	scratch_store_dwordx4 off, v[2:5], off offset:384
	s_waitcnt vmcnt(1)
	ds_write_b128 v0, v[6:9]
.LBB49_267:
	s_or_b64 exec, exec, s[0:1]
	s_waitcnt lgkmcnt(0)
	; wave barrier
	ds_read_b128 v[16:19], v2 offset:1184
	ds_read_b128 v[12:15], v2 offset:1200
	;; [unrolled: 1-line block ×4, first 2 shown]
	scratch_load_dwordx4 v[20:23], off, off offset:400
	scratch_load_dwordx4 v[40:43], off, off offset:464
	scratch_load_dwordx4 v[72:75], off, off offset:528
	scratch_load_dwordx4 v[80:83], off, off offset:544
	scratch_load_dwordx4 v[88:91], off, off offset:560
	scratch_load_dwordx4 v[96:99], off, off offset:576
	scratch_load_dwordx4 v[104:107], off, off offset:592
	scratch_load_dwordx4 v[112:115], off, off offset:608
	scratch_load_dwordx4 v[120:123], off, off offset:624
	scratch_load_dwordx4 v[128:131], off, off offset:640
	scratch_load_dwordx4 v[136:139], off, off offset:656
	scratch_load_dwordx4 v[144:147], off, off offset:672
	scratch_load_dwordx4 v[152:155], off, off offset:688
	scratch_load_dwordx4 v[160:163], off, off offset:704
	scratch_load_dwordx4 v[170:173], off, off offset:720
	scratch_load_dwordx4 v[178:181], off, off offset:736
	scratch_load_dwordx4 v[186:189], off, off offset:752
	scratch_load_dwordx4 v[194:197], off, off offset:768
	scratch_load_dwordx4 v[202:205], off, off offset:784
	scratch_load_dwordx4 v[210:213], off, off offset:800
	v_cmp_lt_u32_e32 vcc, 22, v242
	scratch_load_dwordx4 v[48:51], off, off offset:480
	scratch_load_dwordx4 v[56:59], off, off offset:496
	;; [unrolled: 1-line block ×3, first 2 shown]
	s_waitcnt vmcnt(22) lgkmcnt(3)
	v_mul_f64 v[24:25], v[16:17], v[22:23]
	v_fmac_f64_e32 v[24:25], v[18:19], v[20:21]
	v_add_f64 v[28:29], v[24:25], 0
	scratch_load_dwordx4 v[24:27], off, off offset:416
	s_waitcnt vmcnt(0) lgkmcnt(2)
	v_mul_f64 v[30:31], v[12:13], v[26:27]
	v_fmac_f64_e32 v[30:31], v[14:15], v[24:25]
	v_add_f64 v[32:33], v[28:29], v[30:31]
	scratch_load_dwordx4 v[28:31], off, off offset:432
	v_mul_f64 v[14:15], v[14:15], v[26:27]
	v_fma_f64 v[12:13], v[12:13], v[24:25], -v[14:15]
	s_waitcnt vmcnt(0) lgkmcnt(1)
	v_mul_f64 v[34:35], v[8:9], v[30:31]
	v_fmac_f64_e32 v[34:35], v[10:11], v[28:29]
	v_add_f64 v[36:37], v[32:33], v[34:35]
	scratch_load_dwordx4 v[32:35], off, off offset:448
	v_mul_f64 v[10:11], v[10:11], v[30:31]
	v_fma_f64 v[8:9], v[8:9], v[28:29], -v[10:11]
	s_waitcnt vmcnt(0) lgkmcnt(0)
	v_mul_f64 v[38:39], v[4:5], v[34:35]
	v_fmac_f64_e32 v[38:39], v[6:7], v[32:33]
	v_add_f64 v[44:45], v[36:37], v[38:39]
	ds_read_b128 v[36:39], v2 offset:1248
	v_mul_f64 v[6:7], v[6:7], v[34:35]
	v_fma_f64 v[4:5], v[4:5], v[32:33], -v[6:7]
	s_waitcnt lgkmcnt(0)
	v_mul_f64 v[46:47], v[36:37], v[42:43]
	v_fmac_f64_e32 v[46:47], v[38:39], v[40:41]
	v_add_f64 v[52:53], v[44:45], v[46:47]
	ds_read_b128 v[44:47], v2 offset:1264
	s_waitcnt lgkmcnt(0)
	v_mul_f64 v[54:55], v[44:45], v[50:51]
	v_fmac_f64_e32 v[54:55], v[46:47], v[48:49]
	v_add_f64 v[60:61], v[52:53], v[54:55]
	ds_read_b128 v[52:55], v2 offset:1280
	;; [unrolled: 5-line block ×21, first 2 shown]
	s_waitcnt lgkmcnt(0)
	v_mul_f64 v[2:3], v[206:207], v[212:213]
	v_fmac_f64_e32 v[2:3], v[208:209], v[210:211]
	v_add_f64 v[168:169], v[168:169], v[2:3]
	v_mul_f64 v[2:3], v[18:19], v[22:23]
	v_fma_f64 v[2:3], v[16:17], v[20:21], -v[2:3]
	v_add_f64 v[2:3], v[2:3], 0
	v_add_f64 v[2:3], v[2:3], v[12:13]
	;; [unrolled: 1-line block ×4, first 2 shown]
	v_mul_f64 v[4:5], v[38:39], v[42:43]
	v_fma_f64 v[4:5], v[36:37], v[40:41], -v[4:5]
	v_add_f64 v[2:3], v[2:3], v[4:5]
	v_mul_f64 v[4:5], v[46:47], v[50:51]
	v_fma_f64 v[4:5], v[44:45], v[48:49], -v[4:5]
	v_add_f64 v[2:3], v[2:3], v[4:5]
	;; [unrolled: 3-line block ×22, first 2 shown]
	scratch_load_dwordx4 v[2:5], off, off offset:384
	s_waitcnt vmcnt(0)
	v_add_f64 v[2:3], v[2:3], -v[6:7]
	v_add_f64 v[4:5], v[4:5], -v[168:169]
	scratch_store_dwordx4 off, v[2:5], off offset:384
	s_and_saveexec_b64 s[0:1], vcc
	s_cbranch_execz .LBB49_269
; %bb.268:
	scratch_load_dwordx4 v[2:5], off, s48
	v_mov_b32_e32 v6, 0
	v_mov_b32_e32 v7, v6
	;; [unrolled: 1-line block ×4, first 2 shown]
	v_accvgpr_read_b32 v0, a101
	scratch_store_dwordx4 off, v[6:9], off offset:368
	s_waitcnt vmcnt(1)
	ds_write_b128 v0, v[2:5]
.LBB49_269:
	s_or_b64 exec, exec, s[0:1]
	v_mov_b32_e32 v2, 0
	s_waitcnt lgkmcnt(0)
	; wave barrier
	ds_read_b128 v[16:19], v2 offset:1168
	ds_read_b128 v[12:15], v2 offset:1184
	;; [unrolled: 1-line block ×4, first 2 shown]
	scratch_load_dwordx4 v[20:23], off, off offset:384
	scratch_load_dwordx4 v[40:43], off, off offset:448
	;; [unrolled: 1-line block ×21, first 2 shown]
	v_cmp_lt_u32_e32 vcc, 21, v242
	scratch_load_dwordx4 v[48:51], off, off offset:464
	scratch_load_dwordx4 v[56:59], off, off offset:480
	;; [unrolled: 1-line block ×3, first 2 shown]
	s_waitcnt vmcnt(23) lgkmcnt(3)
	v_mul_f64 v[24:25], v[16:17], v[22:23]
	v_fmac_f64_e32 v[24:25], v[18:19], v[20:21]
	v_add_f64 v[28:29], v[24:25], 0
	scratch_load_dwordx4 v[24:27], off, off offset:400
	v_mul_f64 v[18:19], v[18:19], v[22:23]
	v_fma_f64 v[16:17], v[16:17], v[20:21], -v[18:19]
	v_add_f64 v[16:17], v[16:17], 0
	s_waitcnt vmcnt(0) lgkmcnt(2)
	v_mul_f64 v[30:31], v[12:13], v[26:27]
	v_fmac_f64_e32 v[30:31], v[14:15], v[24:25]
	v_add_f64 v[32:33], v[28:29], v[30:31]
	scratch_load_dwordx4 v[28:31], off, off offset:416
	v_mul_f64 v[14:15], v[14:15], v[26:27]
	v_fma_f64 v[12:13], v[12:13], v[24:25], -v[14:15]
	v_add_f64 v[12:13], v[16:17], v[12:13]
	;; [unrolled: 8-line block ×3, first 2 shown]
	s_waitcnt vmcnt(0) lgkmcnt(0)
	v_mul_f64 v[38:39], v[4:5], v[34:35]
	v_fmac_f64_e32 v[38:39], v[6:7], v[32:33]
	v_add_f64 v[44:45], v[36:37], v[38:39]
	ds_read_b128 v[36:39], v2 offset:1232
	v_mul_f64 v[6:7], v[6:7], v[34:35]
	v_fma_f64 v[4:5], v[4:5], v[32:33], -v[6:7]
	v_add_f64 v[4:5], v[8:9], v[4:5]
	s_waitcnt lgkmcnt(0)
	v_mul_f64 v[46:47], v[36:37], v[42:43]
	v_fmac_f64_e32 v[46:47], v[38:39], v[40:41]
	v_add_f64 v[52:53], v[44:45], v[46:47]
	ds_read_b128 v[44:47], v2 offset:1248
	v_mul_f64 v[6:7], v[38:39], v[42:43]
	v_fma_f64 v[6:7], v[36:37], v[40:41], -v[6:7]
	v_add_f64 v[4:5], v[4:5], v[6:7]
	s_waitcnt lgkmcnt(0)
	;; [unrolled: 8-line block ×23, first 2 shown]
	v_mul_f64 v[6:7], v[216:217], v[220:221]
	v_fma_f64 v[6:7], v[214:215], v[218:219], -v[6:7]
	v_add_f64 v[8:9], v[4:5], v[6:7]
	scratch_load_dwordx4 v[4:7], off, off offset:368
	v_mul_f64 v[222:223], v[214:215], v[220:221]
	v_fmac_f64_e32 v[222:223], v[216:217], v[218:219]
	v_add_f64 v[160:161], v[160:161], v[222:223]
	s_waitcnt vmcnt(0)
	v_add_f64 v[4:5], v[4:5], -v[8:9]
	v_add_f64 v[6:7], v[6:7], -v[160:161]
	scratch_store_dwordx4 off, v[4:7], off offset:368
	s_and_saveexec_b64 s[0:1], vcc
	s_cbranch_execz .LBB49_271
; %bb.270:
	scratch_load_dwordx4 v[6:9], off, s47
	v_mov_b32_e32 v3, v2
	v_mov_b32_e32 v4, v2
	v_mov_b32_e32 v5, v2
	v_accvgpr_read_b32 v0, a101
	scratch_store_dwordx4 off, v[2:5], off offset:352
	s_waitcnt vmcnt(1)
	ds_write_b128 v0, v[6:9]
.LBB49_271:
	s_or_b64 exec, exec, s[0:1]
	s_waitcnt lgkmcnt(0)
	; wave barrier
	ds_read_b128 v[16:19], v2 offset:1152
	ds_read_b128 v[12:15], v2 offset:1168
	;; [unrolled: 1-line block ×4, first 2 shown]
	scratch_load_dwordx4 v[20:23], off, off offset:368
	scratch_load_dwordx4 v[40:43], off, off offset:432
	;; [unrolled: 1-line block ×22, first 2 shown]
	v_cmp_lt_u32_e32 vcc, 20, v242
	scratch_load_dwordx4 v[48:51], off, off offset:448
	scratch_load_dwordx4 v[56:59], off, off offset:464
	;; [unrolled: 1-line block ×3, first 2 shown]
	s_waitcnt vmcnt(24) lgkmcnt(3)
	v_mul_f64 v[24:25], v[16:17], v[22:23]
	v_fmac_f64_e32 v[24:25], v[18:19], v[20:21]
	v_add_f64 v[28:29], v[24:25], 0
	scratch_load_dwordx4 v[24:27], off, off offset:384
	s_waitcnt vmcnt(0) lgkmcnt(2)
	v_mul_f64 v[30:31], v[12:13], v[26:27]
	v_fmac_f64_e32 v[30:31], v[14:15], v[24:25]
	v_add_f64 v[32:33], v[28:29], v[30:31]
	scratch_load_dwordx4 v[28:31], off, off offset:400
	v_mul_f64 v[14:15], v[14:15], v[26:27]
	v_fma_f64 v[12:13], v[12:13], v[24:25], -v[14:15]
	s_waitcnt vmcnt(0) lgkmcnt(1)
	v_mul_f64 v[34:35], v[8:9], v[30:31]
	v_fmac_f64_e32 v[34:35], v[10:11], v[28:29]
	v_add_f64 v[36:37], v[32:33], v[34:35]
	scratch_load_dwordx4 v[32:35], off, off offset:416
	v_mul_f64 v[10:11], v[10:11], v[30:31]
	v_fma_f64 v[8:9], v[8:9], v[28:29], -v[10:11]
	s_waitcnt vmcnt(0) lgkmcnt(0)
	v_mul_f64 v[38:39], v[4:5], v[34:35]
	v_fmac_f64_e32 v[38:39], v[6:7], v[32:33]
	v_add_f64 v[44:45], v[36:37], v[38:39]
	ds_read_b128 v[36:39], v2 offset:1216
	v_mul_f64 v[6:7], v[6:7], v[34:35]
	v_fma_f64 v[4:5], v[4:5], v[32:33], -v[6:7]
	s_waitcnt lgkmcnt(0)
	v_mul_f64 v[46:47], v[36:37], v[42:43]
	v_fmac_f64_e32 v[46:47], v[38:39], v[40:41]
	v_add_f64 v[52:53], v[44:45], v[46:47]
	ds_read_b128 v[44:47], v2 offset:1232
	s_waitcnt lgkmcnt(0)
	v_mul_f64 v[54:55], v[44:45], v[50:51]
	v_fmac_f64_e32 v[54:55], v[46:47], v[48:49]
	v_add_f64 v[60:61], v[52:53], v[54:55]
	ds_read_b128 v[52:55], v2 offset:1248
	;; [unrolled: 5-line block ×23, first 2 shown]
	s_waitcnt lgkmcnt(0)
	v_mul_f64 v[2:3], v[222:223], v[228:229]
	v_fmac_f64_e32 v[2:3], v[224:225], v[226:227]
	v_add_f64 v[176:177], v[176:177], v[2:3]
	v_mul_f64 v[2:3], v[18:19], v[22:23]
	v_fma_f64 v[2:3], v[16:17], v[20:21], -v[2:3]
	v_add_f64 v[2:3], v[2:3], 0
	v_add_f64 v[2:3], v[2:3], v[12:13]
	;; [unrolled: 1-line block ×4, first 2 shown]
	v_mul_f64 v[4:5], v[38:39], v[42:43]
	v_fma_f64 v[4:5], v[36:37], v[40:41], -v[4:5]
	v_add_f64 v[2:3], v[2:3], v[4:5]
	v_mul_f64 v[4:5], v[46:47], v[50:51]
	v_fma_f64 v[4:5], v[44:45], v[48:49], -v[4:5]
	v_add_f64 v[2:3], v[2:3], v[4:5]
	;; [unrolled: 3-line block ×24, first 2 shown]
	scratch_load_dwordx4 v[2:5], off, off offset:352
	s_waitcnt vmcnt(0)
	v_add_f64 v[2:3], v[2:3], -v[6:7]
	v_add_f64 v[4:5], v[4:5], -v[176:177]
	scratch_store_dwordx4 off, v[2:5], off offset:352
	s_and_saveexec_b64 s[0:1], vcc
	s_cbranch_execz .LBB49_273
; %bb.272:
	scratch_load_dwordx4 v[2:5], off, s46
	v_mov_b32_e32 v6, 0
	v_mov_b32_e32 v7, v6
	;; [unrolled: 1-line block ×4, first 2 shown]
	v_accvgpr_read_b32 v0, a101
	scratch_store_dwordx4 off, v[6:9], off offset:336
	s_waitcnt vmcnt(1)
	ds_write_b128 v0, v[2:5]
.LBB49_273:
	s_or_b64 exec, exec, s[0:1]
	v_mov_b32_e32 v2, 0
	s_waitcnt lgkmcnt(0)
	; wave barrier
	ds_read_b128 v[16:19], v2 offset:1136
	ds_read_b128 v[12:15], v2 offset:1152
	;; [unrolled: 1-line block ×4, first 2 shown]
	scratch_load_dwordx4 v[20:23], off, off offset:352
	scratch_load_dwordx4 v[40:43], off, off offset:416
	;; [unrolled: 1-line block ×23, first 2 shown]
	v_cmp_lt_u32_e32 vcc, 19, v242
	scratch_load_dwordx4 v[48:51], off, off offset:432
	scratch_load_dwordx4 v[56:59], off, off offset:448
	;; [unrolled: 1-line block ×3, first 2 shown]
	s_waitcnt vmcnt(25) lgkmcnt(3)
	v_mul_f64 v[24:25], v[16:17], v[22:23]
	v_fmac_f64_e32 v[24:25], v[18:19], v[20:21]
	v_add_f64 v[28:29], v[24:25], 0
	scratch_load_dwordx4 v[24:27], off, off offset:368
	v_mul_f64 v[18:19], v[18:19], v[22:23]
	v_fma_f64 v[16:17], v[16:17], v[20:21], -v[18:19]
	v_add_f64 v[16:17], v[16:17], 0
	s_waitcnt vmcnt(0) lgkmcnt(2)
	v_mul_f64 v[30:31], v[12:13], v[26:27]
	v_fmac_f64_e32 v[30:31], v[14:15], v[24:25]
	v_add_f64 v[32:33], v[28:29], v[30:31]
	scratch_load_dwordx4 v[28:31], off, off offset:384
	v_mul_f64 v[14:15], v[14:15], v[26:27]
	v_fma_f64 v[12:13], v[12:13], v[24:25], -v[14:15]
	v_add_f64 v[12:13], v[16:17], v[12:13]
	;; [unrolled: 8-line block ×3, first 2 shown]
	s_waitcnt vmcnt(0) lgkmcnt(0)
	v_mul_f64 v[38:39], v[4:5], v[34:35]
	v_fmac_f64_e32 v[38:39], v[6:7], v[32:33]
	v_add_f64 v[44:45], v[36:37], v[38:39]
	ds_read_b128 v[36:39], v2 offset:1200
	v_mul_f64 v[6:7], v[6:7], v[34:35]
	v_fma_f64 v[4:5], v[4:5], v[32:33], -v[6:7]
	v_add_f64 v[4:5], v[8:9], v[4:5]
	s_waitcnt lgkmcnt(0)
	v_mul_f64 v[46:47], v[36:37], v[42:43]
	v_fmac_f64_e32 v[46:47], v[38:39], v[40:41]
	v_add_f64 v[52:53], v[44:45], v[46:47]
	ds_read_b128 v[44:47], v2 offset:1216
	v_mul_f64 v[6:7], v[38:39], v[42:43]
	v_fma_f64 v[6:7], v[36:37], v[40:41], -v[6:7]
	v_add_f64 v[4:5], v[4:5], v[6:7]
	s_waitcnt lgkmcnt(0)
	;; [unrolled: 8-line block ×25, first 2 shown]
	v_mul_f64 v[6:7], v[232:233], v[236:237]
	v_fma_f64 v[6:7], v[230:231], v[234:235], -v[6:7]
	v_add_f64 v[8:9], v[4:5], v[6:7]
	scratch_load_dwordx4 v[4:7], off, off offset:336
	v_mul_f64 v[238:239], v[230:231], v[236:237]
	v_fmac_f64_e32 v[238:239], v[232:233], v[234:235]
	v_add_f64 v[176:177], v[176:177], v[238:239]
	s_waitcnt vmcnt(0)
	v_add_f64 v[4:5], v[4:5], -v[8:9]
	v_add_f64 v[6:7], v[6:7], -v[176:177]
	scratch_store_dwordx4 off, v[4:7], off offset:336
	s_and_saveexec_b64 s[0:1], vcc
	s_cbranch_execz .LBB49_275
; %bb.274:
	scratch_load_dwordx4 v[6:9], off, s45
	v_mov_b32_e32 v3, v2
	v_mov_b32_e32 v4, v2
	;; [unrolled: 1-line block ×3, first 2 shown]
	v_accvgpr_read_b32 v0, a101
	scratch_store_dwordx4 off, v[2:5], off offset:320
	s_waitcnt vmcnt(1)
	ds_write_b128 v0, v[6:9]
.LBB49_275:
	s_or_b64 exec, exec, s[0:1]
	s_waitcnt lgkmcnt(0)
	; wave barrier
	ds_read_b128 v[16:19], v2 offset:1120
	ds_read_b128 v[12:15], v2 offset:1136
	;; [unrolled: 1-line block ×4, first 2 shown]
	scratch_load_dwordx4 v[20:23], off, off offset:336
	scratch_load_dwordx4 v[40:43], off, off offset:400
	;; [unrolled: 1-line block ×24, first 2 shown]
	v_cmp_lt_u32_e32 vcc, 18, v242
	scratch_load_dwordx4 v[48:51], off, off offset:416
	scratch_load_dwordx4 v[56:59], off, off offset:432
	;; [unrolled: 1-line block ×3, first 2 shown]
	ds_read_b128 v[244:247], v2 offset:1584
	s_waitcnt vmcnt(26) lgkmcnt(4)
	v_mul_f64 v[24:25], v[16:17], v[22:23]
	v_fmac_f64_e32 v[24:25], v[18:19], v[20:21]
	v_add_f64 v[28:29], v[24:25], 0
	scratch_load_dwordx4 v[24:27], off, off offset:352
	s_waitcnt vmcnt(0) lgkmcnt(3)
	v_mul_f64 v[30:31], v[12:13], v[26:27]
	v_fmac_f64_e32 v[30:31], v[14:15], v[24:25]
	v_add_f64 v[32:33], v[28:29], v[30:31]
	scratch_load_dwordx4 v[28:31], off, off offset:368
	v_mul_f64 v[14:15], v[14:15], v[26:27]
	v_fma_f64 v[12:13], v[12:13], v[24:25], -v[14:15]
	s_waitcnt vmcnt(0) lgkmcnt(2)
	v_mul_f64 v[34:35], v[8:9], v[30:31]
	v_fmac_f64_e32 v[34:35], v[10:11], v[28:29]
	v_add_f64 v[36:37], v[32:33], v[34:35]
	scratch_load_dwordx4 v[32:35], off, off offset:384
	v_mul_f64 v[10:11], v[10:11], v[30:31]
	v_fma_f64 v[8:9], v[8:9], v[28:29], -v[10:11]
	s_waitcnt vmcnt(0) lgkmcnt(1)
	v_mul_f64 v[38:39], v[4:5], v[34:35]
	v_fmac_f64_e32 v[38:39], v[6:7], v[32:33]
	v_add_f64 v[44:45], v[36:37], v[38:39]
	ds_read_b128 v[36:39], v2 offset:1184
	v_mul_f64 v[6:7], v[6:7], v[34:35]
	v_fma_f64 v[4:5], v[4:5], v[32:33], -v[6:7]
	s_waitcnt lgkmcnt(0)
	v_mul_f64 v[46:47], v[36:37], v[42:43]
	v_fmac_f64_e32 v[46:47], v[38:39], v[40:41]
	v_add_f64 v[52:53], v[44:45], v[46:47]
	ds_read_b128 v[44:47], v2 offset:1200
	s_waitcnt lgkmcnt(0)
	v_mul_f64 v[54:55], v[44:45], v[50:51]
	v_fmac_f64_e32 v[54:55], v[46:47], v[48:49]
	v_add_f64 v[60:61], v[52:53], v[54:55]
	ds_read_b128 v[52:55], v2 offset:1216
	;; [unrolled: 5-line block ×24, first 2 shown]
	v_mul_f64 v[2:3], v[244:245], v[250:251]
	v_fmac_f64_e32 v[2:3], v[246:247], v[248:249]
	s_waitcnt lgkmcnt(0)
	v_mul_f64 v[238:239], v[230:231], v[236:237]
	v_fmac_f64_e32 v[238:239], v[232:233], v[234:235]
	v_add_f64 v[184:185], v[184:185], v[238:239]
	v_add_f64 v[184:185], v[184:185], v[2:3]
	v_mul_f64 v[2:3], v[18:19], v[22:23]
	v_fma_f64 v[2:3], v[16:17], v[20:21], -v[2:3]
	v_add_f64 v[2:3], v[2:3], 0
	v_add_f64 v[2:3], v[2:3], v[12:13]
	v_add_f64 v[2:3], v[2:3], v[8:9]
	v_add_f64 v[2:3], v[2:3], v[4:5]
	v_mul_f64 v[4:5], v[38:39], v[42:43]
	v_fma_f64 v[4:5], v[36:37], v[40:41], -v[4:5]
	v_add_f64 v[2:3], v[2:3], v[4:5]
	v_mul_f64 v[4:5], v[46:47], v[50:51]
	v_fma_f64 v[4:5], v[44:45], v[48:49], -v[4:5]
	v_add_f64 v[2:3], v[2:3], v[4:5]
	v_mul_f64 v[4:5], v[54:55], v[58:59]
	v_fma_f64 v[4:5], v[52:53], v[56:57], -v[4:5]
	v_add_f64 v[2:3], v[2:3], v[4:5]
	v_mul_f64 v[4:5], v[62:63], v[66:67]
	v_fma_f64 v[4:5], v[60:61], v[64:65], -v[4:5]
	v_add_f64 v[2:3], v[2:3], v[4:5]
	v_mul_f64 v[4:5], v[70:71], v[74:75]
	v_fma_f64 v[4:5], v[68:69], v[72:73], -v[4:5]
	v_add_f64 v[2:3], v[2:3], v[4:5]
	v_mul_f64 v[4:5], v[78:79], v[82:83]
	v_fma_f64 v[4:5], v[76:77], v[80:81], -v[4:5]
	v_add_f64 v[2:3], v[2:3], v[4:5]
	v_mul_f64 v[4:5], v[86:87], v[90:91]
	v_fma_f64 v[4:5], v[84:85], v[88:89], -v[4:5]
	v_add_f64 v[2:3], v[2:3], v[4:5]
	v_mul_f64 v[4:5], v[94:95], v[98:99]
	v_fma_f64 v[4:5], v[92:93], v[96:97], -v[4:5]
	v_add_f64 v[2:3], v[2:3], v[4:5]
	v_mul_f64 v[4:5], v[102:103], v[106:107]
	v_fma_f64 v[4:5], v[100:101], v[104:105], -v[4:5]
	v_add_f64 v[2:3], v[2:3], v[4:5]
	v_mul_f64 v[4:5], v[110:111], v[114:115]
	v_fma_f64 v[4:5], v[108:109], v[112:113], -v[4:5]
	v_add_f64 v[2:3], v[2:3], v[4:5]
	v_mul_f64 v[4:5], v[118:119], v[122:123]
	v_fma_f64 v[4:5], v[116:117], v[120:121], -v[4:5]
	v_add_f64 v[2:3], v[2:3], v[4:5]
	v_mul_f64 v[4:5], v[126:127], v[130:131]
	v_fma_f64 v[4:5], v[124:125], v[128:129], -v[4:5]
	v_add_f64 v[2:3], v[2:3], v[4:5]
	v_mul_f64 v[4:5], v[134:135], v[138:139]
	v_fma_f64 v[4:5], v[132:133], v[136:137], -v[4:5]
	v_add_f64 v[2:3], v[2:3], v[4:5]
	v_mul_f64 v[4:5], v[142:143], v[146:147]
	v_fma_f64 v[4:5], v[140:141], v[144:145], -v[4:5]
	v_add_f64 v[2:3], v[2:3], v[4:5]
	v_mul_f64 v[4:5], v[150:151], v[154:155]
	v_fma_f64 v[4:5], v[148:149], v[152:153], -v[4:5]
	v_add_f64 v[2:3], v[2:3], v[4:5]
	v_mul_f64 v[4:5], v[158:159], v[162:163]
	v_fma_f64 v[4:5], v[156:157], v[160:161], -v[4:5]
	v_add_f64 v[2:3], v[2:3], v[4:5]
	v_mul_f64 v[4:5], v[166:167], v[170:171]
	v_fma_f64 v[4:5], v[164:165], v[168:169], -v[4:5]
	v_add_f64 v[2:3], v[2:3], v[4:5]
	v_mul_f64 v[4:5], v[174:175], v[178:179]
	v_fma_f64 v[4:5], v[172:173], v[176:177], -v[4:5]
	v_add_f64 v[2:3], v[2:3], v[4:5]
	v_mul_f64 v[4:5], v[182:183], v[188:189]
	v_fma_f64 v[4:5], v[180:181], v[186:187], -v[4:5]
	v_add_f64 v[2:3], v[2:3], v[4:5]
	v_mul_f64 v[4:5], v[192:193], v[196:197]
	v_fma_f64 v[4:5], v[190:191], v[194:195], -v[4:5]
	v_add_f64 v[2:3], v[2:3], v[4:5]
	v_mul_f64 v[4:5], v[200:201], v[204:205]
	v_fma_f64 v[4:5], v[198:199], v[202:203], -v[4:5]
	v_add_f64 v[2:3], v[2:3], v[4:5]
	v_mul_f64 v[4:5], v[208:209], v[212:213]
	v_fma_f64 v[4:5], v[206:207], v[210:211], -v[4:5]
	v_add_f64 v[2:3], v[2:3], v[4:5]
	v_mul_f64 v[4:5], v[216:217], v[220:221]
	v_fma_f64 v[4:5], v[214:215], v[218:219], -v[4:5]
	v_add_f64 v[2:3], v[2:3], v[4:5]
	v_mul_f64 v[4:5], v[224:225], v[228:229]
	v_fma_f64 v[4:5], v[222:223], v[226:227], -v[4:5]
	v_add_f64 v[2:3], v[2:3], v[4:5]
	v_mul_f64 v[4:5], v[232:233], v[236:237]
	v_fma_f64 v[4:5], v[230:231], v[234:235], -v[4:5]
	v_add_f64 v[2:3], v[2:3], v[4:5]
	v_mul_f64 v[4:5], v[246:247], v[250:251]
	v_fma_f64 v[4:5], v[244:245], v[248:249], -v[4:5]
	v_add_f64 v[6:7], v[2:3], v[4:5]
	scratch_load_dwordx4 v[2:5], off, off offset:320
	s_waitcnt vmcnt(0)
	v_add_f64 v[2:3], v[2:3], -v[6:7]
	v_add_f64 v[4:5], v[4:5], -v[184:185]
	scratch_store_dwordx4 off, v[2:5], off offset:320
	s_and_saveexec_b64 s[0:1], vcc
	s_cbranch_execz .LBB49_277
; %bb.276:
	scratch_load_dwordx4 v[2:5], off, s44
	v_mov_b32_e32 v6, 0
	v_mov_b32_e32 v7, v6
	;; [unrolled: 1-line block ×4, first 2 shown]
	v_accvgpr_read_b32 v0, a101
	scratch_store_dwordx4 off, v[6:9], off offset:304
	s_waitcnt vmcnt(1)
	ds_write_b128 v0, v[2:5]
.LBB49_277:
	s_or_b64 exec, exec, s[0:1]
	s_waitcnt lgkmcnt(0)
	; wave barrier
	scratch_load_dwordx4 v[16:19], off, off offset:320
	scratch_load_dwordx4 v[12:15], off, off offset:336
	;; [unrolled: 1-line block ×32, first 2 shown]
	v_mov_b32_e32 v2, 0
	ds_read_b128 v[132:135], v2 offset:1104
	ds_read_b128 v[136:139], v2 offset:1120
	;; [unrolled: 1-line block ×17, first 2 shown]
	v_cmp_lt_u32_e32 vcc, 17, v242
	s_waitcnt vmcnt(31) lgkmcnt(14)
	v_mul_f64 v[200:201], v[132:133], v[18:19]
	s_waitcnt vmcnt(30)
	v_mul_f64 v[202:203], v[136:137], v[14:15]
	v_fmac_f64_e32 v[200:201], v[134:135], v[16:17]
	s_waitcnt vmcnt(29)
	v_mul_f64 v[204:205], v[140:141], v[10:11]
	v_fmac_f64_e32 v[202:203], v[138:139], v[12:13]
	v_add_f64 v[200:201], v[200:201], 0
	s_waitcnt vmcnt(28) lgkmcnt(13)
	v_mul_f64 v[206:207], v[144:145], v[6:7]
	v_fmac_f64_e32 v[204:205], v[142:143], v[8:9]
	v_add_f64 v[200:201], v[200:201], v[202:203]
	s_waitcnt vmcnt(27) lgkmcnt(12)
	;; [unrolled: 4-line block ×12, first 2 shown]
	v_mul_f64 v[228:229], v[188:189], v[62:63]
	v_fmac_f64_e32 v[226:227], v[186:187], v[56:57]
	v_add_f64 v[200:201], v[200:201], v[224:225]
	v_fmac_f64_e32 v[228:229], v[190:191], v[60:61]
	v_add_f64 v[200:201], v[200:201], v[226:227]
	s_waitcnt vmcnt(16) lgkmcnt(1)
	v_mul_f64 v[202:203], v[192:193], v[66:67]
	v_add_f64 v[200:201], v[200:201], v[228:229]
	v_fmac_f64_e32 v[202:203], v[194:195], v[64:65]
	s_waitcnt vmcnt(15) lgkmcnt(0)
	v_mul_f64 v[206:207], v[196:197], v[70:71]
	v_add_f64 v[204:205], v[200:201], v[202:203]
	ds_read_b128 v[200:203], v2 offset:1376
	v_fmac_f64_e32 v[206:207], v[198:199], v[68:69]
	v_add_f64 v[208:209], v[204:205], v[206:207]
	ds_read_b128 v[204:207], v2 offset:1392
	v_mul_f64 v[18:19], v[134:135], v[18:19]
	s_waitcnt vmcnt(14) lgkmcnt(1)
	v_mul_f64 v[210:211], v[200:201], v[74:75]
	v_fmac_f64_e32 v[210:211], v[202:203], v[72:73]
	v_add_f64 v[212:213], v[208:209], v[210:211]
	s_waitcnt vmcnt(13) lgkmcnt(0)
	v_mul_f64 v[214:215], v[204:205], v[78:79]
	ds_read_b128 v[208:211], v2 offset:1408
	v_fmac_f64_e32 v[214:215], v[206:207], v[76:77]
	v_add_f64 v[216:217], v[212:213], v[214:215]
	ds_read_b128 v[212:215], v2 offset:1424
	v_fma_f64 v[246:247], v[132:133], v[16:17], -v[18:19]
	s_waitcnt vmcnt(12) lgkmcnt(1)
	v_mul_f64 v[218:219], v[208:209], v[82:83]
	v_fmac_f64_e32 v[218:219], v[210:211], v[80:81]
	v_add_f64 v[220:221], v[216:217], v[218:219]
	s_waitcnt vmcnt(11) lgkmcnt(0)
	v_mul_f64 v[222:223], v[212:213], v[86:87]
	ds_read_b128 v[216:219], v2 offset:1440
	v_fmac_f64_e32 v[222:223], v[214:215], v[84:85]
	v_add_f64 v[224:225], v[220:221], v[222:223]
	ds_read_b128 v[220:223], v2 offset:1456
	ds_read_b128 v[16:19], v2 offset:1536
	s_waitcnt vmcnt(10) lgkmcnt(2)
	v_mul_f64 v[226:227], v[216:217], v[90:91]
	v_fmac_f64_e32 v[226:227], v[218:219], v[88:89]
	v_add_f64 v[228:229], v[224:225], v[226:227]
	s_waitcnt vmcnt(9) lgkmcnt(1)
	v_mul_f64 v[230:231], v[220:221], v[94:95]
	ds_read_b128 v[224:227], v2 offset:1472
	v_fmac_f64_e32 v[230:231], v[222:223], v[92:93]
	v_add_f64 v[232:233], v[228:229], v[230:231]
	ds_read_b128 v[228:231], v2 offset:1488
	v_mul_f64 v[14:15], v[138:139], v[14:15]
	s_waitcnt vmcnt(8) lgkmcnt(1)
	v_mul_f64 v[234:235], v[224:225], v[98:99]
	v_fmac_f64_e32 v[234:235], v[226:227], v[96:97]
	v_add_f64 v[236:237], v[232:233], v[234:235]
	s_waitcnt vmcnt(7) lgkmcnt(0)
	v_mul_f64 v[238:239], v[228:229], v[102:103]
	ds_read_b128 v[232:235], v2 offset:1504
	v_fmac_f64_e32 v[238:239], v[230:231], v[100:101]
	v_add_f64 v[244:245], v[236:237], v[238:239]
	ds_read_b128 v[236:239], v2 offset:1520
	v_fma_f64 v[136:137], v[136:137], v[12:13], -v[14:15]
	s_waitcnt vmcnt(6) lgkmcnt(1)
	v_mul_f64 v[132:133], v[232:233], v[106:107]
	v_fmac_f64_e32 v[132:133], v[234:235], v[104:105]
	v_add_f64 v[132:133], v[244:245], v[132:133]
	s_waitcnt vmcnt(5) lgkmcnt(0)
	v_mul_f64 v[134:135], v[236:237], v[110:111]
	v_fmac_f64_e32 v[134:135], v[238:239], v[108:109]
	v_add_f64 v[132:133], v[132:133], v[134:135]
	ds_read_b128 v[12:15], v2 offset:1552
	s_waitcnt vmcnt(4)
	v_mul_f64 v[134:135], v[16:17], v[114:115]
	v_fmac_f64_e32 v[134:135], v[18:19], v[112:113]
	v_add_f64 v[138:139], v[132:133], v[134:135]
	ds_read_b128 v[132:135], v2 offset:1568
	v_mul_f64 v[10:11], v[142:143], v[10:11]
	v_fma_f64 v[140:141], v[140:141], v[8:9], -v[10:11]
	ds_read_b128 v[8:11], v2 offset:1584
	s_waitcnt vmcnt(3) lgkmcnt(2)
	v_mul_f64 v[142:143], v[12:13], v[118:119]
	v_fmac_f64_e32 v[142:143], v[14:15], v[116:117]
	v_add_f64 v[138:139], v[138:139], v[142:143]
	s_waitcnt vmcnt(2) lgkmcnt(1)
	v_mul_f64 v[142:143], v[132:133], v[122:123]
	v_fmac_f64_e32 v[142:143], v[134:135], v[120:121]
	v_add_f64 v[138:139], v[138:139], v[142:143]
	;; [unrolled: 4-line block ×3, first 2 shown]
	v_add_f64 v[142:143], v[246:247], 0
	v_add_f64 v[136:137], v[142:143], v[136:137]
	v_mul_f64 v[6:7], v[146:147], v[6:7]
	v_add_f64 v[136:137], v[136:137], v[140:141]
	v_fma_f64 v[4:5], v[144:145], v[4:5], -v[6:7]
	v_mul_f64 v[6:7], v[150:151], v[22:23]
	v_add_f64 v[4:5], v[136:137], v[4:5]
	v_fma_f64 v[6:7], v[148:149], v[20:21], -v[6:7]
	v_add_f64 v[4:5], v[4:5], v[6:7]
	v_mul_f64 v[6:7], v[154:155], v[26:27]
	v_fma_f64 v[6:7], v[152:153], v[24:25], -v[6:7]
	v_add_f64 v[4:5], v[4:5], v[6:7]
	v_mul_f64 v[6:7], v[158:159], v[30:31]
	;; [unrolled: 3-line block ×26, first 2 shown]
	v_fma_f64 v[6:7], v[8:9], v[124:125], -v[6:7]
	v_add_f64 v[4:5], v[4:5], v[6:7]
	s_waitcnt vmcnt(0)
	v_add_f64 v[4:5], v[128:129], -v[4:5]
	v_add_f64 v[6:7], v[130:131], -v[138:139]
	scratch_store_dwordx4 off, v[4:7], off offset:304
	s_and_saveexec_b64 s[0:1], vcc
	s_cbranch_execz .LBB49_279
; %bb.278:
	scratch_load_dwordx4 v[6:9], off, s43
	v_mov_b32_e32 v3, v2
	v_mov_b32_e32 v4, v2
	;; [unrolled: 1-line block ×3, first 2 shown]
	v_accvgpr_read_b32 v0, a101
	scratch_store_dwordx4 off, v[2:5], off offset:288
	s_waitcnt vmcnt(1)
	ds_write_b128 v0, v[6:9]
.LBB49_279:
	s_or_b64 exec, exec, s[0:1]
	s_waitcnt lgkmcnt(0)
	; wave barrier
	scratch_load_dwordx4 v[140:143], off, off offset:304
	scratch_load_dwordx4 v[148:151], off, off offset:320
	;; [unrolled: 1-line block ×16, first 2 shown]
	ds_read_b128 v[188:191], v2 offset:1088
	ds_read_b128 v[184:187], v2 offset:1104
	scratch_load_dwordx4 v[56:59], off, off offset:560
	ds_read_b128 v[192:195], v2 offset:1120
	ds_read_b128 v[68:71], v2 offset:1136
	scratch_load_dwordx4 v[60:63], off, off offset:576
	ds_read_b128 v[88:91], v2 offset:1152
	ds_read_b128 v[84:87], v2 offset:1168
	;; [unrolled: 1-line block ×4, first 2 shown]
	scratch_load_dwordx4 v[64:67], off, off offset:592
	ds_read_b128 v[100:103], v2 offset:1216
	ds_read_b128 v[96:99], v2 offset:1232
	scratch_load_dwordx4 v[72:75], off, off offset:608
	ds_read_b128 v[116:119], v2 offset:1248
	ds_read_b128 v[112:115], v2 offset:1264
	;; [unrolled: 1-line block ×4, first 2 shown]
	scratch_load_dwordx4 v[92:95], off, off offset:624
	ds_read_b128 v[132:135], v2 offset:1312
	ds_read_b128 v[128:131], v2 offset:1328
	;; [unrolled: 1-line block ×3, first 2 shown]
	scratch_load_dwordx4 v[120:123], off, off offset:640
	scratch_load_dwordx4 v[136:139], off, off offset:656
	;; [unrolled: 1-line block ×11, first 2 shown]
	v_cmp_lt_u32_e32 vcc, 16, v242
	s_waitcnt vmcnt(31) lgkmcnt(14)
	v_mul_f64 v[200:201], v[188:189], v[142:143]
	s_waitcnt vmcnt(30)
	v_mul_f64 v[202:203], v[184:185], v[150:151]
	v_fmac_f64_e32 v[200:201], v[190:191], v[140:141]
	s_waitcnt vmcnt(29)
	v_mul_f64 v[204:205], v[192:193], v[154:155]
	v_fmac_f64_e32 v[202:203], v[186:187], v[148:149]
	v_add_f64 v[200:201], v[200:201], 0
	s_waitcnt vmcnt(28) lgkmcnt(13)
	v_mul_f64 v[206:207], v[68:69], v[6:7]
	v_fmac_f64_e32 v[204:205], v[194:195], v[152:153]
	v_add_f64 v[200:201], v[200:201], v[202:203]
	s_waitcnt vmcnt(27) lgkmcnt(12)
	;; [unrolled: 4-line block ×13, first 2 shown]
	v_mul_f64 v[230:231], v[128:129], v[54:55]
	v_fmac_f64_e32 v[228:229], v[134:135], v[48:49]
	v_add_f64 v[200:201], v[200:201], v[226:227]
	v_add_f64 v[200:201], v[200:201], v[228:229]
	v_fmac_f64_e32 v[230:231], v[130:131], v[52:53]
	v_add_f64 v[204:205], v[200:201], v[230:231]
	ds_read_b128 v[200:203], v2 offset:1360
	s_waitcnt vmcnt(15) lgkmcnt(1)
	v_mul_f64 v[206:207], v[124:125], v[58:59]
	v_fmac_f64_e32 v[206:207], v[126:127], v[56:57]
	v_add_f64 v[208:209], v[204:205], v[206:207]
	ds_read_b128 v[204:207], v2 offset:1376
	s_waitcnt vmcnt(14) lgkmcnt(1)
	v_mul_f64 v[210:211], v[200:201], v[62:63]
	;; [unrolled: 5-line block ×10, first 2 shown]
	v_fmac_f64_e32 v[246:247], v[234:235], v[160:161]
	v_mul_f64 v[142:143], v[190:191], v[142:143]
	v_add_f64 v[246:247], v[244:245], v[246:247]
	v_fma_f64 v[244:245], v[188:189], v[140:141], -v[142:143]
	ds_read_b128 v[140:143], v2 offset:1520
	s_waitcnt vmcnt(5) lgkmcnt(1)
	v_mul_f64 v[188:189], v[236:237], v[166:167]
	v_fmac_f64_e32 v[188:189], v[238:239], v[164:165]
	v_mul_f64 v[150:151], v[186:187], v[150:151]
	v_add_f64 v[188:189], v[246:247], v[188:189]
	v_fma_f64 v[246:247], v[184:185], v[148:149], -v[150:151]
	ds_read_b128 v[148:151], v2 offset:1536
	s_waitcnt vmcnt(4) lgkmcnt(1)
	v_mul_f64 v[184:185], v[140:141], v[170:171]
	v_fmac_f64_e32 v[184:185], v[142:143], v[168:169]
	v_add_f64 v[188:189], v[188:189], v[184:185]
	ds_read_b128 v[184:187], v2 offset:1552
	v_mul_f64 v[154:155], v[194:195], v[154:155]
	s_waitcnt vmcnt(3) lgkmcnt(1)
	v_mul_f64 v[190:191], v[148:149], v[174:175]
	v_fma_f64 v[250:251], v[192:193], v[152:153], -v[154:155]
	ds_read_b128 v[152:155], v2 offset:1568
	v_fmac_f64_e32 v[190:191], v[150:151], v[172:173]
	v_add_f64 v[248:249], v[188:189], v[190:191]
	ds_read_b128 v[188:191], v2 offset:1584
	s_waitcnt vmcnt(2) lgkmcnt(2)
	v_mul_f64 v[192:193], v[184:185], v[178:179]
	v_fmac_f64_e32 v[192:193], v[186:187], v[176:177]
	v_add_f64 v[2:3], v[248:249], v[192:193]
	s_waitcnt vmcnt(1) lgkmcnt(1)
	v_mul_f64 v[192:193], v[152:153], v[182:183]
	v_fmac_f64_e32 v[192:193], v[154:155], v[180:181]
	v_add_f64 v[2:3], v[2:3], v[192:193]
	;; [unrolled: 4-line block ×3, first 2 shown]
	scratch_load_dwordx4 v[192:195], off, off offset:288
	v_add_f64 v[244:245], v[244:245], 0
	v_add_f64 v[244:245], v[244:245], v[246:247]
	v_mul_f64 v[6:7], v[70:71], v[6:7]
	v_add_f64 v[244:245], v[244:245], v[250:251]
	v_fma_f64 v[4:5], v[68:69], v[4:5], -v[6:7]
	v_mul_f64 v[6:7], v[90:91], v[10:11]
	v_add_f64 v[4:5], v[244:245], v[4:5]
	v_fma_f64 v[6:7], v[88:89], v[8:9], -v[6:7]
	v_add_f64 v[4:5], v[4:5], v[6:7]
	v_mul_f64 v[6:7], v[86:87], v[14:15]
	v_fma_f64 v[6:7], v[84:85], v[12:13], -v[6:7]
	v_add_f64 v[4:5], v[4:5], v[6:7]
	v_mul_f64 v[6:7], v[82:83], v[18:19]
	;; [unrolled: 3-line block ×27, first 2 shown]
	v_fma_f64 v[6:7], v[188:189], v[196:197], -v[6:7]
	v_add_f64 v[4:5], v[4:5], v[6:7]
	s_waitcnt vmcnt(0)
	v_add_f64 v[4:5], v[192:193], -v[4:5]
	v_add_f64 v[6:7], v[194:195], -v[2:3]
	scratch_store_dwordx4 off, v[4:7], off offset:288
	s_and_saveexec_b64 s[0:1], vcc
	s_cbranch_execz .LBB49_281
; %bb.280:
	scratch_load_dwordx4 v[2:5], off, s42
	v_mov_b32_e32 v6, 0
	v_mov_b32_e32 v7, v6
	;; [unrolled: 1-line block ×4, first 2 shown]
	v_accvgpr_read_b32 v0, a101
	scratch_store_dwordx4 off, v[6:9], off offset:272
	s_waitcnt vmcnt(1)
	ds_write_b128 v0, v[2:5]
.LBB49_281:
	s_or_b64 exec, exec, s[0:1]
	s_waitcnt lgkmcnt(0)
	; wave barrier
	scratch_load_dwordx4 v[108:111], off, off offset:288
	scratch_load_dwordx4 v[116:119], off, off offset:304
	;; [unrolled: 1-line block ×33, first 2 shown]
	v_mov_b32_e32 v2, 0
	ds_read_b128 v[220:223], v2 offset:1072
	ds_read_b128 v[224:227], v2 offset:1088
	ds_read_b128 v[234:237], v2 offset:1104
	ds_read_b128 v[244:247], v2 offset:1120
	ds_read_b128 v[248:251], v2 offset:1136
	ds_read_b128 v[176:179], v2 offset:1152
	ds_read_b128 v[172:175], v2 offset:1168
	ds_read_b128 v[168:171], v2 offset:1184
	ds_read_b128 v[164:167], v2 offset:1200
	ds_read_b128 v[160:163], v2 offset:1216
	ds_read_b128 v[156:159], v2 offset:1232
	ds_read_b128 v[152:155], v2 offset:1248
	ds_read_b128 v[148:151], v2 offset:1264
	ds_read_b128 v[144:147], v2 offset:1280
	ds_read_b128 v[140:143], v2 offset:1296
	ds_read_b128 v[136:139], v2 offset:1312
	v_cmp_lt_u32_e32 vcc, 15, v242
	s_waitcnt vmcnt(32) lgkmcnt(14)
	v_mul_f64 v[180:181], v[220:221], v[110:111]
	s_waitcnt vmcnt(31)
	v_mul_f64 v[182:183], v[224:225], v[118:119]
	v_fmac_f64_e32 v[180:181], v[222:223], v[108:109]
	s_waitcnt vmcnt(30) lgkmcnt(13)
	v_mul_f64 v[184:185], v[234:235], v[122:123]
	v_fmac_f64_e32 v[182:183], v[226:227], v[116:117]
	v_add_f64 v[180:181], v[180:181], 0
	s_waitcnt vmcnt(29) lgkmcnt(12)
	v_mul_f64 v[186:187], v[244:245], v[126:127]
	v_fmac_f64_e32 v[184:185], v[236:237], v[120:121]
	v_add_f64 v[180:181], v[180:181], v[182:183]
	;; [unrolled: 4-line block ×13, first 2 shown]
	v_fmac_f64_e32 v[208:209], v[142:143], v[40:41]
	v_add_f64 v[180:181], v[180:181], v[206:207]
	v_add_f64 v[184:185], v[180:181], v[208:209]
	ds_read_b128 v[180:183], v2 offset:1328
	s_waitcnt vmcnt(17) lgkmcnt(1)
	v_mul_f64 v[186:187], v[136:137], v[46:47]
	v_fmac_f64_e32 v[186:187], v[138:139], v[44:45]
	v_add_f64 v[188:189], v[184:185], v[186:187]
	ds_read_b128 v[184:187], v2 offset:1344
	s_waitcnt vmcnt(16) lgkmcnt(1)
	v_mul_f64 v[190:191], v[180:181], v[50:51]
	v_fmac_f64_e32 v[190:191], v[182:183], v[48:49]
	;; [unrolled: 5-line block ×10, first 2 shown]
	v_mul_f64 v[110:111], v[222:223], v[110:111]
	v_add_f64 v[228:229], v[228:229], v[230:231]
	v_fma_f64 v[230:231], v[220:221], v[108:109], -v[110:111]
	ds_read_b128 v[108:111], v2 offset:1488
	s_waitcnt vmcnt(7) lgkmcnt(1)
	v_mul_f64 v[220:221], v[216:217], v[86:87]
	v_mul_f64 v[118:119], v[226:227], v[118:119]
	v_fmac_f64_e32 v[220:221], v[218:219], v[84:85]
	v_fma_f64 v[232:233], v[224:225], v[116:117], -v[118:119]
	ds_read_b128 v[116:119], v2 offset:1504
	s_waitcnt vmcnt(6) lgkmcnt(1)
	v_mul_f64 v[222:223], v[108:109], v[90:91]
	v_add_f64 v[220:221], v[228:229], v[220:221]
	v_fmac_f64_e32 v[222:223], v[110:111], v[88:89]
	v_add_f64 v[224:225], v[220:221], v[222:223]
	ds_read_b128 v[220:223], v2 offset:1520
	v_mul_f64 v[122:123], v[236:237], v[122:123]
	v_fma_f64 v[234:235], v[234:235], v[120:121], -v[122:123]
	ds_read_b128 v[120:123], v2 offset:1536
	s_waitcnt vmcnt(5) lgkmcnt(2)
	v_mul_f64 v[226:227], v[116:117], v[94:95]
	v_fmac_f64_e32 v[226:227], v[118:119], v[92:93]
	v_mul_f64 v[126:127], v[246:247], v[126:127]
	v_add_f64 v[224:225], v[224:225], v[226:227]
	s_waitcnt vmcnt(4) lgkmcnt(1)
	v_mul_f64 v[226:227], v[220:221], v[98:99]
	v_fma_f64 v[236:237], v[244:245], v[124:125], -v[126:127]
	ds_read_b128 v[124:127], v2 offset:1552
	v_fmac_f64_e32 v[226:227], v[222:223], v[96:97]
	v_add_f64 v[228:229], v[224:225], v[226:227]
	s_waitcnt vmcnt(3) lgkmcnt(1)
	v_mul_f64 v[238:239], v[120:121], v[102:103]
	ds_read_b128 v[224:227], v2 offset:1568
	v_fmac_f64_e32 v[238:239], v[122:123], v[100:101]
	v_mul_f64 v[130:131], v[250:251], v[130:131]
	v_add_f64 v[228:229], v[228:229], v[238:239]
	v_fma_f64 v[238:239], v[248:249], v[128:129], -v[130:131]
	ds_read_b128 v[128:131], v2 offset:1584
	s_waitcnt vmcnt(2) lgkmcnt(2)
	v_mul_f64 v[244:245], v[124:125], v[106:107]
	v_fmac_f64_e32 v[244:245], v[126:127], v[104:105]
	v_add_f64 v[228:229], v[228:229], v[244:245]
	s_waitcnt vmcnt(1) lgkmcnt(1)
	v_mul_f64 v[244:245], v[224:225], v[114:115]
	v_fmac_f64_e32 v[244:245], v[226:227], v[112:113]
	v_add_f64 v[228:229], v[228:229], v[244:245]
	;; [unrolled: 4-line block ×3, first 2 shown]
	scratch_load_dwordx4 v[244:247], off, off offset:272
	v_add_f64 v[230:231], v[230:231], 0
	v_add_f64 v[230:231], v[230:231], v[232:233]
	;; [unrolled: 1-line block ×4, first 2 shown]
	v_mul_f64 v[6:7], v[178:179], v[6:7]
	v_add_f64 v[230:231], v[230:231], v[238:239]
	v_fma_f64 v[4:5], v[176:177], v[4:5], -v[6:7]
	v_mul_f64 v[6:7], v[174:175], v[10:11]
	v_add_f64 v[4:5], v[230:231], v[4:5]
	v_fma_f64 v[6:7], v[172:173], v[8:9], -v[6:7]
	v_add_f64 v[4:5], v[4:5], v[6:7]
	v_mul_f64 v[6:7], v[170:171], v[14:15]
	v_fma_f64 v[6:7], v[168:169], v[12:13], -v[6:7]
	v_add_f64 v[4:5], v[4:5], v[6:7]
	v_mul_f64 v[6:7], v[166:167], v[18:19]
	;; [unrolled: 3-line block ×26, first 2 shown]
	v_fma_f64 v[6:7], v[128:129], v[132:133], -v[6:7]
	v_add_f64 v[4:5], v[4:5], v[6:7]
	s_waitcnt vmcnt(0)
	v_add_f64 v[4:5], v[244:245], -v[4:5]
	v_add_f64 v[6:7], v[246:247], -v[228:229]
	scratch_store_dwordx4 off, v[4:7], off offset:272
	s_and_saveexec_b64 s[0:1], vcc
	s_cbranch_execz .LBB49_283
; %bb.282:
	scratch_load_dwordx4 v[6:9], off, s41
	v_mov_b32_e32 v3, v2
	v_mov_b32_e32 v4, v2
	v_mov_b32_e32 v5, v2
	v_accvgpr_read_b32 v0, a101
	scratch_store_dwordx4 off, v[2:5], off offset:256
	s_waitcnt vmcnt(1)
	ds_write_b128 v0, v[6:9]
.LBB49_283:
	s_or_b64 exec, exec, s[0:1]
	s_waitcnt lgkmcnt(0)
	; wave barrier
	scratch_load_dwordx4 v[144:147], off, off offset:272
	scratch_load_dwordx4 v[152:155], off, off offset:288
	;; [unrolled: 1-line block ×16, first 2 shown]
	ds_read_b128 v[196:199], v2 offset:1056
	ds_read_b128 v[188:191], v2 offset:1072
	ds_read_b128 v[180:183], v2 offset:1088
	scratch_load_dwordx4 v[48:51], off, off offset:528
	ds_read_b128 v[192:195], v2 offset:1104
	ds_read_b128 v[184:187], v2 offset:1120
	ds_read_b128 v[64:67], v2 offset:1136
	scratch_load_dwordx4 v[52:55], off, off offset:544
	;; [unrolled: 4-line block ×5, first 2 shown]
	ds_read_b128 v[116:119], v2 offset:1296
	ds_read_b128 v[112:115], v2 offset:1312
	scratch_load_dwordx4 v[108:111], off, off offset:608
	scratch_load_dwordx4 v[120:123], off, off offset:624
	;; [unrolled: 1-line block ×12, first 2 shown]
	v_cmp_lt_u32_e32 vcc, 14, v242
	s_waitcnt vmcnt(32) lgkmcnt(14)
	v_mul_f64 v[204:205], v[196:197], v[146:147]
	s_waitcnt vmcnt(31)
	v_mul_f64 v[206:207], v[188:189], v[154:155]
	v_fmac_f64_e32 v[204:205], v[198:199], v[144:145]
	s_waitcnt vmcnt(30)
	v_mul_f64 v[208:209], v[180:181], v[158:159]
	v_fmac_f64_e32 v[206:207], v[190:191], v[152:153]
	v_add_f64 v[204:205], v[204:205], 0
	s_waitcnt vmcnt(29) lgkmcnt(13)
	v_mul_f64 v[210:211], v[192:193], v[162:163]
	v_fmac_f64_e32 v[208:209], v[182:183], v[156:157]
	v_add_f64 v[204:205], v[204:205], v[206:207]
	s_waitcnt vmcnt(28) lgkmcnt(12)
	;; [unrolled: 4-line block ×12, first 2 shown]
	v_mul_f64 v[232:233], v[96:97], v[42:43]
	v_fmac_f64_e32 v[230:231], v[102:103], v[36:37]
	v_add_f64 v[204:205], v[204:205], v[228:229]
	v_fmac_f64_e32 v[232:233], v[98:99], v[40:41]
	v_add_f64 v[204:205], v[204:205], v[230:231]
	s_waitcnt vmcnt(17) lgkmcnt(1)
	v_mul_f64 v[206:207], v[116:117], v[46:47]
	v_add_f64 v[204:205], v[204:205], v[232:233]
	v_fmac_f64_e32 v[206:207], v[118:119], v[44:45]
	s_waitcnt vmcnt(16) lgkmcnt(0)
	v_mul_f64 v[210:211], v[112:113], v[50:51]
	v_add_f64 v[208:209], v[204:205], v[206:207]
	ds_read_b128 v[204:207], v2 offset:1328
	v_fmac_f64_e32 v[210:211], v[114:115], v[48:49]
	v_add_f64 v[212:213], v[208:209], v[210:211]
	ds_read_b128 v[208:211], v2 offset:1344
	v_mul_f64 v[146:147], v[198:199], v[146:147]
	s_waitcnt vmcnt(15) lgkmcnt(1)
	v_mul_f64 v[214:215], v[204:205], v[54:55]
	v_fmac_f64_e32 v[214:215], v[206:207], v[52:53]
	v_add_f64 v[216:217], v[212:213], v[214:215]
	s_waitcnt vmcnt(14) lgkmcnt(0)
	v_mul_f64 v[218:219], v[208:209], v[58:59]
	ds_read_b128 v[212:215], v2 offset:1360
	v_fmac_f64_e32 v[218:219], v[210:211], v[56:57]
	v_add_f64 v[220:221], v[216:217], v[218:219]
	ds_read_b128 v[216:219], v2 offset:1376
	v_mul_f64 v[154:155], v[190:191], v[154:155]
	s_waitcnt vmcnt(13) lgkmcnt(1)
	v_mul_f64 v[222:223], v[212:213], v[62:63]
	v_fmac_f64_e32 v[222:223], v[214:215], v[60:61]
	v_add_f64 v[224:225], v[220:221], v[222:223]
	s_waitcnt vmcnt(12) lgkmcnt(0)
	v_mul_f64 v[226:227], v[216:217], v[94:95]
	ds_read_b128 v[220:223], v2 offset:1392
	v_fmac_f64_e32 v[226:227], v[218:219], v[92:93]
	v_add_f64 v[228:229], v[224:225], v[226:227]
	ds_read_b128 v[224:227], v2 offset:1408
	v_fma_f64 v[248:249], v[188:189], v[152:153], -v[154:155]
	s_waitcnt vmcnt(11) lgkmcnt(1)
	v_mul_f64 v[230:231], v[220:221], v[110:111]
	v_fmac_f64_e32 v[230:231], v[222:223], v[108:109]
	v_add_f64 v[232:233], v[228:229], v[230:231]
	s_waitcnt vmcnt(10) lgkmcnt(0)
	v_mul_f64 v[234:235], v[224:225], v[122:123]
	ds_read_b128 v[228:231], v2 offset:1424
	v_fmac_f64_e32 v[234:235], v[226:227], v[120:121]
	v_add_f64 v[236:237], v[232:233], v[234:235]
	ds_read_b128 v[232:235], v2 offset:1440
	ds_read_b128 v[152:155], v2 offset:1488
	s_waitcnt vmcnt(9) lgkmcnt(2)
	v_mul_f64 v[238:239], v[228:229], v[126:127]
	v_fmac_f64_e32 v[238:239], v[230:231], v[124:125]
	v_add_f64 v[244:245], v[236:237], v[238:239]
	s_waitcnt vmcnt(8) lgkmcnt(1)
	v_mul_f64 v[246:247], v[232:233], v[130:131]
	ds_read_b128 v[236:239], v2 offset:1456
	v_fmac_f64_e32 v[246:247], v[234:235], v[128:129]
	v_add_f64 v[244:245], v[244:245], v[246:247]
	v_fma_f64 v[246:247], v[196:197], v[144:145], -v[146:147]
	ds_read_b128 v[144:147], v2 offset:1472
	s_waitcnt vmcnt(7) lgkmcnt(1)
	v_mul_f64 v[196:197], v[236:237], v[134:135]
	v_fmac_f64_e32 v[196:197], v[238:239], v[132:133]
	v_add_f64 v[188:189], v[244:245], v[196:197]
	v_mul_f64 v[158:159], v[182:183], v[158:159]
	s_waitcnt vmcnt(6) lgkmcnt(0)
	v_mul_f64 v[190:191], v[144:145], v[138:139]
	v_fmac_f64_e32 v[190:191], v[146:147], v[136:137]
	v_add_f64 v[196:197], v[188:189], v[190:191]
	ds_read_b128 v[188:191], v2 offset:1504
	v_fma_f64 v[244:245], v[180:181], v[156:157], -v[158:159]
	ds_read_b128 v[156:159], v2 offset:1520
	s_waitcnt vmcnt(5)
	v_mul_f64 v[198:199], v[152:153], v[142:143]
	v_fmac_f64_e32 v[198:199], v[154:155], v[140:141]
	s_waitcnt vmcnt(4) lgkmcnt(1)
	v_mul_f64 v[180:181], v[188:189], v[150:151]
	v_add_f64 v[196:197], v[196:197], v[198:199]
	v_fmac_f64_e32 v[180:181], v[190:191], v[148:149]
	v_mul_f64 v[162:163], v[194:195], v[162:163]
	v_add_f64 v[198:199], v[196:197], v[180:181]
	v_fma_f64 v[196:197], v[192:193], v[160:161], -v[162:163]
	ds_read_b128 v[160:163], v2 offset:1536
	s_waitcnt vmcnt(3) lgkmcnt(1)
	v_mul_f64 v[192:193], v[156:157], v[166:167]
	ds_read_b128 v[180:183], v2 offset:1552
	v_fmac_f64_e32 v[192:193], v[158:159], v[164:165]
	v_mul_f64 v[170:171], v[186:187], v[170:171]
	v_add_f64 v[192:193], v[198:199], v[192:193]
	v_fma_f64 v[198:199], v[184:185], v[168:169], -v[170:171]
	ds_read_b128 v[168:171], v2 offset:1568
	s_waitcnt vmcnt(2) lgkmcnt(2)
	v_mul_f64 v[184:185], v[160:161], v[174:175]
	v_fmac_f64_e32 v[184:185], v[162:163], v[172:173]
	s_waitcnt vmcnt(1) lgkmcnt(1)
	v_mul_f64 v[186:187], v[180:181], v[178:179]
	v_add_f64 v[184:185], v[192:193], v[184:185]
	v_fmac_f64_e32 v[186:187], v[182:183], v[176:177]
	v_add_f64 v[184:185], v[184:185], v[186:187]
	s_waitcnt vmcnt(0) lgkmcnt(0)
	v_mul_f64 v[186:187], v[168:169], v[202:203]
	v_fmac_f64_e32 v[186:187], v[170:171], v[200:201]
	v_add_f64 v[250:251], v[184:185], v[186:187]
	scratch_load_dwordx4 v[184:187], off, off offset:800
	v_add_f64 v[246:247], v[246:247], 0
	v_add_f64 v[246:247], v[246:247], v[248:249]
	;; [unrolled: 1-line block ×3, first 2 shown]
	scratch_load_dwordx4 v[246:249], off, off offset:256
	v_add_f64 v[196:197], v[244:245], v[196:197]
	v_mul_f64 v[6:7], v[66:67], v[6:7]
	v_add_f64 v[196:197], v[196:197], v[198:199]
	v_fma_f64 v[4:5], v[64:65], v[4:5], -v[6:7]
	v_mul_f64 v[6:7], v[78:79], v[10:11]
	v_add_f64 v[4:5], v[196:197], v[4:5]
	v_fma_f64 v[6:7], v[76:77], v[8:9], -v[6:7]
	v_add_f64 v[4:5], v[4:5], v[6:7]
	v_mul_f64 v[6:7], v[74:75], v[14:15]
	v_fma_f64 v[6:7], v[72:73], v[12:13], -v[6:7]
	v_add_f64 v[4:5], v[4:5], v[6:7]
	v_mul_f64 v[6:7], v[70:71], v[18:19]
	;; [unrolled: 3-line block ×24, first 2 shown]
	ds_read_b128 v[192:195], v2 offset:1584
	v_fma_f64 v[6:7], v[160:161], v[172:173], -v[6:7]
	v_add_f64 v[4:5], v[4:5], v[6:7]
	v_mul_f64 v[6:7], v[182:183], v[178:179]
	v_fma_f64 v[6:7], v[180:181], v[176:177], -v[6:7]
	v_add_f64 v[4:5], v[4:5], v[6:7]
	v_mul_f64 v[6:7], v[170:171], v[202:203]
	v_fma_f64 v[6:7], v[168:169], v[200:201], -v[6:7]
	s_waitcnt vmcnt(1) lgkmcnt(0)
	v_mul_f64 v[2:3], v[192:193], v[186:187]
	v_add_f64 v[4:5], v[4:5], v[6:7]
	v_mul_f64 v[6:7], v[194:195], v[186:187]
	v_fmac_f64_e32 v[2:3], v[194:195], v[184:185]
	v_fma_f64 v[6:7], v[192:193], v[184:185], -v[6:7]
	v_add_f64 v[2:3], v[250:251], v[2:3]
	v_add_f64 v[4:5], v[4:5], v[6:7]
	s_waitcnt vmcnt(0)
	v_add_f64 v[4:5], v[246:247], -v[4:5]
	v_add_f64 v[6:7], v[248:249], -v[2:3]
	scratch_store_dwordx4 off, v[4:7], off offset:256
	s_and_saveexec_b64 s[0:1], vcc
	s_cbranch_execz .LBB49_285
; %bb.284:
	scratch_load_dwordx4 v[2:5], off, s40
	v_mov_b32_e32 v6, 0
	v_mov_b32_e32 v7, v6
	;; [unrolled: 1-line block ×4, first 2 shown]
	v_accvgpr_read_b32 v0, a101
	scratch_store_dwordx4 off, v[6:9], off offset:240
	s_waitcnt vmcnt(1)
	ds_write_b128 v0, v[2:5]
.LBB49_285:
	s_or_b64 exec, exec, s[0:1]
	s_waitcnt lgkmcnt(0)
	; wave barrier
	scratch_load_dwordx4 v[184:187], off, off offset:256
	scratch_load_dwordx4 v[188:191], off, off offset:272
	;; [unrolled: 1-line block ×32, first 2 shown]
	v_mov_b32_e32 v2, 0
	ds_read_b128 v[192:195], v2 offset:1040
	ds_read_b128 v[204:207], v2 offset:1056
	;; [unrolled: 1-line block ×16, first 2 shown]
	v_cmp_lt_u32_e32 vcc, 13, v242
	s_waitcnt vmcnt(31) lgkmcnt(14)
	v_mul_f64 v[104:105], v[192:193], v[186:187]
	s_waitcnt vmcnt(30)
	v_mul_f64 v[106:107], v[204:205], v[190:191]
	v_fmac_f64_e32 v[104:105], v[194:195], v[184:185]
	s_waitcnt vmcnt(29) lgkmcnt(13)
	v_mul_f64 v[112:113], v[216:217], v[198:199]
	v_fmac_f64_e32 v[106:107], v[206:207], v[188:189]
	v_add_f64 v[104:105], v[104:105], 0
	s_waitcnt vmcnt(28) lgkmcnt(12)
	v_mul_f64 v[114:115], v[224:225], v[202:203]
	v_fmac_f64_e32 v[112:113], v[218:219], v[196:197]
	v_add_f64 v[104:105], v[104:105], v[106:107]
	;; [unrolled: 4-line block ×10, first 2 shown]
	ds_read_b128 v[152:155], v2 offset:1296
	ds_read_b128 v[156:159], v2 offset:1312
	s_waitcnt vmcnt(19) lgkmcnt(5)
	v_mul_f64 v[164:165], v[124:125], v[26:27]
	v_fmac_f64_e32 v[162:163], v[134:135], v[20:21]
	v_add_f64 v[104:105], v[104:105], v[160:161]
	s_waitcnt vmcnt(18) lgkmcnt(4)
	v_mul_f64 v[166:167], v[120:121], v[30:31]
	v_fmac_f64_e32 v[164:165], v[126:127], v[24:25]
	v_add_f64 v[104:105], v[104:105], v[162:163]
	;; [unrolled: 4-line block ×4, first 2 shown]
	v_add_f64 v[112:113], v[104:105], v[168:169]
	v_fmac_f64_e32 v[170:171], v[110:111], v[36:37]
	scratch_load_dwordx4 v[104:107], off, off offset:768
	s_waitcnt vmcnt(16) lgkmcnt(1)
	v_mul_f64 v[114:115], v[152:153], v[42:43]
	v_add_f64 v[112:113], v[112:113], v[170:171]
	v_fmac_f64_e32 v[114:115], v[154:155], v[40:41]
	v_add_f64 v[128:129], v[112:113], v[114:115]
	scratch_load_dwordx4 v[112:115], off, off offset:784
	s_waitcnt vmcnt(16) lgkmcnt(0)
	v_mul_f64 v[130:131], v[156:157], v[46:47]
	v_fmac_f64_e32 v[130:131], v[158:159], v[44:45]
	v_add_f64 v[168:169], v[128:129], v[130:131]
	scratch_load_dwordx4 v[128:131], off, off offset:800
	ds_read_b128 v[160:163], v2 offset:1328
	ds_read_b128 v[164:167], v2 offset:1344
	v_mul_f64 v[186:187], v[194:195], v[186:187]
	v_fma_f64 v[252:253], v[192:193], v[184:185], -v[186:187]
	ds_read_b128 v[184:187], v2 offset:1424
	s_waitcnt vmcnt(16) lgkmcnt(2)
	v_mul_f64 v[170:171], v[160:161], v[50:51]
	v_fmac_f64_e32 v[170:171], v[162:163], v[48:49]
	s_waitcnt vmcnt(15) lgkmcnt(1)
	v_mul_f64 v[174:175], v[164:165], v[54:55]
	v_add_f64 v[172:173], v[168:169], v[170:171]
	ds_read_b128 v[168:171], v2 offset:1360
	v_fmac_f64_e32 v[174:175], v[166:167], v[52:53]
	v_add_f64 v[176:177], v[172:173], v[174:175]
	ds_read_b128 v[172:175], v2 offset:1376
	v_mul_f64 v[190:191], v[206:207], v[190:191]
	s_waitcnt vmcnt(14) lgkmcnt(1)
	v_mul_f64 v[178:179], v[168:169], v[58:59]
	v_fmac_f64_e32 v[178:179], v[170:171], v[56:57]
	v_add_f64 v[180:181], v[176:177], v[178:179]
	s_waitcnt vmcnt(13) lgkmcnt(0)
	v_mul_f64 v[182:183], v[172:173], v[62:63]
	ds_read_b128 v[176:179], v2 offset:1392
	v_fmac_f64_e32 v[182:183], v[174:175], v[60:61]
	v_add_f64 v[232:233], v[180:181], v[182:183]
	ds_read_b128 v[180:183], v2 offset:1408
	v_fma_f64 v[254:255], v[204:205], v[188:189], -v[190:191]
	s_waitcnt vmcnt(12) lgkmcnt(1)
	v_mul_f64 v[234:235], v[176:177], v[66:67]
	v_fmac_f64_e32 v[234:235], v[178:179], v[64:65]
	v_add_f64 v[232:233], v[232:233], v[234:235]
	s_waitcnt vmcnt(11) lgkmcnt(0)
	v_mul_f64 v[192:193], v[180:181], v[70:71]
	v_fmac_f64_e32 v[192:193], v[182:183], v[68:69]
	ds_read_b128 v[188:191], v2 offset:1440
	s_waitcnt vmcnt(10)
	v_mul_f64 v[194:195], v[184:185], v[74:75]
	v_add_f64 v[192:193], v[232:233], v[192:193]
	v_fmac_f64_e32 v[194:195], v[186:187], v[72:73]
	v_add_f64 v[204:205], v[192:193], v[194:195]
	ds_read_b128 v[192:195], v2 offset:1456
	v_mul_f64 v[198:199], v[218:219], v[198:199]
	v_fma_f64 v[240:241], v[216:217], v[196:197], -v[198:199]
	ds_read_b128 v[196:199], v2 offset:1472
	s_waitcnt vmcnt(9) lgkmcnt(2)
	v_mul_f64 v[206:207], v[188:189], v[78:79]
	v_fmac_f64_e32 v[206:207], v[190:191], v[76:77]
	v_add_f64 v[204:205], v[204:205], v[206:207]
	s_waitcnt vmcnt(8) lgkmcnt(1)
	v_mul_f64 v[206:207], v[192:193], v[82:83]
	v_fmac_f64_e32 v[206:207], v[194:195], v[80:81]
	v_mul_f64 v[202:203], v[226:227], v[202:203]
	v_add_f64 v[204:205], v[204:205], v[206:207]
	v_fma_f64 v[234:235], v[224:225], v[200:201], -v[202:203]
	ds_read_b128 v[200:203], v2 offset:1488
	s_waitcnt vmcnt(7) lgkmcnt(1)
	v_mul_f64 v[206:207], v[196:197], v[86:87]
	v_fmac_f64_e32 v[206:207], v[198:199], v[84:85]
	v_add_f64 v[216:217], v[204:205], v[206:207]
	ds_read_b128 v[204:207], v2 offset:1504
	v_mul_f64 v[210:211], v[230:231], v[210:211]
	v_fma_f64 v[236:237], v[228:229], v[208:209], -v[210:211]
	ds_read_b128 v[208:211], v2 offset:1520
	s_waitcnt vmcnt(6) lgkmcnt(2)
	v_mul_f64 v[218:219], v[200:201], v[90:91]
	v_fmac_f64_e32 v[218:219], v[202:203], v[88:89]
	v_add_f64 v[216:217], v[216:217], v[218:219]
	s_waitcnt vmcnt(5) lgkmcnt(1)
	v_mul_f64 v[218:219], v[204:205], v[94:95]
	v_fmac_f64_e32 v[218:219], v[206:207], v[92:93]
	v_mul_f64 v[214:215], v[246:247], v[214:215]
	v_fma_f64 v[238:239], v[244:245], v[212:213], -v[214:215]
	ds_read_b128 v[212:215], v2 offset:1536
	v_add_f64 v[216:217], v[216:217], v[218:219]
	s_waitcnt vmcnt(4) lgkmcnt(1)
	v_mul_f64 v[218:219], v[208:209], v[102:103]
	v_fmac_f64_e32 v[218:219], v[210:211], v[100:101]
	v_add_f64 v[224:225], v[216:217], v[218:219]
	ds_read_b128 v[216:219], v2 offset:1552
	v_mul_f64 v[222:223], v[250:251], v[222:223]
	v_fma_f64 v[244:245], v[248:249], v[220:221], -v[222:223]
	ds_read_b128 v[220:223], v2 offset:1568
	s_waitcnt vmcnt(3) lgkmcnt(2)
	v_mul_f64 v[226:227], v[212:213], v[98:99]
	v_fmac_f64_e32 v[226:227], v[214:215], v[96:97]
	v_add_f64 v[224:225], v[224:225], v[226:227]
	s_waitcnt vmcnt(2) lgkmcnt(1)
	v_mul_f64 v[226:227], v[216:217], v[106:107]
	v_fmac_f64_e32 v[226:227], v[218:219], v[104:105]
	v_add_f64 v[224:225], v[224:225], v[226:227]
	;; [unrolled: 4-line block ×3, first 2 shown]
	ds_read_b128 v[224:227], v2 offset:1584
	v_mul_f64 v[6:7], v[150:151], v[6:7]
	v_fma_f64 v[4:5], v[148:149], v[4:5], -v[6:7]
	v_mul_f64 v[6:7], v[146:147], v[10:11]
	v_fma_f64 v[6:7], v[144:145], v[8:9], -v[6:7]
	s_waitcnt vmcnt(0) lgkmcnt(0)
	v_mul_f64 v[230:231], v[224:225], v[130:131]
	v_fmac_f64_e32 v[230:231], v[226:227], v[128:129]
	v_add_f64 v[232:233], v[228:229], v[230:231]
	v_add_f64 v[228:229], v[252:253], 0
	;; [unrolled: 1-line block ×4, first 2 shown]
	scratch_load_dwordx4 v[228:231], off, off offset:240
	v_add_f64 v[234:235], v[246:247], v[234:235]
	v_add_f64 v[234:235], v[234:235], v[236:237]
	;; [unrolled: 1-line block ×6, first 2 shown]
	v_mul_f64 v[6:7], v[142:143], v[14:15]
	v_fma_f64 v[6:7], v[140:141], v[12:13], -v[6:7]
	v_add_f64 v[4:5], v[4:5], v[6:7]
	v_mul_f64 v[6:7], v[138:139], v[18:19]
	v_fma_f64 v[6:7], v[136:137], v[16:17], -v[6:7]
	v_add_f64 v[4:5], v[4:5], v[6:7]
	;; [unrolled: 3-line block ×26, first 2 shown]
	s_waitcnt vmcnt(0)
	v_add_f64 v[4:5], v[228:229], -v[4:5]
	v_add_f64 v[6:7], v[230:231], -v[232:233]
	scratch_store_dwordx4 off, v[4:7], off offset:240
	s_and_saveexec_b64 s[0:1], vcc
	s_cbranch_execz .LBB49_287
; %bb.286:
	scratch_load_dwordx4 v[6:9], off, s39
	v_mov_b32_e32 v3, v2
	v_mov_b32_e32 v4, v2
	;; [unrolled: 1-line block ×3, first 2 shown]
	v_accvgpr_read_b32 v0, a101
	scratch_store_dwordx4 off, v[2:5], off offset:224
	s_waitcnt vmcnt(1)
	ds_write_b128 v0, v[6:9]
.LBB49_287:
	s_or_b64 exec, exec, s[0:1]
	s_waitcnt lgkmcnt(0)
	; wave barrier
	scratch_load_dwordx4 v[140:143], off, off offset:240
	scratch_load_dwordx4 v[144:147], off, off offset:256
	;; [unrolled: 1-line block ×16, first 2 shown]
	ds_read_b128 v[208:211], v2 offset:1024
	ds_read_b128 v[200:203], v2 offset:1040
	;; [unrolled: 1-line block ×3, first 2 shown]
	scratch_load_dwordx4 v[40:43], off, off offset:496
	ds_read_b128 v[204:207], v2 offset:1072
	ds_read_b128 v[192:195], v2 offset:1088
	;; [unrolled: 1-line block ×3, first 2 shown]
	scratch_load_dwordx4 v[44:47], off, off offset:512
	ds_read_b128 v[196:199], v2 offset:1120
	ds_read_b128 v[64:67], v2 offset:1136
	;; [unrolled: 1-line block ×4, first 2 shown]
	scratch_load_dwordx4 v[48:51], off, off offset:528
	ds_read_b128 v[72:75], v2 offset:1184
	ds_read_b128 v[68:71], v2 offset:1200
	scratch_load_dwordx4 v[56:59], off, off offset:544
	ds_read_b128 v[92:95], v2 offset:1216
	ds_read_b128 v[88:91], v2 offset:1232
	ds_read_b128 v[84:87], v2 offset:1248
	ds_read_b128 v[80:83], v2 offset:1264
	scratch_load_dwordx4 v[76:79], off, off offset:560
	scratch_load_dwordx4 v[96:99], off, off offset:576
	;; [unrolled: 1-line block ×12, first 2 shown]
	ds_read_b128 v[168:171], v2 offset:1280
	v_accvgpr_write_b32 a100, v242
	v_cmp_lt_u32_e32 vcc, 12, v242
	s_waitcnt vmcnt(31) lgkmcnt(14)
	v_mul_f64 v[172:173], v[208:209], v[142:143]
	s_waitcnt vmcnt(30)
	v_mul_f64 v[174:175], v[200:201], v[146:147]
	v_fmac_f64_e32 v[172:173], v[210:211], v[140:141]
	s_waitcnt vmcnt(29)
	v_mul_f64 v[176:177], v[188:189], v[150:151]
	v_fmac_f64_e32 v[174:175], v[202:203], v[144:145]
	v_add_f64 v[172:173], v[172:173], 0
	s_waitcnt vmcnt(28) lgkmcnt(13)
	v_mul_f64 v[178:179], v[204:205], v[154:155]
	v_fmac_f64_e32 v[176:177], v[190:191], v[148:149]
	v_add_f64 v[172:173], v[172:173], v[174:175]
	s_waitcnt vmcnt(27) lgkmcnt(12)
	;; [unrolled: 4-line block ×10, first 2 shown]
	v_mul_f64 v[224:225], v[92:93], v[26:27]
	v_fmac_f64_e32 v[222:223], v[70:71], v[20:21]
	v_add_f64 v[172:173], v[172:173], v[220:221]
	ds_read_b128 v[212:215], v2 offset:1296
	s_waitcnt vmcnt(18) lgkmcnt(4)
	v_mul_f64 v[226:227], v[88:89], v[30:31]
	v_fmac_f64_e32 v[224:225], v[94:95], v[24:25]
	v_add_f64 v[172:173], v[172:173], v[222:223]
	ds_read_b128 v[216:219], v2 offset:1312
	ds_read_b128 v[220:223], v2 offset:1328
	s_waitcnt vmcnt(17) lgkmcnt(5)
	v_mul_f64 v[228:229], v[84:85], v[34:35]
	v_fmac_f64_e32 v[226:227], v[90:91], v[28:29]
	v_add_f64 v[172:173], v[172:173], v[224:225]
	s_waitcnt vmcnt(16) lgkmcnt(4)
	v_mul_f64 v[230:231], v[80:81], v[38:39]
	v_fmac_f64_e32 v[228:229], v[86:87], v[32:33]
	v_add_f64 v[172:173], v[172:173], v[226:227]
	v_add_f64 v[176:177], v[172:173], v[228:229]
	v_fmac_f64_e32 v[230:231], v[82:83], v[36:37]
	s_waitcnt vmcnt(15) lgkmcnt(3)
	v_mul_f64 v[178:179], v[168:169], v[42:43]
	v_add_f64 v[176:177], v[176:177], v[230:231]
	v_fmac_f64_e32 v[178:179], v[170:171], v[40:41]
	s_waitcnt vmcnt(14) lgkmcnt(2)
	v_mul_f64 v[182:183], v[212:213], v[46:47]
	;; [unrolled: 4-line block ×3, first 2 shown]
	v_add_f64 v[224:225], v[180:181], v[182:183]
	v_fmac_f64_e32 v[226:227], v[218:219], v[48:49]
	v_add_f64 v[228:229], v[224:225], v[226:227]
	ds_read_b128 v[224:227], v2 offset:1344
	s_waitcnt vmcnt(12) lgkmcnt(1)
	v_mul_f64 v[230:231], v[220:221], v[58:59]
	v_fmac_f64_e32 v[230:231], v[222:223], v[56:57]
	v_add_f64 v[232:233], v[228:229], v[230:231]
	ds_read_b128 v[228:231], v2 offset:1360
	s_waitcnt vmcnt(11) lgkmcnt(1)
	v_mul_f64 v[234:235], v[224:225], v[78:79]
	v_fmac_f64_e32 v[234:235], v[226:227], v[76:77]
	v_add_f64 v[236:237], v[232:233], v[234:235]
	ds_read_b128 v[232:235], v2 offset:1376
	s_waitcnt vmcnt(10) lgkmcnt(1)
	v_mul_f64 v[238:239], v[228:229], v[98:99]
	v_fmac_f64_e32 v[238:239], v[230:231], v[96:97]
	v_add_f64 v[240:241], v[236:237], v[238:239]
	ds_read_b128 v[236:239], v2 offset:1392
	s_waitcnt vmcnt(9) lgkmcnt(1)
	v_mul_f64 v[244:245], v[232:233], v[102:103]
	v_fmac_f64_e32 v[244:245], v[234:235], v[100:101]
	v_mul_f64 v[142:143], v[210:211], v[142:143]
	v_add_f64 v[240:241], v[240:241], v[244:245]
	v_fma_f64 v[244:245], v[208:209], v[140:141], -v[142:143]
	ds_read_b128 v[140:143], v2 offset:1408
	s_waitcnt vmcnt(8) lgkmcnt(1)
	v_mul_f64 v[208:209], v[236:237], v[106:107]
	v_fmac_f64_e32 v[208:209], v[238:239], v[104:105]
	v_mul_f64 v[146:147], v[202:203], v[146:147]
	v_add_f64 v[208:209], v[240:241], v[208:209]
	v_fma_f64 v[240:241], v[200:201], v[144:145], -v[146:147]
	ds_read_b128 v[144:147], v2 offset:1424
	s_waitcnt vmcnt(7) lgkmcnt(1)
	v_mul_f64 v[200:201], v[140:141], v[110:111]
	scratch_load_dwordx4 v[172:175], off, off offset:752
	v_fmac_f64_e32 v[200:201], v[142:143], v[108:109]
	v_add_f64 v[208:209], v[208:209], v[200:201]
	ds_read_b128 v[200:203], v2 offset:1440
	v_mul_f64 v[150:151], v[190:191], v[150:151]
	scratch_load_dwordx4 v[176:179], off, off offset:768
	scratch_load_dwordx4 v[180:183], off, off offset:784
	v_fma_f64 v[246:247], v[188:189], v[148:149], -v[150:151]
	ds_read_b128 v[148:151], v2 offset:1456
	s_waitcnt vmcnt(9) lgkmcnt(2)
	v_mul_f64 v[210:211], v[144:145], v[114:115]
	v_fmac_f64_e32 v[210:211], v[146:147], v[112:113]
	s_waitcnt vmcnt(8) lgkmcnt(1)
	v_mul_f64 v[188:189], v[200:201], v[118:119]
	v_add_f64 v[208:209], v[208:209], v[210:211]
	v_fmac_f64_e32 v[188:189], v[202:203], v[116:117]
	v_mul_f64 v[154:155], v[206:207], v[154:155]
	s_waitcnt vmcnt(7) lgkmcnt(0)
	v_mul_f64 v[190:191], v[148:149], v[122:123]
	v_add_f64 v[188:189], v[208:209], v[188:189]
	v_fma_f64 v[248:249], v[204:205], v[152:153], -v[154:155]
	ds_read_b128 v[152:155], v2 offset:1472
	v_fmac_f64_e32 v[190:191], v[150:151], v[120:121]
	v_add_f64 v[204:205], v[188:189], v[190:191]
	ds_read_b128 v[188:191], v2 offset:1488
	v_mul_f64 v[158:159], v[194:195], v[158:159]
	s_waitcnt vmcnt(6) lgkmcnt(1)
	v_mul_f64 v[206:207], v[152:153], v[126:127]
	v_fmac_f64_e32 v[206:207], v[154:155], v[124:125]
	v_fma_f64 v[250:251], v[192:193], v[156:157], -v[158:159]
	s_waitcnt vmcnt(5) lgkmcnt(0)
	v_mul_f64 v[192:193], v[188:189], v[130:131]
	v_add_f64 v[204:205], v[204:205], v[206:207]
	v_fmac_f64_e32 v[192:193], v[190:191], v[128:129]
	v_mul_f64 v[162:163], v[186:187], v[162:163]
	v_fma_f64 v[208:209], v[184:185], v[160:161], -v[162:163]
	v_add_f64 v[184:185], v[204:205], v[192:193]
	scratch_load_dwordx4 v[204:207], off, off offset:800
	v_add_f64 v[244:245], v[244:245], 0
	v_add_f64 v[240:241], v[244:245], v[240:241]
	;; [unrolled: 1-line block ×4, first 2 shown]
	scratch_load_dwordx4 v[246:249], off, off offset:224
	v_mul_f64 v[166:167], v[198:199], v[166:167]
	v_add_f64 v[244:245], v[240:241], v[250:251]
	v_fma_f64 v[210:211], v[196:197], v[164:165], -v[166:167]
	v_add_f64 v[208:209], v[244:245], v[208:209]
	v_mul_f64 v[6:7], v[66:67], v[6:7]
	v_add_f64 v[208:209], v[208:209], v[210:211]
	v_fma_f64 v[4:5], v[64:65], v[4:5], -v[6:7]
	v_mul_f64 v[6:7], v[62:63], v[10:11]
	v_add_f64 v[4:5], v[208:209], v[4:5]
	v_fma_f64 v[6:7], v[60:61], v[8:9], -v[6:7]
	v_add_f64 v[4:5], v[4:5], v[6:7]
	v_mul_f64 v[6:7], v[54:55], v[14:15]
	v_fma_f64 v[6:7], v[52:53], v[12:13], -v[6:7]
	v_add_f64 v[4:5], v[4:5], v[6:7]
	v_mul_f64 v[6:7], v[74:75], v[18:19]
	;; [unrolled: 3-line block ×12, first 2 shown]
	v_fma_f64 v[6:7], v[224:225], v[76:77], -v[6:7]
	ds_read_b128 v[156:159], v2 offset:1504
	ds_read_b128 v[160:163], v2 offset:1520
	v_add_f64 v[4:5], v[4:5], v[6:7]
	v_mul_f64 v[6:7], v[230:231], v[98:99]
	v_fma_f64 v[6:7], v[228:229], v[96:97], -v[6:7]
	v_add_f64 v[4:5], v[4:5], v[6:7]
	v_mul_f64 v[6:7], v[234:235], v[102:103]
	v_fma_f64 v[6:7], v[232:233], v[100:101], -v[6:7]
	v_add_f64 v[4:5], v[4:5], v[6:7]
	v_mul_f64 v[6:7], v[238:239], v[106:107]
	s_waitcnt vmcnt(6) lgkmcnt(1)
	v_mul_f64 v[186:187], v[156:157], v[138:139]
	v_fma_f64 v[6:7], v[236:237], v[104:105], -v[6:7]
	v_fmac_f64_e32 v[186:187], v[158:159], v[136:137]
	v_add_f64 v[4:5], v[4:5], v[6:7]
	v_mul_f64 v[6:7], v[142:143], v[110:111]
	v_add_f64 v[192:193], v[184:185], v[186:187]
	ds_read_b128 v[184:187], v2 offset:1536
	ds_read_b128 v[164:167], v2 offset:1552
	v_fma_f64 v[6:7], v[140:141], v[108:109], -v[6:7]
	v_add_f64 v[4:5], v[4:5], v[6:7]
	v_mul_f64 v[6:7], v[146:147], v[114:115]
	v_fma_f64 v[6:7], v[144:145], v[112:113], -v[6:7]
	s_waitcnt vmcnt(5) lgkmcnt(2)
	v_mul_f64 v[194:195], v[160:161], v[134:135]
	v_add_f64 v[4:5], v[4:5], v[6:7]
	v_mul_f64 v[6:7], v[202:203], v[118:119]
	v_fmac_f64_e32 v[194:195], v[162:163], v[132:133]
	v_fma_f64 v[6:7], v[200:201], v[116:117], -v[6:7]
	v_add_f64 v[192:193], v[192:193], v[194:195]
	s_waitcnt vmcnt(4) lgkmcnt(1)
	v_mul_f64 v[194:195], v[184:185], v[174:175]
	v_add_f64 v[4:5], v[4:5], v[6:7]
	v_mul_f64 v[6:7], v[150:151], v[122:123]
	v_fmac_f64_e32 v[194:195], v[186:187], v[172:173]
	v_fma_f64 v[6:7], v[148:149], v[120:121], -v[6:7]
	v_add_f64 v[192:193], v[192:193], v[194:195]
	;; [unrolled: 7-line block ×3, first 2 shown]
	ds_read_b128 v[192:195], v2 offset:1568
	v_add_f64 v[4:5], v[4:5], v[6:7]
	v_mul_f64 v[6:7], v[190:191], v[130:131]
	v_fma_f64 v[6:7], v[188:189], v[128:129], -v[6:7]
	v_add_f64 v[4:5], v[4:5], v[6:7]
	v_mul_f64 v[6:7], v[158:159], v[138:139]
	v_fma_f64 v[6:7], v[156:157], v[136:137], -v[6:7]
	v_add_f64 v[4:5], v[4:5], v[6:7]
	v_mul_f64 v[6:7], v[162:163], v[134:135]
	s_waitcnt vmcnt(2) lgkmcnt(0)
	v_mul_f64 v[198:199], v[192:193], v[182:183]
	v_fma_f64 v[6:7], v[160:161], v[132:133], -v[6:7]
	v_fmac_f64_e32 v[198:199], v[194:195], v[180:181]
	v_add_f64 v[4:5], v[4:5], v[6:7]
	v_mul_f64 v[6:7], v[186:187], v[174:175]
	v_add_f64 v[252:253], v[196:197], v[198:199]
	ds_read_b128 v[196:199], v2 offset:1584
	v_fma_f64 v[6:7], v[184:185], v[172:173], -v[6:7]
	v_add_f64 v[4:5], v[4:5], v[6:7]
	v_mul_f64 v[6:7], v[166:167], v[178:179]
	v_fma_f64 v[6:7], v[164:165], v[176:177], -v[6:7]
	v_add_f64 v[4:5], v[4:5], v[6:7]
	v_mul_f64 v[6:7], v[194:195], v[182:183]
	v_fma_f64 v[6:7], v[192:193], v[180:181], -v[6:7]
	s_waitcnt vmcnt(1) lgkmcnt(0)
	v_mul_f64 v[2:3], v[196:197], v[206:207]
	v_add_f64 v[4:5], v[4:5], v[6:7]
	v_mul_f64 v[6:7], v[198:199], v[206:207]
	v_fmac_f64_e32 v[2:3], v[198:199], v[204:205]
	v_fma_f64 v[6:7], v[196:197], v[204:205], -v[6:7]
	v_add_f64 v[2:3], v[252:253], v[2:3]
	v_add_f64 v[4:5], v[4:5], v[6:7]
	s_waitcnt vmcnt(0)
	v_add_f64 v[4:5], v[246:247], -v[4:5]
	v_add_f64 v[6:7], v[248:249], -v[2:3]
	scratch_store_dwordx4 off, v[4:7], off offset:224
	s_and_saveexec_b64 s[0:1], vcc
	s_cbranch_execz .LBB49_289
; %bb.288:
	scratch_load_dwordx4 v[2:5], off, s38
	v_mov_b32_e32 v6, 0
	v_mov_b32_e32 v7, v6
	;; [unrolled: 1-line block ×4, first 2 shown]
	v_accvgpr_read_b32 v0, a101
	scratch_store_dwordx4 off, v[6:9], off offset:208
	s_waitcnt vmcnt(1)
	ds_write_b128 v0, v[2:5]
.LBB49_289:
	s_or_b64 exec, exec, s[0:1]
	s_waitcnt lgkmcnt(0)
	; wave barrier
	scratch_load_dwordx4 v[168:171], off, off offset:224
	scratch_load_dwordx4 v[172:175], off, off offset:240
	;; [unrolled: 1-line block ×32, first 2 shown]
	v_mov_b32_e32 v2, 0
	ds_read_b128 v[176:179], v2 offset:1008
	ds_read_b128 v[188:191], v2 offset:1024
	;; [unrolled: 1-line block ×17, first 2 shown]
	v_accvgpr_read_b32 v0, a100
	v_cmp_lt_u32_e32 vcc, 11, v0
	s_waitcnt vmcnt(31) lgkmcnt(14)
	v_mul_f64 v[104:105], v[176:177], v[170:171]
	s_waitcnt vmcnt(30)
	v_mul_f64 v[106:107], v[188:189], v[174:175]
	v_fmac_f64_e32 v[104:105], v[178:179], v[168:169]
	s_waitcnt vmcnt(29)
	v_mul_f64 v[108:109], v[200:201], v[182:183]
	v_fmac_f64_e32 v[106:107], v[190:191], v[172:173]
	v_add_f64 v[104:105], v[104:105], 0
	s_waitcnt vmcnt(28) lgkmcnt(13)
	v_mul_f64 v[110:111], v[212:213], v[186:187]
	v_fmac_f64_e32 v[108:109], v[202:203], v[180:181]
	v_add_f64 v[104:105], v[104:105], v[106:107]
	s_waitcnt vmcnt(27) lgkmcnt(12)
	;; [unrolled: 4-line block ×12, first 2 shown]
	v_mul_f64 v[156:157], v[112:113], v[26:27]
	v_fmac_f64_e32 v[154:155], v[118:119], v[20:21]
	v_add_f64 v[104:105], v[104:105], v[152:153]
	v_fmac_f64_e32 v[156:157], v[114:115], v[24:25]
	v_add_f64 v[104:105], v[104:105], v[154:155]
	s_waitcnt vmcnt(16) lgkmcnt(1)
	v_mul_f64 v[106:107], v[100:101], v[30:31]
	v_add_f64 v[104:105], v[104:105], v[156:157]
	v_fmac_f64_e32 v[106:107], v[102:103], v[28:29]
	v_add_f64 v[108:109], v[104:105], v[106:107]
	ds_read_b128 v[144:147], v2 offset:1280
	ds_read_b128 v[148:151], v2 offset:1296
	scratch_load_dwordx4 v[104:107], off, off offset:736
	s_waitcnt vmcnt(16) lgkmcnt(2)
	v_mul_f64 v[110:111], v[96:97], v[34:35]
	v_fmac_f64_e32 v[110:111], v[98:99], v[32:33]
	v_add_f64 v[120:121], v[108:109], v[110:111]
	scratch_load_dwordx4 v[108:111], off, off offset:752
	s_waitcnt vmcnt(16) lgkmcnt(1)
	v_mul_f64 v[122:123], v[144:145], v[38:39]
	v_fmac_f64_e32 v[122:123], v[146:147], v[36:37]
	v_add_f64 v[132:133], v[120:121], v[122:123]
	s_waitcnt vmcnt(15) lgkmcnt(0)
	v_mul_f64 v[134:135], v[148:149], v[42:43]
	scratch_load_dwordx4 v[120:123], off, off offset:768
	v_fmac_f64_e32 v[134:135], v[150:151], v[40:41]
	v_add_f64 v[160:161], v[132:133], v[134:135]
	scratch_load_dwordx4 v[132:135], off, off offset:784
	ds_read_b128 v[152:155], v2 offset:1312
	ds_read_b128 v[156:159], v2 offset:1328
	v_mul_f64 v[170:171], v[178:179], v[170:171]
	v_fma_f64 v[240:241], v[176:177], v[168:169], -v[170:171]
	ds_read_b128 v[168:171], v2 offset:1376
	s_waitcnt vmcnt(16) lgkmcnt(2)
	v_mul_f64 v[162:163], v[152:153], v[46:47]
	v_fmac_f64_e32 v[162:163], v[154:155], v[44:45]
	s_waitcnt vmcnt(15) lgkmcnt(1)
	v_mul_f64 v[166:167], v[156:157], v[50:51]
	v_add_f64 v[164:165], v[160:161], v[162:163]
	ds_read_b128 v[160:163], v2 offset:1344
	v_fmac_f64_e32 v[166:167], v[158:159], v[48:49]
	v_add_f64 v[232:233], v[164:165], v[166:167]
	ds_read_b128 v[164:167], v2 offset:1360
	v_mul_f64 v[174:175], v[190:191], v[174:175]
	s_waitcnt vmcnt(14) lgkmcnt(1)
	v_mul_f64 v[234:235], v[160:161], v[54:55]
	v_fmac_f64_e32 v[234:235], v[162:163], v[52:53]
	v_add_f64 v[232:233], v[232:233], v[234:235]
	s_waitcnt vmcnt(13) lgkmcnt(0)
	v_mul_f64 v[176:177], v[164:165], v[58:59]
	v_fmac_f64_e32 v[176:177], v[166:167], v[56:57]
	v_fma_f64 v[252:253], v[188:189], v[172:173], -v[174:175]
	ds_read_b128 v[172:175], v2 offset:1392
	s_waitcnt vmcnt(12)
	v_mul_f64 v[178:179], v[168:169], v[62:63]
	v_add_f64 v[176:177], v[232:233], v[176:177]
	v_fmac_f64_e32 v[178:179], v[170:171], v[60:61]
	v_add_f64 v[188:189], v[176:177], v[178:179]
	ds_read_b128 v[176:179], v2 offset:1408
	v_mul_f64 v[182:183], v[202:203], v[182:183]
	v_fma_f64 v[254:255], v[200:201], v[180:181], -v[182:183]
	ds_read_b128 v[180:183], v2 offset:1424
	s_waitcnt vmcnt(11) lgkmcnt(2)
	v_mul_f64 v[190:191], v[172:173], v[66:67]
	v_fmac_f64_e32 v[190:191], v[174:175], v[64:65]
	v_add_f64 v[188:189], v[188:189], v[190:191]
	s_waitcnt vmcnt(10) lgkmcnt(1)
	v_mul_f64 v[190:191], v[176:177], v[70:71]
	v_fmac_f64_e32 v[190:191], v[178:179], v[68:69]
	v_mul_f64 v[186:187], v[214:215], v[186:187]
	v_fma_f64 v[242:243], v[212:213], v[184:185], -v[186:187]
	ds_read_b128 v[184:187], v2 offset:1440
	v_add_f64 v[188:189], v[188:189], v[190:191]
	s_waitcnt vmcnt(9) lgkmcnt(1)
	v_mul_f64 v[190:191], v[180:181], v[74:75]
	v_fmac_f64_e32 v[190:191], v[182:183], v[72:73]
	v_add_f64 v[200:201], v[188:189], v[190:191]
	ds_read_b128 v[188:191], v2 offset:1456
	v_mul_f64 v[194:195], v[222:223], v[194:195]
	v_fma_f64 v[232:233], v[220:221], v[192:193], -v[194:195]
	ds_read_b128 v[192:195], v2 offset:1472
	s_waitcnt vmcnt(8) lgkmcnt(2)
	v_mul_f64 v[202:203], v[184:185], v[78:79]
	v_fmac_f64_e32 v[202:203], v[186:187], v[76:77]
	v_add_f64 v[200:201], v[200:201], v[202:203]
	s_waitcnt vmcnt(7) lgkmcnt(1)
	v_mul_f64 v[202:203], v[188:189], v[82:83]
	v_fmac_f64_e32 v[202:203], v[190:191], v[80:81]
	v_mul_f64 v[198:199], v[226:227], v[198:199]
	v_add_f64 v[200:201], v[200:201], v[202:203]
	v_fma_f64 v[234:235], v[224:225], v[196:197], -v[198:199]
	ds_read_b128 v[196:199], v2 offset:1488
	s_waitcnt vmcnt(6) lgkmcnt(1)
	v_mul_f64 v[202:203], v[192:193], v[86:87]
	v_fmac_f64_e32 v[202:203], v[194:195], v[84:85]
	v_add_f64 v[212:213], v[200:201], v[202:203]
	ds_read_b128 v[200:203], v2 offset:1504
	v_mul_f64 v[206:207], v[230:231], v[206:207]
	v_fma_f64 v[236:237], v[228:229], v[204:205], -v[206:207]
	ds_read_b128 v[204:207], v2 offset:1520
	s_waitcnt vmcnt(5) lgkmcnt(2)
	v_mul_f64 v[214:215], v[196:197], v[94:95]
	v_fmac_f64_e32 v[214:215], v[198:199], v[92:93]
	v_add_f64 v[212:213], v[212:213], v[214:215]
	s_waitcnt vmcnt(4) lgkmcnt(1)
	v_mul_f64 v[214:215], v[200:201], v[90:91]
	v_fmac_f64_e32 v[214:215], v[202:203], v[88:89]
	v_mul_f64 v[210:211], v[246:247], v[210:211]
	v_fma_f64 v[238:239], v[244:245], v[208:209], -v[210:211]
	ds_read_b128 v[208:211], v2 offset:1536
	v_add_f64 v[212:213], v[212:213], v[214:215]
	s_waitcnt vmcnt(3) lgkmcnt(1)
	v_mul_f64 v[214:215], v[204:205], v[106:107]
	v_fmac_f64_e32 v[214:215], v[206:207], v[104:105]
	v_add_f64 v[220:221], v[212:213], v[214:215]
	ds_read_b128 v[212:215], v2 offset:1552
	v_mul_f64 v[218:219], v[250:251], v[218:219]
	v_fma_f64 v[244:245], v[248:249], v[216:217], -v[218:219]
	ds_read_b128 v[216:219], v2 offset:1568
	ds_read_b128 v[224:227], v2 offset:1584
	s_waitcnt vmcnt(2) lgkmcnt(3)
	v_mul_f64 v[222:223], v[208:209], v[110:111]
	v_fmac_f64_e32 v[222:223], v[210:211], v[108:109]
	v_add_f64 v[220:221], v[220:221], v[222:223]
	s_waitcnt vmcnt(1) lgkmcnt(2)
	v_mul_f64 v[222:223], v[212:213], v[122:123]
	v_fmac_f64_e32 v[222:223], v[214:215], v[120:121]
	v_add_f64 v[220:221], v[220:221], v[222:223]
	;; [unrolled: 4-line block ×3, first 2 shown]
	scratch_load_dwordx4 v[220:223], off, off offset:800
	v_mul_f64 v[6:7], v[142:143], v[6:7]
	v_fma_f64 v[4:5], v[140:141], v[4:5], -v[6:7]
	v_mul_f64 v[6:7], v[138:139], v[10:11]
	v_fma_f64 v[6:7], v[136:137], v[8:9], -v[6:7]
	s_waitcnt vmcnt(0) lgkmcnt(0)
	v_mul_f64 v[230:231], v[224:225], v[222:223]
	v_fmac_f64_e32 v[230:231], v[226:227], v[220:221]
	v_add_f64 v[248:249], v[228:229], v[230:231]
	v_add_f64 v[228:229], v[240:241], 0
	;; [unrolled: 1-line block ×6, first 2 shown]
	scratch_load_dwordx4 v[228:231], off, off offset:208
	v_add_f64 v[232:233], v[246:247], v[234:235]
	v_add_f64 v[232:233], v[232:233], v[236:237]
	v_add_f64 v[232:233], v[232:233], v[238:239]
	v_add_f64 v[232:233], v[232:233], v[244:245]
	v_add_f64 v[4:5], v[232:233], v[4:5]
	v_add_f64 v[4:5], v[4:5], v[6:7]
	v_mul_f64 v[6:7], v[130:131], v[14:15]
	v_fma_f64 v[6:7], v[128:129], v[12:13], -v[6:7]
	v_add_f64 v[4:5], v[4:5], v[6:7]
	v_mul_f64 v[6:7], v[126:127], v[18:19]
	v_fma_f64 v[6:7], v[124:125], v[16:17], -v[6:7]
	v_add_f64 v[4:5], v[4:5], v[6:7]
	;; [unrolled: 3-line block ×26, first 2 shown]
	s_waitcnt vmcnt(0)
	v_add_f64 v[4:5], v[228:229], -v[4:5]
	v_add_f64 v[6:7], v[230:231], -v[248:249]
	scratch_store_dwordx4 off, v[4:7], off offset:208
	s_and_saveexec_b64 s[0:1], vcc
	s_cbranch_execz .LBB49_291
; %bb.290:
	scratch_load_dwordx4 v[6:9], off, s37
	v_mov_b32_e32 v3, v2
	v_mov_b32_e32 v4, v2
	;; [unrolled: 1-line block ×3, first 2 shown]
	v_accvgpr_read_b32 v0, a101
	scratch_store_dwordx4 off, v[2:5], off offset:192
	s_waitcnt vmcnt(1)
	ds_write_b128 v0, v[6:9]
.LBB49_291:
	s_or_b64 exec, exec, s[0:1]
	s_waitcnt lgkmcnt(0)
	; wave barrier
	scratch_load_dwordx4 v[168:171], off, off offset:208
	scratch_load_dwordx4 v[172:175], off, off offset:224
	;; [unrolled: 1-line block ×16, first 2 shown]
	ds_read_b128 v[232:235], v2 offset:992
	ds_read_b128 v[176:179], v2 offset:1008
	scratch_load_dwordx4 v[32:35], off, off offset:464
	ds_read_b128 v[236:239], v2 offset:1024
	ds_read_b128 v[188:191], v2 offset:1040
	;; [unrolled: 1-line block ×5, first 2 shown]
	scratch_load_dwordx4 v[36:39], off, off offset:480
	ds_read_b128 v[224:227], v2 offset:1104
	ds_read_b128 v[220:223], v2 offset:1120
	;; [unrolled: 1-line block ×3, first 2 shown]
	scratch_load_dwordx4 v[40:43], off, off offset:496
	ds_read_b128 v[64:67], v2 offset:1152
	ds_read_b128 v[60:63], v2 offset:1168
	;; [unrolled: 1-line block ×4, first 2 shown]
	scratch_load_dwordx4 v[48:51], off, off offset:512
	ds_read_b128 v[80:83], v2 offset:1216
	ds_read_b128 v[72:75], v2 offset:1232
	ds_read_b128 v[68:71], v2 offset:1248
	scratch_load_dwordx4 v[76:79], off, off offset:528
	scratch_load_dwordx4 v[84:87], off, off offset:544
	;; [unrolled: 1-line block ×12, first 2 shown]
	v_accvgpr_read_b32 v0, a100
	v_cmp_lt_u32_e32 vcc, 10, v0
	s_waitcnt vmcnt(31) lgkmcnt(14)
	v_mul_f64 v[128:129], v[232:233], v[170:171]
	s_waitcnt vmcnt(30)
	v_mul_f64 v[130:131], v[176:177], v[174:175]
	v_fmac_f64_e32 v[128:129], v[234:235], v[168:169]
	s_waitcnt vmcnt(29)
	v_mul_f64 v[132:133], v[236:237], v[182:183]
	v_fmac_f64_e32 v[130:131], v[178:179], v[172:173]
	v_add_f64 v[128:129], v[128:129], 0
	s_waitcnt vmcnt(28) lgkmcnt(13)
	v_mul_f64 v[134:135], v[188:189], v[186:187]
	v_fmac_f64_e32 v[132:133], v[238:239], v[180:181]
	v_add_f64 v[128:129], v[128:129], v[130:131]
	s_waitcnt vmcnt(27) lgkmcnt(12)
	;; [unrolled: 4-line block ×13, first 2 shown]
	v_mul_f64 v[158:159], v[72:73], v[30:31]
	v_fmac_f64_e32 v[156:157], v[82:83], v[24:25]
	v_add_f64 v[128:129], v[128:129], v[154:155]
	v_add_f64 v[128:129], v[128:129], v[156:157]
	v_fmac_f64_e32 v[158:159], v[74:75], v[28:29]
	v_add_f64 v[132:133], v[128:129], v[158:159]
	ds_read_b128 v[144:147], v2 offset:1264
	ds_read_b128 v[148:151], v2 offset:1280
	scratch_load_dwordx4 v[128:131], off, off offset:720
	s_waitcnt vmcnt(16) lgkmcnt(2)
	v_mul_f64 v[134:135], v[68:69], v[34:35]
	v_fmac_f64_e32 v[134:135], v[70:71], v[32:33]
	s_waitcnt vmcnt(15) lgkmcnt(1)
	v_mul_f64 v[138:139], v[144:145], v[38:39]
	v_add_f64 v[136:137], v[132:133], v[134:135]
	scratch_load_dwordx4 v[132:135], off, off offset:736
	v_fmac_f64_e32 v[138:139], v[146:147], v[36:37]
	v_add_f64 v[140:141], v[136:137], v[138:139]
	s_waitcnt vmcnt(15) lgkmcnt(0)
	v_mul_f64 v[142:143], v[148:149], v[42:43]
	scratch_load_dwordx4 v[136:139], off, off offset:752
	v_fmac_f64_e32 v[142:143], v[150:151], v[40:41]
	v_add_f64 v[160:161], v[140:141], v[142:143]
	scratch_load_dwordx4 v[140:143], off, off offset:768
	ds_read_b128 v[152:155], v2 offset:1296
	ds_read_b128 v[156:159], v2 offset:1312
	v_mul_f64 v[170:171], v[234:235], v[170:171]
	v_mul_f64 v[174:175], v[178:179], v[174:175]
	;; [unrolled: 1-line block ×3, first 2 shown]
	s_waitcnt vmcnt(16) lgkmcnt(1)
	v_mul_f64 v[162:163], v[152:153], v[50:51]
	v_fmac_f64_e32 v[162:163], v[154:155], v[48:49]
	v_add_f64 v[164:165], v[160:161], v[162:163]
	ds_read_b128 v[160:163], v2 offset:1328
	s_waitcnt vmcnt(15) lgkmcnt(1)
	v_mul_f64 v[166:167], v[156:157], v[78:79]
	v_fmac_f64_e32 v[166:167], v[158:159], v[76:77]
	v_add_f64 v[240:241], v[164:165], v[166:167]
	ds_read_b128 v[164:167], v2 offset:1344
	s_waitcnt vmcnt(14) lgkmcnt(1)
	v_mul_f64 v[242:243], v[160:161], v[86:87]
	v_fmac_f64_e32 v[242:243], v[162:163], v[84:85]
	v_add_f64 v[240:241], v[240:241], v[242:243]
	v_fma_f64 v[242:243], v[232:233], v[168:169], -v[170:171]
	ds_read_b128 v[168:171], v2 offset:1360
	s_waitcnt vmcnt(13) lgkmcnt(1)
	v_mul_f64 v[232:233], v[164:165], v[90:91]
	v_fmac_f64_e32 v[232:233], v[166:167], v[88:89]
	v_add_f64 v[232:233], v[240:241], v[232:233]
	v_fma_f64 v[240:241], v[176:177], v[172:173], -v[174:175]
	ds_read_b128 v[172:175], v2 offset:1376
	s_waitcnt vmcnt(12) lgkmcnt(1)
	v_mul_f64 v[176:177], v[168:169], v[94:95]
	v_fmac_f64_e32 v[176:177], v[170:171], v[92:93]
	v_add_f64 v[232:233], v[232:233], v[176:177]
	ds_read_b128 v[176:179], v2 offset:1392
	v_fma_f64 v[236:237], v[236:237], v[180:181], -v[182:183]
	ds_read_b128 v[180:183], v2 offset:1408
	s_waitcnt vmcnt(11) lgkmcnt(2)
	v_mul_f64 v[234:235], v[172:173], v[98:99]
	v_fmac_f64_e32 v[234:235], v[174:175], v[96:97]
	v_add_f64 v[232:233], v[232:233], v[234:235]
	s_waitcnt vmcnt(10) lgkmcnt(1)
	v_mul_f64 v[234:235], v[176:177], v[102:103]
	v_fmac_f64_e32 v[234:235], v[178:179], v[100:101]
	v_mul_f64 v[186:187], v[190:191], v[186:187]
	s_waitcnt vmcnt(9) lgkmcnt(0)
	v_mul_f64 v[190:191], v[180:181], v[106:107]
	v_fma_f64 v[238:239], v[188:189], v[184:185], -v[186:187]
	ds_read_b128 v[184:187], v2 offset:1424
	v_add_f64 v[188:189], v[232:233], v[234:235]
	v_fmac_f64_e32 v[190:191], v[182:183], v[104:105]
	v_add_f64 v[232:233], v[188:189], v[190:191]
	ds_read_b128 v[188:191], v2 offset:1440
	v_mul_f64 v[194:195], v[230:231], v[194:195]
	v_fma_f64 v[248:249], v[228:229], v[192:193], -v[194:195]
	ds_read_b128 v[192:195], v2 offset:1456
	s_waitcnt vmcnt(8) lgkmcnt(2)
	v_mul_f64 v[234:235], v[184:185], v[110:111]
	v_fmac_f64_e32 v[234:235], v[186:187], v[108:109]
	s_waitcnt vmcnt(7) lgkmcnt(1)
	v_mul_f64 v[228:229], v[188:189], v[114:115]
	v_mul_f64 v[198:199], v[202:203], v[198:199]
	v_add_f64 v[232:233], v[232:233], v[234:235]
	v_fmac_f64_e32 v[228:229], v[190:191], v[112:113]
	v_fma_f64 v[250:251], v[200:201], v[196:197], -v[198:199]
	ds_read_b128 v[196:199], v2 offset:1472
	s_waitcnt vmcnt(6) lgkmcnt(1)
	v_mul_f64 v[200:201], v[192:193], v[118:119]
	v_add_f64 v[228:229], v[232:233], v[228:229]
	v_fmac_f64_e32 v[200:201], v[194:195], v[116:117]
	v_add_f64 v[228:229], v[228:229], v[200:201]
	ds_read_b128 v[200:203], v2 offset:1488
	v_mul_f64 v[206:207], v[214:215], v[206:207]
	v_add_f64 v[242:243], v[242:243], 0
	v_fma_f64 v[252:253], v[212:213], v[204:205], -v[206:207]
	ds_read_b128 v[204:207], v2 offset:1504
	v_add_f64 v[240:241], v[242:243], v[240:241]
	v_add_f64 v[236:237], v[240:241], v[236:237]
	;; [unrolled: 1-line block ×3, first 2 shown]
	s_waitcnt vmcnt(5) lgkmcnt(2)
	v_mul_f64 v[230:231], v[196:197], v[126:127]
	v_add_f64 v[236:237], v[236:237], v[248:249]
	v_fmac_f64_e32 v[230:231], v[198:199], v[124:125]
	s_waitcnt vmcnt(4) lgkmcnt(1)
	v_mul_f64 v[212:213], v[200:201], v[122:123]
	v_add_f64 v[236:237], v[236:237], v[250:251]
	v_add_f64 v[228:229], v[228:229], v[230:231]
	v_fmac_f64_e32 v[212:213], v[202:203], v[120:121]
	v_mul_f64 v[210:211], v[226:227], v[210:211]
	v_add_f64 v[248:249], v[236:237], v[252:253]
	scratch_load_dwordx4 v[236:239], off, off offset:192
	s_waitcnt vmcnt(4) lgkmcnt(0)
	v_mul_f64 v[214:215], v[204:205], v[130:131]
	v_fma_f64 v[244:245], v[224:225], v[208:209], -v[210:211]
	ds_read_b128 v[208:211], v2 offset:1520
	v_add_f64 v[212:213], v[228:229], v[212:213]
	v_fmac_f64_e32 v[214:215], v[206:207], v[128:129]
	v_add_f64 v[224:225], v[212:213], v[214:215]
	ds_read_b128 v[212:215], v2 offset:1536
	v_mul_f64 v[218:219], v[222:223], v[218:219]
	v_fma_f64 v[246:247], v[220:221], v[216:217], -v[218:219]
	ds_read_b128 v[216:219], v2 offset:1552
	s_waitcnt vmcnt(3) lgkmcnt(2)
	v_mul_f64 v[220:221], v[208:209], v[134:135]
	v_fmac_f64_e32 v[220:221], v[210:211], v[132:133]
	s_waitcnt vmcnt(2) lgkmcnt(1)
	v_mul_f64 v[222:223], v[212:213], v[138:139]
	v_add_f64 v[220:221], v[224:225], v[220:221]
	v_fmac_f64_e32 v[222:223], v[214:215], v[136:137]
	v_add_f64 v[220:221], v[220:221], v[222:223]
	ds_read_b128 v[224:227], v2 offset:1568
	scratch_load_dwordx4 v[232:235], off, off offset:800
	s_waitcnt vmcnt(2) lgkmcnt(1)
	v_mul_f64 v[222:223], v[216:217], v[142:143]
	v_fmac_f64_e32 v[222:223], v[218:219], v[140:141]
	v_add_f64 v[228:229], v[220:221], v[222:223]
	scratch_load_dwordx4 v[220:223], off, off offset:784
	v_add_f64 v[240:241], v[248:249], v[244:245]
	v_mul_f64 v[6:7], v[46:47], v[6:7]
	v_add_f64 v[240:241], v[240:241], v[246:247]
	v_fma_f64 v[4:5], v[44:45], v[4:5], -v[6:7]
	v_mul_f64 v[6:7], v[66:67], v[10:11]
	v_add_f64 v[4:5], v[240:241], v[4:5]
	v_fma_f64 v[6:7], v[64:65], v[8:9], -v[6:7]
	v_add_f64 v[4:5], v[4:5], v[6:7]
	v_mul_f64 v[6:7], v[62:63], v[14:15]
	v_fma_f64 v[6:7], v[60:61], v[12:13], -v[6:7]
	v_add_f64 v[4:5], v[4:5], v[6:7]
	v_mul_f64 v[6:7], v[58:59], v[18:19]
	;; [unrolled: 3-line block ×24, first 2 shown]
	v_fma_f64 v[6:7], v[212:213], v[136:137], -v[6:7]
	s_waitcnt vmcnt(0) lgkmcnt(0)
	v_mul_f64 v[230:231], v[224:225], v[222:223]
	v_fmac_f64_e32 v[230:231], v[226:227], v[220:221]
	v_add_f64 v[254:255], v[228:229], v[230:231]
	ds_read_b128 v[228:231], v2 offset:1584
	v_add_f64 v[4:5], v[4:5], v[6:7]
	v_mul_f64 v[6:7], v[218:219], v[142:143]
	v_fma_f64 v[6:7], v[216:217], v[140:141], -v[6:7]
	v_add_f64 v[4:5], v[4:5], v[6:7]
	v_mul_f64 v[6:7], v[226:227], v[222:223]
	v_fma_f64 v[6:7], v[224:225], v[220:221], -v[6:7]
	s_waitcnt lgkmcnt(0)
	v_mul_f64 v[2:3], v[228:229], v[234:235]
	v_add_f64 v[4:5], v[4:5], v[6:7]
	v_mul_f64 v[6:7], v[230:231], v[234:235]
	v_fmac_f64_e32 v[2:3], v[230:231], v[232:233]
	v_fma_f64 v[6:7], v[228:229], v[232:233], -v[6:7]
	v_add_f64 v[2:3], v[254:255], v[2:3]
	v_add_f64 v[4:5], v[4:5], v[6:7]
	v_add_f64 v[4:5], v[236:237], -v[4:5]
	v_add_f64 v[6:7], v[238:239], -v[2:3]
	scratch_store_dwordx4 off, v[4:7], off offset:192
	s_and_saveexec_b64 s[0:1], vcc
	s_cbranch_execz .LBB49_293
; %bb.292:
	scratch_load_dwordx4 v[2:5], off, s36
	v_mov_b32_e32 v6, 0
	v_mov_b32_e32 v7, v6
	;; [unrolled: 1-line block ×4, first 2 shown]
	v_accvgpr_read_b32 v0, a101
	scratch_store_dwordx4 off, v[6:9], off offset:176
	s_waitcnt vmcnt(1)
	ds_write_b128 v0, v[2:5]
.LBB49_293:
	s_or_b64 exec, exec, s[0:1]
	s_waitcnt lgkmcnt(0)
	; wave barrier
	scratch_load_dwordx4 v[80:83], off, off offset:192
	scratch_load_dwordx4 v[84:87], off, off offset:208
	;; [unrolled: 1-line block ×31, first 2 shown]
	v_mov_b32_e32 v2, 0
	ds_read_b128 v[196:199], v2 offset:976
	ds_read_b128 v[200:203], v2 offset:992
	;; [unrolled: 1-line block ×20, first 2 shown]
	s_waitcnt vmcnt(30) lgkmcnt(14)
	v_mul_f64 v[140:141], v[196:197], v[82:83]
	s_waitcnt vmcnt(29)
	v_mul_f64 v[142:143], v[200:201], v[86:87]
	v_fmac_f64_e32 v[140:141], v[198:199], v[80:81]
	s_waitcnt vmcnt(28)
	v_mul_f64 v[152:153], v[204:205], v[90:91]
	v_fmac_f64_e32 v[142:143], v[202:203], v[84:85]
	v_add_f64 v[140:141], v[140:141], 0
	s_waitcnt vmcnt(27)
	v_mul_f64 v[154:155], v[208:209], v[94:95]
	v_fmac_f64_e32 v[152:153], v[206:207], v[88:89]
	v_add_f64 v[140:141], v[140:141], v[142:143]
	;; [unrolled: 4-line block ×4, first 2 shown]
	s_waitcnt vmcnt(24) lgkmcnt(13)
	v_mul_f64 v[164:165], v[220:221], v[106:107]
	v_fmac_f64_e32 v[162:163], v[218:219], v[100:101]
	v_add_f64 v[140:141], v[140:141], v[160:161]
	s_waitcnt vmcnt(23) lgkmcnt(12)
	v_mul_f64 v[166:167], v[224:225], v[110:111]
	v_fmac_f64_e32 v[164:165], v[222:223], v[104:105]
	v_add_f64 v[140:141], v[140:141], v[162:163]
	;; [unrolled: 4-line block ×8, first 2 shown]
	v_fmac_f64_e32 v[178:179], v[146:147], v[12:13]
	v_add_f64 v[140:141], v[140:141], v[176:177]
	v_add_f64 v[140:141], v[140:141], v[178:179]
	ds_read_b128 v[176:179], v2 offset:1248
	s_waitcnt vmcnt(16) lgkmcnt(6)
	v_mul_f64 v[180:181], v[136:137], v[18:19]
	s_waitcnt vmcnt(15) lgkmcnt(5)
	v_mul_f64 v[182:183], v[132:133], v[22:23]
	v_fmac_f64_e32 v[180:181], v[138:139], v[16:17]
	v_add_f64 v[152:153], v[140:141], v[180:181]
	v_fmac_f64_e32 v[182:183], v[134:135], v[20:21]
	scratch_load_dwordx4 v[140:143], off, off offset:688
	s_waitcnt vmcnt(15) lgkmcnt(4)
	v_mul_f64 v[154:155], v[128:129], v[26:27]
	v_add_f64 v[152:153], v[152:153], v[182:183]
	v_fmac_f64_e32 v[154:155], v[130:131], v[24:25]
	v_add_f64 v[160:161], v[152:153], v[154:155]
	ds_read_b128 v[180:183], v2 offset:1264
	s_waitcnt vmcnt(14) lgkmcnt(1)
	v_mul_f64 v[162:163], v[176:177], v[30:31]
	scratch_load_dwordx4 v[152:155], off, off offset:704
	v_fmac_f64_e32 v[162:163], v[178:179], v[28:29]
	v_add_f64 v[164:165], v[160:161], v[162:163]
	scratch_load_dwordx4 v[160:163], off, off offset:720
	s_waitcnt vmcnt(15) lgkmcnt(0)
	v_mul_f64 v[166:167], v[180:181], v[34:35]
	v_fmac_f64_e32 v[166:167], v[182:183], v[32:33]
	v_add_f64 v[168:169], v[164:165], v[166:167]
	s_waitcnt vmcnt(14)
	v_mul_f64 v[170:171], v[184:185], v[38:39]
	scratch_load_dwordx4 v[164:167], off, off offset:736
	v_fmac_f64_e32 v[170:171], v[186:187], v[36:37]
	v_add_f64 v[168:169], v[168:169], v[170:171]
	s_waitcnt vmcnt(14)
	v_mul_f64 v[170:171], v[188:189], v[42:43]
	scratch_load_dwordx4 v[172:175], off, off offset:752
	v_fmac_f64_e32 v[170:171], v[190:191], v[40:41]
	v_add_f64 v[232:233], v[168:169], v[170:171]
	scratch_load_dwordx4 v[168:171], off, off offset:768
	v_mul_f64 v[82:83], v[198:199], v[82:83]
	v_fma_f64 v[240:241], v[196:197], v[80:81], -v[82:83]
	ds_read_b128 v[196:199], v2 offset:1328
	s_waitcnt vmcnt(15)
	v_mul_f64 v[80:81], v[192:193], v[46:47]
	v_fmac_f64_e32 v[80:81], v[194:195], v[44:45]
	v_add_f64 v[232:233], v[232:233], v[80:81]
	v_mul_f64 v[80:81], v[202:203], v[86:87]
	v_fma_f64 v[242:243], v[200:201], v[84:85], -v[80:81]
	scratch_load_dwordx4 v[80:83], off, off offset:784
	ds_read_b128 v[84:87], v2 offset:1344
	v_mul_f64 v[90:91], v[206:207], v[90:91]
	v_fma_f64 v[252:253], v[204:205], v[88:89], -v[90:91]
	ds_read_b128 v[88:91], v2 offset:1360
	s_waitcnt vmcnt(15) lgkmcnt(2)
	v_mul_f64 v[200:201], v[196:197], v[50:51]
	v_fmac_f64_e32 v[200:201], v[198:199], v[48:49]
	s_waitcnt vmcnt(14) lgkmcnt(1)
	v_mul_f64 v[202:203], v[84:85], v[54:55]
	v_add_f64 v[200:201], v[232:233], v[200:201]
	v_fmac_f64_e32 v[202:203], v[86:87], v[52:53]
	v_mul_f64 v[94:95], v[210:211], v[94:95]
	v_fma_f64 v[254:255], v[208:209], v[92:93], -v[94:95]
	ds_read_b128 v[92:95], v2 offset:1376
	v_add_f64 v[200:201], v[200:201], v[202:203]
	s_waitcnt vmcnt(13) lgkmcnt(1)
	v_mul_f64 v[202:203], v[88:89], v[58:59]
	v_fmac_f64_e32 v[202:203], v[90:91], v[56:57]
	v_add_f64 v[204:205], v[200:201], v[202:203]
	ds_read_b128 v[200:203], v2 offset:1392
	v_mul_f64 v[98:99], v[214:215], v[98:99]
	v_fma_f64 v[232:233], v[212:213], v[96:97], -v[98:99]
	ds_read_b128 v[96:99], v2 offset:1408
	s_waitcnt vmcnt(12) lgkmcnt(2)
	v_mul_f64 v[206:207], v[92:93], v[62:63]
	v_fmac_f64_e32 v[206:207], v[94:95], v[60:61]
	v_add_f64 v[204:205], v[204:205], v[206:207]
	s_waitcnt vmcnt(11) lgkmcnt(1)
	v_mul_f64 v[206:207], v[200:201], v[66:67]
	v_fmac_f64_e32 v[206:207], v[202:203], v[64:65]
	v_mul_f64 v[102:103], v[218:219], v[102:103]
	v_add_f64 v[204:205], v[204:205], v[206:207]
	v_fma_f64 v[4:5], v[216:217], v[100:101], -v[102:103]
	ds_read_b128 v[100:103], v2 offset:1424
	s_waitcnt vmcnt(10) lgkmcnt(1)
	v_mul_f64 v[206:207], v[96:97], v[70:71]
	v_fmac_f64_e32 v[206:207], v[98:99], v[68:69]
	v_add_f64 v[208:209], v[204:205], v[206:207]
	ds_read_b128 v[204:207], v2 offset:1440
	v_mul_f64 v[106:107], v[222:223], v[106:107]
	v_fma_f64 v[0:1], v[220:221], v[104:105], -v[106:107]
	ds_read_b128 v[104:107], v2 offset:1456
	s_waitcnt vmcnt(9) lgkmcnt(2)
	v_mul_f64 v[210:211], v[100:101], v[74:75]
	v_fmac_f64_e32 v[210:211], v[102:103], v[72:73]
	v_add_f64 v[208:209], v[208:209], v[210:211]
	s_waitcnt vmcnt(8) lgkmcnt(1)
	v_mul_f64 v[210:211], v[204:205], v[78:79]
	v_fmac_f64_e32 v[210:211], v[206:207], v[76:77]
	v_mul_f64 v[6:7], v[226:227], v[110:111]
	v_fma_f64 v[6:7], v[224:225], v[108:109], -v[6:7]
	ds_read_b128 v[108:111], v2 offset:1472
	v_add_f64 v[208:209], v[208:209], v[210:211]
	s_waitcnt vmcnt(7) lgkmcnt(1)
	v_mul_f64 v[210:211], v[104:105], v[126:127]
	v_fmac_f64_e32 v[210:211], v[106:107], v[124:125]
	v_mul_f64 v[114:115], v[230:231], v[114:115]
	v_add_f64 v[212:213], v[208:209], v[210:211]
	ds_read_b128 v[208:211], v2 offset:1488
	v_fma_f64 v[112:113], v[228:229], v[112:113], -v[114:115]
	v_accvgpr_write_b32 a102, v112
	v_accvgpr_write_b32 a103, v113
	ds_read_b128 v[112:115], v2 offset:1504
	s_waitcnt vmcnt(6) lgkmcnt(2)
	v_mul_f64 v[214:215], v[108:109], v[142:143]
	v_fmac_f64_e32 v[214:215], v[110:111], v[140:141]
	v_add_f64 v[212:213], v[212:213], v[214:215]
	s_waitcnt vmcnt(5) lgkmcnt(1)
	v_mul_f64 v[214:215], v[208:209], v[154:155]
	v_fmac_f64_e32 v[214:215], v[210:211], v[152:153]
	v_mul_f64 v[118:119], v[246:247], v[118:119]
	v_add_f64 v[212:213], v[212:213], v[214:215]
	v_fma_f64 v[238:239], v[244:245], v[116:117], -v[118:119]
	ds_read_b128 v[116:119], v2 offset:1520
	s_waitcnt vmcnt(4) lgkmcnt(1)
	v_mul_f64 v[214:215], v[112:113], v[162:163]
	v_fmac_f64_e32 v[214:215], v[114:115], v[160:161]
	v_add_f64 v[216:217], v[212:213], v[214:215]
	ds_read_b128 v[212:215], v2 offset:1536
	v_mul_f64 v[122:123], v[250:251], v[122:123]
	v_fma_f64 v[244:245], v[248:249], v[120:121], -v[122:123]
	ds_read_b128 v[120:123], v2 offset:1552
	s_waitcnt vmcnt(3) lgkmcnt(2)
	v_mul_f64 v[218:219], v[116:117], v[166:167]
	v_fmac_f64_e32 v[218:219], v[118:119], v[164:165]
	v_add_f64 v[216:217], v[216:217], v[218:219]
	s_waitcnt vmcnt(2) lgkmcnt(1)
	v_mul_f64 v[218:219], v[212:213], v[174:175]
	v_fmac_f64_e32 v[218:219], v[214:215], v[172:173]
	v_add_f64 v[216:217], v[216:217], v[218:219]
	;; [unrolled: 4-line block ×3, first 2 shown]
	ds_read_b128 v[216:219], v2 offset:1568
	ds_read_b128 v[224:227], v2 offset:1584
	s_waitcnt vmcnt(0) lgkmcnt(1)
	v_mul_f64 v[222:223], v[216:217], v[82:83]
	v_fmac_f64_e32 v[222:223], v[218:219], v[80:81]
	v_add_f64 v[228:229], v[220:221], v[222:223]
	scratch_load_dwordx4 v[220:223], off, off offset:800
	s_waitcnt vmcnt(0) lgkmcnt(0)
	v_mul_f64 v[230:231], v[224:225], v[222:223]
	v_fmac_f64_e32 v[230:231], v[226:227], v[220:221]
	v_add_f64 v[248:249], v[228:229], v[230:231]
	v_add_f64 v[228:229], v[240:241], 0
	;; [unrolled: 1-line block ×7, first 2 shown]
	scratch_load_dwordx4 v[228:231], off, off offset:176
	v_add_f64 v[246:247], v[4:5], v[0:1]
	v_accvgpr_read_b32 v4, a102
	v_add_f64 v[0:1], v[246:247], v[6:7]
	v_accvgpr_read_b32 v5, a103
	v_add_f64 v[0:1], v[0:1], v[4:5]
	v_add_f64 v[0:1], v[0:1], v[238:239]
	v_mul_f64 v[4:5], v[158:159], v[236:237]
	v_add_f64 v[0:1], v[0:1], v[244:245]
	v_fma_f64 v[4:5], v[156:157], v[234:235], -v[4:5]
	v_add_f64 v[0:1], v[0:1], v[4:5]
	v_mul_f64 v[4:5], v[150:151], v[10:11]
	v_fma_f64 v[4:5], v[148:149], v[8:9], -v[4:5]
	v_add_f64 v[0:1], v[0:1], v[4:5]
	v_mul_f64 v[4:5], v[146:147], v[14:15]
	;; [unrolled: 3-line block ×27, first 2 shown]
	v_fma_f64 v[4:5], v[224:225], v[220:221], -v[4:5]
	v_add_f64 v[0:1], v[0:1], v[4:5]
	s_waitcnt vmcnt(0)
	v_add_f64 v[4:5], v[228:229], -v[0:1]
	v_accvgpr_read_b32 v0, a100
	v_add_f64 v[6:7], v[230:231], -v[248:249]
	v_cmp_lt_u32_e32 vcc, 9, v0
	scratch_store_dwordx4 off, v[4:7], off offset:176
	s_and_saveexec_b64 s[0:1], vcc
	s_cbranch_execz .LBB49_295
; %bb.294:
	scratch_load_dwordx4 v[6:9], off, s35
	v_mov_b32_e32 v3, v2
	v_mov_b32_e32 v4, v2
	;; [unrolled: 1-line block ×3, first 2 shown]
	v_accvgpr_read_b32 v0, a101
	scratch_store_dwordx4 off, v[2:5], off offset:160
	s_waitcnt vmcnt(1)
	ds_write_b128 v0, v[6:9]
.LBB49_295:
	s_or_b64 exec, exec, s[0:1]
	s_waitcnt lgkmcnt(0)
	; wave barrier
	scratch_load_dwordx4 v[132:135], off, off offset:176
	scratch_load_dwordx4 v[160:163], off, off offset:192
	;; [unrolled: 1-line block ×16, first 2 shown]
	ds_read_b128 v[156:159], v2 offset:960
	ds_read_b128 v[172:175], v2 offset:976
	scratch_load_dwordx4 v[24:27], off, off offset:432
	ds_read_b128 v[232:235], v2 offset:992
	ds_read_b128 v[228:231], v2 offset:1008
	scratch_load_dwordx4 v[28:31], off, off offset:448
	ds_read_b128 v[236:239], v2 offset:1024
	ds_read_b128 v[184:187], v2 offset:1040
	;; [unrolled: 1-line block ×5, first 2 shown]
	scratch_load_dwordx4 v[32:35], off, off offset:464
	ds_read_b128 v[220:223], v2 offset:1104
	ds_read_b128 v[216:219], v2 offset:1120
	ds_read_b128 v[40:43], v2 offset:1136
	scratch_load_dwordx4 v[36:39], off, off offset:480
	ds_read_b128 v[64:67], v2 offset:1152
	ds_read_b128 v[60:63], v2 offset:1168
	;; [unrolled: 1-line block ×5, first 2 shown]
	scratch_load_dwordx4 v[52:55], off, off offset:496
	scratch_load_dwordx4 v[68:71], off, off offset:512
	;; [unrolled: 1-line block ×11, first 2 shown]
	ds_read_b128 v[144:147], v2 offset:1264
	ds_read_b128 v[148:151], v2 offset:1280
	;; [unrolled: 1-line block ×3, first 2 shown]
	s_waitcnt vmcnt(30) lgkmcnt(14)
	v_mul_f64 v[0:1], v[156:157], v[134:135]
	s_waitcnt vmcnt(29)
	v_mul_f64 v[108:109], v[172:173], v[162:163]
	v_fmac_f64_e32 v[0:1], v[158:159], v[132:133]
	s_waitcnt vmcnt(28)
	v_mul_f64 v[110:111], v[232:233], v[166:167]
	v_fmac_f64_e32 v[108:109], v[174:175], v[160:161]
	v_add_f64 v[0:1], v[0:1], 0
	s_waitcnt vmcnt(27)
	v_mul_f64 v[112:113], v[228:229], v[170:171]
	v_fmac_f64_e32 v[110:111], v[234:235], v[164:165]
	v_add_f64 v[0:1], v[0:1], v[108:109]
	;; [unrolled: 4-line block ×4, first 2 shown]
	s_waitcnt vmcnt(24) lgkmcnt(13)
	v_mul_f64 v[118:119], v[224:225], v[190:191]
	v_fmac_f64_e32 v[116:117], v[186:187], v[180:181]
	v_add_f64 v[0:1], v[0:1], v[114:115]
	s_waitcnt vmcnt(23) lgkmcnt(12)
	v_mul_f64 v[120:121], v[196:197], v[194:195]
	v_fmac_f64_e32 v[118:119], v[226:227], v[188:189]
	v_add_f64 v[0:1], v[0:1], v[116:117]
	;; [unrolled: 4-line block ×9, first 2 shown]
	v_fmac_f64_e32 v[138:139], v[58:59], v[16:17]
	v_add_f64 v[0:1], v[0:1], v[136:137]
	v_add_f64 v[0:1], v[0:1], v[138:139]
	ds_read_b128 v[136:139], v2 offset:1232
	s_waitcnt vmcnt(15) lgkmcnt(5)
	v_mul_f64 v[140:141], v[48:49], v[22:23]
	v_fmac_f64_e32 v[140:141], v[50:51], v[20:21]
	s_waitcnt vmcnt(14) lgkmcnt(4)
	v_mul_f64 v[112:113], v[44:45], v[26:27]
	scratch_load_dwordx4 v[108:111], off, off offset:672
	v_add_f64 v[0:1], v[0:1], v[140:141]
	v_fmac_f64_e32 v[112:113], v[46:47], v[24:25]
	v_add_f64 v[0:1], v[0:1], v[112:113]
	scratch_load_dwordx4 v[112:115], off, off offset:688
	ds_read_b128 v[140:143], v2 offset:1248
	s_waitcnt vmcnt(15) lgkmcnt(1)
	v_mul_f64 v[116:117], v[136:137], v[30:31]
	v_fmac_f64_e32 v[116:117], v[138:139], v[28:29]
	v_add_f64 v[0:1], v[0:1], v[116:117]
	scratch_load_dwordx4 v[116:119], off, off offset:704
	s_waitcnt vmcnt(15) lgkmcnt(0)
	v_mul_f64 v[120:121], v[140:141], v[34:35]
	v_fmac_f64_e32 v[120:121], v[142:143], v[32:33]
	s_waitcnt vmcnt(14)
	v_mul_f64 v[124:125], v[144:145], v[38:39]
	v_add_f64 v[0:1], v[0:1], v[120:121]
	scratch_load_dwordx4 v[120:123], off, off offset:720
	v_fmac_f64_e32 v[124:125], v[146:147], v[36:37]
	v_add_f64 v[0:1], v[0:1], v[124:125]
	s_waitcnt vmcnt(14)
	v_mul_f64 v[124:125], v[148:149], v[54:55]
	scratch_load_dwordx4 v[128:131], off, off offset:736
	v_fmac_f64_e32 v[124:125], v[150:151], v[52:53]
	v_add_f64 v[0:1], v[0:1], v[124:125]
	scratch_load_dwordx4 v[124:127], off, off offset:752
	v_mul_f64 v[134:135], v[158:159], v[134:135]
	v_fma_f64 v[240:241], v[156:157], v[132:133], -v[134:135]
	ds_read_b128 v[156:159], v2 offset:1312
	s_waitcnt vmcnt(15)
	v_mul_f64 v[132:133], v[152:153], v[70:71]
	v_fmac_f64_e32 v[132:133], v[154:155], v[68:69]
	v_add_f64 v[0:1], v[0:1], v[132:133]
	v_mul_f64 v[132:133], v[174:175], v[162:163]
	v_fma_f64 v[242:243], v[172:173], v[160:161], -v[132:133]
	scratch_load_dwordx4 v[132:135], off, off offset:768
	ds_read_b128 v[160:163], v2 offset:1328
	v_mul_f64 v[166:167], v[234:235], v[166:167]
	v_fma_f64 v[248:249], v[232:233], v[164:165], -v[166:167]
	ds_read_b128 v[164:167], v2 offset:1344
	s_waitcnt vmcnt(15) lgkmcnt(2)
	v_mul_f64 v[172:173], v[156:157], v[74:75]
	v_fmac_f64_e32 v[172:173], v[158:159], v[72:73]
	v_add_f64 v[0:1], v[0:1], v[172:173]
	s_waitcnt vmcnt(14) lgkmcnt(1)
	v_mul_f64 v[172:173], v[160:161], v[78:79]
	v_fmac_f64_e32 v[172:173], v[162:163], v[76:77]
	v_mul_f64 v[170:171], v[230:231], v[170:171]
	v_fma_f64 v[250:251], v[228:229], v[168:169], -v[170:171]
	ds_read_b128 v[168:171], v2 offset:1360
	v_add_f64 v[0:1], v[0:1], v[172:173]
	s_waitcnt vmcnt(13) lgkmcnt(1)
	v_mul_f64 v[172:173], v[164:165], v[82:83]
	v_fmac_f64_e32 v[172:173], v[166:167], v[80:81]
	v_add_f64 v[0:1], v[0:1], v[172:173]
	ds_read_b128 v[172:175], v2 offset:1376
	v_mul_f64 v[178:179], v[238:239], v[178:179]
	v_fma_f64 v[236:237], v[236:237], v[176:177], -v[178:179]
	ds_read_b128 v[176:179], v2 offset:1392
	s_waitcnt vmcnt(12) lgkmcnt(2)
	v_mul_f64 v[228:229], v[168:169], v[86:87]
	v_fmac_f64_e32 v[228:229], v[170:171], v[84:85]
	v_add_f64 v[0:1], v[0:1], v[228:229]
	s_waitcnt vmcnt(11) lgkmcnt(1)
	v_mul_f64 v[228:229], v[172:173], v[90:91]
	v_mul_f64 v[182:183], v[186:187], v[182:183]
	v_fmac_f64_e32 v[228:229], v[174:175], v[88:89]
	v_fma_f64 v[238:239], v[184:185], v[180:181], -v[182:183]
	ds_read_b128 v[180:183], v2 offset:1408
	s_waitcnt vmcnt(10) lgkmcnt(1)
	v_mul_f64 v[184:185], v[176:177], v[94:95]
	v_add_f64 v[0:1], v[0:1], v[228:229]
	v_fmac_f64_e32 v[184:185], v[178:179], v[92:93]
	v_add_f64 v[0:1], v[0:1], v[184:185]
	ds_read_b128 v[184:187], v2 offset:1424
	v_mul_f64 v[190:191], v[226:227], v[190:191]
	v_fma_f64 v[252:253], v[224:225], v[188:189], -v[190:191]
	ds_read_b128 v[188:191], v2 offset:1440
	s_waitcnt vmcnt(9) lgkmcnt(2)
	v_mul_f64 v[228:229], v[180:181], v[98:99]
	v_fmac_f64_e32 v[228:229], v[182:183], v[96:97]
	s_waitcnt vmcnt(8) lgkmcnt(1)
	v_mul_f64 v[224:225], v[184:185], v[102:103]
	v_mul_f64 v[194:195], v[198:199], v[194:195]
	v_add_f64 v[0:1], v[0:1], v[228:229]
	v_fmac_f64_e32 v[224:225], v[186:187], v[100:101]
	v_fma_f64 v[254:255], v[196:197], v[192:193], -v[194:195]
	s_waitcnt vmcnt(7) lgkmcnt(0)
	v_mul_f64 v[196:197], v[188:189], v[106:107]
	ds_read_b128 v[192:195], v2 offset:1456
	v_add_f64 v[0:1], v[0:1], v[224:225]
	v_fmac_f64_e32 v[196:197], v[190:191], v[104:105]
	v_add_f64 v[0:1], v[0:1], v[196:197]
	ds_read_b128 v[196:199], v2 offset:1472
	v_mul_f64 v[202:203], v[210:211], v[202:203]
	v_fma_f64 v[244:245], v[208:209], v[200:201], -v[202:203]
	ds_read_b128 v[200:203], v2 offset:1488
	s_waitcnt vmcnt(6) lgkmcnt(2)
	v_mul_f64 v[224:225], v[192:193], v[110:111]
	v_fmac_f64_e32 v[224:225], v[194:195], v[108:109]
	s_waitcnt vmcnt(5) lgkmcnt(1)
	v_mul_f64 v[208:209], v[196:197], v[114:115]
	v_add_f64 v[0:1], v[0:1], v[224:225]
	v_fmac_f64_e32 v[208:209], v[198:199], v[112:113]
	v_add_f64 v[208:209], v[0:1], v[208:209]
	v_mul_f64 v[0:1], v[222:223], v[206:207]
	v_fma_f64 v[0:1], v[220:221], v[204:205], -v[0:1]
	ds_read_b128 v[204:207], v2 offset:1504
	s_waitcnt vmcnt(4) lgkmcnt(1)
	v_mul_f64 v[210:211], v[200:201], v[118:119]
	v_fmac_f64_e32 v[210:211], v[202:203], v[116:117]
	v_add_f64 v[220:221], v[208:209], v[210:211]
	ds_read_b128 v[208:211], v2 offset:1520
	v_mul_f64 v[214:215], v[218:219], v[214:215]
	v_fma_f64 v[246:247], v[216:217], v[212:213], -v[214:215]
	ds_read_b128 v[212:215], v2 offset:1536
	s_waitcnt vmcnt(3) lgkmcnt(2)
	v_mul_f64 v[216:217], v[204:205], v[122:123]
	v_fmac_f64_e32 v[216:217], v[206:207], v[120:121]
	s_waitcnt vmcnt(2) lgkmcnt(1)
	v_mul_f64 v[218:219], v[208:209], v[130:131]
	v_add_f64 v[216:217], v[220:221], v[216:217]
	v_fmac_f64_e32 v[218:219], v[210:211], v[128:129]
	v_add_f64 v[216:217], v[216:217], v[218:219]
	s_waitcnt vmcnt(1) lgkmcnt(0)
	v_mul_f64 v[218:219], v[212:213], v[126:127]
	v_fmac_f64_e32 v[218:219], v[214:215], v[124:125]
	v_add_f64 v[220:221], v[216:217], v[218:219]
	ds_read_b128 v[216:219], v2 offset:1552
	ds_read_b128 v[224:227], v2 offset:1568
	scratch_load_dwordx4 v[232:235], off, off offset:800
	v_accvgpr_write_b32 a103, v1
	v_accvgpr_write_b32 a102, v0
	s_waitcnt vmcnt(1) lgkmcnt(1)
	v_mul_f64 v[222:223], v[216:217], v[134:135]
	v_fmac_f64_e32 v[222:223], v[218:219], v[132:133]
	v_add_f64 v[228:229], v[220:221], v[222:223]
	scratch_load_dwordx4 v[220:223], off, off offset:784
	v_mul_f64 v[6:7], v[42:43], v[6:7]
	v_fma_f64 v[4:5], v[40:41], v[4:5], -v[6:7]
	s_waitcnt vmcnt(0) lgkmcnt(0)
	v_mul_f64 v[230:231], v[224:225], v[222:223]
	v_fmac_f64_e32 v[230:231], v[226:227], v[220:221]
	v_add_f64 v[0:1], v[228:229], v[230:231]
	ds_read_b128 v[228:231], v2 offset:1584
	s_waitcnt lgkmcnt(0)
	v_mul_f64 v[2:3], v[228:229], v[234:235]
	v_fmac_f64_e32 v[2:3], v[230:231], v[232:233]
	v_add_f64 v[2:3], v[0:1], v[2:3]
	v_add_f64 v[0:1], v[240:241], 0
	;; [unrolled: 1-line block ×7, first 2 shown]
	scratch_load_dwordx4 v[236:239], off, off offset:160
	v_add_f64 v[0:1], v[0:1], v[252:253]
	v_add_f64 v[0:1], v[0:1], v[254:255]
	;; [unrolled: 1-line block ×3, first 2 shown]
	v_accvgpr_read_b32 v0, a102
	v_accvgpr_read_b32 v1, a103
	v_add_f64 v[0:1], v[248:249], v[0:1]
	v_add_f64 v[0:1], v[0:1], v[246:247]
	;; [unrolled: 1-line block ×3, first 2 shown]
	v_mul_f64 v[4:5], v[66:67], v[10:11]
	v_fma_f64 v[4:5], v[64:65], v[8:9], -v[4:5]
	v_add_f64 v[0:1], v[0:1], v[4:5]
	v_mul_f64 v[4:5], v[62:63], v[14:15]
	v_fma_f64 v[4:5], v[60:61], v[12:13], -v[4:5]
	v_add_f64 v[0:1], v[0:1], v[4:5]
	;; [unrolled: 3-line block ×28, first 2 shown]
	s_waitcnt vmcnt(0)
	v_add_f64 v[4:5], v[236:237], -v[0:1]
	v_accvgpr_read_b32 v0, a100
	v_add_f64 v[6:7], v[238:239], -v[2:3]
	v_cmp_lt_u32_e32 vcc, 8, v0
	scratch_store_dwordx4 off, v[4:7], off offset:160
	s_and_saveexec_b64 s[0:1], vcc
	s_cbranch_execz .LBB49_297
; %bb.296:
	scratch_load_dwordx4 v[2:5], off, s34
	v_mov_b32_e32 v6, 0
	v_mov_b32_e32 v7, v6
	;; [unrolled: 1-line block ×4, first 2 shown]
	v_accvgpr_read_b32 v0, a101
	scratch_store_dwordx4 off, v[6:9], off offset:144
	s_waitcnt vmcnt(1)
	ds_write_b128 v0, v[2:5]
.LBB49_297:
	s_or_b64 exec, exec, s[0:1]
	s_waitcnt lgkmcnt(0)
	; wave barrier
	scratch_load_dwordx4 v[112:115], off, off offset:160
	scratch_load_dwordx4 v[116:119], off, off offset:176
	;; [unrolled: 1-line block ×30, first 2 shown]
	v_mov_b32_e32 v2, 0
	ds_read_b128 v[144:147], v2 offset:944
	ds_read_b128 v[156:159], v2 offset:960
	;; [unrolled: 1-line block ×20, first 2 shown]
	s_waitcnt vmcnt(29) lgkmcnt(14)
	v_mul_f64 v[0:1], v[144:145], v[114:115]
	s_waitcnt vmcnt(28)
	v_mul_f64 v[88:89], v[156:157], v[118:119]
	v_fmac_f64_e32 v[0:1], v[146:147], v[112:113]
	s_waitcnt vmcnt(27)
	v_mul_f64 v[90:91], v[168:169], v[122:123]
	v_fmac_f64_e32 v[88:89], v[158:159], v[116:117]
	v_add_f64 v[0:1], v[0:1], 0
	s_waitcnt vmcnt(26)
	v_mul_f64 v[92:93], v[180:181], v[154:155]
	v_fmac_f64_e32 v[90:91], v[170:171], v[120:121]
	v_add_f64 v[0:1], v[0:1], v[88:89]
	;; [unrolled: 4-line block ×4, first 2 shown]
	s_waitcnt vmcnt(23) lgkmcnt(13)
	v_mul_f64 v[98:99], v[212:213], v[174:175]
	v_fmac_f64_e32 v[96:97], v[206:207], v[164:165]
	v_add_f64 v[0:1], v[0:1], v[94:95]
	s_waitcnt vmcnt(22) lgkmcnt(12)
	v_mul_f64 v[100:101], v[216:217], v[178:179]
	v_fmac_f64_e32 v[98:99], v[214:215], v[172:173]
	v_add_f64 v[0:1], v[0:1], v[96:97]
	;; [unrolled: 4-line block ×9, first 2 shown]
	v_fmac_f64_e32 v[126:127], v[82:83], v[8:9]
	v_add_f64 v[0:1], v[0:1], v[124:125]
	scratch_load_dwordx4 v[88:91], off, off offset:640
	s_waitcnt vmcnt(15) lgkmcnt(4)
	v_mul_f64 v[128:129], v[76:77], v[236:237]
	v_add_f64 v[0:1], v[0:1], v[126:127]
	ds_read_b128 v[124:127], v2 offset:1216
	v_fmac_f64_e32 v[128:129], v[78:79], v[234:235]
	v_add_f64 v[0:1], v[0:1], v[128:129]
	ds_read_b128 v[128:131], v2 offset:1232
	s_waitcnt vmcnt(14) lgkmcnt(5)
	v_mul_f64 v[92:93], v[72:73], v[18:19]
	v_fmac_f64_e32 v[92:93], v[74:75], v[16:17]
	v_add_f64 v[0:1], v[0:1], v[92:93]
	s_waitcnt vmcnt(13) lgkmcnt(1)
	v_mul_f64 v[96:97], v[124:125], v[22:23]
	scratch_load_dwordx4 v[92:95], off, off offset:656
	v_fmac_f64_e32 v[96:97], v[126:127], v[20:21]
	v_add_f64 v[0:1], v[0:1], v[96:97]
	s_waitcnt vmcnt(13) lgkmcnt(0)
	v_mul_f64 v[100:101], v[128:129], v[26:27]
	scratch_load_dwordx4 v[96:99], off, off offset:672
	v_fmac_f64_e32 v[100:101], v[130:131], v[24:25]
	v_add_f64 v[0:1], v[0:1], v[100:101]
	scratch_load_dwordx4 v[100:103], off, off offset:688
	s_waitcnt vmcnt(14)
	v_mul_f64 v[104:105], v[132:133], v[30:31]
	v_fmac_f64_e32 v[104:105], v[134:135], v[28:29]
	v_add_f64 v[0:1], v[0:1], v[104:105]
	s_waitcnt vmcnt(13)
	v_mul_f64 v[104:105], v[136:137], v[34:35]
	v_fmac_f64_e32 v[104:105], v[138:139], v[32:33]
	v_add_f64 v[0:1], v[0:1], v[104:105]
	scratch_load_dwordx4 v[104:107], off, off offset:704
	s_waitcnt vmcnt(13)
	v_mul_f64 v[108:109], v[140:141], v[38:39]
	v_fmac_f64_e32 v[108:109], v[142:143], v[36:37]
	v_add_f64 v[0:1], v[0:1], v[108:109]
	scratch_load_dwordx4 v[108:111], off, off offset:720
	v_mul_f64 v[114:115], v[146:147], v[114:115]
	v_fma_f64 v[240:241], v[144:145], v[112:113], -v[114:115]
	v_mul_f64 v[112:113], v[158:159], v[118:119]
	ds_read_b128 v[148:151], v2 offset:1296
	ds_read_b128 v[144:147], v2 offset:1312
	v_fma_f64 v[242:243], v[156:157], v[116:117], -v[112:113]
	scratch_load_dwordx4 v[116:119], off, off offset:736
	scratch_load_dwordx4 v[112:115], off, off offset:752
	v_mul_f64 v[122:123], v[170:171], v[122:123]
	v_fma_f64 v[252:253], v[168:169], v[120:121], -v[122:123]
	scratch_load_dwordx4 v[120:123], off, off offset:768
	s_waitcnt vmcnt(16) lgkmcnt(1)
	v_mul_f64 v[156:157], v[148:149], v[42:43]
	v_fmac_f64_e32 v[156:157], v[150:151], v[40:41]
	v_mul_f64 v[154:155], v[182:183], v[154:155]
	v_add_f64 v[0:1], v[0:1], v[156:157]
	v_fma_f64 v[254:255], v[180:181], v[152:153], -v[154:155]
	ds_read_b128 v[152:155], v2 offset:1328
	s_waitcnt vmcnt(15) lgkmcnt(1)
	v_mul_f64 v[156:157], v[144:145], v[46:47]
	v_fmac_f64_e32 v[156:157], v[146:147], v[44:45]
	v_add_f64 v[0:1], v[0:1], v[156:157]
	ds_read_b128 v[156:159], v2 offset:1344
	v_mul_f64 v[162:163], v[194:195], v[162:163]
	v_fma_f64 v[232:233], v[192:193], v[160:161], -v[162:163]
	ds_read_b128 v[160:163], v2 offset:1360
	s_waitcnt vmcnt(14) lgkmcnt(2)
	v_mul_f64 v[168:169], v[152:153], v[50:51]
	v_fmac_f64_e32 v[168:169], v[154:155], v[48:49]
	v_mul_f64 v[166:167], v[206:207], v[166:167]
	v_add_f64 v[0:1], v[0:1], v[168:169]
	s_waitcnt vmcnt(13) lgkmcnt(1)
	v_mul_f64 v[168:169], v[156:157], v[54:55]
	v_fma_f64 v[12:13], v[204:205], v[164:165], -v[166:167]
	ds_read_b128 v[164:167], v2 offset:1376
	v_accvgpr_write_b32 a105, v7
	v_fmac_f64_e32 v[168:169], v[158:159], v[52:53]
	v_accvgpr_write_b32 a104, v6
	v_accvgpr_write_b32 a103, v5
	;; [unrolled: 1-line block ×3, first 2 shown]
	v_add_f64 v[0:1], v[0:1], v[168:169]
	s_waitcnt vmcnt(12) lgkmcnt(1)
	v_mul_f64 v[6:7], v[160:161], v[58:59]
	ds_read_b128 v[168:171], v2 offset:1392
	v_fmac_f64_e32 v[6:7], v[162:163], v[56:57]
	v_accvgpr_write_b32 a109, v11
	v_add_f64 v[0:1], v[0:1], v[6:7]
	v_mul_f64 v[6:7], v[214:215], v[174:175]
	v_accvgpr_write_b32 a108, v10
	v_accvgpr_write_b32 a107, v9
	;; [unrolled: 1-line block ×3, first 2 shown]
	v_fma_f64 v[8:9], v[212:213], v[172:173], -v[6:7]
	s_waitcnt vmcnt(11) lgkmcnt(1)
	v_mul_f64 v[6:7], v[164:165], v[62:63]
	v_fmac_f64_e32 v[6:7], v[166:167], v[60:61]
	ds_read_b128 v[172:175], v2 offset:1408
	v_add_f64 v[0:1], v[0:1], v[6:7]
	s_waitcnt vmcnt(10) lgkmcnt(1)
	v_mul_f64 v[6:7], v[168:169], v[66:67]
	v_fmac_f64_e32 v[6:7], v[170:171], v[64:65]
	v_add_f64 v[0:1], v[0:1], v[6:7]
	v_mul_f64 v[6:7], v[218:219], v[178:179]
	v_fma_f64 v[10:11], v[216:217], v[176:177], -v[6:7]
	ds_read_b128 v[176:179], v2 offset:1424
	ds_read_b128 v[180:183], v2 offset:1440
	s_waitcnt vmcnt(9) lgkmcnt(2)
	v_mul_f64 v[6:7], v[172:173], v[70:71]
	v_fmac_f64_e32 v[6:7], v[174:175], v[68:69]
	v_add_f64 v[0:1], v[0:1], v[6:7]
	s_waitcnt vmcnt(8) lgkmcnt(1)
	v_mul_f64 v[6:7], v[176:177], v[90:91]
	v_fmac_f64_e32 v[6:7], v[178:179], v[88:89]
	v_add_f64 v[0:1], v[0:1], v[6:7]
	v_mul_f64 v[6:7], v[222:223], v[186:187]
	v_fma_f64 v[4:5], v[220:221], v[184:185], -v[6:7]
	ds_read_b128 v[184:187], v2 offset:1456
	v_mul_f64 v[6:7], v[226:227], v[190:191]
	v_fma_f64 v[6:7], v[224:225], v[188:189], -v[6:7]
	ds_read_b128 v[188:191], v2 offset:1472
	s_waitcnt vmcnt(7) lgkmcnt(2)
	v_mul_f64 v[14:15], v[180:181], v[94:95]
	v_fmac_f64_e32 v[14:15], v[182:183], v[92:93]
	v_add_f64 v[0:1], v[0:1], v[14:15]
	s_waitcnt vmcnt(6) lgkmcnt(1)
	v_mul_f64 v[14:15], v[184:185], v[98:99]
	v_fmac_f64_e32 v[14:15], v[186:187], v[96:97]
	v_add_f64 v[0:1], v[0:1], v[14:15]
	s_waitcnt vmcnt(5) lgkmcnt(0)
	v_mul_f64 v[14:15], v[188:189], v[102:103]
	ds_read_b128 v[192:195], v2 offset:1488
	v_fmac_f64_e32 v[14:15], v[190:191], v[100:101]
	v_add_f64 v[14:15], v[0:1], v[14:15]
	v_mul_f64 v[0:1], v[230:231], v[198:199]
	v_fma_f64 v[0:1], v[228:229], v[196:197], -v[0:1]
	ds_read_b128 v[196:199], v2 offset:1504
	v_mul_f64 v[202:203], v[246:247], v[202:203]
	s_waitcnt vmcnt(4) lgkmcnt(1)
	v_mul_f64 v[204:205], v[192:193], v[106:107]
	v_fma_f64 v[238:239], v[244:245], v[200:201], -v[202:203]
	ds_read_b128 v[200:203], v2 offset:1520
	v_fmac_f64_e32 v[204:205], v[194:195], v[104:105]
	v_add_f64 v[14:15], v[14:15], v[204:205]
	ds_read_b128 v[204:207], v2 offset:1536
	s_waitcnt vmcnt(3) lgkmcnt(2)
	v_mul_f64 v[212:213], v[196:197], v[110:111]
	v_mul_f64 v[210:211], v[250:251], v[210:211]
	v_fmac_f64_e32 v[212:213], v[198:199], v[108:109]
	v_fma_f64 v[244:245], v[248:249], v[208:209], -v[210:211]
	ds_read_b128 v[208:211], v2 offset:1552
	ds_read_b128 v[216:219], v2 offset:1568
	v_add_f64 v[14:15], v[14:15], v[212:213]
	s_waitcnt vmcnt(2) lgkmcnt(3)
	v_mul_f64 v[212:213], v[200:201], v[118:119]
	v_fmac_f64_e32 v[212:213], v[202:203], v[116:117]
	v_add_f64 v[14:15], v[14:15], v[212:213]
	s_waitcnt vmcnt(1) lgkmcnt(2)
	v_mul_f64 v[212:213], v[204:205], v[114:115]
	v_fmac_f64_e32 v[212:213], v[206:207], v[112:113]
	;; [unrolled: 4-line block ×3, first 2 shown]
	v_add_f64 v[14:15], v[14:15], v[212:213]
	scratch_load_dwordx4 v[212:215], off, off offset:784
	ds_read_b128 v[224:227], v2 offset:1584
	s_waitcnt vmcnt(0) lgkmcnt(1)
	v_mul_f64 v[220:221], v[216:217], v[214:215]
	v_fmac_f64_e32 v[220:221], v[218:219], v[212:213]
	v_add_f64 v[14:15], v[14:15], v[220:221]
	scratch_load_dwordx4 v[220:223], off, off offset:800
	s_waitcnt vmcnt(0) lgkmcnt(0)
	v_mul_f64 v[228:229], v[224:225], v[222:223]
	v_fmac_f64_e32 v[228:229], v[226:227], v[220:221]
	v_add_f64 v[248:249], v[14:15], v[228:229]
	scratch_load_dwordx4 v[228:231], off, off offset:144
	v_add_f64 v[14:15], v[240:241], 0
	v_add_f64 v[14:15], v[14:15], v[242:243]
	;; [unrolled: 1-line block ×10, first 2 shown]
	v_accvgpr_read_b32 v6, a102
	v_accvgpr_read_b32 v8, a104
	;; [unrolled: 1-line block ×3, first 2 shown]
	v_add_f64 v[0:1], v[4:5], v[0:1]
	v_accvgpr_read_b32 v7, a103
	v_mul_f64 v[4:5], v[86:87], v[8:9]
	v_add_f64 v[0:1], v[0:1], v[238:239]
	v_fma_f64 v[4:5], v[84:85], v[6:7], -v[4:5]
	v_accvgpr_read_b32 v6, a106
	v_add_f64 v[0:1], v[0:1], v[244:245]
	v_accvgpr_read_b32 v8, a108
	v_accvgpr_read_b32 v9, a109
	v_add_f64 v[0:1], v[0:1], v[4:5]
	v_accvgpr_read_b32 v7, a107
	v_mul_f64 v[4:5], v[82:83], v[8:9]
	v_fma_f64 v[4:5], v[80:81], v[6:7], -v[4:5]
	v_add_f64 v[0:1], v[0:1], v[4:5]
	v_mul_f64 v[4:5], v[78:79], v[236:237]
	v_fma_f64 v[4:5], v[76:77], v[234:235], -v[4:5]
	v_add_f64 v[0:1], v[0:1], v[4:5]
	;; [unrolled: 3-line block ×27, first 2 shown]
	s_waitcnt vmcnt(0)
	v_add_f64 v[4:5], v[228:229], -v[0:1]
	v_accvgpr_read_b32 v0, a100
	v_add_f64 v[6:7], v[230:231], -v[248:249]
	v_cmp_lt_u32_e32 vcc, 7, v0
	scratch_store_dwordx4 off, v[4:7], off offset:144
	s_and_saveexec_b64 s[0:1], vcc
	s_cbranch_execz .LBB49_299
; %bb.298:
	scratch_load_dwordx4 v[6:9], off, s33
	v_mov_b32_e32 v3, v2
	v_mov_b32_e32 v4, v2
	;; [unrolled: 1-line block ×3, first 2 shown]
	v_accvgpr_read_b32 v0, a101
	scratch_store_dwordx4 off, v[2:5], off offset:128
	s_waitcnt vmcnt(1)
	ds_write_b128 v0, v[6:9]
.LBB49_299:
	s_or_b64 exec, exec, s[0:1]
	s_waitcnt lgkmcnt(0)
	; wave barrier
	scratch_load_dwordx4 v[88:91], off, off offset:144
	scratch_load_dwordx4 v[92:95], off, off offset:160
	;; [unrolled: 1-line block ×17, first 2 shown]
	ds_read_b128 v[212:215], v2 offset:928
	ds_read_b128 v[204:207], v2 offset:944
	;; [unrolled: 1-line block ×3, first 2 shown]
	scratch_load_dwordx4 v[20:23], off, off offset:416
	ds_read_b128 v[216:219], v2 offset:976
	ds_read_b128 v[208:211], v2 offset:992
	;; [unrolled: 1-line block ×5, first 2 shown]
	scratch_load_dwordx4 v[24:27], off, off offset:432
	ds_read_b128 v[180:183], v2 offset:1056
	ds_read_b128 v[160:163], v2 offset:1072
	ds_read_b128 v[144:147], v2 offset:1088
	scratch_load_dwordx4 v[28:31], off, off offset:448
	ds_read_b128 v[172:175], v2 offset:1104
	ds_read_b128 v[148:151], v2 offset:1120
	;; [unrolled: 1-line block ×5, first 2 shown]
	scratch_load_dwordx4 v[36:39], off, off offset:464
	ds_read_b128 v[48:51], v2 offset:1184
	scratch_load_dwordx4 v[52:55], off, off offset:480
	scratch_load_dwordx4 v[56:59], off, off offset:496
	;; [unrolled: 1-line block ×9, first 2 shown]
	ds_read_b128 v[140:143], v2 offset:1200
	ds_read_b128 v[232:235], v2 offset:1264
	;; [unrolled: 1-line block ×3, first 2 shown]
	s_waitcnt vmcnt(29) lgkmcnt(14)
	v_mul_f64 v[0:1], v[212:213], v[90:91]
	s_waitcnt vmcnt(28)
	v_mul_f64 v[152:153], v[204:205], v[94:95]
	v_fmac_f64_e32 v[0:1], v[214:215], v[88:89]
	s_waitcnt vmcnt(27)
	v_mul_f64 v[154:155], v[196:197], v[98:99]
	v_fmac_f64_e32 v[152:153], v[206:207], v[92:93]
	v_add_f64 v[0:1], v[0:1], 0
	s_waitcnt vmcnt(26)
	v_mul_f64 v[164:165], v[216:217], v[102:103]
	v_fmac_f64_e32 v[154:155], v[198:199], v[96:97]
	v_add_f64 v[0:1], v[0:1], v[152:153]
	;; [unrolled: 4-line block ×4, first 2 shown]
	s_waitcnt vmcnt(23) lgkmcnt(13)
	v_mul_f64 v[170:171], v[184:185], v[114:115]
	v_fmac_f64_e32 v[168:169], v[202:203], v[108:109]
	v_add_f64 v[0:1], v[0:1], v[166:167]
	s_waitcnt vmcnt(22) lgkmcnt(12)
	v_mul_f64 v[176:177], v[156:157], v[118:119]
	v_fmac_f64_e32 v[170:171], v[186:187], v[112:113]
	v_add_f64 v[0:1], v[0:1], v[168:169]
	;; [unrolled: 4-line block ×10, first 2 shown]
	v_fmac_f64_e32 v[224:225], v[34:35], v[12:13]
	v_add_f64 v[0:1], v[0:1], v[222:223]
	ds_read_b128 v[220:223], v2 offset:1216
	v_add_f64 v[0:1], v[0:1], v[224:225]
	ds_read_b128 v[224:227], v2 offset:1232
	s_waitcnt vmcnt(13) lgkmcnt(5)
	v_mul_f64 v[164:165], v[48:49], v[18:19]
	scratch_load_dwordx4 v[152:155], off, off offset:624
	v_fmac_f64_e32 v[164:165], v[50:51], v[16:17]
	s_waitcnt vmcnt(13) lgkmcnt(4)
	v_mul_f64 v[168:169], v[140:141], v[22:23]
	v_add_f64 v[0:1], v[0:1], v[164:165]
	v_fmac_f64_e32 v[168:169], v[142:143], v[20:21]
	scratch_load_dwordx4 v[164:167], off, off offset:640
	v_add_f64 v[0:1], v[0:1], v[168:169]
	s_waitcnt vmcnt(13) lgkmcnt(1)
	v_mul_f64 v[176:177], v[220:221], v[26:27]
	scratch_load_dwordx4 v[168:171], off, off offset:656
	v_fmac_f64_e32 v[176:177], v[222:223], v[24:25]
	s_waitcnt vmcnt(13) lgkmcnt(0)
	v_mul_f64 v[188:189], v[224:225], v[30:31]
	v_add_f64 v[0:1], v[0:1], v[176:177]
	scratch_load_dwordx4 v[176:179], off, off offset:672
	v_fmac_f64_e32 v[188:189], v[226:227], v[28:29]
	v_add_f64 v[0:1], v[0:1], v[188:189]
	s_waitcnt vmcnt(13)
	v_mul_f64 v[188:189], v[228:229], v[38:39]
	v_fmac_f64_e32 v[188:189], v[230:231], v[36:37]
	v_add_f64 v[0:1], v[0:1], v[188:189]
	scratch_load_dwordx4 v[188:191], off, off offset:688
	s_waitcnt vmcnt(13)
	v_mul_f64 v[192:193], v[232:233], v[54:55]
	v_fmac_f64_e32 v[192:193], v[234:235], v[52:53]
	v_mul_f64 v[90:91], v[214:215], v[90:91]
	v_add_f64 v[0:1], v[0:1], v[192:193]
	scratch_load_dwordx4 v[192:195], off, off offset:704
	v_fma_f64 v[240:241], v[212:213], v[88:89], -v[90:91]
	v_mul_f64 v[88:89], v[206:207], v[94:95]
	ds_read_b128 v[236:239], v2 offset:1280
	ds_read_b128 v[212:215], v2 offset:1296
	v_fma_f64 v[242:243], v[204:205], v[92:93], -v[88:89]
	scratch_load_dwordx4 v[92:95], off, off offset:720
	scratch_load_dwordx4 v[88:91], off, off offset:736
	v_mul_f64 v[98:99], v[198:199], v[98:99]
	v_fma_f64 v[248:249], v[196:197], v[96:97], -v[98:99]
	scratch_load_dwordx4 v[96:99], off, off offset:752
	s_waitcnt vmcnt(16) lgkmcnt(1)
	v_mul_f64 v[204:205], v[236:237], v[58:59]
	v_mul_f64 v[102:103], v[218:219], v[102:103]
	v_fmac_f64_e32 v[204:205], v[238:239], v[56:57]
	v_fma_f64 v[216:217], v[216:217], v[100:101], -v[102:103]
	ds_read_b128 v[100:103], v2 offset:1312
	s_waitcnt vmcnt(15) lgkmcnt(1)
	v_mul_f64 v[196:197], v[212:213], v[62:63]
	v_add_f64 v[0:1], v[0:1], v[204:205]
	v_fmac_f64_e32 v[196:197], v[214:215], v[60:61]
	v_add_f64 v[0:1], v[0:1], v[196:197]
	ds_read_b128 v[196:199], v2 offset:1328
	v_mul_f64 v[106:107], v[210:211], v[106:107]
	v_fma_f64 v[218:219], v[208:209], v[104:105], -v[106:107]
	ds_read_b128 v[104:107], v2 offset:1344
	s_waitcnt vmcnt(14) lgkmcnt(2)
	v_mul_f64 v[204:205], v[100:101], v[66:67]
	v_fmac_f64_e32 v[204:205], v[102:103], v[64:65]
	v_add_f64 v[0:1], v[0:1], v[204:205]
	s_waitcnt vmcnt(13) lgkmcnt(1)
	v_mul_f64 v[204:205], v[196:197], v[70:71]
	v_mul_f64 v[110:111], v[202:203], v[110:111]
	v_fmac_f64_e32 v[204:205], v[198:199], v[68:69]
	v_fma_f64 v[250:251], v[200:201], v[108:109], -v[110:111]
	ds_read_b128 v[108:111], v2 offset:1360
	s_waitcnt vmcnt(12) lgkmcnt(1)
	v_mul_f64 v[200:201], v[104:105], v[74:75]
	v_add_f64 v[0:1], v[0:1], v[204:205]
	v_fmac_f64_e32 v[200:201], v[106:107], v[72:73]
	v_add_f64 v[0:1], v[0:1], v[200:201]
	ds_read_b128 v[200:203], v2 offset:1376
	v_mul_f64 v[114:115], v[186:187], v[114:115]
	v_fma_f64 v[252:253], v[184:185], v[112:113], -v[114:115]
	ds_read_b128 v[112:115], v2 offset:1392
	s_waitcnt vmcnt(11) lgkmcnt(2)
	v_mul_f64 v[184:185], v[108:109], v[78:79]
	v_fmac_f64_e32 v[184:185], v[110:111], v[76:77]
	v_add_f64 v[0:1], v[0:1], v[184:185]
	s_waitcnt vmcnt(10) lgkmcnt(1)
	v_mul_f64 v[184:185], v[200:201], v[82:83]
	v_mul_f64 v[118:119], v[158:159], v[118:119]
	v_fmac_f64_e32 v[184:185], v[202:203], v[80:81]
	v_fma_f64 v[254:255], v[156:157], v[116:117], -v[118:119]
	s_waitcnt vmcnt(9) lgkmcnt(0)
	v_mul_f64 v[156:157], v[112:113], v[86:87]
	v_add_f64 v[0:1], v[0:1], v[184:185]
	ds_read_b128 v[116:119], v2 offset:1408
	v_fmac_f64_e32 v[156:157], v[114:115], v[84:85]
	v_add_f64 v[0:1], v[0:1], v[156:157]
	ds_read_b128 v[156:159], v2 offset:1424
	v_mul_f64 v[122:123], v[182:183], v[122:123]
	v_fma_f64 v[244:245], v[180:181], v[120:121], -v[122:123]
	ds_read_b128 v[120:123], v2 offset:1440
	v_accvgpr_write_b32 a105, v7
	v_mul_f64 v[126:127], v[162:163], v[126:127]
	v_accvgpr_write_b32 a104, v6
	v_accvgpr_write_b32 a103, v5
	;; [unrolled: 1-line block ×3, first 2 shown]
	v_fma_f64 v[4:5], v[160:161], v[124:125], -v[126:127]
	ds_read_b128 v[124:127], v2 offset:1456
	s_waitcnt vmcnt(8) lgkmcnt(3)
	v_mul_f64 v[184:185], v[116:117], v[154:155]
	v_fmac_f64_e32 v[184:185], v[118:119], v[152:153]
	s_waitcnt vmcnt(7) lgkmcnt(2)
	v_mul_f64 v[180:181], v[156:157], v[166:167]
	v_add_f64 v[0:1], v[0:1], v[184:185]
	v_fmac_f64_e32 v[180:181], v[158:159], v[164:165]
	s_waitcnt vmcnt(6) lgkmcnt(1)
	v_mul_f64 v[6:7], v[120:121], v[170:171]
	ds_read_b128 v[160:163], v2 offset:1472
	v_add_f64 v[0:1], v[0:1], v[180:181]
	v_fmac_f64_e32 v[6:7], v[122:123], v[168:169]
	v_add_f64 v[0:1], v[0:1], v[6:7]
	s_waitcnt vmcnt(5) lgkmcnt(1)
	v_mul_f64 v[6:7], v[124:125], v[178:179]
	v_fmac_f64_e32 v[6:7], v[126:127], v[176:177]
	v_add_f64 v[0:1], v[0:1], v[6:7]
	v_mul_f64 v[6:7], v[146:147], v[130:131]
	v_fma_f64 v[6:7], v[144:145], v[128:129], -v[6:7]
	ds_read_b128 v[128:131], v2 offset:1488
	s_waitcnt vmcnt(4) lgkmcnt(1)
	v_mul_f64 v[144:145], v[160:161], v[190:191]
	v_fmac_f64_e32 v[144:145], v[162:163], v[188:189]
	v_add_f64 v[180:181], v[0:1], v[144:145]
	v_mul_f64 v[0:1], v[174:175], v[134:135]
	v_fma_f64 v[0:1], v[172:173], v[132:133], -v[0:1]
	ds_read_b128 v[132:135], v2 offset:1504
	ds_read_b128 v[144:147], v2 offset:1520
	v_mul_f64 v[138:139], v[150:151], v[138:139]
	v_fma_f64 v[246:247], v[148:149], v[136:137], -v[138:139]
	ds_read_b128 v[136:139], v2 offset:1536
	s_waitcnt vmcnt(3) lgkmcnt(3)
	v_mul_f64 v[172:173], v[128:129], v[194:195]
	v_fmac_f64_e32 v[172:173], v[130:131], v[192:193]
	s_waitcnt vmcnt(2) lgkmcnt(2)
	v_mul_f64 v[148:149], v[132:133], v[94:95]
	v_add_f64 v[172:173], v[180:181], v[172:173]
	v_fmac_f64_e32 v[148:149], v[134:135], v[92:93]
	s_waitcnt vmcnt(1) lgkmcnt(1)
	v_mul_f64 v[150:151], v[144:145], v[90:91]
	v_add_f64 v[148:149], v[172:173], v[148:149]
	v_fmac_f64_e32 v[150:151], v[146:147], v[88:89]
	v_add_f64 v[148:149], v[148:149], v[150:151]
	ds_read_b128 v[172:175], v2 offset:1552
	scratch_load_dwordx4 v[208:211], off, off offset:800
	s_waitcnt vmcnt(1) lgkmcnt(1)
	v_mul_f64 v[150:151], v[136:137], v[98:99]
	v_fmac_f64_e32 v[150:151], v[138:139], v[96:97]
	v_add_f64 v[180:181], v[148:149], v[150:151]
	scratch_load_dwordx4 v[148:151], off, off offset:768
	ds_read_b128 v[184:187], v2 offset:1568
	v_accvgpr_write_b32 a107, v1
	v_accvgpr_write_b32 a106, v0
	s_waitcnt vmcnt(0) lgkmcnt(1)
	v_mul_f64 v[182:183], v[172:173], v[150:151]
	v_fmac_f64_e32 v[182:183], v[174:175], v[148:149]
	v_add_f64 v[204:205], v[180:181], v[182:183]
	scratch_load_dwordx4 v[180:183], off, off offset:784
	s_waitcnt vmcnt(0) lgkmcnt(0)
	v_mul_f64 v[206:207], v[184:185], v[182:183]
	v_fmac_f64_e32 v[206:207], v[186:187], v[180:181]
	v_add_f64 v[0:1], v[204:205], v[206:207]
	ds_read_b128 v[204:207], v2 offset:1584
	s_waitcnt lgkmcnt(0)
	v_mul_f64 v[2:3], v[204:205], v[210:211]
	v_fmac_f64_e32 v[2:3], v[206:207], v[208:209]
	v_add_f64 v[2:3], v[0:1], v[2:3]
	v_add_f64 v[0:1], v[240:241], 0
	;; [unrolled: 1-line block ×6, first 2 shown]
	scratch_load_dwordx4 v[216:219], off, off offset:128
	v_add_f64 v[0:1], v[0:1], v[250:251]
	v_add_f64 v[0:1], v[0:1], v[252:253]
	;; [unrolled: 1-line block ×6, first 2 shown]
	v_accvgpr_read_b32 v0, a106
	v_accvgpr_read_b32 v243, a105
	;; [unrolled: 1-line block ×4, first 2 shown]
	v_add_f64 v[0:1], v[248:249], v[0:1]
	v_accvgpr_read_b32 v241, a103
	v_accvgpr_read_b32 v240, a102
	v_mul_f64 v[4:5], v[46:47], v[242:243]
	v_add_f64 v[0:1], v[0:1], v[246:247]
	v_fma_f64 v[4:5], v[44:45], v[240:241], -v[4:5]
	v_add_f64 v[0:1], v[0:1], v[4:5]
	v_mul_f64 v[4:5], v[42:43], v[10:11]
	v_fma_f64 v[4:5], v[40:41], v[8:9], -v[4:5]
	v_add_f64 v[0:1], v[0:1], v[4:5]
	v_mul_f64 v[4:5], v[34:35], v[14:15]
	;; [unrolled: 3-line block ×28, first 2 shown]
	v_fma_f64 v[4:5], v[204:205], v[208:209], -v[4:5]
	v_add_f64 v[0:1], v[0:1], v[4:5]
	s_waitcnt vmcnt(0)
	v_add_f64 v[4:5], v[216:217], -v[0:1]
	v_accvgpr_read_b32 v0, a100
	v_add_f64 v[6:7], v[218:219], -v[2:3]
	v_cmp_lt_u32_e32 vcc, 6, v0
	scratch_store_dwordx4 off, v[4:7], off offset:128
	s_and_saveexec_b64 s[0:1], vcc
	s_cbranch_execz .LBB49_301
; %bb.300:
	scratch_load_dwordx4 v[2:5], off, s65
	v_mov_b32_e32 v6, 0
	v_mov_b32_e32 v7, v6
	;; [unrolled: 1-line block ×4, first 2 shown]
	v_accvgpr_read_b32 v0, a101
	scratch_store_dwordx4 off, v[6:9], off offset:112
	s_waitcnt vmcnt(1)
	ds_write_b128 v0, v[2:5]
.LBB49_301:
	s_or_b64 exec, exec, s[0:1]
	s_waitcnt lgkmcnt(0)
	; wave barrier
	scratch_load_dwordx4 v[96:99], off, off offset:128
	scratch_load_dwordx4 v[100:103], off, off offset:144
	;; [unrolled: 1-line block ×30, first 2 shown]
	v_mov_b32_e32 v2, 0
	ds_read_b128 v[136:139], v2 offset:912
	ds_read_b128 v[144:147], v2 offset:928
	;; [unrolled: 1-line block ×20, first 2 shown]
	s_waitcnt vmcnt(29) lgkmcnt(14)
	v_mul_f64 v[0:1], v[136:137], v[98:99]
	s_waitcnt vmcnt(28)
	v_mul_f64 v[72:73], v[144:145], v[102:103]
	v_fmac_f64_e32 v[0:1], v[138:139], v[96:97]
	s_waitcnt vmcnt(27)
	v_mul_f64 v[74:75], v[148:149], v[106:107]
	v_fmac_f64_e32 v[72:73], v[146:147], v[100:101]
	v_add_f64 v[0:1], v[0:1], 0
	s_waitcnt vmcnt(26)
	v_mul_f64 v[76:77], v[164:165], v[110:111]
	v_fmac_f64_e32 v[74:75], v[150:151], v[104:105]
	v_add_f64 v[0:1], v[0:1], v[72:73]
	;; [unrolled: 4-line block ×4, first 2 shown]
	s_waitcnt vmcnt(23) lgkmcnt(13)
	v_mul_f64 v[82:83], v[200:201], v[158:159]
	v_fmac_f64_e32 v[80:81], v[190:191], v[152:153]
	v_add_f64 v[0:1], v[0:1], v[78:79]
	s_waitcnt vmcnt(22) lgkmcnt(12)
	v_mul_f64 v[84:85], v[208:209], v[162:163]
	v_fmac_f64_e32 v[82:83], v[202:203], v[156:157]
	v_add_f64 v[0:1], v[0:1], v[80:81]
	;; [unrolled: 4-line block ×9, first 2 shown]
	s_waitcnt vmcnt(14) lgkmcnt(4)
	v_mul_f64 v[120:121], v[68:69], v[6:7]
	v_fmac_f64_e32 v[118:119], v[250:251], v[204:205]
	v_accvgpr_write_b32 a105, v7
	v_add_f64 v[0:1], v[0:1], v[116:117]
	v_fmac_f64_e32 v[120:121], v[70:71], v[4:5]
	v_accvgpr_write_b32 a104, v6
	v_accvgpr_write_b32 a103, v5
	;; [unrolled: 1-line block ×3, first 2 shown]
	v_add_f64 v[0:1], v[0:1], v[118:119]
	ds_read_b128 v[116:119], v2 offset:1184
	s_waitcnt vmcnt(13)
	v_mov_b64_e32 v[4:5], v[8:9]
	v_mov_b64_e32 v[6:7], v[10:11]
	s_waitcnt lgkmcnt(4)
	v_mul_f64 v[76:77], v[64:65], v[6:7]
	scratch_load_dwordx4 v[72:75], off, off offset:608
	v_add_f64 v[0:1], v[0:1], v[120:121]
	v_fmac_f64_e32 v[76:77], v[66:67], v[4:5]
	s_waitcnt vmcnt(13)
	v_mov_b64_e32 v[4:5], v[12:13]
	v_add_f64 v[0:1], v[0:1], v[76:77]
	v_mov_b64_e32 v[6:7], v[14:15]
	scratch_load_dwordx4 v[76:79], off, off offset:624
	ds_read_b128 v[120:123], v2 offset:1200
	s_waitcnt lgkmcnt(1)
	v_mul_f64 v[80:81], v[116:117], v[6:7]
	v_fmac_f64_e32 v[80:81], v[118:119], v[4:5]
	v_add_f64 v[0:1], v[0:1], v[80:81]
	scratch_load_dwordx4 v[80:83], off, off offset:640
	s_waitcnt vmcnt(14) lgkmcnt(0)
	v_mul_f64 v[84:85], v[120:121], v[236:237]
	v_fmac_f64_e32 v[84:85], v[122:123], v[234:235]
	s_waitcnt vmcnt(13)
	v_mul_f64 v[88:89], v[124:125], v[22:23]
	v_add_f64 v[0:1], v[0:1], v[84:85]
	v_fmac_f64_e32 v[88:89], v[126:127], v[20:21]
	scratch_load_dwordx4 v[84:87], off, off offset:656
	v_add_f64 v[0:1], v[0:1], v[88:89]
	s_waitcnt vmcnt(13)
	v_mul_f64 v[88:89], v[128:129], v[26:27]
	v_fmac_f64_e32 v[88:89], v[130:131], v[24:25]
	v_add_f64 v[0:1], v[0:1], v[88:89]
	scratch_load_dwordx4 v[88:91], off, off offset:672
	s_waitcnt vmcnt(13)
	v_mul_f64 v[92:93], v[132:133], v[30:31]
	v_fmac_f64_e32 v[92:93], v[134:135], v[28:29]
	v_add_f64 v[0:1], v[0:1], v[92:93]
	scratch_load_dwordx4 v[92:95], off, off offset:688
	v_mul_f64 v[98:99], v[138:139], v[98:99]
	v_fma_f64 v[240:241], v[136:137], v[96:97], -v[98:99]
	v_mul_f64 v[96:97], v[146:147], v[102:103]
	ds_read_b128 v[140:143], v2 offset:1264
	ds_read_b128 v[136:139], v2 offset:1280
	v_fma_f64 v[242:243], v[144:145], v[100:101], -v[96:97]
	scratch_load_dwordx4 v[100:103], off, off offset:704
	scratch_load_dwordx4 v[96:99], off, off offset:720
	s_waitcnt vmcnt(15) lgkmcnt(1)
	v_mul_f64 v[144:145], v[140:141], v[34:35]
	v_fmac_f64_e32 v[144:145], v[142:143], v[32:33]
	v_mul_f64 v[106:107], v[150:151], v[106:107]
	v_add_f64 v[0:1], v[0:1], v[144:145]
	s_waitcnt vmcnt(14) lgkmcnt(0)
	v_mul_f64 v[144:145], v[136:137], v[38:39]
	v_fma_f64 v[252:253], v[148:149], v[104:105], -v[106:107]
	v_mul_f64 v[104:105], v[166:167], v[110:111]
	v_fmac_f64_e32 v[144:145], v[138:139], v[36:37]
	v_fma_f64 v[254:255], v[164:165], v[108:109], -v[104:105]
	scratch_load_dwordx4 v[104:107], off, off offset:736
	v_add_f64 v[0:1], v[0:1], v[144:145]
	ds_read_b128 v[144:147], v2 offset:1296
	ds_read_b128 v[148:151], v2 offset:1312
	v_mul_f64 v[108:109], v[178:179], v[114:115]
	v_fma_f64 v[232:233], v[176:177], v[112:113], -v[108:109]
	scratch_load_dwordx4 v[108:111], off, off offset:752
	s_waitcnt vmcnt(15) lgkmcnt(1)
	v_mul_f64 v[112:113], v[144:145], v[42:43]
	v_fmac_f64_e32 v[112:113], v[146:147], v[40:41]
	v_add_f64 v[0:1], v[0:1], v[112:113]
	v_mul_f64 v[112:113], v[190:191], v[154:155]
	v_fma_f64 v[16:17], v[188:189], v[152:153], -v[112:113]
	scratch_load_dwordx4 v[112:115], off, off offset:768
	ds_read_b128 v[152:155], v2 offset:1328
	s_waitcnt vmcnt(15) lgkmcnt(1)
	v_mul_f64 v[6:7], v[148:149], v[46:47]
	v_fmac_f64_e32 v[6:7], v[150:151], v[44:45]
	v_accvgpr_write_b32 a113, v15
	v_add_f64 v[0:1], v[0:1], v[6:7]
	v_mul_f64 v[6:7], v[202:203], v[158:159]
	v_accvgpr_write_b32 a112, v14
	v_accvgpr_write_b32 a111, v13
	;; [unrolled: 1-line block ×3, first 2 shown]
	v_fma_f64 v[12:13], v[200:201], v[156:157], -v[6:7]
	ds_read_b128 v[156:159], v2 offset:1344
	s_waitcnt vmcnt(14) lgkmcnt(1)
	v_mul_f64 v[6:7], v[152:153], v[50:51]
	v_fmac_f64_e32 v[6:7], v[154:155], v[48:49]
	v_accvgpr_write_b32 a109, v11
	v_add_f64 v[0:1], v[0:1], v[6:7]
	v_mul_f64 v[6:7], v[210:211], v[162:163]
	v_accvgpr_write_b32 a108, v10
	v_accvgpr_write_b32 a107, v9
	;; [unrolled: 1-line block ×3, first 2 shown]
	v_fma_f64 v[10:11], v[208:209], v[160:161], -v[6:7]
	ds_read_b128 v[160:163], v2 offset:1360
	ds_read_b128 v[164:167], v2 offset:1376
	s_waitcnt vmcnt(13) lgkmcnt(2)
	v_mul_f64 v[6:7], v[156:157], v[54:55]
	v_fmac_f64_e32 v[6:7], v[158:159], v[52:53]
	v_add_f64 v[0:1], v[0:1], v[6:7]
	s_waitcnt vmcnt(12) lgkmcnt(1)
	v_mul_f64 v[6:7], v[160:161], v[62:63]
	v_fmac_f64_e32 v[6:7], v[162:163], v[60:61]
	v_add_f64 v[0:1], v[0:1], v[6:7]
	v_mul_f64 v[6:7], v[214:215], v[170:171]
	v_fma_f64 v[8:9], v[212:213], v[168:169], -v[6:7]
	s_waitcnt vmcnt(11) lgkmcnt(0)
	v_mul_f64 v[6:7], v[164:165], v[58:59]
	v_fmac_f64_e32 v[6:7], v[166:167], v[56:57]
	ds_read_b128 v[168:171], v2 offset:1392
	v_add_f64 v[0:1], v[0:1], v[6:7]
	v_mul_f64 v[6:7], v[218:219], v[174:175]
	v_fma_f64 v[14:15], v[216:217], v[172:173], -v[6:7]
	ds_read_b128 v[172:175], v2 offset:1408
	s_waitcnt vmcnt(10) lgkmcnt(1)
	v_mul_f64 v[6:7], v[168:169], v[74:75]
	ds_read_b128 v[176:179], v2 offset:1424
	v_fmac_f64_e32 v[6:7], v[170:171], v[72:73]
	v_add_f64 v[0:1], v[0:1], v[6:7]
	s_waitcnt vmcnt(9) lgkmcnt(1)
	v_mul_f64 v[6:7], v[172:173], v[78:79]
	v_fmac_f64_e32 v[6:7], v[174:175], v[76:77]
	v_add_f64 v[0:1], v[0:1], v[6:7]
	v_mul_f64 v[6:7], v[222:223], v[182:183]
	v_fma_f64 v[4:5], v[220:221], v[180:181], -v[6:7]
	ds_read_b128 v[180:183], v2 offset:1440
	s_waitcnt vmcnt(8) lgkmcnt(1)
	v_mul_f64 v[6:7], v[176:177], v[82:83]
	v_fmac_f64_e32 v[6:7], v[178:179], v[80:81]
	v_add_f64 v[0:1], v[0:1], v[6:7]
	v_mul_f64 v[6:7], v[226:227], v[186:187]
	v_fma_f64 v[6:7], v[224:225], v[184:185], -v[6:7]
	ds_read_b128 v[184:187], v2 offset:1456
	ds_read_b128 v[188:191], v2 offset:1472
	s_waitcnt vmcnt(7) lgkmcnt(2)
	v_mul_f64 v[18:19], v[180:181], v[86:87]
	v_fmac_f64_e32 v[18:19], v[182:183], v[84:85]
	v_add_f64 v[0:1], v[0:1], v[18:19]
	s_waitcnt vmcnt(6) lgkmcnt(1)
	v_mul_f64 v[18:19], v[184:185], v[90:91]
	v_fmac_f64_e32 v[18:19], v[186:187], v[88:89]
	v_add_f64 v[18:19], v[0:1], v[18:19]
	v_mul_f64 v[0:1], v[230:231], v[194:195]
	v_fma_f64 v[0:1], v[228:229], v[192:193], -v[0:1]
	ds_read_b128 v[192:195], v2 offset:1488
	s_waitcnt vmcnt(5) lgkmcnt(1)
	v_mul_f64 v[200:201], v[188:189], v[94:95]
	v_fmac_f64_e32 v[200:201], v[190:191], v[92:93]
	v_mul_f64 v[198:199], v[246:247], v[198:199]
	v_fma_f64 v[238:239], v[244:245], v[196:197], -v[198:199]
	ds_read_b128 v[196:199], v2 offset:1504
	v_add_f64 v[18:19], v[18:19], v[200:201]
	s_waitcnt vmcnt(4) lgkmcnt(1)
	v_mul_f64 v[200:201], v[192:193], v[102:103]
	v_fmac_f64_e32 v[200:201], v[194:195], v[100:101]
	v_add_f64 v[18:19], v[18:19], v[200:201]
	ds_read_b128 v[200:203], v2 offset:1520
	v_mul_f64 v[206:207], v[250:251], v[206:207]
	v_fma_f64 v[244:245], v[248:249], v[204:205], -v[206:207]
	ds_read_b128 v[204:207], v2 offset:1536
	s_waitcnt vmcnt(3) lgkmcnt(2)
	v_mul_f64 v[208:209], v[196:197], v[98:99]
	v_fmac_f64_e32 v[208:209], v[198:199], v[96:97]
	v_add_f64 v[18:19], v[18:19], v[208:209]
	s_waitcnt vmcnt(2) lgkmcnt(1)
	v_mul_f64 v[208:209], v[200:201], v[106:107]
	v_fmac_f64_e32 v[208:209], v[202:203], v[104:105]
	v_add_f64 v[18:19], v[18:19], v[208:209]
	;; [unrolled: 4-line block ×3, first 2 shown]
	ds_read_b128 v[208:211], v2 offset:1552
	ds_read_b128 v[216:219], v2 offset:1568
	;; [unrolled: 1-line block ×3, first 2 shown]
	s_waitcnt vmcnt(0) lgkmcnt(2)
	v_mul_f64 v[212:213], v[208:209], v[114:115]
	v_fmac_f64_e32 v[212:213], v[210:211], v[112:113]
	v_add_f64 v[18:19], v[18:19], v[212:213]
	scratch_load_dwordx4 v[212:215], off, off offset:784
	s_waitcnt vmcnt(0) lgkmcnt(1)
	v_mul_f64 v[220:221], v[216:217], v[214:215]
	v_fmac_f64_e32 v[220:221], v[218:219], v[212:213]
	v_add_f64 v[18:19], v[18:19], v[220:221]
	scratch_load_dwordx4 v[220:223], off, off offset:800
	;; [unrolled: 5-line block ×3, first 2 shown]
	v_add_f64 v[18:19], v[240:241], 0
	v_add_f64 v[18:19], v[18:19], v[242:243]
	v_add_f64 v[18:19], v[18:19], v[252:253]
	v_add_f64 v[18:19], v[18:19], v[254:255]
	v_add_f64 v[18:19], v[18:19], v[232:233]
	v_add_f64 v[16:17], v[18:19], v[16:17]
	v_add_f64 v[12:13], v[16:17], v[12:13]
	v_add_f64 v[10:11], v[12:13], v[10:11]
	v_add_f64 v[8:9], v[10:11], v[8:9]
	v_add_f64 v[8:9], v[8:9], v[14:15]
	v_add_f64 v[246:247], v[8:9], v[4:5]
	v_add_f64 v[4:5], v[246:247], v[6:7]
	v_accvgpr_read_b32 v6, a102
	v_accvgpr_read_b32 v8, a104
	;; [unrolled: 1-line block ×3, first 2 shown]
	v_add_f64 v[0:1], v[4:5], v[0:1]
	v_accvgpr_read_b32 v7, a103
	v_mul_f64 v[4:5], v[70:71], v[8:9]
	v_add_f64 v[0:1], v[0:1], v[238:239]
	v_fma_f64 v[4:5], v[68:69], v[6:7], -v[4:5]
	v_accvgpr_read_b32 v6, a106
	v_add_f64 v[0:1], v[0:1], v[244:245]
	v_accvgpr_read_b32 v8, a108
	v_accvgpr_read_b32 v9, a109
	v_add_f64 v[0:1], v[0:1], v[4:5]
	v_accvgpr_read_b32 v7, a107
	v_mul_f64 v[4:5], v[66:67], v[8:9]
	v_fma_f64 v[4:5], v[64:65], v[6:7], -v[4:5]
	v_accvgpr_read_b32 v6, a110
	v_accvgpr_read_b32 v8, a112
	;; [unrolled: 1-line block ×3, first 2 shown]
	v_add_f64 v[0:1], v[0:1], v[4:5]
	v_accvgpr_read_b32 v7, a111
	v_mul_f64 v[4:5], v[118:119], v[8:9]
	v_fma_f64 v[4:5], v[116:117], v[6:7], -v[4:5]
	v_add_f64 v[0:1], v[0:1], v[4:5]
	v_mul_f64 v[4:5], v[122:123], v[236:237]
	v_fma_f64 v[4:5], v[120:121], v[234:235], -v[4:5]
	v_add_f64 v[0:1], v[0:1], v[4:5]
	;; [unrolled: 3-line block ×26, first 2 shown]
	s_waitcnt vmcnt(0)
	v_add_f64 v[4:5], v[228:229], -v[0:1]
	v_accvgpr_read_b32 v0, a100
	v_add_f64 v[6:7], v[230:231], -v[248:249]
	v_cmp_lt_u32_e32 vcc, 5, v0
	scratch_store_dwordx4 off, v[4:7], off offset:112
	s_and_saveexec_b64 s[0:1], vcc
	s_cbranch_execz .LBB49_303
; %bb.302:
	scratch_load_dwordx4 v[6:9], off, s64
	v_mov_b32_e32 v3, v2
	v_mov_b32_e32 v4, v2
	;; [unrolled: 1-line block ×3, first 2 shown]
	v_accvgpr_read_b32 v0, a101
	scratch_store_dwordx4 off, v[2:5], off offset:96
	s_waitcnt vmcnt(1)
	ds_write_b128 v0, v[6:9]
.LBB49_303:
	s_or_b64 exec, exec, s[0:1]
	s_waitcnt lgkmcnt(0)
	; wave barrier
	scratch_load_dwordx4 v[72:75], off, off offset:112
	scratch_load_dwordx4 v[76:79], off, off offset:128
	;; [unrolled: 1-line block ×17, first 2 shown]
	ds_read_b128 v[176:179], v2 offset:896
	ds_read_b128 v[192:195], v2 offset:912
	;; [unrolled: 1-line block ×3, first 2 shown]
	scratch_load_dwordx4 v[20:23], off, off offset:384
	ds_read_b128 v[236:239], v2 offset:944
	ds_read_b128 v[232:235], v2 offset:960
	;; [unrolled: 1-line block ×5, first 2 shown]
	scratch_load_dwordx4 v[168:171], off, off offset:400
	ds_read_b128 v[224:227], v2 offset:1024
	ds_read_b128 v[212:215], v2 offset:1040
	ds_read_b128 v[200:203], v2 offset:1056
	scratch_load_dwordx4 v[12:15], off, off offset:416
	ds_read_b128 v[216:219], v2 offset:1072
	ds_read_b128 v[204:207], v2 offset:1088
	;; [unrolled: 1-line block ×5, first 2 shown]
	scratch_load_dwordx4 v[28:31], off, off offset:432
	ds_read_b128 v[32:35], v2 offset:1152
	scratch_load_dwordx4 v[36:39], off, off offset:448
	scratch_load_dwordx4 v[40:43], off, off offset:464
	;; [unrolled: 1-line block ×9, first 2 shown]
	ds_read_b128 v[132:135], v2 offset:1168
	s_waitcnt lgkmcnt(2)
	v_accvgpr_write_b32 a109, v19
	v_accvgpr_write_b32 a108, v18
	;; [unrolled: 1-line block ×4, first 2 shown]
	ds_read_b128 v[172:175], v2 offset:1232
	s_waitcnt vmcnt(29)
	v_mul_f64 v[0:1], v[176:177], v[74:75]
	s_waitcnt vmcnt(28)
	v_mul_f64 v[136:137], v[192:193], v[78:79]
	v_fmac_f64_e32 v[0:1], v[178:179], v[72:73]
	s_waitcnt vmcnt(27)
	v_mul_f64 v[138:139], v[188:189], v[82:83]
	v_fmac_f64_e32 v[136:137], v[194:195], v[76:77]
	v_add_f64 v[0:1], v[0:1], 0
	s_waitcnt vmcnt(26)
	v_mul_f64 v[140:141], v[236:237], v[86:87]
	v_fmac_f64_e32 v[138:139], v[190:191], v[80:81]
	v_add_f64 v[0:1], v[0:1], v[136:137]
	;; [unrolled: 4-line block ×14, first 2 shown]
	v_fmac_f64_e32 v[164:165], v[18:19], v[4:5]
	v_add_f64 v[0:1], v[0:1], v[162:163]
	s_waitcnt vmcnt(13) lgkmcnt(2)
	v_mul_f64 v[140:141], v[32:33], v[26:27]
	scratch_load_dwordx4 v[136:139], off, off offset:592
	v_add_f64 v[0:1], v[0:1], v[164:165]
	v_fmac_f64_e32 v[140:141], v[34:35], v[24:25]
	v_add_f64 v[0:1], v[0:1], v[140:141]
	ds_read_b128 v[160:163], v2 offset:1184
	scratch_load_dwordx4 v[140:143], off, off offset:608
	ds_read_b128 v[164:167], v2 offset:1200
	s_waitcnt vmcnt(13)
	v_mov_b64_e32 v[16:17], v[168:169]
	v_mov_b64_e32 v[18:19], v[170:171]
	ds_read_b128 v[168:171], v2 offset:1216
	s_waitcnt lgkmcnt(4)
	v_mul_f64 v[144:145], v[132:133], v[22:23]
	v_fmac_f64_e32 v[144:145], v[134:135], v[20:21]
	s_waitcnt lgkmcnt(2)
	v_mul_f64 v[148:149], v[160:161], v[18:19]
	v_add_f64 v[0:1], v[0:1], v[144:145]
	v_fmac_f64_e32 v[148:149], v[162:163], v[16:17]
	s_waitcnt vmcnt(12) lgkmcnt(1)
	v_mul_f64 v[152:153], v[164:165], v[14:15]
	scratch_load_dwordx4 v[144:147], off, off offset:624
	v_add_f64 v[0:1], v[0:1], v[148:149]
	v_fmac_f64_e32 v[152:153], v[166:167], v[12:13]
	scratch_load_dwordx4 v[148:151], off, off offset:640
	v_add_f64 v[0:1], v[0:1], v[152:153]
	s_waitcnt vmcnt(13) lgkmcnt(0)
	v_mul_f64 v[152:153], v[168:169], v[30:31]
	v_fmac_f64_e32 v[152:153], v[170:171], v[28:29]
	v_add_f64 v[0:1], v[0:1], v[152:153]
	scratch_load_dwordx4 v[152:155], off, off offset:656
	s_waitcnt vmcnt(13)
	v_mul_f64 v[156:157], v[172:173], v[38:39]
	v_fmac_f64_e32 v[156:157], v[174:175], v[36:37]
	v_mul_f64 v[74:75], v[178:179], v[74:75]
	v_add_f64 v[0:1], v[0:1], v[156:157]
	scratch_load_dwordx4 v[156:159], off, off offset:672
	v_fma_f64 v[240:241], v[176:177], v[72:73], -v[74:75]
	v_mul_f64 v[72:73], v[194:195], v[78:79]
	ds_read_b128 v[180:183], v2 offset:1248
	ds_read_b128 v[176:179], v2 offset:1264
	v_fma_f64 v[242:243], v[192:193], v[76:77], -v[72:73]
	scratch_load_dwordx4 v[76:79], off, off offset:688
	scratch_load_dwordx4 v[72:75], off, off offset:704
	v_mul_f64 v[82:83], v[190:191], v[82:83]
	v_fma_f64 v[248:249], v[188:189], v[80:81], -v[82:83]
	v_mul_f64 v[80:81], v[238:239], v[86:87]
	v_fma_f64 v[236:237], v[236:237], v[84:85], -v[80:81]
	scratch_load_dwordx4 v[80:83], off, off offset:720
	ds_read_b128 v[188:191], v2 offset:1280
	v_mul_f64 v[84:85], v[234:235], v[90:91]
	s_waitcnt vmcnt(16) lgkmcnt(2)
	v_mul_f64 v[192:193], v[180:181], v[42:43]
	v_fma_f64 v[238:239], v[232:233], v[88:89], -v[84:85]
	scratch_load_dwordx4 v[84:87], off, off offset:736
	v_fmac_f64_e32 v[192:193], v[182:183], v[40:41]
	v_add_f64 v[0:1], v[0:1], v[192:193]
	s_waitcnt vmcnt(16) lgkmcnt(1)
	v_mul_f64 v[192:193], v[176:177], v[46:47]
	v_fmac_f64_e32 v[192:193], v[178:179], v[44:45]
	v_add_f64 v[0:1], v[0:1], v[192:193]
	ds_read_b128 v[192:195], v2 offset:1296
	s_waitcnt vmcnt(15) lgkmcnt(1)
	v_mul_f64 v[88:89], v[188:189], v[50:51]
	v_fmac_f64_e32 v[88:89], v[190:191], v[48:49]
	v_add_f64 v[0:1], v[0:1], v[88:89]
	v_mul_f64 v[88:89], v[230:231], v[94:95]
	v_fma_f64 v[250:251], v[228:229], v[92:93], -v[88:89]
	scratch_load_dwordx4 v[88:91], off, off offset:752
	scratch_load_dwordx4 v[232:235], off, off offset:800
	ds_read_b128 v[92:95], v2 offset:1312
	v_mul_f64 v[98:99], v[222:223], v[98:99]
	v_fma_f64 v[252:253], v[220:221], v[96:97], -v[98:99]
	ds_read_b128 v[96:99], v2 offset:1328
	v_mul_f64 v[102:103], v[210:211], v[102:103]
	s_waitcnt vmcnt(16) lgkmcnt(2)
	v_mul_f64 v[228:229], v[192:193], v[54:55]
	v_fma_f64 v[254:255], v[208:209], v[100:101], -v[102:103]
	ds_read_b128 v[100:103], v2 offset:1344
	ds_read_b128 v[208:211], v2 offset:1360
	v_fmac_f64_e32 v[228:229], v[194:195], v[52:53]
	s_waitcnt vmcnt(15) lgkmcnt(3)
	v_mul_f64 v[220:221], v[92:93], v[58:59]
	v_add_f64 v[0:1], v[0:1], v[228:229]
	v_fmac_f64_e32 v[220:221], v[94:95], v[56:57]
	v_mul_f64 v[106:107], v[226:227], v[106:107]
	v_add_f64 v[0:1], v[0:1], v[220:221]
	s_waitcnt vmcnt(14) lgkmcnt(2)
	v_mul_f64 v[220:221], v[96:97], v[62:63]
	v_fma_f64 v[244:245], v[224:225], v[104:105], -v[106:107]
	ds_read_b128 v[104:107], v2 offset:1376
	v_fmac_f64_e32 v[220:221], v[98:99], v[60:61]
	v_mul_f64 v[110:111], v[214:215], v[110:111]
	v_add_f64 v[0:1], v[0:1], v[220:221]
	s_waitcnt vmcnt(13) lgkmcnt(2)
	v_mul_f64 v[220:221], v[100:101], v[70:71]
	v_fma_f64 v[8:9], v[212:213], v[108:109], -v[110:111]
	ds_read_b128 v[108:111], v2 offset:1392
	v_fmac_f64_e32 v[220:221], v[102:103], v[68:69]
	v_accvgpr_write_b32 a105, v7
	v_add_f64 v[0:1], v[0:1], v[220:221]
	s_waitcnt vmcnt(12) lgkmcnt(2)
	v_mul_f64 v[220:221], v[208:209], v[66:67]
	v_accvgpr_write_b32 a104, v6
	v_accvgpr_write_b32 a103, v5
	;; [unrolled: 1-line block ×3, first 2 shown]
	v_fmac_f64_e32 v[220:221], v[210:211], v[64:65]
	s_waitcnt vmcnt(11) lgkmcnt(1)
	v_mul_f64 v[6:7], v[104:105], v[138:139]
	v_add_f64 v[0:1], v[0:1], v[220:221]
	v_fmac_f64_e32 v[6:7], v[106:107], v[136:137]
	v_add_f64 v[0:1], v[0:1], v[6:7]
	s_waitcnt vmcnt(10) lgkmcnt(0)
	v_mul_f64 v[6:7], v[108:109], v[142:143]
	v_fmac_f64_e32 v[6:7], v[110:111], v[140:141]
	ds_read_b128 v[212:215], v2 offset:1408
	v_add_f64 v[0:1], v[0:1], v[6:7]
	v_mul_f64 v[6:7], v[202:203], v[114:115]
	v_fma_f64 v[6:7], v[200:201], v[112:113], -v[6:7]
	ds_read_b128 v[112:115], v2 offset:1424
	v_mul_f64 v[118:119], v[218:219], v[118:119]
	v_fma_f64 v[4:5], v[216:217], v[116:117], -v[118:119]
	ds_read_b128 v[116:119], v2 offset:1440
	s_waitcnt vmcnt(9) lgkmcnt(2)
	v_mul_f64 v[200:201], v[212:213], v[146:147]
	v_fmac_f64_e32 v[200:201], v[214:215], v[144:145]
	s_waitcnt vmcnt(8) lgkmcnt(1)
	v_mul_f64 v[10:11], v[112:113], v[150:151]
	v_add_f64 v[0:1], v[0:1], v[200:201]
	v_fmac_f64_e32 v[10:11], v[114:115], v[148:149]
	v_add_f64 v[0:1], v[0:1], v[10:11]
	ds_read_b128 v[200:203], v2 offset:1456
	s_waitcnt vmcnt(7) lgkmcnt(1)
	v_mul_f64 v[10:11], v[116:117], v[154:155]
	v_fmac_f64_e32 v[10:11], v[118:119], v[152:153]
	v_add_f64 v[10:11], v[0:1], v[10:11]
	v_mul_f64 v[0:1], v[206:207], v[122:123]
	v_fma_f64 v[0:1], v[204:205], v[120:121], -v[0:1]
	ds_read_b128 v[120:123], v2 offset:1472
	v_mul_f64 v[126:127], v[198:199], v[126:127]
	v_fma_f64 v[124:125], v[196:197], v[124:125], -v[126:127]
	s_waitcnt vmcnt(6) lgkmcnt(1)
	v_mul_f64 v[204:205], v[200:201], v[158:159]
	v_accvgpr_write_b32 a110, v124
	v_fmac_f64_e32 v[204:205], v[202:203], v[156:157]
	v_accvgpr_write_b32 a111, v125
	ds_read_b128 v[124:127], v2 offset:1488
	s_waitcnt vmcnt(5) lgkmcnt(1)
	v_mul_f64 v[196:197], v[120:121], v[78:79]
	v_add_f64 v[10:11], v[10:11], v[204:205]
	v_fmac_f64_e32 v[196:197], v[122:123], v[76:77]
	v_add_f64 v[10:11], v[10:11], v[196:197]
	ds_read_b128 v[196:199], v2 offset:1504
	v_mul_f64 v[130:131], v[186:187], v[130:131]
	v_fma_f64 v[246:247], v[184:185], v[128:129], -v[130:131]
	ds_read_b128 v[128:131], v2 offset:1520
	s_waitcnt vmcnt(4) lgkmcnt(2)
	v_mul_f64 v[184:185], v[124:125], v[74:75]
	v_fmac_f64_e32 v[184:185], v[126:127], v[72:73]
	v_add_f64 v[10:11], v[10:11], v[184:185]
	s_waitcnt vmcnt(3) lgkmcnt(1)
	v_mul_f64 v[184:185], v[196:197], v[82:83]
	v_fmac_f64_e32 v[184:185], v[198:199], v[80:81]
	v_add_f64 v[10:11], v[10:11], v[184:185]
	;; [unrolled: 4-line block ×3, first 2 shown]
	ds_read_b128 v[184:187], v2 offset:1536
	ds_read_b128 v[216:219], v2 offset:1552
	;; [unrolled: 1-line block ×3, first 2 shown]
	s_waitcnt vmcnt(1) lgkmcnt(2)
	v_mul_f64 v[204:205], v[184:185], v[90:91]
	v_fmac_f64_e32 v[204:205], v[186:187], v[88:89]
	v_add_f64 v[10:11], v[10:11], v[204:205]
	scratch_load_dwordx4 v[204:207], off, off offset:768
	s_waitcnt vmcnt(0) lgkmcnt(1)
	v_mul_f64 v[220:221], v[216:217], v[206:207]
	v_fmac_f64_e32 v[220:221], v[218:219], v[204:205]
	v_add_f64 v[10:11], v[10:11], v[220:221]
	scratch_load_dwordx4 v[220:223], off, off offset:784
	s_waitcnt vmcnt(0) lgkmcnt(0)
	v_mul_f64 v[228:229], v[224:225], v[222:223]
	v_fmac_f64_e32 v[228:229], v[226:227], v[220:221]
	v_add_f64 v[10:11], v[10:11], v[228:229]
	ds_read_b128 v[228:231], v2 offset:1584
	s_waitcnt lgkmcnt(0)
	v_mul_f64 v[2:3], v[228:229], v[234:235]
	v_fmac_f64_e32 v[2:3], v[230:231], v[232:233]
	v_add_f64 v[2:3], v[10:11], v[2:3]
	v_add_f64 v[10:11], v[240:241], 0
	;; [unrolled: 1-line block ×6, first 2 shown]
	scratch_load_dwordx4 v[236:239], off, off offset:96
	v_add_f64 v[10:11], v[10:11], v[250:251]
	v_add_f64 v[10:11], v[10:11], v[252:253]
	;; [unrolled: 1-line block ×8, first 2 shown]
	v_accvgpr_read_b32 v0, a110
	v_accvgpr_read_b32 v6, a102
	;; [unrolled: 1-line block ×7, first 2 shown]
	v_add_f64 v[0:1], v[248:249], v[0:1]
	v_accvgpr_read_b32 v7, a103
	v_accvgpr_read_b32 v241, a107
	;; [unrolled: 1-line block ×3, first 2 shown]
	v_mul_f64 v[4:5], v[242:243], v[8:9]
	v_add_f64 v[0:1], v[0:1], v[246:247]
	v_fma_f64 v[4:5], v[240:241], v[6:7], -v[4:5]
	v_add_f64 v[0:1], v[0:1], v[4:5]
	v_mul_f64 v[4:5], v[34:35], v[26:27]
	v_fma_f64 v[4:5], v[32:33], v[24:25], -v[4:5]
	v_add_f64 v[0:1], v[0:1], v[4:5]
	v_mul_f64 v[4:5], v[134:135], v[22:23]
	;; [unrolled: 3-line block ×28, first 2 shown]
	v_fma_f64 v[4:5], v[228:229], v[232:233], -v[4:5]
	v_add_f64 v[0:1], v[0:1], v[4:5]
	s_waitcnt vmcnt(0)
	v_add_f64 v[4:5], v[236:237], -v[0:1]
	v_accvgpr_read_b32 v0, a100
	v_add_f64 v[6:7], v[238:239], -v[2:3]
	v_cmp_lt_u32_e32 vcc, 4, v0
	scratch_store_dwordx4 off, v[4:7], off offset:96
	s_and_saveexec_b64 s[0:1], vcc
	s_cbranch_execz .LBB49_305
; %bb.304:
	scratch_load_dwordx4 v[2:5], off, s31
	v_mov_b32_e32 v6, 0
	v_mov_b32_e32 v7, v6
	;; [unrolled: 1-line block ×4, first 2 shown]
	v_accvgpr_read_b32 v0, a101
	scratch_store_dwordx4 off, v[6:9], off offset:80
	s_waitcnt vmcnt(1)
	ds_write_b128 v0, v[2:5]
.LBB49_305:
	s_or_b64 exec, exec, s[0:1]
	s_waitcnt lgkmcnt(0)
	; wave barrier
	scratch_load_dwordx4 v[80:83], off, off offset:96
	scratch_load_dwordx4 v[84:87], off, off offset:112
	;; [unrolled: 1-line block ×29, first 2 shown]
	v_mov_b32_e32 v2, 0
	ds_read_b128 v[132:135], v2 offset:880
	ds_read_b128 v[136:139], v2 offset:896
	;; [unrolled: 1-line block ×22, first 2 shown]
	s_waitcnt vmcnt(28) lgkmcnt(14)
	v_mul_f64 v[0:1], v[132:133], v[82:83]
	s_waitcnt vmcnt(27)
	v_mul_f64 v[56:57], v[136:137], v[86:87]
	v_fmac_f64_e32 v[0:1], v[134:135], v[80:81]
	s_waitcnt vmcnt(26)
	v_mul_f64 v[58:59], v[140:141], v[90:91]
	v_fmac_f64_e32 v[56:57], v[138:139], v[84:85]
	v_add_f64 v[0:1], v[0:1], 0
	s_waitcnt vmcnt(25)
	v_mul_f64 v[60:61], v[148:149], v[94:95]
	v_fmac_f64_e32 v[58:59], v[142:143], v[88:89]
	v_add_f64 v[0:1], v[0:1], v[56:57]
	;; [unrolled: 4-line block ×6, first 2 shown]
	s_waitcnt vmcnt(20) lgkmcnt(13)
	v_mul_f64 v[70:71], v[204:205], v[154:155]
	v_fmac_f64_e32 v[68:69], v[198:199], v[144:145]
	v_add_f64 v[0:1], v[0:1], v[66:67]
	s_waitcnt vmcnt(19) lgkmcnt(12)
	v_mul_f64 v[72:73], v[208:209], v[158:159]
	v_fmac_f64_e32 v[70:71], v[206:207], v[152:153]
	v_add_f64 v[0:1], v[0:1], v[68:69]
	;; [unrolled: 4-line block ×8, first 2 shown]
	v_fmac_f64_e32 v[112:113], v[246:247], v[192:193]
	v_add_f64 v[0:1], v[0:1], v[110:111]
	s_waitcnt vmcnt(12) lgkmcnt(5)
	v_mul_f64 v[60:61], v[248:249], v[202:203]
	scratch_load_dwordx4 v[56:59], off, off offset:560
	ds_read_b128 v[108:111], v2 offset:1168
	v_add_f64 v[0:1], v[0:1], v[112:113]
	v_fmac_f64_e32 v[60:61], v[250:251], v[200:201]
	v_add_f64 v[0:1], v[0:1], v[60:61]
	s_waitcnt vmcnt(12) lgkmcnt(5)
	v_mul_f64 v[64:65], v[52:53], v[6:7]
	scratch_load_dwordx4 v[60:63], off, off offset:576
	v_accvgpr_write_b32 a105, v7
	v_fmac_f64_e32 v[64:65], v[54:55], v[4:5]
	v_accvgpr_write_b32 a104, v6
	v_accvgpr_write_b32 a103, v5
	;; [unrolled: 1-line block ×3, first 2 shown]
	ds_read_b128 v[112:115], v2 offset:1184
	s_waitcnt vmcnt(12)
	v_mov_b64_e32 v[4:5], v[8:9]
	v_mov_b64_e32 v[6:7], v[10:11]
	s_waitcnt lgkmcnt(1)
	v_mul_f64 v[68:69], v[108:109], v[6:7]
	v_fmac_f64_e32 v[68:69], v[110:111], v[4:5]
	s_waitcnt vmcnt(11)
	v_mov_b64_e32 v[4:5], v[12:13]
	v_add_f64 v[0:1], v[0:1], v[64:65]
	v_mov_b64_e32 v[6:7], v[14:15]
	scratch_load_dwordx4 v[64:67], off, off offset:592
	v_add_f64 v[0:1], v[0:1], v[68:69]
	s_waitcnt lgkmcnt(0)
	v_mul_f64 v[68:69], v[112:113], v[6:7]
	v_fmac_f64_e32 v[68:69], v[114:115], v[4:5]
	s_waitcnt vmcnt(11)
	v_mov_b64_e32 v[4:5], v[16:17]
	v_add_f64 v[0:1], v[0:1], v[68:69]
	scratch_load_dwordx4 v[68:71], off, off offset:608
	v_mov_b64_e32 v[6:7], v[18:19]
	v_mul_f64 v[76:77], v[116:117], v[6:7]
	scratch_load_dwordx4 v[72:75], off, off offset:624
	v_fmac_f64_e32 v[76:77], v[118:119], v[4:5]
	v_add_f64 v[0:1], v[0:1], v[76:77]
	s_waitcnt vmcnt(12)
	v_mul_f64 v[76:77], v[120:121], v[236:237]
	v_fmac_f64_e32 v[76:77], v[122:123], v[234:235]
	v_add_f64 v[0:1], v[0:1], v[76:77]
	scratch_load_dwordx4 v[76:79], off, off offset:640
	v_mul_f64 v[82:83], v[134:135], v[82:83]
	v_fma_f64 v[240:241], v[132:133], v[80:81], -v[82:83]
	scratch_load_dwordx4 v[80:83], off, off offset:656
	v_mul_f64 v[86:87], v[138:139], v[86:87]
	v_fma_f64 v[242:243], v[136:137], v[84:85], -v[86:87]
	scratch_load_dwordx4 v[84:87], off, off offset:672
	v_mul_f64 v[90:91], v[142:143], v[90:91]
	s_waitcnt vmcnt(14)
	v_mul_f64 v[132:133], v[124:125], v[26:27]
	v_fma_f64 v[252:253], v[140:141], v[88:89], -v[90:91]
	scratch_load_dwordx4 v[88:91], off, off offset:688
	v_fmac_f64_e32 v[132:133], v[126:127], v[24:25]
	s_waitcnt vmcnt(14)
	v_mul_f64 v[136:137], v[128:129], v[30:31]
	v_mul_f64 v[94:95], v[150:151], v[94:95]
	v_add_f64 v[0:1], v[0:1], v[132:133]
	v_fmac_f64_e32 v[136:137], v[130:131], v[28:29]
	v_fma_f64 v[254:255], v[148:149], v[92:93], -v[94:95]
	v_mul_f64 v[92:93], v[162:163], v[98:99]
	ds_read_b128 v[132:135], v2 offset:1264
	v_add_f64 v[0:1], v[0:1], v[136:137]
	ds_read_b128 v[136:139], v2 offset:1280
	v_fma_f64 v[232:233], v[160:161], v[96:97], -v[92:93]
	scratch_load_dwordx4 v[96:99], off, off offset:704
	scratch_load_dwordx4 v[92:95], off, off offset:720
	v_mul_f64 v[102:103], v[174:175], v[102:103]
	v_fma_f64 v[20:21], v[172:173], v[100:101], -v[102:103]
	scratch_load_dwordx4 v[100:103], off, off offset:736
	v_accvgpr_write_b32 a117, v19
	v_mul_f64 v[6:7], v[186:187], v[106:107]
	v_accvgpr_write_b32 a116, v18
	v_accvgpr_write_b32 a115, v17
	;; [unrolled: 1-line block ×3, first 2 shown]
	v_fma_f64 v[16:17], v[184:185], v[104:105], -v[6:7]
	scratch_load_dwordx4 v[104:107], off, off offset:752
	s_waitcnt vmcnt(17) lgkmcnt(1)
	v_mul_f64 v[140:141], v[132:133], v[34:35]
	v_fmac_f64_e32 v[140:141], v[134:135], v[32:33]
	v_add_f64 v[0:1], v[0:1], v[140:141]
	ds_read_b128 v[140:143], v2 offset:1296
	v_accvgpr_write_b32 a113, v15
	v_mul_f64 v[6:7], v[198:199], v[146:147]
	v_accvgpr_write_b32 a112, v14
	v_accvgpr_write_b32 a111, v13
	v_accvgpr_write_b32 a110, v12
	v_fma_f64 v[12:13], v[196:197], v[144:145], -v[6:7]
	ds_read_b128 v[144:147], v2 offset:1312
	s_waitcnt vmcnt(16) lgkmcnt(2)
	v_mul_f64 v[148:149], v[136:137], v[38:39]
	v_fmac_f64_e32 v[148:149], v[138:139], v[36:37]
	v_add_f64 v[0:1], v[0:1], v[148:149]
	s_waitcnt vmcnt(15) lgkmcnt(1)
	v_mul_f64 v[6:7], v[140:141], v[42:43]
	ds_read_b128 v[148:151], v2 offset:1328
	v_fmac_f64_e32 v[6:7], v[142:143], v[40:41]
	v_add_f64 v[0:1], v[0:1], v[6:7]
	s_waitcnt vmcnt(14) lgkmcnt(1)
	v_mul_f64 v[6:7], v[144:145], v[46:47]
	v_fmac_f64_e32 v[6:7], v[146:147], v[44:45]
	v_accvgpr_write_b32 a109, v11
	v_add_f64 v[0:1], v[0:1], v[6:7]
	v_mul_f64 v[6:7], v[206:207], v[154:155]
	v_accvgpr_write_b32 a108, v10
	v_accvgpr_write_b32 a107, v9
	;; [unrolled: 1-line block ×3, first 2 shown]
	v_fma_f64 v[10:11], v[204:205], v[152:153], -v[6:7]
	ds_read_b128 v[152:155], v2 offset:1344
	s_waitcnt vmcnt(13) lgkmcnt(1)
	v_mul_f64 v[6:7], v[148:149], v[50:51]
	v_fmac_f64_e32 v[6:7], v[150:151], v[48:49]
	v_add_f64 v[0:1], v[0:1], v[6:7]
	v_mul_f64 v[6:7], v[210:211], v[158:159]
	v_fma_f64 v[14:15], v[208:209], v[156:157], -v[6:7]
	ds_read_b128 v[156:159], v2 offset:1360
	ds_read_b128 v[160:163], v2 offset:1376
	s_waitcnt vmcnt(12) lgkmcnt(2)
	v_mul_f64 v[6:7], v[152:153], v[58:59]
	v_fmac_f64_e32 v[6:7], v[154:155], v[56:57]
	v_add_f64 v[0:1], v[0:1], v[6:7]
	s_waitcnt vmcnt(11) lgkmcnt(1)
	v_mul_f64 v[6:7], v[156:157], v[62:63]
	v_fmac_f64_e32 v[6:7], v[158:159], v[60:61]
	v_add_f64 v[0:1], v[0:1], v[6:7]
	v_mul_f64 v[6:7], v[214:215], v[166:167]
	v_fma_f64 v[8:9], v[212:213], v[164:165], -v[6:7]
	ds_read_b128 v[164:167], v2 offset:1392
	v_mul_f64 v[18:19], v[218:219], v[170:171]
	v_fma_f64 v[18:19], v[216:217], v[168:169], -v[18:19]
	ds_read_b128 v[168:171], v2 offset:1408
	s_waitcnt vmcnt(10) lgkmcnt(2)
	v_mul_f64 v[6:7], v[160:161], v[66:67]
	v_fmac_f64_e32 v[6:7], v[162:163], v[64:65]
	v_add_f64 v[0:1], v[0:1], v[6:7]
	s_waitcnt vmcnt(9) lgkmcnt(1)
	v_mul_f64 v[6:7], v[164:165], v[70:71]
	ds_read_b128 v[172:175], v2 offset:1424
	v_fmac_f64_e32 v[6:7], v[166:167], v[68:69]
	v_add_f64 v[0:1], v[0:1], v[6:7]
	s_waitcnt vmcnt(8) lgkmcnt(1)
	v_mul_f64 v[6:7], v[168:169], v[74:75]
	v_fmac_f64_e32 v[6:7], v[170:171], v[72:73]
	v_add_f64 v[0:1], v[0:1], v[6:7]
	v_mul_f64 v[6:7], v[222:223], v[178:179]
	v_fma_f64 v[4:5], v[220:221], v[176:177], -v[6:7]
	ds_read_b128 v[176:179], v2 offset:1440
	s_waitcnt vmcnt(7) lgkmcnt(1)
	v_mul_f64 v[6:7], v[172:173], v[78:79]
	v_fmac_f64_e32 v[6:7], v[174:175], v[76:77]
	v_add_f64 v[0:1], v[0:1], v[6:7]
	v_mul_f64 v[6:7], v[226:227], v[182:183]
	v_fma_f64 v[6:7], v[224:225], v[180:181], -v[6:7]
	ds_read_b128 v[180:183], v2 offset:1456
	ds_read_b128 v[184:187], v2 offset:1472
	s_waitcnt vmcnt(6) lgkmcnt(2)
	v_mul_f64 v[22:23], v[176:177], v[82:83]
	v_fmac_f64_e32 v[22:23], v[178:179], v[80:81]
	v_add_f64 v[0:1], v[0:1], v[22:23]
	s_waitcnt vmcnt(5) lgkmcnt(1)
	v_mul_f64 v[22:23], v[180:181], v[86:87]
	v_fmac_f64_e32 v[22:23], v[182:183], v[84:85]
	v_add_f64 v[22:23], v[0:1], v[22:23]
	v_mul_f64 v[0:1], v[230:231], v[190:191]
	v_fma_f64 v[0:1], v[228:229], v[188:189], -v[0:1]
	ds_read_b128 v[188:191], v2 offset:1488
	s_waitcnt vmcnt(4) lgkmcnt(1)
	v_mul_f64 v[196:197], v[184:185], v[90:91]
	v_fmac_f64_e32 v[196:197], v[186:187], v[88:89]
	v_mul_f64 v[194:195], v[246:247], v[194:195]
	v_fma_f64 v[238:239], v[244:245], v[192:193], -v[194:195]
	ds_read_b128 v[192:195], v2 offset:1504
	v_add_f64 v[22:23], v[22:23], v[196:197]
	s_waitcnt vmcnt(3) lgkmcnt(1)
	v_mul_f64 v[196:197], v[188:189], v[98:99]
	v_fmac_f64_e32 v[196:197], v[190:191], v[96:97]
	v_add_f64 v[22:23], v[22:23], v[196:197]
	ds_read_b128 v[196:199], v2 offset:1520
	v_mul_f64 v[202:203], v[250:251], v[202:203]
	v_fma_f64 v[244:245], v[248:249], v[200:201], -v[202:203]
	ds_read_b128 v[200:203], v2 offset:1536
	s_waitcnt vmcnt(2) lgkmcnt(2)
	v_mul_f64 v[204:205], v[192:193], v[94:95]
	v_fmac_f64_e32 v[204:205], v[194:195], v[92:93]
	v_add_f64 v[22:23], v[22:23], v[204:205]
	s_waitcnt vmcnt(1) lgkmcnt(1)
	v_mul_f64 v[204:205], v[196:197], v[102:103]
	v_fmac_f64_e32 v[204:205], v[198:199], v[100:101]
	v_add_f64 v[22:23], v[22:23], v[204:205]
	;; [unrolled: 4-line block ×3, first 2 shown]
	scratch_load_dwordx4 v[204:207], off, off offset:768
	ds_read_b128 v[208:211], v2 offset:1552
	ds_read_b128 v[216:219], v2 offset:1568
	;; [unrolled: 1-line block ×3, first 2 shown]
	s_waitcnt vmcnt(0) lgkmcnt(2)
	v_mul_f64 v[212:213], v[208:209], v[206:207]
	v_fmac_f64_e32 v[212:213], v[210:211], v[204:205]
	v_add_f64 v[22:23], v[22:23], v[212:213]
	scratch_load_dwordx4 v[212:215], off, off offset:784
	s_waitcnt vmcnt(0) lgkmcnt(1)
	v_mul_f64 v[220:221], v[216:217], v[214:215]
	v_fmac_f64_e32 v[220:221], v[218:219], v[212:213]
	v_add_f64 v[22:23], v[22:23], v[220:221]
	scratch_load_dwordx4 v[220:223], off, off offset:800
	;; [unrolled: 5-line block ×3, first 2 shown]
	v_add_f64 v[22:23], v[240:241], 0
	v_add_f64 v[22:23], v[22:23], v[242:243]
	v_add_f64 v[22:23], v[22:23], v[252:253]
	v_add_f64 v[22:23], v[22:23], v[254:255]
	v_add_f64 v[22:23], v[22:23], v[232:233]
	v_add_f64 v[20:21], v[22:23], v[20:21]
	v_add_f64 v[16:17], v[20:21], v[16:17]
	v_add_f64 v[12:13], v[16:17], v[12:13]
	v_add_f64 v[10:11], v[12:13], v[10:11]
	v_add_f64 v[10:11], v[10:11], v[14:15]
	v_add_f64 v[8:9], v[10:11], v[8:9]
	v_add_f64 v[8:9], v[8:9], v[18:19]
	v_add_f64 v[246:247], v[8:9], v[4:5]
	v_add_f64 v[4:5], v[246:247], v[6:7]
	v_accvgpr_read_b32 v6, a102
	v_accvgpr_read_b32 v8, a104
	;; [unrolled: 1-line block ×3, first 2 shown]
	v_add_f64 v[0:1], v[4:5], v[0:1]
	v_accvgpr_read_b32 v7, a103
	v_mul_f64 v[4:5], v[54:55], v[8:9]
	v_add_f64 v[0:1], v[0:1], v[238:239]
	v_fma_f64 v[4:5], v[52:53], v[6:7], -v[4:5]
	v_accvgpr_read_b32 v6, a106
	v_add_f64 v[0:1], v[0:1], v[244:245]
	v_accvgpr_read_b32 v8, a108
	v_accvgpr_read_b32 v9, a109
	v_add_f64 v[0:1], v[0:1], v[4:5]
	v_accvgpr_read_b32 v7, a107
	v_mul_f64 v[4:5], v[110:111], v[8:9]
	v_fma_f64 v[4:5], v[108:109], v[6:7], -v[4:5]
	v_accvgpr_read_b32 v6, a110
	v_accvgpr_read_b32 v8, a112
	;; [unrolled: 1-line block ×3, first 2 shown]
	v_add_f64 v[0:1], v[0:1], v[4:5]
	v_accvgpr_read_b32 v7, a111
	v_mul_f64 v[4:5], v[114:115], v[8:9]
	v_fma_f64 v[4:5], v[112:113], v[6:7], -v[4:5]
	v_accvgpr_read_b32 v6, a114
	v_accvgpr_read_b32 v8, a116
	;; [unrolled: 1-line block ×3, first 2 shown]
	v_add_f64 v[0:1], v[0:1], v[4:5]
	v_accvgpr_read_b32 v7, a115
	v_mul_f64 v[4:5], v[118:119], v[8:9]
	v_fma_f64 v[4:5], v[116:117], v[6:7], -v[4:5]
	v_add_f64 v[0:1], v[0:1], v[4:5]
	v_mul_f64 v[4:5], v[122:123], v[236:237]
	v_fma_f64 v[4:5], v[120:121], v[234:235], -v[4:5]
	v_add_f64 v[0:1], v[0:1], v[4:5]
	;; [unrolled: 3-line block ×25, first 2 shown]
	s_waitcnt vmcnt(0)
	v_add_f64 v[4:5], v[228:229], -v[0:1]
	v_accvgpr_read_b32 v0, a100
	v_add_f64 v[6:7], v[230:231], -v[248:249]
	v_cmp_lt_u32_e32 vcc, 3, v0
	scratch_store_dwordx4 off, v[4:7], off offset:80
	s_and_saveexec_b64 s[0:1], vcc
	s_cbranch_execz .LBB49_307
; %bb.306:
	scratch_load_dwordx4 v[6:9], off, s29
	v_mov_b32_e32 v3, v2
	v_mov_b32_e32 v4, v2
	;; [unrolled: 1-line block ×3, first 2 shown]
	v_accvgpr_read_b32 v0, a101
	scratch_store_dwordx4 off, v[2:5], off offset:64
	s_waitcnt vmcnt(1)
	ds_write_b128 v0, v[6:9]
.LBB49_307:
	s_or_b64 exec, exec, s[0:1]
	s_waitcnt lgkmcnt(0)
	; wave barrier
	scratch_load_dwordx4 v[80:83], off, off offset:80
	scratch_load_dwordx4 v[84:87], off, off offset:96
	;; [unrolled: 1-line block ×17, first 2 shown]
	ds_read_b128 v[136:139], v2 offset:864
	ds_read_b128 v[132:135], v2 offset:880
	scratch_load_dwordx4 v[4:7], off, off offset:352
	ds_read_b128 v[236:239], v2 offset:896
	ds_read_b128 v[228:231], v2 offset:912
	;; [unrolled: 1-line block ×5, first 2 shown]
	scratch_load_dwordx4 v[8:11], off, off offset:368
	ds_read_b128 v[232:235], v2 offset:976
	ds_read_b128 v[216:219], v2 offset:992
	;; [unrolled: 1-line block ×3, first 2 shown]
	scratch_load_dwordx4 v[12:15], off, off offset:384
	ds_read_b128 v[220:223], v2 offset:1024
	ds_read_b128 v[172:175], v2 offset:1040
	ds_read_b128 v[212:215], v2 offset:1056
	ds_read_b128 v[184:187], v2 offset:1072
	ds_read_b128 v[196:199], v2 offset:1088
	scratch_load_dwordx4 v[16:19], off, off offset:400
	ds_read_b128 v[208:211], v2 offset:1104
	ds_read_b128 v[204:207], v2 offset:1120
	;; [unrolled: 1-line block ×3, first 2 shown]
	scratch_load_dwordx4 v[24:27], off, off offset:416
	scratch_load_dwordx4 v[28:31], off, off offset:432
	;; [unrolled: 1-line block ×8, first 2 shown]
	ds_read_b128 v[116:119], v2 offset:1184
	ds_read_b128 v[120:123], v2 offset:1200
	;; [unrolled: 1-line block ×4, first 2 shown]
	s_waitcnt vmcnt(28) lgkmcnt(14)
	v_mul_f64 v[0:1], v[136:137], v[82:83]
	s_waitcnt vmcnt(27)
	v_mul_f64 v[56:57], v[132:133], v[86:87]
	v_fmac_f64_e32 v[0:1], v[138:139], v[80:81]
	s_waitcnt vmcnt(26)
	v_mul_f64 v[58:59], v[236:237], v[90:91]
	v_fmac_f64_e32 v[56:57], v[134:135], v[84:85]
	v_add_f64 v[0:1], v[0:1], 0
	s_waitcnt vmcnt(25)
	v_mul_f64 v[60:61], v[228:229], v[94:95]
	v_fmac_f64_e32 v[58:59], v[238:239], v[88:89]
	v_add_f64 v[0:1], v[0:1], v[56:57]
	;; [unrolled: 4-line block ×6, first 2 shown]
	s_waitcnt vmcnt(20) lgkmcnt(13)
	v_mul_f64 v[70:71], v[216:217], v[154:155]
	v_fmac_f64_e32 v[68:69], v[234:235], v[144:145]
	v_add_f64 v[0:1], v[0:1], v[66:67]
	s_waitcnt vmcnt(19) lgkmcnt(12)
	v_mul_f64 v[72:73], v[160:161], v[158:159]
	v_fmac_f64_e32 v[70:71], v[218:219], v[152:153]
	v_add_f64 v[0:1], v[0:1], v[68:69]
	s_waitcnt vmcnt(18) lgkmcnt(11)
	v_mul_f64 v[74:75], v[220:221], v[166:167]
	v_fmac_f64_e32 v[72:73], v[162:163], v[156:157]
	v_add_f64 v[0:1], v[0:1], v[70:71]
	s_waitcnt vmcnt(17) lgkmcnt(10)
	v_mul_f64 v[76:77], v[172:173], v[170:171]
	v_fmac_f64_e32 v[74:75], v[222:223], v[164:165]
	v_add_f64 v[0:1], v[0:1], v[72:73]
	s_waitcnt vmcnt(16) lgkmcnt(9)
	v_mul_f64 v[78:79], v[212:213], v[178:179]
	v_fmac_f64_e32 v[76:77], v[174:175], v[168:169]
	v_add_f64 v[0:1], v[0:1], v[74:75]
	s_waitcnt vmcnt(15) lgkmcnt(8)
	v_mul_f64 v[108:109], v[184:185], v[182:183]
	v_fmac_f64_e32 v[78:79], v[214:215], v[176:177]
	v_add_f64 v[0:1], v[0:1], v[76:77]
	s_waitcnt vmcnt(14) lgkmcnt(7)
	v_mul_f64 v[110:111], v[196:197], v[190:191]
	v_fmac_f64_e32 v[108:109], v[186:187], v[180:181]
	v_add_f64 v[0:1], v[0:1], v[78:79]
	v_fmac_f64_e32 v[110:111], v[198:199], v[188:189]
	v_add_f64 v[0:1], v[0:1], v[108:109]
	s_waitcnt vmcnt(13) lgkmcnt(6)
	v_mul_f64 v[112:113], v[208:209], v[194:195]
	v_add_f64 v[0:1], v[0:1], v[110:111]
	scratch_load_dwordx4 v[56:59], off, off offset:544
	scratch_load_dwordx4 v[60:63], off, off offset:560
	ds_read_b128 v[108:111], v2 offset:1152
	s_waitcnt vmcnt(14) lgkmcnt(6)
	v_mul_f64 v[114:115], v[204:205], v[202:203]
	v_fmac_f64_e32 v[112:113], v[210:211], v[192:193]
	v_add_f64 v[0:1], v[0:1], v[112:113]
	v_fmac_f64_e32 v[114:115], v[206:207], v[200:201]
	s_waitcnt vmcnt(13) lgkmcnt(5)
	v_mul_f64 v[64:65], v[20:21], v[6:7]
	v_accvgpr_write_b32 a105, v7
	v_add_f64 v[0:1], v[0:1], v[114:115]
	v_fmac_f64_e32 v[64:65], v[22:23], v[4:5]
	v_accvgpr_write_b32 a104, v6
	v_accvgpr_write_b32 a103, v5
	;; [unrolled: 1-line block ×3, first 2 shown]
	ds_read_b128 v[112:115], v2 offset:1168
	s_waitcnt vmcnt(12)
	v_mov_b64_e32 v[4:5], v[8:9]
	v_mov_b64_e32 v[6:7], v[10:11]
	s_waitcnt lgkmcnt(1)
	v_mul_f64 v[68:69], v[108:109], v[6:7]
	v_fmac_f64_e32 v[68:69], v[110:111], v[4:5]
	s_waitcnt vmcnt(11)
	v_mov_b64_e32 v[4:5], v[12:13]
	v_add_f64 v[0:1], v[0:1], v[64:65]
	v_mov_b64_e32 v[6:7], v[14:15]
	v_add_f64 v[0:1], v[0:1], v[68:69]
	s_waitcnt lgkmcnt(0)
	v_mul_f64 v[68:69], v[112:113], v[6:7]
	scratch_load_dwordx4 v[64:67], off, off offset:576
	v_fmac_f64_e32 v[68:69], v[114:115], v[4:5]
	v_add_f64 v[0:1], v[0:1], v[68:69]
	scratch_load_dwordx4 v[68:71], off, off offset:592
	scratch_load_dwordx4 v[72:75], off, off offset:608
	s_waitcnt vmcnt(13)
	v_mul_f64 v[76:77], v[116:117], v[18:19]
	v_fmac_f64_e32 v[76:77], v[118:119], v[16:17]
	v_add_f64 v[0:1], v[0:1], v[76:77]
	s_waitcnt vmcnt(12)
	v_mul_f64 v[76:77], v[120:121], v[26:27]
	v_fmac_f64_e32 v[76:77], v[122:123], v[24:25]
	v_add_f64 v[0:1], v[0:1], v[76:77]
	scratch_load_dwordx4 v[76:79], off, off offset:624
	v_mul_f64 v[82:83], v[138:139], v[82:83]
	v_fma_f64 v[240:241], v[136:137], v[80:81], -v[82:83]
	scratch_load_dwordx4 v[80:83], off, off offset:640
	v_mul_f64 v[86:87], v[134:135], v[86:87]
	v_fma_f64 v[242:243], v[132:133], v[84:85], -v[86:87]
	scratch_load_dwordx4 v[84:87], off, off offset:656
	s_waitcnt vmcnt(14)
	v_mul_f64 v[136:137], v[124:125], v[30:31]
	v_mul_f64 v[90:91], v[238:239], v[90:91]
	v_fmac_f64_e32 v[136:137], v[126:127], v[28:29]
	v_fma_f64 v[236:237], v[236:237], v[88:89], -v[90:91]
	scratch_load_dwordx4 v[88:91], off, off offset:672
	v_add_f64 v[0:1], v[0:1], v[136:137]
	s_waitcnt vmcnt(14)
	v_mul_f64 v[136:137], v[128:129], v[34:35]
	v_mul_f64 v[94:95], v[230:231], v[94:95]
	v_fmac_f64_e32 v[136:137], v[130:131], v[32:33]
	v_fma_f64 v[238:239], v[228:229], v[92:93], -v[94:95]
	v_mul_f64 v[92:93], v[226:227], v[98:99]
	ds_read_b128 v[132:135], v2 offset:1248
	v_add_f64 v[0:1], v[0:1], v[136:137]
	ds_read_b128 v[136:139], v2 offset:1264
	v_fma_f64 v[248:249], v[224:225], v[96:97], -v[92:93]
	scratch_load_dwordx4 v[96:99], off, off offset:688
	scratch_load_dwordx4 v[92:95], off, off offset:704
	v_mul_f64 v[102:103], v[150:151], v[102:103]
	v_fma_f64 v[250:251], v[148:149], v[100:101], -v[102:103]
	scratch_load_dwordx4 v[100:103], off, off offset:720
	v_mul_f64 v[106:107], v[142:143], v[106:107]
	v_fma_f64 v[252:253], v[140:141], v[104:105], -v[106:107]
	v_mul_f64 v[104:105], v[234:235], v[146:147]
	v_fma_f64 v[254:255], v[232:233], v[144:145], -v[104:105]
	scratch_load_dwordx4 v[104:107], off, off offset:736
	ds_read_b128 v[140:143], v2 offset:1280
	ds_read_b128 v[144:147], v2 offset:1296
	s_waitcnt vmcnt(17) lgkmcnt(3)
	v_mul_f64 v[228:229], v[132:133], v[38:39]
	v_fmac_f64_e32 v[228:229], v[134:135], v[36:37]
	s_waitcnt vmcnt(16) lgkmcnt(2)
	v_mul_f64 v[224:225], v[136:137], v[42:43]
	v_add_f64 v[0:1], v[0:1], v[228:229]
	v_fmac_f64_e32 v[224:225], v[138:139], v[40:41]
	s_waitcnt vmcnt(15) lgkmcnt(1)
	v_mul_f64 v[148:149], v[140:141], v[46:47]
	v_add_f64 v[0:1], v[0:1], v[224:225]
	v_fmac_f64_e32 v[148:149], v[142:143], v[44:45]
	v_add_f64 v[0:1], v[0:1], v[148:149]
	ds_read_b128 v[148:151], v2 offset:1312
	v_mul_f64 v[154:155], v[218:219], v[154:155]
	v_fma_f64 v[244:245], v[216:217], v[152:153], -v[154:155]
	ds_read_b128 v[152:155], v2 offset:1328
	v_accvgpr_write_b32 a113, v15
	v_mul_f64 v[158:159], v[162:163], v[158:159]
	v_accvgpr_write_b32 a112, v14
	v_accvgpr_write_b32 a111, v13
	;; [unrolled: 1-line block ×3, first 2 shown]
	v_fma_f64 v[12:13], v[160:161], v[156:157], -v[158:159]
	ds_read_b128 v[156:159], v2 offset:1344
	ds_read_b128 v[160:163], v2 offset:1360
	s_waitcnt vmcnt(14) lgkmcnt(4)
	v_mul_f64 v[224:225], v[144:145], v[50:51]
	v_fmac_f64_e32 v[224:225], v[146:147], v[48:49]
	s_waitcnt vmcnt(13) lgkmcnt(3)
	v_mul_f64 v[216:217], v[148:149], v[54:55]
	v_add_f64 v[0:1], v[0:1], v[224:225]
	v_fmac_f64_e32 v[216:217], v[150:151], v[52:53]
	s_waitcnt vmcnt(12) lgkmcnt(2)
	v_mul_f64 v[6:7], v[152:153], v[58:59]
	v_add_f64 v[0:1], v[0:1], v[216:217]
	v_fmac_f64_e32 v[6:7], v[154:155], v[56:57]
	v_add_f64 v[0:1], v[0:1], v[6:7]
	s_waitcnt vmcnt(11) lgkmcnt(1)
	v_mul_f64 v[6:7], v[156:157], v[62:63]
	v_fmac_f64_e32 v[6:7], v[158:159], v[60:61]
	v_accvgpr_write_b32 a109, v11
	v_add_f64 v[0:1], v[0:1], v[6:7]
	v_mul_f64 v[6:7], v[222:223], v[166:167]
	v_accvgpr_write_b32 a108, v10
	v_accvgpr_write_b32 a107, v9
	;; [unrolled: 1-line block ×3, first 2 shown]
	v_fma_f64 v[8:9], v[220:221], v[164:165], -v[6:7]
	ds_read_b128 v[164:167], v2 offset:1376
	v_mul_f64 v[170:171], v[174:175], v[170:171]
	v_fma_f64 v[6:7], v[172:173], v[168:169], -v[170:171]
	ds_read_b128 v[168:171], v2 offset:1392
	s_waitcnt vmcnt(10) lgkmcnt(2)
	v_mul_f64 v[216:217], v[160:161], v[66:67]
	v_fmac_f64_e32 v[216:217], v[162:163], v[64:65]
	s_waitcnt vmcnt(9) lgkmcnt(1)
	v_mul_f64 v[10:11], v[164:165], v[70:71]
	v_add_f64 v[0:1], v[0:1], v[216:217]
	v_fmac_f64_e32 v[10:11], v[166:167], v[68:69]
	v_add_f64 v[0:1], v[0:1], v[10:11]
	s_waitcnt vmcnt(8) lgkmcnt(0)
	v_mul_f64 v[10:11], v[168:169], v[74:75]
	v_fmac_f64_e32 v[10:11], v[170:171], v[72:73]
	ds_read_b128 v[172:175], v2 offset:1408
	v_add_f64 v[0:1], v[0:1], v[10:11]
	v_mul_f64 v[10:11], v[214:215], v[178:179]
	v_fma_f64 v[10:11], v[212:213], v[176:177], -v[10:11]
	ds_read_b128 v[176:179], v2 offset:1424
	v_mul_f64 v[182:183], v[186:187], v[182:183]
	v_fma_f64 v[4:5], v[184:185], v[180:181], -v[182:183]
	ds_read_b128 v[180:183], v2 offset:1440
	ds_read_b128 v[184:187], v2 offset:1456
	s_waitcnt vmcnt(7) lgkmcnt(3)
	v_mul_f64 v[212:213], v[172:173], v[78:79]
	v_fmac_f64_e32 v[212:213], v[174:175], v[76:77]
	s_waitcnt vmcnt(6) lgkmcnt(2)
	v_mul_f64 v[14:15], v[176:177], v[82:83]
	v_add_f64 v[0:1], v[0:1], v[212:213]
	v_fmac_f64_e32 v[14:15], v[178:179], v[80:81]
	v_add_f64 v[0:1], v[0:1], v[14:15]
	s_waitcnt vmcnt(5) lgkmcnt(1)
	v_mul_f64 v[14:15], v[180:181], v[86:87]
	v_fmac_f64_e32 v[14:15], v[182:183], v[84:85]
	v_add_f64 v[14:15], v[0:1], v[14:15]
	v_mul_f64 v[0:1], v[198:199], v[190:191]
	v_fma_f64 v[0:1], v[196:197], v[188:189], -v[0:1]
	ds_read_b128 v[188:191], v2 offset:1472
	v_mul_f64 v[194:195], v[210:211], v[194:195]
	s_waitcnt vmcnt(4) lgkmcnt(1)
	v_mul_f64 v[196:197], v[184:185], v[90:91]
	v_fma_f64 v[192:193], v[208:209], v[192:193], -v[194:195]
	v_fmac_f64_e32 v[196:197], v[186:187], v[88:89]
	v_accvgpr_write_b32 a114, v192
	v_accvgpr_write_b32 a115, v193
	ds_read_b128 v[192:195], v2 offset:1488
	v_add_f64 v[14:15], v[14:15], v[196:197]
	s_waitcnt vmcnt(3) lgkmcnt(1)
	v_mul_f64 v[196:197], v[188:189], v[98:99]
	v_fmac_f64_e32 v[196:197], v[190:191], v[96:97]
	v_add_f64 v[14:15], v[14:15], v[196:197]
	ds_read_b128 v[196:199], v2 offset:1504
	v_mul_f64 v[202:203], v[206:207], v[202:203]
	v_fma_f64 v[246:247], v[204:205], v[200:201], -v[202:203]
	ds_read_b128 v[200:203], v2 offset:1520
	s_waitcnt vmcnt(2) lgkmcnt(2)
	v_mul_f64 v[204:205], v[192:193], v[94:95]
	v_fmac_f64_e32 v[204:205], v[194:195], v[92:93]
	v_add_f64 v[14:15], v[14:15], v[204:205]
	s_waitcnt vmcnt(1) lgkmcnt(1)
	v_mul_f64 v[204:205], v[196:197], v[102:103]
	v_fmac_f64_e32 v[204:205], v[198:199], v[100:101]
	v_add_f64 v[14:15], v[14:15], v[204:205]
	;; [unrolled: 4-line block ×3, first 2 shown]
	scratch_load_dwordx4 v[204:207], off, off offset:752
	scratch_load_dwordx4 v[232:235], off, off offset:800
	ds_read_b128 v[208:211], v2 offset:1536
	ds_read_b128 v[216:219], v2 offset:1552
	;; [unrolled: 1-line block ×3, first 2 shown]
	s_waitcnt vmcnt(1) lgkmcnt(2)
	v_mul_f64 v[212:213], v[208:209], v[206:207]
	v_fmac_f64_e32 v[212:213], v[210:211], v[204:205]
	v_add_f64 v[14:15], v[14:15], v[212:213]
	scratch_load_dwordx4 v[212:215], off, off offset:768
	s_waitcnt vmcnt(0) lgkmcnt(1)
	v_mul_f64 v[220:221], v[216:217], v[214:215]
	v_fmac_f64_e32 v[220:221], v[218:219], v[212:213]
	v_add_f64 v[14:15], v[14:15], v[220:221]
	scratch_load_dwordx4 v[220:223], off, off offset:784
	s_waitcnt vmcnt(0) lgkmcnt(0)
	v_mul_f64 v[228:229], v[224:225], v[222:223]
	v_fmac_f64_e32 v[228:229], v[226:227], v[220:221]
	v_add_f64 v[14:15], v[14:15], v[228:229]
	ds_read_b128 v[228:231], v2 offset:1584
	s_waitcnt lgkmcnt(0)
	v_mul_f64 v[2:3], v[228:229], v[234:235]
	v_fmac_f64_e32 v[2:3], v[230:231], v[232:233]
	v_add_f64 v[2:3], v[14:15], v[2:3]
	v_add_f64 v[14:15], v[240:241], 0
	;; [unrolled: 1-line block ×5, first 2 shown]
	scratch_load_dwordx4 v[236:239], off, off offset:64
	v_add_f64 v[14:15], v[14:15], v[248:249]
	v_add_f64 v[14:15], v[14:15], v[250:251]
	;; [unrolled: 1-line block ×10, first 2 shown]
	v_accvgpr_read_b32 v6, a102
	v_add_f64 v[248:249], v[4:5], v[0:1]
	v_accvgpr_read_b32 v0, a114
	v_accvgpr_read_b32 v8, a104
	;; [unrolled: 1-line block ×5, first 2 shown]
	v_mul_f64 v[4:5], v[22:23], v[8:9]
	v_add_f64 v[0:1], v[248:249], v[0:1]
	v_fma_f64 v[4:5], v[20:21], v[6:7], -v[4:5]
	v_accvgpr_read_b32 v6, a106
	v_add_f64 v[0:1], v[0:1], v[246:247]
	v_accvgpr_read_b32 v8, a108
	v_accvgpr_read_b32 v9, a109
	v_add_f64 v[0:1], v[0:1], v[4:5]
	v_accvgpr_read_b32 v7, a107
	v_mul_f64 v[4:5], v[110:111], v[8:9]
	v_fma_f64 v[4:5], v[108:109], v[6:7], -v[4:5]
	v_accvgpr_read_b32 v6, a110
	v_accvgpr_read_b32 v8, a112
	;; [unrolled: 1-line block ×3, first 2 shown]
	v_add_f64 v[0:1], v[0:1], v[4:5]
	v_accvgpr_read_b32 v7, a111
	v_mul_f64 v[4:5], v[114:115], v[8:9]
	v_fma_f64 v[4:5], v[112:113], v[6:7], -v[4:5]
	v_add_f64 v[0:1], v[0:1], v[4:5]
	v_mul_f64 v[4:5], v[118:119], v[18:19]
	v_fma_f64 v[4:5], v[116:117], v[16:17], -v[4:5]
	v_add_f64 v[0:1], v[0:1], v[4:5]
	;; [unrolled: 3-line block ×27, first 2 shown]
	s_waitcnt vmcnt(0)
	v_add_f64 v[4:5], v[236:237], -v[0:1]
	v_accvgpr_read_b32 v0, a100
	v_add_f64 v[6:7], v[238:239], -v[2:3]
	v_cmp_lt_u32_e32 vcc, 2, v0
	scratch_store_dwordx4 off, v[4:7], off offset:64
	s_and_saveexec_b64 s[0:1], vcc
	s_cbranch_execz .LBB49_309
; %bb.308:
	scratch_load_dwordx4 v[2:5], off, s28
	v_mov_b32_e32 v6, 0
	v_mov_b32_e32 v7, v6
	v_mov_b32_e32 v8, v6
	v_mov_b32_e32 v9, v6
	v_accvgpr_read_b32 v0, a101
	scratch_store_dwordx4 off, v[6:9], off offset:48
	s_waitcnt vmcnt(1)
	ds_write_b128 v0, v[2:5]
.LBB49_309:
	s_or_b64 exec, exec, s[0:1]
	s_waitcnt lgkmcnt(0)
	; wave barrier
	scratch_load_dwordx4 v[68:71], off, off offset:64
	scratch_load_dwordx4 v[72:75], off, off offset:80
	;; [unrolled: 1-line block ×28, first 2 shown]
	v_mov_b32_e32 v2, 0
	ds_read_b128 v[124:127], v2 offset:848
	ds_read_b128 v[128:131], v2 offset:864
	ds_read_b128 v[132:135], v2 offset:880
	ds_read_b128 v[136:139], v2 offset:896
	ds_read_b128 v[140:143], v2 offset:912
	ds_read_b128 v[156:159], v2 offset:928
	ds_read_b128 v[168:171], v2 offset:944
	ds_read_b128 v[180:183], v2 offset:960
	ds_read_b128 v[192:195], v2 offset:976
	ds_read_b128 v[200:203], v2 offset:992
	ds_read_b128 v[204:207], v2 offset:1008
	ds_read_b128 v[208:211], v2 offset:1024
	ds_read_b128 v[212:215], v2 offset:1040
	ds_read_b128 v[216:219], v2 offset:1056
	ds_read_b128 v[220:223], v2 offset:1072
	ds_read_b128 v[224:227], v2 offset:1088
	ds_read_b128 v[228:231], v2 offset:1104
	ds_read_b128 v[244:247], v2 offset:1120
	ds_read_b128 v[248:251], v2 offset:1136
	ds_read_b128 v[104:107], v2 offset:1168
	ds_read_b128 v[108:111], v2 offset:1184
	ds_read_b128 v[116:119], v2 offset:1200
	ds_read_b128 v[120:123], v2 offset:1216
	s_waitcnt vmcnt(27) lgkmcnt(14)
	v_mul_f64 v[0:1], v[124:125], v[70:71]
	s_waitcnt vmcnt(26)
	v_mul_f64 v[40:41], v[128:129], v[74:75]
	v_fmac_f64_e32 v[0:1], v[126:127], v[68:69]
	s_waitcnt vmcnt(25)
	v_mul_f64 v[42:43], v[132:133], v[78:79]
	v_fmac_f64_e32 v[40:41], v[130:131], v[72:73]
	v_add_f64 v[0:1], v[0:1], 0
	s_waitcnt vmcnt(24)
	v_mul_f64 v[44:45], v[136:137], v[82:83]
	v_fmac_f64_e32 v[42:43], v[134:135], v[76:77]
	v_add_f64 v[0:1], v[0:1], v[40:41]
	s_waitcnt vmcnt(23)
	v_mul_f64 v[46:47], v[140:141], v[86:87]
	v_fmac_f64_e32 v[44:45], v[138:139], v[80:81]
	v_add_f64 v[0:1], v[0:1], v[42:43]
	s_waitcnt vmcnt(22)
	v_mul_f64 v[48:49], v[156:157], v[90:91]
	v_fmac_f64_e32 v[46:47], v[142:143], v[84:85]
	v_add_f64 v[0:1], v[0:1], v[44:45]
	s_waitcnt vmcnt(21)
	v_mul_f64 v[50:51], v[168:169], v[94:95]
	v_fmac_f64_e32 v[48:49], v[158:159], v[88:89]
	v_add_f64 v[0:1], v[0:1], v[46:47]
	s_waitcnt vmcnt(20)
	v_mul_f64 v[52:53], v[180:181], v[98:99]
	v_fmac_f64_e32 v[50:51], v[170:171], v[92:93]
	v_add_f64 v[0:1], v[0:1], v[48:49]
	s_waitcnt vmcnt(19)
	v_mul_f64 v[54:55], v[192:193], v[114:115]
	v_fmac_f64_e32 v[52:53], v[182:183], v[96:97]
	v_add_f64 v[0:1], v[0:1], v[50:51]
	s_waitcnt vmcnt(18) lgkmcnt(13)
	v_mul_f64 v[56:57], v[200:201], v[146:147]
	v_fmac_f64_e32 v[54:55], v[194:195], v[112:113]
	v_add_f64 v[0:1], v[0:1], v[52:53]
	s_waitcnt vmcnt(17) lgkmcnt(12)
	v_mul_f64 v[58:59], v[204:205], v[150:151]
	v_fmac_f64_e32 v[56:57], v[202:203], v[144:145]
	v_add_f64 v[0:1], v[0:1], v[54:55]
	;; [unrolled: 4-line block ×7, first 2 shown]
	scratch_load_dwordx4 v[40:43], off, off offset:512
	scratch_load_dwordx4 v[44:47], off, off offset:528
	s_waitcnt vmcnt(13) lgkmcnt(6)
	v_mul_f64 v[102:103], v[228:229], v[186:187]
	v_fmac_f64_e32 v[100:101], v[226:227], v[176:177]
	v_add_f64 v[0:1], v[0:1], v[66:67]
	v_add_f64 v[0:1], v[0:1], v[100:101]
	v_fmac_f64_e32 v[102:103], v[230:231], v[184:185]
	v_add_f64 v[0:1], v[0:1], v[102:103]
	ds_read_b128 v[100:103], v2 offset:1152
	s_waitcnt vmcnt(12) lgkmcnt(6)
	v_mul_f64 v[48:49], v[244:245], v[190:191]
	v_fmac_f64_e32 v[48:49], v[246:247], v[188:189]
	v_add_f64 v[0:1], v[0:1], v[48:49]
	s_waitcnt vmcnt(11) lgkmcnt(5)
	v_mul_f64 v[48:49], v[248:249], v[198:199]
	v_fmac_f64_e32 v[48:49], v[250:251], v[196:197]
	v_add_f64 v[0:1], v[0:1], v[48:49]
	scratch_load_dwordx4 v[48:51], off, off offset:544
	scratch_load_dwordx4 v[52:55], off, off offset:560
	s_waitcnt vmcnt(12) lgkmcnt(0)
	v_mul_f64 v[56:57], v[100:101], v[6:7]
	v_accvgpr_write_b32 a105, v7
	v_fmac_f64_e32 v[56:57], v[102:103], v[4:5]
	v_accvgpr_write_b32 a104, v6
	v_accvgpr_write_b32 a103, v5
	;; [unrolled: 1-line block ×3, first 2 shown]
	s_waitcnt vmcnt(11)
	v_mov_b64_e32 v[4:5], v[8:9]
	v_mov_b64_e32 v[6:7], v[10:11]
	v_add_f64 v[0:1], v[0:1], v[56:57]
	v_mul_f64 v[56:57], v[104:105], v[6:7]
	v_fmac_f64_e32 v[56:57], v[106:107], v[4:5]
	v_add_f64 v[0:1], v[0:1], v[56:57]
	scratch_load_dwordx4 v[56:59], off, off offset:576
	s_waitcnt vmcnt(11)
	v_mov_b64_e32 v[4:5], v[12:13]
	v_mov_b64_e32 v[6:7], v[14:15]
	v_mul_f64 v[60:61], v[108:109], v[6:7]
	v_fmac_f64_e32 v[60:61], v[110:111], v[4:5]
	s_waitcnt vmcnt(10)
	v_mov_b64_e32 v[4:5], v[16:17]
	v_mov_b64_e32 v[6:7], v[18:19]
	v_add_f64 v[0:1], v[0:1], v[60:61]
	scratch_load_dwordx4 v[60:63], off, off offset:592
	v_mul_f64 v[64:65], v[116:117], v[6:7]
	v_fmac_f64_e32 v[64:65], v[118:119], v[4:5]
	v_add_f64 v[0:1], v[0:1], v[64:65]
	scratch_load_dwordx4 v[64:67], off, off offset:608
	v_mul_f64 v[70:71], v[126:127], v[70:71]
	s_waitcnt vmcnt(11)
	v_mov_b64_e32 v[4:5], v[20:21]
	v_fma_f64 v[240:241], v[124:125], v[68:69], -v[70:71]
	v_mov_b64_e32 v[6:7], v[22:23]
	scratch_load_dwordx4 v[68:71], off, off offset:624
	v_mul_f64 v[124:125], v[120:121], v[6:7]
	v_mul_f64 v[74:75], v[130:131], v[74:75]
	v_fmac_f64_e32 v[124:125], v[122:123], v[4:5]
	v_fma_f64 v[242:243], v[128:129], v[72:73], -v[74:75]
	scratch_load_dwordx4 v[72:75], off, off offset:640
	v_mul_f64 v[78:79], v[134:135], v[78:79]
	v_add_f64 v[0:1], v[0:1], v[124:125]
	ds_read_b128 v[124:127], v2 offset:1232
	ds_read_b128 v[128:131], v2 offset:1248
	v_fma_f64 v[252:253], v[132:133], v[76:77], -v[78:79]
	v_mul_f64 v[76:77], v[138:139], v[82:83]
	v_fma_f64 v[254:255], v[136:137], v[80:81], -v[76:77]
	scratch_load_dwordx4 v[76:79], off, off offset:656
	s_waitcnt vmcnt(13) lgkmcnt(1)
	v_mul_f64 v[132:133], v[124:125], v[236:237]
	v_fmac_f64_e32 v[132:133], v[126:127], v[234:235]
	v_add_f64 v[0:1], v[0:1], v[132:133]
	s_waitcnt vmcnt(12) lgkmcnt(0)
	v_mul_f64 v[132:133], v[128:129], v[30:31]
	scratch_load_dwordx4 v[80:83], off, off offset:672
	v_fmac_f64_e32 v[132:133], v[130:131], v[28:29]
	v_mul_f64 v[86:87], v[142:143], v[86:87]
	v_add_f64 v[0:1], v[0:1], v[132:133]
	v_fma_f64 v[232:233], v[140:141], v[84:85], -v[86:87]
	ds_read_b128 v[132:135], v2 offset:1264
	v_mul_f64 v[84:85], v[158:159], v[90:91]
	v_fma_f64 v[24:25], v[156:157], v[88:89], -v[84:85]
	scratch_load_dwordx4 v[88:91], off, off offset:688
	scratch_load_dwordx4 v[84:87], off, off offset:704
	v_accvgpr_write_b32 a121, v23
	v_mul_f64 v[6:7], v[170:171], v[94:95]
	v_accvgpr_write_b32 a120, v22
	v_accvgpr_write_b32 a119, v21
	;; [unrolled: 1-line block ×3, first 2 shown]
	v_fma_f64 v[20:21], v[168:169], v[92:93], -v[6:7]
	s_waitcnt vmcnt(14) lgkmcnt(0)
	v_mul_f64 v[6:7], v[132:133], v[34:35]
	v_fmac_f64_e32 v[6:7], v[134:135], v[32:33]
	v_accvgpr_write_b32 a117, v19
	v_add_f64 v[0:1], v[0:1], v[6:7]
	v_mul_f64 v[6:7], v[182:183], v[98:99]
	v_accvgpr_write_b32 a116, v18
	v_accvgpr_write_b32 a115, v17
	;; [unrolled: 1-line block ×3, first 2 shown]
	ds_read_b128 v[136:139], v2 offset:1280
	v_fma_f64 v[16:17], v[180:181], v[96:97], -v[6:7]
	scratch_load_dwordx4 v[96:99], off, off offset:720
	scratch_load_dwordx4 v[92:95], off, off offset:736
	v_accvgpr_write_b32 a113, v15
	v_mul_f64 v[6:7], v[194:195], v[114:115]
	v_accvgpr_write_b32 a112, v14
	v_accvgpr_write_b32 a111, v13
	;; [unrolled: 1-line block ×3, first 2 shown]
	v_fma_f64 v[12:13], v[192:193], v[112:113], -v[6:7]
	scratch_load_dwordx4 v[112:115], off, off offset:752
	ds_read_b128 v[140:143], v2 offset:1296
	s_waitcnt vmcnt(16) lgkmcnt(1)
	v_mul_f64 v[6:7], v[136:137], v[38:39]
	v_fmac_f64_e32 v[6:7], v[138:139], v[36:37]
	v_add_f64 v[0:1], v[0:1], v[6:7]
	v_mul_f64 v[6:7], v[202:203], v[146:147]
	v_fma_f64 v[14:15], v[200:201], v[144:145], -v[6:7]
	ds_read_b128 v[144:147], v2 offset:1312
	s_waitcnt vmcnt(15) lgkmcnt(1)
	v_mul_f64 v[6:7], v[140:141], v[42:43]
	v_fmac_f64_e32 v[6:7], v[142:143], v[40:41]
	v_accvgpr_write_b32 a109, v11
	v_add_f64 v[0:1], v[0:1], v[6:7]
	v_mul_f64 v[6:7], v[206:207], v[150:151]
	v_accvgpr_write_b32 a108, v10
	v_accvgpr_write_b32 a107, v9
	;; [unrolled: 1-line block ×3, first 2 shown]
	v_fma_f64 v[10:11], v[204:205], v[148:149], -v[6:7]
	ds_read_b128 v[148:151], v2 offset:1328
	v_mul_f64 v[18:19], v[210:211], v[154:155]
	v_fma_f64 v[18:19], v[208:209], v[152:153], -v[18:19]
	ds_read_b128 v[152:155], v2 offset:1344
	s_waitcnt vmcnt(14) lgkmcnt(2)
	v_mul_f64 v[6:7], v[144:145], v[46:47]
	v_fmac_f64_e32 v[6:7], v[146:147], v[44:45]
	v_add_f64 v[0:1], v[0:1], v[6:7]
	s_waitcnt vmcnt(13) lgkmcnt(1)
	v_mul_f64 v[6:7], v[148:149], v[50:51]
	ds_read_b128 v[156:159], v2 offset:1360
	v_fmac_f64_e32 v[6:7], v[150:151], v[48:49]
	v_add_f64 v[0:1], v[0:1], v[6:7]
	s_waitcnt vmcnt(12) lgkmcnt(1)
	v_mul_f64 v[6:7], v[152:153], v[54:55]
	v_fmac_f64_e32 v[6:7], v[154:155], v[52:53]
	v_add_f64 v[0:1], v[0:1], v[6:7]
	v_mul_f64 v[6:7], v[214:215], v[162:163]
	v_fma_f64 v[8:9], v[212:213], v[160:161], -v[6:7]
	ds_read_b128 v[160:163], v2 offset:1376
	s_waitcnt vmcnt(11) lgkmcnt(1)
	v_mul_f64 v[6:7], v[156:157], v[58:59]
	v_fmac_f64_e32 v[6:7], v[158:159], v[56:57]
	v_add_f64 v[0:1], v[0:1], v[6:7]
	v_mul_f64 v[6:7], v[218:219], v[166:167]
	v_fma_f64 v[22:23], v[216:217], v[164:165], -v[6:7]
	ds_read_b128 v[164:167], v2 offset:1392
	ds_read_b128 v[168:171], v2 offset:1408
	s_waitcnt vmcnt(10) lgkmcnt(2)
	v_mul_f64 v[6:7], v[160:161], v[62:63]
	v_fmac_f64_e32 v[6:7], v[162:163], v[60:61]
	v_add_f64 v[0:1], v[0:1], v[6:7]
	s_waitcnt vmcnt(9) lgkmcnt(1)
	v_mul_f64 v[6:7], v[164:165], v[66:67]
	v_fmac_f64_e32 v[6:7], v[166:167], v[64:65]
	v_add_f64 v[0:1], v[0:1], v[6:7]
	v_mul_f64 v[6:7], v[222:223], v[174:175]
	v_fma_f64 v[4:5], v[220:221], v[172:173], -v[6:7]
	ds_read_b128 v[172:175], v2 offset:1424
	v_mul_f64 v[6:7], v[226:227], v[178:179]
	v_fma_f64 v[6:7], v[224:225], v[176:177], -v[6:7]
	ds_read_b128 v[176:179], v2 offset:1440
	s_waitcnt vmcnt(8) lgkmcnt(2)
	v_mul_f64 v[26:27], v[168:169], v[70:71]
	v_fmac_f64_e32 v[26:27], v[170:171], v[68:69]
	v_add_f64 v[0:1], v[0:1], v[26:27]
	s_waitcnt vmcnt(7) lgkmcnt(1)
	v_mul_f64 v[26:27], v[172:173], v[74:75]
	v_fmac_f64_e32 v[26:27], v[174:175], v[72:73]
	v_add_f64 v[0:1], v[0:1], v[26:27]
	s_waitcnt vmcnt(6) lgkmcnt(0)
	v_mul_f64 v[26:27], v[176:177], v[78:79]
	v_fmac_f64_e32 v[26:27], v[178:179], v[76:77]
	ds_read_b128 v[180:183], v2 offset:1456
	v_add_f64 v[26:27], v[0:1], v[26:27]
	v_mul_f64 v[0:1], v[230:231], v[186:187]
	v_fma_f64 v[0:1], v[228:229], v[184:185], -v[0:1]
	ds_read_b128 v[184:187], v2 offset:1472
	s_waitcnt vmcnt(5) lgkmcnt(1)
	v_mul_f64 v[192:193], v[180:181], v[82:83]
	v_fmac_f64_e32 v[192:193], v[182:183], v[80:81]
	v_mul_f64 v[190:191], v[246:247], v[190:191]
	v_add_f64 v[26:27], v[26:27], v[192:193]
	v_fma_f64 v[238:239], v[244:245], v[188:189], -v[190:191]
	ds_read_b128 v[188:191], v2 offset:1488
	s_waitcnt vmcnt(4) lgkmcnt(1)
	v_mul_f64 v[192:193], v[184:185], v[90:91]
	v_fmac_f64_e32 v[192:193], v[186:187], v[88:89]
	v_add_f64 v[26:27], v[26:27], v[192:193]
	ds_read_b128 v[192:195], v2 offset:1504
	v_mul_f64 v[198:199], v[250:251], v[198:199]
	v_fma_f64 v[244:245], v[248:249], v[196:197], -v[198:199]
	ds_read_b128 v[196:199], v2 offset:1520
	ds_read_b128 v[208:211], v2 offset:1552
	s_waitcnt vmcnt(3) lgkmcnt(3)
	v_mul_f64 v[200:201], v[188:189], v[86:87]
	v_fmac_f64_e32 v[200:201], v[190:191], v[84:85]
	v_add_f64 v[26:27], v[26:27], v[200:201]
	s_waitcnt vmcnt(2) lgkmcnt(2)
	v_mul_f64 v[200:201], v[192:193], v[98:99]
	v_fmac_f64_e32 v[200:201], v[194:195], v[96:97]
	v_add_f64 v[26:27], v[26:27], v[200:201]
	;; [unrolled: 4-line block ×3, first 2 shown]
	ds_read_b128 v[200:203], v2 offset:1536
	ds_read_b128 v[216:219], v2 offset:1568
	;; [unrolled: 1-line block ×3, first 2 shown]
	s_waitcnt vmcnt(0) lgkmcnt(2)
	v_mul_f64 v[204:205], v[200:201], v[114:115]
	v_fmac_f64_e32 v[204:205], v[202:203], v[112:113]
	v_add_f64 v[26:27], v[26:27], v[204:205]
	scratch_load_dwordx4 v[204:207], off, off offset:768
	s_waitcnt vmcnt(0)
	v_mul_f64 v[212:213], v[208:209], v[206:207]
	v_fmac_f64_e32 v[212:213], v[210:211], v[204:205]
	v_add_f64 v[26:27], v[26:27], v[212:213]
	scratch_load_dwordx4 v[212:215], off, off offset:784
	s_waitcnt vmcnt(0) lgkmcnt(1)
	v_mul_f64 v[220:221], v[216:217], v[214:215]
	v_fmac_f64_e32 v[220:221], v[218:219], v[212:213]
	v_add_f64 v[26:27], v[26:27], v[220:221]
	scratch_load_dwordx4 v[220:223], off, off offset:800
	s_waitcnt vmcnt(0) lgkmcnt(0)
	v_mul_f64 v[228:229], v[224:225], v[222:223]
	v_fmac_f64_e32 v[228:229], v[226:227], v[220:221]
	v_add_f64 v[248:249], v[26:27], v[228:229]
	scratch_load_dwordx4 v[228:231], off, off offset:48
	v_add_f64 v[26:27], v[240:241], 0
	v_add_f64 v[26:27], v[26:27], v[242:243]
	;; [unrolled: 1-line block ×16, first 2 shown]
	v_accvgpr_read_b32 v6, a102
	v_accvgpr_read_b32 v8, a104
	;; [unrolled: 1-line block ×3, first 2 shown]
	v_add_f64 v[0:1], v[4:5], v[0:1]
	v_accvgpr_read_b32 v7, a103
	v_mul_f64 v[4:5], v[102:103], v[8:9]
	v_add_f64 v[0:1], v[0:1], v[238:239]
	v_fma_f64 v[4:5], v[100:101], v[6:7], -v[4:5]
	v_accvgpr_read_b32 v6, a106
	v_add_f64 v[0:1], v[0:1], v[244:245]
	v_accvgpr_read_b32 v8, a108
	v_accvgpr_read_b32 v9, a109
	v_add_f64 v[0:1], v[0:1], v[4:5]
	v_accvgpr_read_b32 v7, a107
	v_mul_f64 v[4:5], v[106:107], v[8:9]
	v_fma_f64 v[4:5], v[104:105], v[6:7], -v[4:5]
	v_accvgpr_read_b32 v6, a110
	v_accvgpr_read_b32 v8, a112
	v_accvgpr_read_b32 v9, a113
	v_add_f64 v[0:1], v[0:1], v[4:5]
	v_accvgpr_read_b32 v7, a111
	v_mul_f64 v[4:5], v[110:111], v[8:9]
	v_fma_f64 v[4:5], v[108:109], v[6:7], -v[4:5]
	v_accvgpr_read_b32 v6, a114
	;; [unrolled: 7-line block ×3, first 2 shown]
	v_accvgpr_read_b32 v8, a120
	v_accvgpr_read_b32 v9, a121
	v_add_f64 v[0:1], v[0:1], v[4:5]
	v_accvgpr_read_b32 v7, a119
	v_mul_f64 v[4:5], v[122:123], v[8:9]
	v_fma_f64 v[4:5], v[120:121], v[6:7], -v[4:5]
	v_add_f64 v[0:1], v[0:1], v[4:5]
	v_mul_f64 v[4:5], v[126:127], v[236:237]
	v_fma_f64 v[4:5], v[124:125], v[234:235], -v[4:5]
	v_add_f64 v[0:1], v[0:1], v[4:5]
	;; [unrolled: 3-line block ×24, first 2 shown]
	s_waitcnt vmcnt(0)
	v_add_f64 v[4:5], v[228:229], -v[0:1]
	v_accvgpr_read_b32 v0, a100
	v_add_f64 v[6:7], v[230:231], -v[248:249]
	v_cmp_lt_u32_e32 vcc, 1, v0
	scratch_store_dwordx4 off, v[4:7], off offset:48
	s_and_saveexec_b64 s[0:1], vcc
	s_cbranch_execz .LBB49_311
; %bb.310:
	scratch_load_dwordx4 v[6:9], off, s30
	v_mov_b32_e32 v3, v2
	v_mov_b32_e32 v4, v2
	;; [unrolled: 1-line block ×3, first 2 shown]
	v_accvgpr_read_b32 v0, a101
	scratch_store_dwordx4 off, v[2:5], off offset:32
	s_waitcnt vmcnt(1)
	ds_write_b128 v0, v[6:9]
.LBB49_311:
	s_or_b64 exec, exec, s[0:1]
	s_waitcnt lgkmcnt(0)
	; wave barrier
	scratch_load_dwordx4 v[40:43], off, off offset:48
	scratch_load_dwordx4 v[44:47], off, off offset:64
	;; [unrolled: 1-line block ×18, first 2 shown]
	ds_read_b128 v[164:167], v2 offset:832
	ds_read_b128 v[232:235], v2 offset:848
	;; [unrolled: 1-line block ×6, first 2 shown]
	scratch_load_dwordx4 v[140:143], off, off offset:336
	ds_read_b128 v[224:227], v2 offset:928
	ds_read_b128 v[212:215], v2 offset:944
	;; [unrolled: 1-line block ×3, first 2 shown]
	scratch_load_dwordx4 v[4:7], off, off offset:352
	ds_read_b128 v[228:231], v2 offset:976
	ds_read_b128 v[216:219], v2 offset:992
	ds_read_b128 v[188:191], v2 offset:1008
	ds_read_b128 v[204:207], v2 offset:1024
	ds_read_b128 v[192:195], v2 offset:1040
	scratch_load_dwordx4 v[8:11], off, off offset:368
	ds_read_b128 v[208:211], v2 offset:1056
	ds_read_b128 v[196:199], v2 offset:1072
	;; [unrolled: 1-line block ×3, first 2 shown]
	scratch_load_dwordx4 v[12:15], off, off offset:384
	ds_read_b128 v[200:203], v2 offset:1104
	scratch_load_dwordx4 v[16:19], off, off offset:400
	scratch_load_dwordx4 v[20:23], off, off offset:416
	;; [unrolled: 1-line block ×7, first 2 shown]
	ds_read_b128 v[236:239], v2 offset:1120
	ds_read_b128 v[156:159], v2 offset:1184
	;; [unrolled: 1-line block ×4, first 2 shown]
	s_waitcnt vmcnt(28) lgkmcnt(14)
	v_mul_f64 v[0:1], v[164:165], v[42:43]
	s_waitcnt vmcnt(27)
	v_mul_f64 v[108:109], v[232:233], v[46:47]
	v_fmac_f64_e32 v[0:1], v[166:167], v[40:41]
	s_waitcnt vmcnt(26)
	v_mul_f64 v[110:111], v[168:169], v[50:51]
	v_fmac_f64_e32 v[108:109], v[234:235], v[44:45]
	v_add_f64 v[0:1], v[0:1], 0
	s_waitcnt vmcnt(25)
	v_mul_f64 v[116:117], v[220:221], v[54:55]
	v_fmac_f64_e32 v[110:111], v[170:171], v[48:49]
	v_add_f64 v[0:1], v[0:1], v[108:109]
	;; [unrolled: 4-line block ×6, first 2 shown]
	s_waitcnt vmcnt(20) lgkmcnt(13)
	v_mul_f64 v[126:127], v[180:181], v[78:79]
	v_fmac_f64_e32 v[124:125], v[214:215], v[68:69]
	v_add_f64 v[0:1], v[0:1], v[122:123]
	s_waitcnt vmcnt(19) lgkmcnt(12)
	v_mul_f64 v[128:129], v[228:229], v[82:83]
	v_fmac_f64_e32 v[126:127], v[182:183], v[76:77]
	v_add_f64 v[0:1], v[0:1], v[124:125]
	s_waitcnt vmcnt(18) lgkmcnt(11)
	v_mul_f64 v[130:131], v[216:217], v[86:87]
	v_fmac_f64_e32 v[128:129], v[230:231], v[80:81]
	v_add_f64 v[0:1], v[0:1], v[126:127]
	s_waitcnt vmcnt(17) lgkmcnt(10)
	v_mul_f64 v[132:133], v[188:189], v[90:91]
	v_fmac_f64_e32 v[130:131], v[218:219], v[84:85]
	v_add_f64 v[0:1], v[0:1], v[128:129]
	s_waitcnt vmcnt(16) lgkmcnt(9)
	v_mul_f64 v[134:135], v[204:205], v[94:95]
	v_fmac_f64_e32 v[132:133], v[190:191], v[88:89]
	v_add_f64 v[0:1], v[0:1], v[130:131]
	s_waitcnt vmcnt(15) lgkmcnt(8)
	v_mul_f64 v[144:145], v[192:193], v[98:99]
	v_fmac_f64_e32 v[134:135], v[206:207], v[92:93]
	v_add_f64 v[0:1], v[0:1], v[132:133]
	s_waitcnt vmcnt(14) lgkmcnt(7)
	v_mul_f64 v[146:147], v[208:209], v[102:103]
	v_fmac_f64_e32 v[144:145], v[194:195], v[96:97]
	v_add_f64 v[0:1], v[0:1], v[134:135]
	s_waitcnt vmcnt(13) lgkmcnt(6)
	v_mul_f64 v[148:149], v[196:197], v[106:107]
	v_fmac_f64_e32 v[146:147], v[210:211], v[100:101]
	v_add_f64 v[0:1], v[0:1], v[144:145]
	s_waitcnt vmcnt(12) lgkmcnt(5)
	v_mul_f64 v[150:151], v[184:185], v[114:115]
	v_fmac_f64_e32 v[148:149], v[198:199], v[104:105]
	v_add_f64 v[0:1], v[0:1], v[146:147]
	v_add_f64 v[0:1], v[0:1], v[148:149]
	v_fmac_f64_e32 v[150:151], v[186:187], v[112:113]
	s_waitcnt vmcnt(11) lgkmcnt(4)
	v_mul_f64 v[116:117], v[200:201], v[138:139]
	v_add_f64 v[0:1], v[0:1], v[150:151]
	v_fmac_f64_e32 v[116:117], v[202:203], v[136:137]
	v_add_f64 v[0:1], v[0:1], v[116:117]
	ds_read_b128 v[144:147], v2 offset:1136
	s_waitcnt vmcnt(10) lgkmcnt(4)
	v_mul_f64 v[116:117], v[236:237], v[142:143]
	scratch_load_dwordx4 v[108:111], off, off offset:512
	v_fmac_f64_e32 v[116:117], v[238:239], v[140:141]
	v_add_f64 v[0:1], v[0:1], v[116:117]
	scratch_load_dwordx4 v[116:119], off, off offset:528
	ds_read_b128 v[148:151], v2 offset:1152
	scratch_load_dwordx4 v[120:123], off, off offset:544
	s_waitcnt vmcnt(12) lgkmcnt(1)
	v_mul_f64 v[124:125], v[144:145], v[6:7]
	v_fmac_f64_e32 v[124:125], v[146:147], v[4:5]
	v_add_f64 v[0:1], v[0:1], v[124:125]
	s_waitcnt vmcnt(11) lgkmcnt(0)
	v_mul_f64 v[124:125], v[148:149], v[10:11]
	v_fmac_f64_e32 v[124:125], v[150:151], v[8:9]
	s_waitcnt vmcnt(10)
	v_mul_f64 v[128:129], v[152:153], v[14:15]
	v_add_f64 v[0:1], v[0:1], v[124:125]
	scratch_load_dwordx4 v[124:127], off, off offset:560
	v_fmac_f64_e32 v[128:129], v[154:155], v[12:13]
	v_add_f64 v[0:1], v[0:1], v[128:129]
	scratch_load_dwordx4 v[128:131], off, off offset:576
	s_waitcnt vmcnt(11)
	v_mul_f64 v[132:133], v[156:157], v[18:19]
	v_fmac_f64_e32 v[132:133], v[158:159], v[16:17]
	v_add_f64 v[0:1], v[0:1], v[132:133]
	scratch_load_dwordx4 v[132:135], off, off offset:592
	v_mul_f64 v[42:43], v[166:167], v[42:43]
	v_fma_f64 v[240:241], v[164:165], v[40:41], -v[42:43]
	scratch_load_dwordx4 v[40:43], off, off offset:608
	v_mul_f64 v[46:47], v[234:235], v[46:47]
	v_fma_f64 v[242:243], v[232:233], v[44:45], -v[46:47]
	;; [unrolled: 3-line block ×3, first 2 shown]
	v_mul_f64 v[48:49], v[222:223], v[54:55]
	v_fma_f64 v[250:251], v[220:221], v[52:53], -v[48:49]
	scratch_load_dwordx4 v[48:51], off, off offset:640
	scratch_load_dwordx4 v[52:55], off, off offset:656
	s_waitcnt vmcnt(15)
	v_mul_f64 v[164:165], v[160:161], v[22:23]
	v_fmac_f64_e32 v[164:165], v[162:163], v[20:21]
	v_add_f64 v[0:1], v[0:1], v[164:165]
	ds_read_b128 v[164:167], v2 offset:1216
	ds_read_b128 v[168:171], v2 offset:1232
	v_mul_f64 v[58:59], v[174:175], v[58:59]
	v_fma_f64 v[252:253], v[172:173], v[56:57], -v[58:59]
	ds_read_b128 v[172:175], v2 offset:1248
	v_mul_f64 v[56:57], v[178:179], v[62:63]
	v_fma_f64 v[254:255], v[176:177], v[60:61], -v[56:57]
	scratch_load_dwordx4 v[60:63], off, off offset:672
	scratch_load_dwordx4 v[56:59], off, off offset:688
	s_waitcnt vmcnt(16) lgkmcnt(2)
	v_mul_f64 v[232:233], v[164:165], v[34:35]
	v_fmac_f64_e32 v[232:233], v[166:167], v[32:33]
	s_waitcnt vmcnt(15) lgkmcnt(1)
	v_mul_f64 v[220:221], v[168:169], v[38:39]
	v_mul_f64 v[66:67], v[226:227], v[66:67]
	v_add_f64 v[0:1], v[0:1], v[232:233]
	v_fmac_f64_e32 v[220:221], v[170:171], v[36:37]
	v_fma_f64 v[244:245], v[224:225], v[64:65], -v[66:67]
	s_waitcnt vmcnt(14) lgkmcnt(0)
	v_mul_f64 v[64:65], v[172:173], v[30:31]
	v_add_f64 v[0:1], v[0:1], v[220:221]
	v_fmac_f64_e32 v[64:65], v[174:175], v[28:29]
	v_accvgpr_write_b32 a129, v23
	v_add_f64 v[0:1], v[0:1], v[64:65]
	v_mul_f64 v[64:65], v[214:215], v[70:71]
	v_accvgpr_write_b32 a128, v22
	v_accvgpr_write_b32 a127, v21
	;; [unrolled: 1-line block ×3, first 2 shown]
	ds_read_b128 v[176:179], v2 offset:1264
	v_fma_f64 v[20:21], v[212:213], v[68:69], -v[64:65]
	scratch_load_dwordx4 v[68:71], off, off offset:704
	scratch_load_dwordx4 v[64:67], off, off offset:720
	v_accvgpr_write_b32 a113, v7
	v_accvgpr_write_b32 a112, v6
	;; [unrolled: 1-line block ×5, first 2 shown]
	v_mul_f64 v[6:7], v[182:183], v[78:79]
	v_accvgpr_write_b32 a124, v18
	v_accvgpr_write_b32 a123, v17
	v_accvgpr_write_b32 a122, v16
	v_fma_f64 v[16:17], v[180:181], v[76:77], -v[6:7]
	s_waitcnt vmcnt(15) lgkmcnt(0)
	v_mul_f64 v[76:77], v[176:177], v[26:27]
	v_fmac_f64_e32 v[76:77], v[178:179], v[24:25]
	v_accvgpr_write_b32 a121, v15
	v_add_f64 v[0:1], v[0:1], v[76:77]
	v_mul_f64 v[76:77], v[230:231], v[82:83]
	v_accvgpr_write_b32 a120, v14
	v_accvgpr_write_b32 a119, v13
	;; [unrolled: 1-line block ×3, first 2 shown]
	v_fma_f64 v[12:13], v[228:229], v[80:81], -v[76:77]
	scratch_load_dwordx4 v[76:79], off, off offset:736
	scratch_load_dwordx4 v[232:235], off, off offset:800
	ds_read_b128 v[180:183], v2 offset:1280
	ds_read_b128 v[80:83], v2 offset:1296
	v_accvgpr_write_b32 a117, v11
	v_accvgpr_write_b32 a116, v10
	;; [unrolled: 1-line block ×4, first 2 shown]
	s_waitcnt vmcnt(16) lgkmcnt(1)
	v_mul_f64 v[10:11], v[180:181], v[74:75]
	v_fmac_f64_e32 v[10:11], v[182:183], v[72:73]
	v_add_f64 v[0:1], v[0:1], v[10:11]
	v_mul_f64 v[10:11], v[218:219], v[86:87]
	v_fma_f64 v[10:11], v[216:217], v[84:85], -v[10:11]
	ds_read_b128 v[84:87], v2 offset:1312
	v_mul_f64 v[90:91], v[190:191], v[90:91]
	v_fma_f64 v[8:9], v[188:189], v[88:89], -v[90:91]
	ds_read_b128 v[88:91], v2 offset:1328
	s_waitcnt vmcnt(15) lgkmcnt(2)
	v_mul_f64 v[212:213], v[80:81], v[110:111]
	v_fmac_f64_e32 v[212:213], v[82:83], v[108:109]
	s_waitcnt vmcnt(14) lgkmcnt(1)
	v_mul_f64 v[14:15], v[84:85], v[118:119]
	v_add_f64 v[0:1], v[0:1], v[212:213]
	v_fmac_f64_e32 v[14:15], v[86:87], v[116:117]
	v_add_f64 v[0:1], v[0:1], v[14:15]
	s_waitcnt vmcnt(13) lgkmcnt(0)
	v_mul_f64 v[14:15], v[88:89], v[122:123]
	v_fmac_f64_e32 v[14:15], v[90:91], v[120:121]
	ds_read_b128 v[188:191], v2 offset:1344
	v_add_f64 v[0:1], v[0:1], v[14:15]
	v_mul_f64 v[14:15], v[206:207], v[94:95]
	v_fma_f64 v[14:15], v[204:205], v[92:93], -v[14:15]
	ds_read_b128 v[92:95], v2 offset:1360
	v_mul_f64 v[98:99], v[194:195], v[98:99]
	v_fma_f64 v[6:7], v[192:193], v[96:97], -v[98:99]
	ds_read_b128 v[96:99], v2 offset:1376
	ds_read_b128 v[192:195], v2 offset:1392
	s_waitcnt vmcnt(12) lgkmcnt(3)
	v_mul_f64 v[204:205], v[188:189], v[126:127]
	v_fmac_f64_e32 v[204:205], v[190:191], v[124:125]
	s_waitcnt vmcnt(11) lgkmcnt(2)
	v_mul_f64 v[18:19], v[92:93], v[130:131]
	v_add_f64 v[0:1], v[0:1], v[204:205]
	v_fmac_f64_e32 v[18:19], v[94:95], v[128:129]
	v_add_f64 v[0:1], v[0:1], v[18:19]
	s_waitcnt vmcnt(10) lgkmcnt(1)
	v_mul_f64 v[18:19], v[96:97], v[134:135]
	v_fmac_f64_e32 v[18:19], v[98:99], v[132:133]
	v_add_f64 v[0:1], v[0:1], v[18:19]
	v_mul_f64 v[18:19], v[210:211], v[102:103]
	v_fma_f64 v[18:19], v[208:209], v[100:101], -v[18:19]
	ds_read_b128 v[100:103], v2 offset:1408
	v_mul_f64 v[106:107], v[198:199], v[106:107]
	v_fma_f64 v[4:5], v[196:197], v[104:105], -v[106:107]
	ds_read_b128 v[104:107], v2 offset:1424
	s_waitcnt vmcnt(9) lgkmcnt(2)
	v_mul_f64 v[204:205], v[192:193], v[42:43]
	v_fmac_f64_e32 v[204:205], v[194:195], v[40:41]
	s_waitcnt vmcnt(8) lgkmcnt(1)
	v_mul_f64 v[22:23], v[100:101], v[46:47]
	v_add_f64 v[0:1], v[0:1], v[204:205]
	v_fmac_f64_e32 v[22:23], v[102:103], v[44:45]
	v_add_f64 v[0:1], v[0:1], v[22:23]
	s_waitcnt vmcnt(7) lgkmcnt(0)
	v_mul_f64 v[22:23], v[104:105], v[50:51]
	ds_read_b128 v[196:199], v2 offset:1440
	v_fmac_f64_e32 v[22:23], v[106:107], v[48:49]
	v_add_f64 v[0:1], v[0:1], v[22:23]
	v_mul_f64 v[22:23], v[186:187], v[114:115]
	v_fma_f64 v[22:23], v[184:185], v[112:113], -v[22:23]
	ds_read_b128 v[112:115], v2 offset:1456
	s_waitcnt vmcnt(6) lgkmcnt(1)
	v_mul_f64 v[184:185], v[196:197], v[54:55]
	v_fmac_f64_e32 v[184:185], v[198:199], v[52:53]
	v_add_f64 v[184:185], v[0:1], v[184:185]
	v_mul_f64 v[0:1], v[202:203], v[138:139]
	v_fma_f64 v[0:1], v[200:201], v[136:137], -v[0:1]
	ds_read_b128 v[136:139], v2 offset:1472
	s_waitcnt vmcnt(5) lgkmcnt(1)
	v_mul_f64 v[186:187], v[112:113], v[62:63]
	v_fmac_f64_e32 v[186:187], v[114:115], v[60:61]
	v_add_f64 v[200:201], v[184:185], v[186:187]
	ds_read_b128 v[184:187], v2 offset:1488
	v_mul_f64 v[142:143], v[238:239], v[142:143]
	v_fma_f64 v[246:247], v[236:237], v[140:141], -v[142:143]
	ds_read_b128 v[140:143], v2 offset:1504
	ds_read_b128 v[208:211], v2 offset:1536
	s_waitcnt vmcnt(4) lgkmcnt(3)
	v_mul_f64 v[202:203], v[136:137], v[58:59]
	v_fmac_f64_e32 v[202:203], v[138:139], v[56:57]
	v_add_f64 v[200:201], v[200:201], v[202:203]
	s_waitcnt vmcnt(3) lgkmcnt(2)
	v_mul_f64 v[202:203], v[184:185], v[70:71]
	v_fmac_f64_e32 v[202:203], v[186:187], v[68:69]
	v_add_f64 v[200:201], v[200:201], v[202:203]
	;; [unrolled: 4-line block ×3, first 2 shown]
	ds_read_b128 v[200:203], v2 offset:1520
	ds_read_b128 v[216:219], v2 offset:1552
	;; [unrolled: 1-line block ×3, first 2 shown]
	s_waitcnt vmcnt(1) lgkmcnt(2)
	v_mul_f64 v[206:207], v[200:201], v[78:79]
	v_fmac_f64_e32 v[206:207], v[202:203], v[76:77]
	v_add_f64 v[212:213], v[204:205], v[206:207]
	scratch_load_dwordx4 v[204:207], off, off offset:752
	s_waitcnt vmcnt(0)
	v_mul_f64 v[214:215], v[208:209], v[206:207]
	v_fmac_f64_e32 v[214:215], v[210:211], v[204:205]
	v_add_f64 v[220:221], v[212:213], v[214:215]
	scratch_load_dwordx4 v[212:215], off, off offset:768
	s_waitcnt vmcnt(0) lgkmcnt(1)
	v_mul_f64 v[222:223], v[216:217], v[214:215]
	v_fmac_f64_e32 v[222:223], v[218:219], v[212:213]
	v_add_f64 v[228:229], v[220:221], v[222:223]
	scratch_load_dwordx4 v[220:223], off, off offset:784
	s_waitcnt vmcnt(0) lgkmcnt(0)
	v_mul_f64 v[230:231], v[224:225], v[222:223]
	v_fmac_f64_e32 v[230:231], v[226:227], v[220:221]
	v_add_f64 v[236:237], v[228:229], v[230:231]
	ds_read_b128 v[228:231], v2 offset:1584
	s_waitcnt lgkmcnt(0)
	v_mul_f64 v[2:3], v[228:229], v[234:235]
	v_fmac_f64_e32 v[2:3], v[230:231], v[232:233]
	v_add_f64 v[2:3], v[236:237], v[2:3]
	v_add_f64 v[236:237], v[240:241], 0
	;; [unrolled: 1-line block ×9, first 2 shown]
	scratch_load_dwordx4 v[236:239], off, off offset:32
	v_add_f64 v[16:17], v[20:21], v[16:17]
	v_add_f64 v[12:13], v[16:17], v[12:13]
	;; [unrolled: 1-line block ×8, first 2 shown]
	v_accvgpr_read_b32 v6, a110
	v_accvgpr_read_b32 v8, a112
	;; [unrolled: 1-line block ×3, first 2 shown]
	v_add_f64 v[248:249], v[4:5], v[22:23]
	v_accvgpr_read_b32 v7, a111
	v_mul_f64 v[4:5], v[146:147], v[8:9]
	v_add_f64 v[0:1], v[248:249], v[0:1]
	v_fma_f64 v[4:5], v[144:145], v[6:7], -v[4:5]
	v_accvgpr_read_b32 v6, a114
	v_add_f64 v[0:1], v[0:1], v[246:247]
	v_accvgpr_read_b32 v8, a116
	v_accvgpr_read_b32 v9, a117
	v_add_f64 v[0:1], v[0:1], v[4:5]
	v_accvgpr_read_b32 v7, a115
	v_mul_f64 v[4:5], v[150:151], v[8:9]
	v_fma_f64 v[4:5], v[148:149], v[6:7], -v[4:5]
	v_accvgpr_read_b32 v6, a118
	v_accvgpr_read_b32 v8, a120
	v_accvgpr_read_b32 v9, a121
	v_add_f64 v[0:1], v[0:1], v[4:5]
	v_accvgpr_read_b32 v7, a119
	v_mul_f64 v[4:5], v[154:155], v[8:9]
	v_fma_f64 v[4:5], v[152:153], v[6:7], -v[4:5]
	v_accvgpr_read_b32 v6, a122
	;; [unrolled: 7-line block ×3, first 2 shown]
	v_accvgpr_read_b32 v8, a128
	v_accvgpr_read_b32 v9, a129
	v_add_f64 v[0:1], v[0:1], v[4:5]
	v_accvgpr_read_b32 v7, a127
	v_mul_f64 v[4:5], v[162:163], v[8:9]
	v_fma_f64 v[4:5], v[160:161], v[6:7], -v[4:5]
	v_add_f64 v[0:1], v[0:1], v[4:5]
	v_mul_f64 v[4:5], v[166:167], v[34:35]
	v_fma_f64 v[4:5], v[164:165], v[32:33], -v[4:5]
	v_add_f64 v[0:1], v[0:1], v[4:5]
	;; [unrolled: 3-line block ×25, first 2 shown]
	s_waitcnt vmcnt(0)
	v_add_f64 v[4:5], v[236:237], -v[0:1]
	v_accvgpr_read_b32 v0, a100
	v_add_f64 v[6:7], v[238:239], -v[2:3]
	v_cmp_ne_u32_e32 vcc, 0, v0
	scratch_store_dwordx4 off, v[4:7], off offset:32
	s_and_saveexec_b64 s[0:1], vcc
	s_cbranch_execz .LBB49_313
; %bb.312:
	scratch_load_dwordx4 v[2:5], off, off offset:16
	v_mov_b32_e32 v6, 0
	v_mov_b32_e32 v7, v6
	;; [unrolled: 1-line block ×4, first 2 shown]
	v_accvgpr_read_b32 v0, a101
	scratch_store_dwordx4 off, v[6:9], off offset:16
	s_waitcnt vmcnt(1)
	ds_write_b128 v0, v[2:5]
.LBB49_313:
	s_or_b64 exec, exec, s[0:1]
	s_waitcnt lgkmcnt(0)
	; wave barrier
	scratch_load_dwordx4 v[60:63], off, off offset:32
	scratch_load_dwordx4 v[64:67], off, off offset:48
	;; [unrolled: 1-line block ×28, first 2 shown]
	v_mov_b32_e32 v20, 0
	ds_read_b128 v[120:123], v20 offset:816
	ds_read_b128 v[124:127], v20 offset:832
	;; [unrolled: 1-line block ×23, first 2 shown]
	s_and_b64 vcc, exec, s[18:19]
	s_waitcnt vmcnt(27) lgkmcnt(14)
	v_mul_f64 v[32:33], v[120:121], v[62:63]
	s_waitcnt vmcnt(26)
	v_mul_f64 v[34:35], v[124:125], v[66:67]
	v_fmac_f64_e32 v[32:33], v[122:123], v[60:61]
	s_waitcnt vmcnt(25)
	v_mul_f64 v[36:37], v[128:129], v[70:71]
	v_fmac_f64_e32 v[34:35], v[126:127], v[64:65]
	v_add_f64 v[32:33], v[32:33], 0
	s_waitcnt vmcnt(24)
	v_mul_f64 v[38:39], v[132:133], v[74:75]
	v_fmac_f64_e32 v[36:37], v[130:131], v[68:69]
	v_add_f64 v[32:33], v[32:33], v[34:35]
	;; [unrolled: 4-line block ×7, first 2 shown]
	s_waitcnt vmcnt(18) lgkmcnt(13)
	v_mul_f64 v[50:51], v[196:197], v[106:107]
	v_fmac_f64_e32 v[48:49], v[186:187], v[100:101]
	v_add_f64 v[32:33], v[32:33], v[46:47]
	s_waitcnt vmcnt(17) lgkmcnt(12)
	v_mul_f64 v[52:53], v[200:201], v[142:143]
	v_fmac_f64_e32 v[50:51], v[198:199], v[104:105]
	v_add_f64 v[32:33], v[32:33], v[48:49]
	s_waitcnt vmcnt(16) lgkmcnt(11)
	v_mul_f64 v[54:55], v[204:205], v[146:147]
	v_fmac_f64_e32 v[52:53], v[202:203], v[140:141]
	v_add_f64 v[32:33], v[32:33], v[50:51]
	s_waitcnt vmcnt(15) lgkmcnt(10)
	v_mul_f64 v[56:57], v[208:209], v[154:155]
	v_fmac_f64_e32 v[54:55], v[206:207], v[144:145]
	v_add_f64 v[32:33], v[32:33], v[52:53]
	s_waitcnt vmcnt(14) lgkmcnt(9)
	v_mul_f64 v[58:59], v[212:213], v[158:159]
	v_fmac_f64_e32 v[56:57], v[210:211], v[152:153]
	v_add_f64 v[32:33], v[32:33], v[54:55]
	s_waitcnt vmcnt(13) lgkmcnt(8)
	v_mul_f64 v[92:93], v[216:217], v[166:167]
	v_fmac_f64_e32 v[58:59], v[214:215], v[156:157]
	v_add_f64 v[32:33], v[32:33], v[56:57]
	s_waitcnt vmcnt(12) lgkmcnt(7)
	v_mul_f64 v[94:95], v[220:221], v[170:171]
	v_fmac_f64_e32 v[92:93], v[218:219], v[164:165]
	v_add_f64 v[32:33], v[32:33], v[58:59]
	v_fmac_f64_e32 v[94:95], v[222:223], v[168:169]
	v_add_f64 v[32:33], v[32:33], v[92:93]
	s_waitcnt vmcnt(11) lgkmcnt(6)
	v_mul_f64 v[96:97], v[224:225], v[178:179]
	v_add_f64 v[36:37], v[32:33], v[94:95]
	ds_read_b128 v[92:95], v20 offset:1136
	scratch_load_dwordx4 v[32:35], off, off offset:480
	v_fmac_f64_e32 v[96:97], v[226:227], v[176:177]
	s_waitcnt vmcnt(11) lgkmcnt(6)
	v_mul_f64 v[38:39], v[228:229], v[182:183]
	v_add_f64 v[36:37], v[36:37], v[96:97]
	v_fmac_f64_e32 v[38:39], v[230:231], v[180:181]
	s_waitcnt vmcnt(10) lgkmcnt(5)
	v_mul_f64 v[42:43], v[232:233], v[190:191]
	v_add_f64 v[40:41], v[36:37], v[38:39]
	v_fmac_f64_e32 v[42:43], v[234:235], v[188:189]
	scratch_load_dwordx4 v[36:39], off, off offset:496
	ds_read_b128 v[96:99], v20 offset:1152
	v_add_f64 v[44:45], v[40:41], v[42:43]
	scratch_load_dwordx4 v[40:43], off, off offset:512
	s_waitcnt vmcnt(11) lgkmcnt(5)
	v_mul_f64 v[46:47], v[244:245], v[194:195]
	s_waitcnt vmcnt(10) lgkmcnt(1)
	v_mul_f64 v[50:51], v[92:93], v[2:3]
	v_accvgpr_write_b32 a103, v3
	v_fmac_f64_e32 v[46:47], v[246:247], v[192:193]
	v_fmac_f64_e32 v[50:51], v[94:95], v[0:1]
	v_accvgpr_write_b32 a102, v2
	v_accvgpr_write_b32 a101, v1
	;; [unrolled: 1-line block ×3, first 2 shown]
	s_waitcnt vmcnt(9)
	v_mov_b64_e32 v[0:1], v[4:5]
	v_add_f64 v[48:49], v[44:45], v[46:47]
	v_mov_b64_e32 v[2:3], v[6:7]
	scratch_load_dwordx4 v[44:47], off, off offset:528
	v_add_f64 v[48:49], v[48:49], v[50:51]
	s_waitcnt lgkmcnt(0)
	v_mul_f64 v[50:51], v[96:97], v[2:3]
	v_fmac_f64_e32 v[50:51], v[98:99], v[0:1]
	v_add_f64 v[56:57], v[48:49], v[50:51]
	scratch_load_dwordx4 v[48:51], off, off offset:544
	scratch_load_dwordx4 v[52:55], off, off offset:560
	s_waitcnt vmcnt(11)
	v_mov_b64_e32 v[0:1], v[8:9]
	v_mov_b64_e32 v[2:3], v[10:11]
	v_mul_f64 v[58:59], v[108:109], v[2:3]
	v_fmac_f64_e32 v[58:59], v[110:111], v[0:1]
	s_waitcnt vmcnt(10)
	v_mov_b64_e32 v[0:1], v[12:13]
	v_mov_b64_e32 v[2:3], v[14:15]
	v_add_f64 v[56:57], v[56:57], v[58:59]
	v_mul_f64 v[58:59], v[112:113], v[2:3]
	v_fmac_f64_e32 v[58:59], v[114:115], v[0:1]
	v_mul_f64 v[62:63], v[122:123], v[62:63]
	v_add_f64 v[236:237], v[56:57], v[58:59]
	scratch_load_dwordx4 v[56:59], off, off offset:576
	v_fma_f64 v[240:241], v[120:121], v[60:61], -v[62:63]
	v_mul_f64 v[60:61], v[126:127], v[66:67]
	s_waitcnt vmcnt(10)
	v_mov_b64_e32 v[0:1], v[16:17]
	v_fma_f64 v[242:243], v[124:125], v[64:65], -v[60:61]
	scratch_load_dwordx4 v[60:63], off, off offset:592
	v_mov_b64_e32 v[2:3], v[18:19]
	ds_read_b128 v[120:123], v20 offset:1216
	v_mul_f64 v[64:65], v[116:117], v[2:3]
	v_fmac_f64_e32 v[64:65], v[118:119], v[0:1]
	v_add_f64 v[124:125], v[236:237], v[64:65]
	scratch_load_dwordx4 v[64:67], off, off offset:608
	v_mul_f64 v[70:71], v[130:131], v[70:71]
	v_fma_f64 v[250:251], v[128:129], v[68:69], -v[70:71]
	scratch_load_dwordx4 v[68:71], off, off offset:624
	s_waitcnt vmcnt(12)
	v_mov_b64_e32 v[0:1], v[252:253]
	v_accvgpr_write_b32 a120, v252
	v_mul_f64 v[74:75], v[134:135], v[74:75]
	v_mov_b64_e32 v[2:3], v[254:255]
	v_accvgpr_write_b32 a121, v253
	v_accvgpr_write_b32 a122, v254
	;; [unrolled: 1-line block ×3, first 2 shown]
	v_fma_f64 v[252:253], v[132:133], v[72:73], -v[74:75]
	scratch_load_dwordx4 v[72:75], off, off offset:640
	s_waitcnt lgkmcnt(0)
	v_mul_f64 v[126:127], v[120:121], v[2:3]
	v_mul_f64 v[78:79], v[138:139], v[78:79]
	v_accvgpr_write_b32 a115, v15
	v_fmac_f64_e32 v[126:127], v[122:123], v[0:1]
	v_fma_f64 v[254:255], v[136:137], v[76:77], -v[78:79]
	v_mul_f64 v[76:77], v[150:151], v[82:83]
	v_accvgpr_write_b32 a114, v14
	v_accvgpr_write_b32 a113, v13
	;; [unrolled: 1-line block ×3, first 2 shown]
	v_add_f64 v[236:237], v[124:125], v[126:127]
	ds_read_b128 v[124:127], v20 offset:1232
	ds_read_b128 v[128:131], v20 offset:1248
	v_fma_f64 v[12:13], v[148:149], v[80:81], -v[76:77]
	scratch_load_dwordx4 v[76:79], off, off offset:656
	scratch_load_dwordx4 v[80:83], off, off offset:672
	s_waitcnt vmcnt(14) lgkmcnt(1)
	v_mul_f64 v[132:133], v[124:125], v[26:27]
	v_fmac_f64_e32 v[132:133], v[126:127], v[24:25]
	v_mul_f64 v[86:87], v[162:163], v[86:87]
	v_add_f64 v[2:3], v[236:237], v[132:133]
	v_fma_f64 v[236:237], v[160:161], v[84:85], -v[86:87]
	scratch_load_dwordx4 v[84:87], off, off offset:688
	v_accvgpr_write_b32 a107, v7
	v_accvgpr_write_b32 a111, v11
	v_mul_f64 v[90:91], v[174:175], v[90:91]
	v_accvgpr_write_b32 a106, v6
	v_accvgpr_write_b32 a105, v5
	;; [unrolled: 1-line block ×6, first 2 shown]
	v_fma_f64 v[8:9], v[172:173], v[88:89], -v[90:91]
	scratch_load_dwordx4 v[88:91], off, off offset:704
	v_mul_f64 v[6:7], v[186:187], v[102:103]
	v_fma_f64 v[6:7], v[184:185], v[100:101], -v[6:7]
	v_mul_f64 v[100:101], v[198:199], v[106:107]
	v_fma_f64 v[4:5], v[196:197], v[104:105], -v[100:101]
	scratch_load_dwordx4 v[100:103], off, off offset:720
	scratch_load_dwordx4 v[104:107], off, off offset:736
	s_waitcnt vmcnt(17) lgkmcnt(0)
	v_mul_f64 v[132:133], v[128:129], v[30:31]
	v_fmac_f64_e32 v[132:133], v[130:131], v[28:29]
	v_add_f64 v[2:3], v[2:3], v[132:133]
	ds_read_b128 v[132:135], v20 offset:1264
	ds_read_b128 v[136:139], v20 offset:1280
	v_mul_f64 v[10:11], v[202:203], v[142:143]
	v_fma_f64 v[10:11], v[200:201], v[140:141], -v[10:11]
	ds_read_b128 v[140:143], v20 offset:1296
	s_waitcnt vmcnt(16) lgkmcnt(2)
	v_mul_f64 v[148:149], v[132:133], v[34:35]
	v_fmac_f64_e32 v[148:149], v[134:135], v[32:33]
	v_mul_f64 v[146:147], v[206:207], v[146:147]
	v_add_f64 v[2:3], v[2:3], v[148:149]
	s_waitcnt vmcnt(15) lgkmcnt(1)
	v_mul_f64 v[148:149], v[136:137], v[38:39]
	v_fma_f64 v[0:1], v[204:205], v[144:145], -v[146:147]
	ds_read_b128 v[144:147], v20 offset:1312
	v_fmac_f64_e32 v[148:149], v[138:139], v[36:37]
	s_waitcnt vmcnt(14) lgkmcnt(1)
	v_mul_f64 v[14:15], v[140:141], v[42:43]
	v_add_f64 v[2:3], v[2:3], v[148:149]
	v_fmac_f64_e32 v[14:15], v[142:143], v[40:41]
	ds_read_b128 v[148:151], v20 offset:1328
	v_add_f64 v[2:3], v[2:3], v[14:15]
	v_mul_f64 v[14:15], v[210:211], v[154:155]
	v_fma_f64 v[14:15], v[208:209], v[152:153], -v[14:15]
	ds_read_b128 v[152:155], v20 offset:1344
	s_waitcnt vmcnt(13) lgkmcnt(2)
	v_mul_f64 v[160:161], v[144:145], v[46:47]
	v_fmac_f64_e32 v[160:161], v[146:147], v[44:45]
	v_add_f64 v[2:3], v[2:3], v[160:161]
	s_waitcnt vmcnt(12) lgkmcnt(1)
	v_mul_f64 v[160:161], v[148:149], v[50:51]
	v_fmac_f64_e32 v[160:161], v[150:151], v[48:49]
	v_add_f64 v[2:3], v[2:3], v[160:161]
	v_mul_f64 v[158:159], v[214:215], v[158:159]
	s_waitcnt vmcnt(11) lgkmcnt(0)
	v_mul_f64 v[160:161], v[152:153], v[54:55]
	v_fma_f64 v[248:249], v[212:213], v[156:157], -v[158:159]
	ds_read_b128 v[156:159], v20 offset:1360
	v_fmac_f64_e32 v[160:161], v[154:155], v[52:53]
	v_add_f64 v[2:3], v[2:3], v[160:161]
	ds_read_b128 v[160:163], v20 offset:1376
	v_mul_f64 v[166:167], v[218:219], v[166:167]
	v_fma_f64 v[238:239], v[216:217], v[164:165], -v[166:167]
	ds_read_b128 v[164:167], v20 offset:1392
	v_accvgpr_write_b32 a119, v19
	s_waitcnt vmcnt(10) lgkmcnt(2)
	v_mul_f64 v[172:173], v[156:157], v[58:59]
	v_accvgpr_write_b32 a118, v18
	v_accvgpr_write_b32 a117, v17
	;; [unrolled: 1-line block ×3, first 2 shown]
	v_fmac_f64_e32 v[172:173], v[158:159], v[56:57]
	s_waitcnt vmcnt(9) lgkmcnt(1)
	v_mul_f64 v[18:19], v[160:161], v[62:63]
	v_add_f64 v[2:3], v[2:3], v[172:173]
	v_fmac_f64_e32 v[18:19], v[162:163], v[60:61]
	v_add_f64 v[2:3], v[2:3], v[18:19]
	v_mul_f64 v[18:19], v[222:223], v[170:171]
	v_fma_f64 v[18:19], v[220:221], v[168:169], -v[18:19]
	ds_read_b128 v[168:171], v20 offset:1408
	s_waitcnt vmcnt(8) lgkmcnt(1)
	v_mul_f64 v[172:173], v[164:165], v[66:67]
	v_fmac_f64_e32 v[172:173], v[166:167], v[64:65]
	v_add_f64 v[2:3], v[2:3], v[172:173]
	ds_read_b128 v[172:175], v20 offset:1424
	s_waitcnt vmcnt(7) lgkmcnt(1)
	v_mul_f64 v[22:23], v[168:169], v[70:71]
	v_mul_f64 v[178:179], v[226:227], v[178:179]
	v_fmac_f64_e32 v[22:23], v[170:171], v[68:69]
	v_fma_f64 v[16:17], v[224:225], v[176:177], -v[178:179]
	ds_read_b128 v[176:179], v20 offset:1440
	v_add_f64 v[2:3], v[2:3], v[22:23]
	s_waitcnt vmcnt(6) lgkmcnt(1)
	v_mul_f64 v[22:23], v[172:173], v[74:75]
	v_fmac_f64_e32 v[22:23], v[174:175], v[72:73]
	v_add_f64 v[2:3], v[2:3], v[22:23]
	v_mul_f64 v[22:23], v[230:231], v[182:183]
	v_fma_f64 v[22:23], v[228:229], v[180:181], -v[22:23]
	ds_read_b128 v[180:183], v20 offset:1456
	s_waitcnt vmcnt(5) lgkmcnt(1)
	v_mul_f64 v[184:185], v[176:177], v[78:79]
	v_fmac_f64_e32 v[184:185], v[178:179], v[76:77]
	v_add_f64 v[2:3], v[2:3], v[184:185]
	ds_read_b128 v[184:187], v20 offset:1472
	s_waitcnt vmcnt(4) lgkmcnt(1)
	v_mul_f64 v[196:197], v[180:181], v[82:83]
	v_fmac_f64_e32 v[196:197], v[182:183], v[80:81]
	v_add_f64 v[196:197], v[2:3], v[196:197]
	v_mul_f64 v[2:3], v[234:235], v[190:191]
	v_fma_f64 v[2:3], v[232:233], v[188:189], -v[2:3]
	ds_read_b128 v[188:191], v20 offset:1488
	v_mul_f64 v[194:195], v[246:247], v[194:195]
	s_waitcnt vmcnt(3) lgkmcnt(1)
	v_mul_f64 v[198:199], v[184:185], v[86:87]
	v_fma_f64 v[244:245], v[244:245], v[192:193], -v[194:195]
	ds_read_b128 v[192:195], v20 offset:1504
	v_fmac_f64_e32 v[198:199], v[186:187], v[84:85]
	v_add_f64 v[200:201], v[196:197], v[198:199]
	ds_read_b128 v[196:199], v20 offset:1520
	ds_read_b128 v[204:207], v20 offset:1536
	s_waitcnt vmcnt(2) lgkmcnt(3)
	v_mul_f64 v[202:203], v[188:189], v[90:91]
	v_fmac_f64_e32 v[202:203], v[190:191], v[88:89]
	v_add_f64 v[200:201], v[200:201], v[202:203]
	s_waitcnt vmcnt(1) lgkmcnt(2)
	v_mul_f64 v[202:203], v[192:193], v[102:103]
	v_fmac_f64_e32 v[202:203], v[194:195], v[100:101]
	v_add_f64 v[200:201], v[200:201], v[202:203]
	;; [unrolled: 4-line block ×3, first 2 shown]
	scratch_load_dwordx4 v[200:203], off, off offset:752
	ds_read_b128 v[212:215], v20 offset:1552
	ds_read_b128 v[220:223], v20 offset:1568
	;; [unrolled: 1-line block ×3, first 2 shown]
	s_waitcnt vmcnt(0) lgkmcnt(3)
	v_mul_f64 v[210:211], v[204:205], v[202:203]
	v_fmac_f64_e32 v[210:211], v[206:207], v[200:201]
	v_add_f64 v[216:217], v[208:209], v[210:211]
	scratch_load_dwordx4 v[208:211], off, off offset:768
	s_waitcnt vmcnt(0) lgkmcnt(2)
	v_mul_f64 v[218:219], v[212:213], v[210:211]
	v_fmac_f64_e32 v[218:219], v[214:215], v[208:209]
	v_add_f64 v[224:225], v[216:217], v[218:219]
	scratch_load_dwordx4 v[216:219], off, off offset:784
	;; [unrolled: 5-line block ×3, first 2 shown]
	s_waitcnt vmcnt(0) lgkmcnt(0)
	v_mul_f64 v[234:235], v[228:229], v[226:227]
	v_fmac_f64_e32 v[234:235], v[230:231], v[224:225]
	v_add_f64 v[232:233], v[232:233], v[234:235]
	v_accvgpr_write_b32 a124, v232
	v_accvgpr_write_b32 a125, v233
	v_add_f64 v[232:233], v[240:241], 0
	v_add_f64 v[232:233], v[232:233], v[242:243]
	;; [unrolled: 1-line block ×6, first 2 shown]
	scratch_load_dwordx4 v[232:235], off, off offset:16
	v_add_f64 v[12:13], v[12:13], v[236:237]
	v_add_f64 v[8:9], v[12:13], v[8:9]
	;; [unrolled: 1-line block ×11, first 2 shown]
	v_accvgpr_read_b32 v4, a100
	v_add_f64 v[246:247], v[0:1], v[22:23]
	v_accvgpr_read_b32 v6, a102
	v_accvgpr_read_b32 v7, a103
	v_add_f64 v[0:1], v[246:247], v[2:3]
	v_accvgpr_read_b32 v5, a101
	v_mul_f64 v[2:3], v[94:95], v[6:7]
	v_fma_f64 v[2:3], v[92:93], v[4:5], -v[2:3]
	v_accvgpr_read_b32 v4, a104
	v_add_f64 v[0:1], v[0:1], v[244:245]
	v_accvgpr_read_b32 v6, a106
	v_accvgpr_read_b32 v7, a107
	v_add_f64 v[0:1], v[0:1], v[2:3]
	v_accvgpr_read_b32 v5, a105
	v_mul_f64 v[2:3], v[98:99], v[6:7]
	v_fma_f64 v[2:3], v[96:97], v[4:5], -v[2:3]
	v_accvgpr_read_b32 v4, a108
	v_accvgpr_read_b32 v6, a110
	v_accvgpr_read_b32 v7, a111
	v_add_f64 v[0:1], v[0:1], v[2:3]
	v_accvgpr_read_b32 v5, a109
	v_mul_f64 v[2:3], v[110:111], v[6:7]
	v_fma_f64 v[2:3], v[108:109], v[4:5], -v[2:3]
	v_accvgpr_read_b32 v4, a112
	;; [unrolled: 7-line block ×4, first 2 shown]
	v_accvgpr_read_b32 v6, a122
	v_accvgpr_read_b32 v7, a123
	v_add_f64 v[0:1], v[0:1], v[2:3]
	v_accvgpr_read_b32 v5, a121
	v_mul_f64 v[2:3], v[122:123], v[6:7]
	v_fma_f64 v[2:3], v[120:121], v[4:5], -v[2:3]
	v_add_f64 v[0:1], v[0:1], v[2:3]
	v_mul_f64 v[2:3], v[126:127], v[26:27]
	v_fma_f64 v[2:3], v[124:125], v[24:25], -v[2:3]
	v_add_f64 v[0:1], v[0:1], v[2:3]
	;; [unrolled: 3-line block ×24, first 2 shown]
	v_accvgpr_read_b32 v2, a124
	v_accvgpr_read_b32 v3, a125
	s_waitcnt vmcnt(0)
	v_add_f64 v[0:1], v[232:233], -v[0:1]
	v_add_f64 v[2:3], v[234:235], -v[2:3]
	scratch_store_dwordx4 off, v[0:3], off offset:16
	s_cbranch_vccz .LBB49_412
; %bb.314:
	global_load_dword v0, v20, s[16:17] offset:192
	s_waitcnt vmcnt(0)
	v_readfirstlane_b32 s0, v0
	s_add_i32 s0, s0, -1
	s_cmp_lg_u32 s0, 48
	s_cbranch_scc0 .LBB49_316
; %bb.315:
	s_lshl_b32 s0, s0, 4
	s_add_i32 s0, s0, 16
	scratch_load_dwordx4 v[0:3], off, s0
	scratch_load_dwordx4 v[4:7], off, s27
	s_waitcnt vmcnt(1)
	scratch_store_dwordx4 off, v[0:3], s27
	s_waitcnt vmcnt(1)
	scratch_store_dwordx4 off, v[4:7], s0
.LBB49_316:
	v_mov_b32_e32 v0, 0
	global_load_dword v1, v0, s[16:17] offset:188
	s_waitcnt vmcnt(0)
	v_readfirstlane_b32 s0, v1
	s_add_i32 s0, s0, -1
	s_cmp_eq_u32 s0, 47
	s_cbranch_scc1 .LBB49_318
; %bb.317:
	s_lshl_b32 s0, s0, 4
	s_add_i32 s0, s0, 16
	scratch_load_dwordx4 v[2:5], off, s0
	scratch_load_dwordx4 v[6:9], off, s26
	s_waitcnt vmcnt(1)
	scratch_store_dwordx4 off, v[2:5], s26
	s_waitcnt vmcnt(1)
	scratch_store_dwordx4 off, v[6:9], s0
.LBB49_318:
	global_load_dword v0, v0, s[16:17] offset:184
	s_waitcnt vmcnt(0)
	v_readfirstlane_b32 s0, v0
	s_add_i32 s0, s0, -1
	s_cmp_eq_u32 s0, 46
	s_cbranch_scc1 .LBB49_320
; %bb.319:
	s_lshl_b32 s0, s0, 4
	s_add_i32 s0, s0, 16
	scratch_load_dwordx4 v[0:3], off, s0
	scratch_load_dwordx4 v[4:7], off, s25
	s_waitcnt vmcnt(1)
	scratch_store_dwordx4 off, v[0:3], s25
	s_waitcnt vmcnt(1)
	scratch_store_dwordx4 off, v[4:7], s0
.LBB49_320:
	v_mov_b32_e32 v0, 0
	global_load_dword v1, v0, s[16:17] offset:180
	s_waitcnt vmcnt(0)
	v_readfirstlane_b32 s0, v1
	s_add_i32 s0, s0, -1
	s_cmp_eq_u32 s0, 45
	s_cbranch_scc1 .LBB49_322
; %bb.321:
	s_lshl_b32 s0, s0, 4
	s_add_i32 s0, s0, 16
	scratch_load_dwordx4 v[2:5], off, s0
	scratch_load_dwordx4 v[6:9], off, s24
	s_waitcnt vmcnt(1)
	scratch_store_dwordx4 off, v[2:5], s24
	s_waitcnt vmcnt(1)
	scratch_store_dwordx4 off, v[6:9], s0
.LBB49_322:
	global_load_dword v0, v0, s[16:17] offset:176
	s_waitcnt vmcnt(0)
	v_readfirstlane_b32 s0, v0
	s_add_i32 s0, s0, -1
	s_cmp_eq_u32 s0, 44
	s_cbranch_scc1 .LBB49_324
; %bb.323:
	s_lshl_b32 s0, s0, 4
	s_add_i32 s0, s0, 16
	scratch_load_dwordx4 v[0:3], off, s0
	scratch_load_dwordx4 v[4:7], off, s23
	s_waitcnt vmcnt(1)
	scratch_store_dwordx4 off, v[0:3], s23
	s_waitcnt vmcnt(1)
	scratch_store_dwordx4 off, v[4:7], s0
.LBB49_324:
	;; [unrolled: 33-line block ×23, first 2 shown]
	v_mov_b32_e32 v0, 0
	global_load_dword v1, v0, s[16:17] offset:4
	s_waitcnt vmcnt(0)
	v_readfirstlane_b32 s0, v1
	s_add_i32 s0, s0, -1
	s_cmp_eq_u32 s0, 1
	s_cbranch_scc1 .LBB49_410
; %bb.409:
	s_lshl_b32 s0, s0, 4
	s_add_i32 s0, s0, 16
	scratch_load_dwordx4 v[2:5], off, s0
	scratch_load_dwordx4 v[6:9], off, s30
	s_waitcnt vmcnt(1)
	scratch_store_dwordx4 off, v[2:5], s30
	s_waitcnt vmcnt(1)
	scratch_store_dwordx4 off, v[6:9], s0
.LBB49_410:
	global_load_dword v0, v0, s[16:17]
	s_waitcnt vmcnt(0)
	v_readfirstlane_b32 s0, v0
	s_add_i32 s0, s0, -1
	s_cmp_eq_u32 s0, 0
	s_cbranch_scc1 .LBB49_412
; %bb.411:
	s_lshl_b32 s0, s0, 4
	s_add_i32 s0, s0, 16
	scratch_load_dwordx4 v[0:3], off, s0
	scratch_load_dwordx4 v[4:7], off, off offset:16
	s_waitcnt vmcnt(1)
	scratch_store_dwordx4 off, v[0:3], off offset:16
	s_waitcnt vmcnt(1)
	scratch_store_dwordx4 off, v[4:7], s0
.LBB49_412:
	scratch_load_dwordx4 v[0:3], off, off offset:16
	s_nop 0
	scratch_load_dwordx4 v[4:7], off, s30
	scratch_load_dwordx4 v[8:11], off, s28
	;; [unrolled: 1-line block ×6, first 2 shown]
                                        ; kill: killed $sgpr30
                                        ; kill: killed $sgpr65
                                        ; kill: killed $sgpr64
                                        ; kill: killed $sgpr31
                                        ; kill: killed $sgpr29
                                        ; kill: killed $sgpr28
	scratch_load_dwordx4 v[28:31], off, s33
	scratch_load_dwordx4 v[32:35], off, s34
	;; [unrolled: 1-line block ×31, first 2 shown]
	v_accvgpr_read_b32 v153, a1
	v_accvgpr_read_b32 v152, a0
	;; [unrolled: 1-line block ×10, first 2 shown]
	s_waitcnt vmcnt(37)
	global_store_dwordx4 v[152:153], v[0:3], off
	s_nop 1
	v_accvgpr_read_b32 v0, a2
	v_accvgpr_read_b32 v1, a3
	s_waitcnt vmcnt(37)
	global_store_dwordx4 v[0:1], v[4:7], off
	scratch_load_dwordx4 v[0:3], off, s12
	s_nop 0
	scratch_load_dwordx4 v[4:7], off, s13
	v_accvgpr_read_b32 v153, a5
	v_accvgpr_read_b32 v152, a4
	s_waitcnt vmcnt(39)
	global_store_dwordx4 v[152:153], v[8:11], off
	scratch_load_dwordx4 v[8:11], off, s14
	s_nop 0
	scratch_load_dwordx4 v[152:155], off, s15
	s_waitcnt vmcnt(41)
	global_store_dwordx4 v[156:157], v[12:15], off
	scratch_load_dwordx4 v[12:15], off, s20
	s_nop 0
	scratch_load_dwordx4 v[156:159], off, s22
	s_waitcnt vmcnt(43)
	global_store_dwordx4 v[160:161], v[16:19], off
	v_accvgpr_read_b32 v161, a13
	v_accvgpr_read_b32 v160, a12
	;; [unrolled: 1-line block ×4, first 2 shown]
	s_waitcnt vmcnt(43)
	global_store_dwordx4 v[16:17], v[20:23], off
	scratch_load_dwordx4 v[16:19], off, s21
	s_nop 0
	scratch_load_dwordx4 v[20:23], off, s23
	s_waitcnt vmcnt(45)
	global_store_dwordx4 v[160:161], v[24:27], off
	scratch_load_dwordx4 v[24:27], off, s24
	s_nop 0
	scratch_load_dwordx4 v[160:163], off, s25
	;; [unrolled: 5-line block ×3, first 2 shown]
	s_waitcnt vmcnt(49)
	global_store_dwordx4 v[168:169], v[32:35], off
	s_nop 1
	v_accvgpr_read_b32 v33, a19
	v_accvgpr_read_b32 v32, a18
	s_waitcnt vmcnt(49)
	global_store_dwordx4 v[32:33], v[36:39], off
	v_accvgpr_read_b32 v33, a21
	v_accvgpr_read_b32 v32, a20
	s_waitcnt vmcnt(49)
	global_store_dwordx4 v[32:33], v[40:43], off
	;; [unrolled: 4-line block ×29, first 2 shown]
	s_nop 1
	v_accvgpr_read_b32 v0, a76
	v_accvgpr_read_b32 v1, a77
	s_waitcnt vmcnt(46)
	global_store_dwordx4 v[0:1], v[4:7], off
	v_accvgpr_read_b32 v0, a78
	v_accvgpr_read_b32 v1, a79
	s_waitcnt vmcnt(45)
	global_store_dwordx4 v[0:1], v[8:11], off
	v_accvgpr_read_b32 v0, a80
	v_accvgpr_read_b32 v1, a81
	s_waitcnt vmcnt(45)
	global_store_dwordx4 v[0:1], v[152:155], off
	v_accvgpr_read_b32 v0, a82
	v_accvgpr_read_b32 v1, a83
	s_waitcnt vmcnt(44)
	global_store_dwordx4 v[0:1], v[12:15], off
	v_accvgpr_read_b32 v0, a84
	v_accvgpr_read_b32 v1, a85
	s_waitcnt vmcnt(44)
	global_store_dwordx4 v[0:1], v[156:159], off
	v_accvgpr_read_b32 v0, a86
	v_accvgpr_read_b32 v1, a87
	s_waitcnt vmcnt(42)
	global_store_dwordx4 v[0:1], v[16:19], off
	v_accvgpr_read_b32 v0, a88
	v_accvgpr_read_b32 v1, a89
	s_waitcnt vmcnt(42)
	global_store_dwordx4 v[0:1], v[20:23], off
	v_accvgpr_read_b32 v0, a90
	v_accvgpr_read_b32 v1, a91
	s_waitcnt vmcnt(41)
	global_store_dwordx4 v[0:1], v[24:27], off
	v_accvgpr_read_b32 v0, a92
	v_accvgpr_read_b32 v1, a93
	s_waitcnt vmcnt(41)
	global_store_dwordx4 v[0:1], v[160:163], off
	v_accvgpr_read_b32 v0, a94
	v_accvgpr_read_b32 v1, a95
	s_waitcnt vmcnt(40)
	global_store_dwordx4 v[0:1], v[28:31], off
	v_accvgpr_read_b32 v0, a96
	v_accvgpr_read_b32 v1, a97
	s_waitcnt vmcnt(40)
	global_store_dwordx4 v[0:1], v[164:167], off
	v_accvgpr_read_b32 v0, a98
	v_accvgpr_read_b32 v1, a99
	global_store_dwordx4 v[0:1], v[148:151], off
	s_endpgm
	.section	.rodata,"a",@progbits
	.p2align	6, 0x0
	.amdhsa_kernel _ZN9rocsolver6v33100L18getri_kernel_smallILi50E19rocblas_complex_numIdEPS3_EEvT1_iilPiilS6_bb
		.amdhsa_group_segment_fixed_size 1608
		.amdhsa_private_segment_fixed_size 832
		.amdhsa_kernarg_size 60
		.amdhsa_user_sgpr_count 2
		.amdhsa_user_sgpr_dispatch_ptr 0
		.amdhsa_user_sgpr_queue_ptr 0
		.amdhsa_user_sgpr_kernarg_segment_ptr 1
		.amdhsa_user_sgpr_dispatch_id 0
		.amdhsa_user_sgpr_kernarg_preload_length 0
		.amdhsa_user_sgpr_kernarg_preload_offset 0
		.amdhsa_user_sgpr_private_segment_size 0
		.amdhsa_uses_dynamic_stack 0
		.amdhsa_enable_private_segment 1
		.amdhsa_system_sgpr_workgroup_id_x 1
		.amdhsa_system_sgpr_workgroup_id_y 0
		.amdhsa_system_sgpr_workgroup_id_z 0
		.amdhsa_system_sgpr_workgroup_info 0
		.amdhsa_system_vgpr_workitem_id 0
		.amdhsa_next_free_vgpr 386
		.amdhsa_next_free_sgpr 66
		.amdhsa_accum_offset 256
		.amdhsa_reserve_vcc 1
		.amdhsa_float_round_mode_32 0
		.amdhsa_float_round_mode_16_64 0
		.amdhsa_float_denorm_mode_32 3
		.amdhsa_float_denorm_mode_16_64 3
		.amdhsa_dx10_clamp 1
		.amdhsa_ieee_mode 1
		.amdhsa_fp16_overflow 0
		.amdhsa_tg_split 0
		.amdhsa_exception_fp_ieee_invalid_op 0
		.amdhsa_exception_fp_denorm_src 0
		.amdhsa_exception_fp_ieee_div_zero 0
		.amdhsa_exception_fp_ieee_overflow 0
		.amdhsa_exception_fp_ieee_underflow 0
		.amdhsa_exception_fp_ieee_inexact 0
		.amdhsa_exception_int_div_zero 0
	.end_amdhsa_kernel
	.section	.text._ZN9rocsolver6v33100L18getri_kernel_smallILi50E19rocblas_complex_numIdEPS3_EEvT1_iilPiilS6_bb,"axG",@progbits,_ZN9rocsolver6v33100L18getri_kernel_smallILi50E19rocblas_complex_numIdEPS3_EEvT1_iilPiilS6_bb,comdat
.Lfunc_end49:
	.size	_ZN9rocsolver6v33100L18getri_kernel_smallILi50E19rocblas_complex_numIdEPS3_EEvT1_iilPiilS6_bb, .Lfunc_end49-_ZN9rocsolver6v33100L18getri_kernel_smallILi50E19rocblas_complex_numIdEPS3_EEvT1_iilPiilS6_bb
                                        ; -- End function
	.set _ZN9rocsolver6v33100L18getri_kernel_smallILi50E19rocblas_complex_numIdEPS3_EEvT1_iilPiilS6_bb.num_vgpr, 256
	.set _ZN9rocsolver6v33100L18getri_kernel_smallILi50E19rocblas_complex_numIdEPS3_EEvT1_iilPiilS6_bb.num_agpr, 130
	.set _ZN9rocsolver6v33100L18getri_kernel_smallILi50E19rocblas_complex_numIdEPS3_EEvT1_iilPiilS6_bb.numbered_sgpr, 66
	.set _ZN9rocsolver6v33100L18getri_kernel_smallILi50E19rocblas_complex_numIdEPS3_EEvT1_iilPiilS6_bb.num_named_barrier, 0
	.set _ZN9rocsolver6v33100L18getri_kernel_smallILi50E19rocblas_complex_numIdEPS3_EEvT1_iilPiilS6_bb.private_seg_size, 832
	.set _ZN9rocsolver6v33100L18getri_kernel_smallILi50E19rocblas_complex_numIdEPS3_EEvT1_iilPiilS6_bb.uses_vcc, 1
	.set _ZN9rocsolver6v33100L18getri_kernel_smallILi50E19rocblas_complex_numIdEPS3_EEvT1_iilPiilS6_bb.uses_flat_scratch, 0
	.set _ZN9rocsolver6v33100L18getri_kernel_smallILi50E19rocblas_complex_numIdEPS3_EEvT1_iilPiilS6_bb.has_dyn_sized_stack, 0
	.set _ZN9rocsolver6v33100L18getri_kernel_smallILi50E19rocblas_complex_numIdEPS3_EEvT1_iilPiilS6_bb.has_recursion, 0
	.set _ZN9rocsolver6v33100L18getri_kernel_smallILi50E19rocblas_complex_numIdEPS3_EEvT1_iilPiilS6_bb.has_indirect_call, 0
	.section	.AMDGPU.csdata,"",@progbits
; Kernel info:
; codeLenInByte = 106280
; TotalNumSgprs: 72
; NumVgprs: 256
; NumAgprs: 130
; TotalNumVgprs: 386
; ScratchSize: 832
; MemoryBound: 0
; FloatMode: 240
; IeeeMode: 1
; LDSByteSize: 1608 bytes/workgroup (compile time only)
; SGPRBlocks: 8
; VGPRBlocks: 48
; NumSGPRsForWavesPerEU: 72
; NumVGPRsForWavesPerEU: 386
; AccumOffset: 256
; Occupancy: 1
; WaveLimiterHint : 1
; COMPUTE_PGM_RSRC2:SCRATCH_EN: 1
; COMPUTE_PGM_RSRC2:USER_SGPR: 2
; COMPUTE_PGM_RSRC2:TRAP_HANDLER: 0
; COMPUTE_PGM_RSRC2:TGID_X_EN: 1
; COMPUTE_PGM_RSRC2:TGID_Y_EN: 0
; COMPUTE_PGM_RSRC2:TGID_Z_EN: 0
; COMPUTE_PGM_RSRC2:TIDIG_COMP_CNT: 0
; COMPUTE_PGM_RSRC3_GFX90A:ACCUM_OFFSET: 63
; COMPUTE_PGM_RSRC3_GFX90A:TG_SPLIT: 0
	.section	.text._ZN9rocsolver6v33100L18getri_kernel_smallILi51E19rocblas_complex_numIdEPS3_EEvT1_iilPiilS6_bb,"axG",@progbits,_ZN9rocsolver6v33100L18getri_kernel_smallILi51E19rocblas_complex_numIdEPS3_EEvT1_iilPiilS6_bb,comdat
	.globl	_ZN9rocsolver6v33100L18getri_kernel_smallILi51E19rocblas_complex_numIdEPS3_EEvT1_iilPiilS6_bb ; -- Begin function _ZN9rocsolver6v33100L18getri_kernel_smallILi51E19rocblas_complex_numIdEPS3_EEvT1_iilPiilS6_bb
	.p2align	8
	.type	_ZN9rocsolver6v33100L18getri_kernel_smallILi51E19rocblas_complex_numIdEPS3_EEvT1_iilPiilS6_bb,@function
_ZN9rocsolver6v33100L18getri_kernel_smallILi51E19rocblas_complex_numIdEPS3_EEvT1_iilPiilS6_bb: ; @_ZN9rocsolver6v33100L18getri_kernel_smallILi51E19rocblas_complex_numIdEPS3_EEvT1_iilPiilS6_bb
; %bb.0:
	v_mov_b32_e32 v244, v0
	v_cmp_gt_u32_e32 vcc, 51, v244
	s_and_saveexec_b64 s[4:5], vcc
	s_cbranch_execz .LBB50_218
; %bb.1:
	s_load_dword s8, s[0:1], 0x38
	s_load_dwordx4 s[12:15], s[0:1], 0x10
	s_load_dwordx4 s[4:7], s[0:1], 0x28
                                        ; implicit-def: $sgpr16_sgpr17
	s_waitcnt lgkmcnt(0)
	s_bitcmp1_b32 s8, 8
	s_cselect_b64 s[18:19], -1, 0
	s_ashr_i32 s3, s2, 31
	s_bfe_u32 s8, s8, 0x10008
	s_cmp_eq_u32 s8, 0
	s_cbranch_scc1 .LBB50_3
; %bb.2:
	s_load_dword s8, s[0:1], 0x20
	s_mul_i32 s9, s4, s3
	s_mul_hi_u32 s10, s4, s2
	s_mul_i32 s5, s5, s2
	s_add_i32 s10, s10, s9
	s_add_i32 s5, s10, s5
	s_mul_i32 s4, s4, s2
	s_waitcnt lgkmcnt(0)
	s_ashr_i32 s9, s8, 31
	s_lshl_b64 s[4:5], s[4:5], 2
	s_add_u32 s10, s14, s4
	s_addc_u32 s11, s15, s5
	s_lshl_b64 s[4:5], s[8:9], 2
	s_add_u32 s16, s10, s4
	s_addc_u32 s17, s11, s5
.LBB50_3:
	s_load_dwordx4 s[8:11], s[0:1], 0x0
	s_load_dword s4, s[0:1], 0x38
	s_mul_i32 s5, s12, s3
	s_mul_hi_u32 s14, s12, s2
	s_add_i32 s5, s14, s5
	s_waitcnt lgkmcnt(0)
	s_ashr_i32 s1, s10, 31
	s_mov_b32 s0, s10
	s_mul_i32 s10, s13, s2
	s_add_i32 s13, s5, s10
	s_mul_i32 s12, s12, s2
	s_lshl_b64 s[12:13], s[12:13], 4
	s_add_u32 s5, s8, s12
	s_addc_u32 s8, s9, s13
	s_lshl_b64 s[0:1], s[0:1], 4
	s_add_u32 s0, s5, s0
	s_addc_u32 s1, s8, s1
	v_lshlrev_b32_e32 v42, 4, v244
	v_mov_b32_e32 v43, 0
	s_add_i32 s5, s11, s11
	v_lshl_add_u64 v[0:1], s[0:1], 0, v[42:43]
	v_add_u32_e32 v2, s5, v244
	s_ashr_i32 s9, s11, 31
	s_mov_b32 s8, s11
	v_accvgpr_write_b32 a0, v0
	v_ashrrev_i32_e32 v3, 31, v2
	v_accvgpr_write_b32 a1, v1
	v_lshl_add_u64 v[0:1], s[8:9], 4, v[0:1]
	v_lshl_add_u64 v[4:5], v[2:3], 4, s[0:1]
	v_add_u32_e32 v2, s11, v2
	v_accvgpr_write_b32 a3, v1
	v_ashrrev_i32_e32 v3, 31, v2
	global_load_dwordx4 v[10:13], v42, s[0:1]
	global_load_dwordx4 v[14:17], v[0:1], off
	v_accvgpr_write_b32 a2, v0
	v_lshl_add_u64 v[0:1], v[2:3], 4, s[0:1]
	v_add_u32_e32 v2, s11, v2
	v_accvgpr_write_b32 a4, v4
	v_ashrrev_i32_e32 v3, 31, v2
	v_accvgpr_write_b32 a5, v5
	global_load_dwordx4 v[18:21], v[4:5], off
	global_load_dwordx4 v[22:25], v[0:1], off
	v_lshl_add_u64 v[4:5], v[2:3], 4, s[0:1]
	v_add_u32_e32 v2, s11, v2
	v_accvgpr_write_b32 a7, v1
	v_ashrrev_i32_e32 v3, 31, v2
	v_accvgpr_write_b32 a6, v0
	v_lshl_add_u64 v[0:1], v[2:3], 4, s[0:1]
	v_add_u32_e32 v2, s11, v2
	v_accvgpr_write_b32 a9, v5
	v_ashrrev_i32_e32 v3, 31, v2
	v_accvgpr_write_b32 a8, v4
	global_load_dwordx4 v[26:29], v[4:5], off
	global_load_dwordx4 v[30:33], v[0:1], off
	v_lshl_add_u64 v[4:5], v[2:3], 4, s[0:1]
	v_add_u32_e32 v2, s11, v2
	v_accvgpr_write_b32 a11, v1
	v_ashrrev_i32_e32 v3, 31, v2
	v_accvgpr_write_b32 a10, v0
	v_accvgpr_write_b32 a13, v5
	v_lshl_add_u64 v[0:1], v[2:3], 4, s[0:1]
	v_add_u32_e32 v2, s11, v2
	v_accvgpr_write_b32 a12, v4
	global_load_dwordx4 v[34:37], v[4:5], off
	global_load_dwordx4 v[38:41], v[0:1], off
	v_ashrrev_i32_e32 v3, 31, v2
	v_add_u32_e32 v4, s11, v2
	v_lshl_add_u64 v[6:7], v[2:3], 4, s[0:1]
	v_ashrrev_i32_e32 v5, 31, v4
	v_add_u32_e32 v2, s11, v4
	v_accvgpr_write_b32 a15, v1
	v_accvgpr_write_b32 a14, v0
	;; [unrolled: 1-line block ×3, first 2 shown]
	v_lshl_add_u64 v[0:1], v[4:5], 4, s[0:1]
	v_ashrrev_i32_e32 v3, 31, v2
	v_add_u32_e32 v4, s11, v2
	v_accvgpr_write_b32 a16, v6
	global_load_dwordx4 v[44:47], v[6:7], off
	global_load_dwordx4 v[48:51], v[0:1], off
	v_lshl_add_u64 v[6:7], v[2:3], 4, s[0:1]
	v_add_u32_e32 v2, s11, v4
	v_ashrrev_i32_e32 v5, 31, v4
	v_accvgpr_write_b32 a19, v1
	v_ashrrev_i32_e32 v3, 31, v2
	v_accvgpr_write_b32 a18, v0
	v_lshl_add_u64 v[0:1], v[4:5], 4, s[0:1]
	v_add_u32_e32 v4, s11, v2
	v_lshl_add_u64 v[2:3], v[2:3], 4, s[0:1]
	global_load_dwordx4 v[52:55], v[6:7], off
	v_accvgpr_write_b32 a25, v3
	v_ashrrev_i32_e32 v5, 31, v4
	v_accvgpr_write_b32 a23, v1
	global_load_dwordx4 v[56:59], v[0:1], off
	global_load_dwordx4 v[60:63], v[2:3], off
	v_accvgpr_write_b32 a24, v2
	v_add_u32_e32 v2, s11, v4
	v_accvgpr_write_b32 a22, v0
	v_lshl_add_u64 v[0:1], v[4:5], 4, s[0:1]
	v_ashrrev_i32_e32 v3, 31, v2
	v_lshl_add_u64 v[4:5], v[2:3], 4, s[0:1]
	global_load_dwordx4 v[64:67], v[0:1], off
	global_load_dwordx4 v[68:71], v[4:5], off
	v_accvgpr_write_b32 a29, v5
	v_add_u32_e32 v2, s11, v2
	v_accvgpr_write_b32 a28, v4
	v_add_u32_e32 v4, s11, v2
	v_accvgpr_write_b32 a21, v7
	v_ashrrev_i32_e32 v5, 31, v4
	v_accvgpr_write_b32 a20, v6
	v_accvgpr_write_b32 a27, v1
	v_ashrrev_i32_e32 v3, 31, v2
	v_add_u32_e32 v72, s11, v4
	v_lshl_add_u64 v[6:7], v[4:5], 4, s[0:1]
	v_accvgpr_write_b32 a26, v0
	v_lshl_add_u64 v[0:1], v[2:3], 4, s[0:1]
	v_add_u32_e32 v74, s11, v72
	v_accvgpr_write_b32 a33, v7
	global_load_dwordx4 v[2:5], v[0:1], off
	v_accvgpr_write_b32 a32, v6
	global_load_dwordx4 v[6:9], v[6:7], off
	s_waitcnt vmcnt(16)
	scratch_store_dwordx4 off, v[10:13], off offset:16
	s_waitcnt vmcnt(16)
	scratch_store_dwordx4 off, v[14:17], off offset:32
	;; [unrolled: 2-line block ×15, first 2 shown]
	v_add_u32_e32 v18, s11, v74
	v_add_u32_e32 v26, s11, v18
	v_ashrrev_i32_e32 v27, 31, v26
	v_lshl_add_u64 v[22:23], v[26:27], 4, s[0:1]
	v_add_u32_e32 v26, s11, v26
	v_add_u32_e32 v34, s11, v26
	v_ashrrev_i32_e32 v35, 31, v34
	v_lshl_add_u64 v[30:31], v[34:35], 4, s[0:1]
	v_add_u32_e32 v34, s11, v34
	v_ashrrev_i32_e32 v73, 31, v72
	v_accvgpr_write_b32 a31, v1
	v_add_u32_e32 v44, s11, v34
	v_accvgpr_write_b32 a30, v0
	v_lshl_add_u64 v[0:1], v[72:73], 4, s[0:1]
	v_ashrrev_i32_e32 v45, 31, v44
	v_accvgpr_write_b32 a35, v1
	v_ashrrev_i32_e32 v19, 31, v18
	v_accvgpr_write_b32 a41, v23
	v_lshl_add_u64 v[38:39], v[44:45], 4, s[0:1]
	v_add_u32_e32 v44, s11, v44
	v_accvgpr_write_b32 a34, v0
	global_load_dwordx4 v[10:13], v[0:1], off
	v_accvgpr_write_b32 a40, v22
	global_load_dwordx4 v[22:25], v[22:23], off
	v_lshl_add_u64 v[0:1], v[18:19], 4, s[0:1]
	v_add_u32_e32 v52, s11, v44
	v_accvgpr_write_b32 a39, v1
	v_ashrrev_i32_e32 v27, 31, v26
	v_accvgpr_write_b32 a45, v31
	v_ashrrev_i32_e32 v53, 31, v52
	v_accvgpr_write_b32 a38, v0
	global_load_dwordx4 v[18:21], v[0:1], off
	v_accvgpr_write_b32 a44, v30
	global_load_dwordx4 v[30:33], v[30:31], off
	v_lshl_add_u64 v[0:1], v[26:27], 4, s[0:1]
	v_lshl_add_u64 v[48:49], v[52:53], 4, s[0:1]
	v_add_u32_e32 v52, s11, v52
	v_accvgpr_write_b32 a43, v1
	v_ashrrev_i32_e32 v35, 31, v34
	v_accvgpr_write_b32 a49, v39
	v_add_u32_e32 v60, s11, v52
	v_accvgpr_write_b32 a42, v0
	global_load_dwordx4 v[26:29], v[0:1], off
	v_accvgpr_write_b32 a48, v38
	global_load_dwordx4 v[38:41], v[38:39], off
	v_lshl_add_u64 v[0:1], v[34:35], 4, s[0:1]
	v_ashrrev_i32_e32 v61, 31, v60
	v_accvgpr_write_b32 a47, v1
	v_ashrrev_i32_e32 v45, 31, v44
	v_accvgpr_write_b32 a53, v49
	v_lshl_add_u64 v[56:57], v[60:61], 4, s[0:1]
	v_add_u32_e32 v60, s11, v60
	v_accvgpr_write_b32 a46, v0
	global_load_dwordx4 v[34:37], v[0:1], off
	v_accvgpr_write_b32 a52, v48
	global_load_dwordx4 v[48:51], v[48:49], off
	v_lshl_add_u64 v[0:1], v[44:45], 4, s[0:1]
	v_add_u32_e32 v68, s11, v60
	v_accvgpr_write_b32 a51, v1
	v_ashrrev_i32_e32 v53, 31, v52
	v_accvgpr_write_b32 a56, v56
	v_ashrrev_i32_e32 v69, 31, v68
	v_ashrrev_i32_e32 v75, 31, v74
	v_accvgpr_write_b32 a50, v0
	global_load_dwordx4 v[44:47], v[0:1], off
	v_accvgpr_write_b32 a57, v57
	global_load_dwordx4 v[56:59], v[56:57], off
	v_lshl_add_u64 v[0:1], v[52:53], 4, s[0:1]
	v_lshl_add_u64 v[64:65], v[68:69], 4, s[0:1]
	v_add_u32_e32 v68, s11, v68
	v_lshl_add_u64 v[72:73], v[74:75], 4, s[0:1]
	v_accvgpr_write_b32 a55, v1
	v_ashrrev_i32_e32 v61, 31, v60
	v_accvgpr_write_b32 a60, v64
	v_add_u32_e32 v76, s11, v68
	v_accvgpr_write_b32 a36, v72
	global_load_dwordx4 v[14:17], v[72:73], off
	v_accvgpr_write_b32 a54, v0
	global_load_dwordx4 v[52:55], v[0:1], off
	;; [unrolled: 2-line block ×3, first 2 shown]
	v_lshl_add_u64 v[0:1], v[60:61], 4, s[0:1]
	v_ashrrev_i32_e32 v77, 31, v76
	v_accvgpr_write_b32 a37, v73
	global_load_dwordx4 v[60:63], v[0:1], off
	v_lshl_add_u64 v[72:73], v[76:77], 4, s[0:1]
	v_add_u32_e32 v76, s11, v76
	v_add_u32_e32 v84, s11, v76
	v_ashrrev_i32_e32 v85, 31, v84
	v_lshl_add_u64 v[80:81], v[84:85], 4, s[0:1]
	v_add_u32_e32 v84, s11, v84
	v_add_u32_e32 v92, s11, v84
	v_ashrrev_i32_e32 v93, 31, v92
	v_lshl_add_u64 v[88:89], v[92:93], 4, s[0:1]
	v_add_u32_e32 v92, s11, v92
	v_accvgpr_write_b32 a59, v1
	v_ashrrev_i32_e32 v69, 31, v68
	v_add_u32_e32 v100, s11, v92
	v_accvgpr_write_b32 a58, v0
	v_lshl_add_u64 v[0:1], v[68:69], 4, s[0:1]
	v_ashrrev_i32_e32 v101, 31, v100
	v_accvgpr_write_b32 a63, v1
	v_accvgpr_write_b32 a64, v72
	v_ashrrev_i32_e32 v77, 31, v76
	v_lshl_add_u64 v[96:97], v[100:101], 4, s[0:1]
	v_add_u32_e32 v100, s11, v100
	v_accvgpr_write_b32 a62, v0
	global_load_dwordx4 v[68:71], v[0:1], off
	v_accvgpr_write_b32 a65, v73
	global_load_dwordx4 v[72:75], v[72:73], off
	v_lshl_add_u64 v[0:1], v[76:77], 4, s[0:1]
	v_add_u32_e32 v108, s11, v100
	v_accvgpr_write_b32 a67, v1
	v_accvgpr_write_b32 a68, v80
	v_ashrrev_i32_e32 v85, 31, v84
	v_ashrrev_i32_e32 v109, 31, v108
	v_accvgpr_write_b32 a66, v0
	global_load_dwordx4 v[76:79], v[0:1], off
	v_accvgpr_write_b32 a69, v81
	global_load_dwordx4 v[80:83], v[80:81], off
	v_lshl_add_u64 v[0:1], v[84:85], 4, s[0:1]
	v_lshl_add_u64 v[104:105], v[108:109], 4, s[0:1]
	v_add_u32_e32 v108, s11, v108
	v_accvgpr_write_b32 a71, v1
	v_accvgpr_write_b32 a72, v88
	v_ashrrev_i32_e32 v93, 31, v92
	v_add_u32_e32 v116, s11, v108
	v_accvgpr_write_b32 a70, v0
	global_load_dwordx4 v[84:87], v[0:1], off
	v_accvgpr_write_b32 a73, v89
	global_load_dwordx4 v[88:91], v[88:89], off
	v_lshl_add_u64 v[0:1], v[92:93], 4, s[0:1]
	v_ashrrev_i32_e32 v117, 31, v116
	v_accvgpr_write_b32 a75, v1
	v_accvgpr_write_b32 a76, v96
	v_ashrrev_i32_e32 v101, 31, v100
	v_lshl_add_u64 v[112:113], v[116:117], 4, s[0:1]
	v_add_u32_e32 v116, s11, v116
	v_accvgpr_write_b32 a74, v0
	global_load_dwordx4 v[92:95], v[0:1], off
	v_accvgpr_write_b32 a77, v97
	global_load_dwordx4 v[96:99], v[96:97], off
	v_lshl_add_u64 v[0:1], v[100:101], 4, s[0:1]
	v_add_u32_e32 v124, s11, v116
	v_accvgpr_write_b32 a79, v1
	v_accvgpr_write_b32 a80, v104
	v_ashrrev_i32_e32 v109, 31, v108
	v_ashrrev_i32_e32 v125, 31, v124
	v_accvgpr_write_b32 a78, v0
	global_load_dwordx4 v[100:103], v[0:1], off
	v_accvgpr_write_b32 a81, v105
	global_load_dwordx4 v[104:107], v[104:105], off
	v_lshl_add_u64 v[0:1], v[108:109], 4, s[0:1]
	v_lshl_add_u64 v[120:121], v[124:125], 4, s[0:1]
	v_add_u32_e32 v124, s11, v124
	v_accvgpr_write_b32 a83, v1
	v_accvgpr_write_b32 a84, v112
	v_ashrrev_i32_e32 v117, 31, v116
	v_add_u32_e32 v132, s11, v124
	v_accvgpr_write_b32 a82, v0
	global_load_dwordx4 v[108:111], v[0:1], off
	v_accvgpr_write_b32 a85, v113
	global_load_dwordx4 v[112:115], v[112:113], off
	v_lshl_add_u64 v[0:1], v[116:117], 4, s[0:1]
	v_ashrrev_i32_e32 v133, 31, v132
	v_accvgpr_write_b32 a87, v1
	v_accvgpr_write_b32 a88, v120
	v_ashrrev_i32_e32 v125, 31, v124
	v_lshl_add_u64 v[128:129], v[132:133], 4, s[0:1]
	v_add_u32_e32 v132, s11, v132
	v_accvgpr_write_b32 a86, v0
	global_load_dwordx4 v[116:119], v[0:1], off
	v_accvgpr_write_b32 a89, v121
	global_load_dwordx4 v[120:123], v[120:121], off
	v_lshl_add_u64 v[0:1], v[124:125], 4, s[0:1]
	v_add_u32_e32 v140, s11, v132
	v_accvgpr_write_b32 a91, v1
	v_accvgpr_write_b32 a92, v128
	v_ashrrev_i32_e32 v133, 31, v132
	v_ashrrev_i32_e32 v141, 31, v140
	v_accvgpr_write_b32 a90, v0
	global_load_dwordx4 v[124:127], v[0:1], off
	v_accvgpr_write_b32 a93, v129
	global_load_dwordx4 v[128:131], v[128:129], off
	v_lshl_add_u64 v[0:1], v[132:133], 4, s[0:1]
	v_lshl_add_u64 v[136:137], v[140:141], 4, s[0:1]
	v_add_u32_e32 v140, s11, v140
	v_accvgpr_write_b32 a95, v1
	v_accvgpr_write_b32 a96, v136
	v_ashrrev_i32_e32 v141, 31, v140
	v_accvgpr_write_b32 a94, v0
	global_load_dwordx4 v[132:135], v[0:1], off
	v_accvgpr_write_b32 a97, v137
	global_load_dwordx4 v[136:139], v[136:137], off
	v_lshl_add_u64 v[0:1], v[140:141], 4, s[0:1]
	v_add_u32_e32 v140, s11, v140
	v_ashrrev_i32_e32 v141, 31, v140
	v_lshl_add_u64 v[144:145], v[140:141], 4, s[0:1]
	s_movk_i32 s0, 0x50
	s_add_i32 s64, s0, 16
	s_movk_i32 s0, 0x60
	global_load_dwordx4 v[140:143], v[0:1], off
	v_accvgpr_write_b32 a100, v144
	s_add_i32 s33, s0, 16
	s_movk_i32 s0, 0x70
	v_accvgpr_write_b32 a101, v145
	global_load_dwordx4 v[144:147], v[144:145], off
	s_add_i32 s34, s0, 16
	s_movk_i32 s0, 0x80
	s_add_i32 s35, s0, 16
	s_movk_i32 s0, 0x90
	;; [unrolled: 2-line block ×43, first 2 shown]
	v_accvgpr_write_b32 a99, v1
	s_add_i32 s13, s0, 16
	v_accvgpr_write_b32 a98, v0
	s_mov_b32 s66, 32
	s_mov_b32 s65, 48
	;; [unrolled: 1-line block ×3, first 2 shown]
	s_movk_i32 s29, 0x50
	s_bitcmp0_b32 s4, 0
	s_mov_b64 s[4:5], -1
	s_waitcnt vmcnt(50)
	scratch_store_dwordx4 off, v[2:5], off offset:256
	s_waitcnt vmcnt(50)
	scratch_store_dwordx4 off, v[6:9], off offset:272
	;; [unrolled: 2-line block ×4, first 2 shown]
	scratch_store_dwordx4 off, v[18:21], off offset:320
	scratch_store_dwordx4 off, v[22:25], off offset:336
	;; [unrolled: 1-line block ×8, first 2 shown]
	s_waitcnt vmcnt(34)
	scratch_store_dwordx4 off, v[52:55], off offset:448
	scratch_store_dwordx4 off, v[56:59], off offset:464
	s_waitcnt vmcnt(34)
	scratch_store_dwordx4 off, v[60:63], off offset:480
	scratch_store_dwordx4 off, v[64:67], off offset:496
	s_waitcnt vmcnt(35)
	scratch_store_dwordx4 off, v[68:71], off offset:512
	s_waitcnt vmcnt(35)
	;; [unrolled: 2-line block ×20, first 2 shown]
	scratch_store_dwordx4 off, v[144:147], off offset:816
	s_cbranch_scc1 .LBB50_216
; %bb.4:
	v_cmp_eq_u32_e64 s[0:1], 0, v244
	s_and_saveexec_b64 s[4:5], s[0:1]
; %bb.5:
	v_mov_b32_e32 v0, 0
	ds_write_b32 v0, v0 offset:1632
; %bb.6:
	s_or_b64 exec, exec, s[4:5]
	s_waitcnt lgkmcnt(0)
	; wave barrier
	scratch_load_dwordx4 v[2:5], v42, off offset:16
	s_waitcnt vmcnt(0)
	v_cmp_eq_f64_e32 vcc, 0, v[2:3]
	v_cmp_eq_f64_e64 s[4:5], 0, v[4:5]
	s_and_b64 s[4:5], vcc, s[4:5]
	s_and_saveexec_b64 s[8:9], s[4:5]
	s_cbranch_execz .LBB50_10
; %bb.7:
	v_mov_b32_e32 v1, 0
	ds_read_b32 v0, v1 offset:1632
	v_add_u32_e32 v2, 1, v244
	s_waitcnt lgkmcnt(0)
	v_readfirstlane_b32 s4, v0
	s_cmp_eq_u32 s4, 0
	s_cselect_b64 s[10:11], -1, 0
	v_cmp_gt_i32_e32 vcc, s4, v2
	s_or_b64 s[10:11], s[10:11], vcc
	s_and_b64 exec, exec, s[10:11]
	s_cbranch_execz .LBB50_10
; %bb.8:
	s_mov_b64 s[10:11], 0
	v_mov_b32_e32 v3, s4
.LBB50_9:                               ; =>This Inner Loop Header: Depth=1
	ds_cmpst_rtn_b32 v3, v1, v3, v2 offset:1632
	s_waitcnt lgkmcnt(0)
	v_cmp_ne_u32_e32 vcc, 0, v3
	v_cmp_le_i32_e64 s[4:5], v3, v2
	s_and_b64 s[4:5], vcc, s[4:5]
	s_and_b64 s[4:5], exec, s[4:5]
	s_or_b64 s[10:11], s[4:5], s[10:11]
	s_andn2_b64 exec, exec, s[10:11]
	s_cbranch_execnz .LBB50_9
.LBB50_10:
	s_or_b64 exec, exec, s[8:9]
	v_mov_b32_e32 v2, 0
	; wave barrier
	ds_read_b32 v1, v2 offset:1632
	s_and_saveexec_b64 s[4:5], s[0:1]
	s_cbranch_execz .LBB50_12
; %bb.11:
	s_lshl_b64 s[8:9], s[2:3], 2
	s_add_u32 s8, s6, s8
	s_addc_u32 s9, s7, s9
	s_waitcnt lgkmcnt(0)
	global_store_dword v2, v1, s[8:9]
.LBB50_12:
	s_or_b64 exec, exec, s[4:5]
	s_waitcnt lgkmcnt(0)
	v_cmp_ne_u32_e32 vcc, 0, v1
	s_mov_b64 s[4:5], 0
	s_cbranch_vccnz .LBB50_216
; %bb.13:
	v_add_u32_e32 v14, 16, v42
	scratch_load_dwordx4 v[2:5], v14, off
                                        ; implicit-def: $vgpr6_vgpr7
                                        ; implicit-def: $vgpr10_vgpr11
	s_waitcnt vmcnt(0)
	v_cmp_ngt_f64_e64 s[4:5], |v[2:3]|, |v[4:5]|
	s_and_saveexec_b64 s[8:9], s[4:5]
	s_xor_b64 s[4:5], exec, s[8:9]
	s_cbranch_execz .LBB50_15
; %bb.14:
	v_div_scale_f64 v[6:7], s[8:9], v[4:5], v[4:5], v[2:3]
	v_rcp_f64_e32 v[8:9], v[6:7]
	v_div_scale_f64 v[10:11], vcc, v[2:3], v[4:5], v[2:3]
	v_fma_f64 v[12:13], -v[6:7], v[8:9], 1.0
	v_fmac_f64_e32 v[8:9], v[8:9], v[12:13]
	v_fma_f64 v[12:13], -v[6:7], v[8:9], 1.0
	v_fmac_f64_e32 v[8:9], v[8:9], v[12:13]
	v_mul_f64 v[12:13], v[10:11], v[8:9]
	v_fma_f64 v[6:7], -v[6:7], v[12:13], v[10:11]
	v_div_fmas_f64 v[6:7], v[6:7], v[8:9], v[12:13]
	v_div_fixup_f64 v[6:7], v[6:7], v[4:5], v[2:3]
	v_fmac_f64_e32 v[4:5], v[2:3], v[6:7]
	v_div_scale_f64 v[2:3], s[8:9], v[4:5], v[4:5], 1.0
	v_rcp_f64_e32 v[8:9], v[2:3]
	s_nop 0
	v_fma_f64 v[10:11], -v[2:3], v[8:9], 1.0
	v_fmac_f64_e32 v[8:9], v[8:9], v[10:11]
	v_fma_f64 v[10:11], -v[2:3], v[8:9], 1.0
	v_fmac_f64_e32 v[8:9], v[8:9], v[10:11]
	v_div_scale_f64 v[10:11], vcc, 1.0, v[4:5], 1.0
	v_mul_f64 v[12:13], v[10:11], v[8:9]
	v_fma_f64 v[2:3], -v[2:3], v[12:13], v[10:11]
	s_nop 1
	v_div_fmas_f64 v[2:3], v[2:3], v[8:9], v[12:13]
	v_div_fixup_f64 v[8:9], v[2:3], v[4:5], 1.0
	v_mul_f64 v[6:7], v[6:7], v[8:9]
	v_xor_b32_e32 v9, 0x80000000, v9
	v_xor_b32_e32 v11, 0x80000000, v7
	v_mov_b32_e32 v10, v6
                                        ; implicit-def: $vgpr2_vgpr3
.LBB50_15:
	s_andn2_saveexec_b64 s[4:5], s[4:5]
	s_cbranch_execz .LBB50_17
; %bb.16:
	v_div_scale_f64 v[6:7], s[8:9], v[2:3], v[2:3], v[4:5]
	v_rcp_f64_e32 v[8:9], v[6:7]
	v_div_scale_f64 v[10:11], vcc, v[4:5], v[2:3], v[4:5]
	v_fma_f64 v[12:13], -v[6:7], v[8:9], 1.0
	v_fmac_f64_e32 v[8:9], v[8:9], v[12:13]
	v_fma_f64 v[12:13], -v[6:7], v[8:9], 1.0
	v_fmac_f64_e32 v[8:9], v[8:9], v[12:13]
	v_mul_f64 v[12:13], v[10:11], v[8:9]
	v_fma_f64 v[6:7], -v[6:7], v[12:13], v[10:11]
	v_div_fmas_f64 v[6:7], v[6:7], v[8:9], v[12:13]
	v_div_fixup_f64 v[8:9], v[6:7], v[2:3], v[4:5]
	v_fmac_f64_e32 v[2:3], v[4:5], v[8:9]
	v_div_scale_f64 v[4:5], s[8:9], v[2:3], v[2:3], 1.0
	v_rcp_f64_e32 v[6:7], v[4:5]
	s_nop 0
	v_fma_f64 v[10:11], -v[4:5], v[6:7], 1.0
	v_fmac_f64_e32 v[6:7], v[6:7], v[10:11]
	v_fma_f64 v[10:11], -v[4:5], v[6:7], 1.0
	v_fmac_f64_e32 v[6:7], v[6:7], v[10:11]
	v_div_scale_f64 v[10:11], vcc, 1.0, v[2:3], 1.0
	v_mul_f64 v[12:13], v[10:11], v[6:7]
	v_fma_f64 v[4:5], -v[4:5], v[12:13], v[10:11]
	s_nop 1
	v_div_fmas_f64 v[4:5], v[4:5], v[6:7], v[12:13]
	v_div_fixup_f64 v[6:7], v[4:5], v[2:3], 1.0
	v_xor_b32_e32 v11, 0x80000000, v7
	v_mov_b32_e32 v10, v6
	v_mul_f64 v[8:9], v[8:9], -v[6:7]
.LBB50_17:
	s_or_b64 exec, exec, s[4:5]
	scratch_store_dwordx4 v14, v[6:9], off
	scratch_load_dwordx4 v[2:5], off, s66
	v_xor_b32_e32 v13, 0x80000000, v9
	v_mov_b32_e32 v12, v8
	v_add_u32_e32 v1, 0x330, v42
	ds_write_b128 v42, v[10:13]
	s_waitcnt vmcnt(0)
	ds_write_b128 v42, v[2:5] offset:816
	s_waitcnt lgkmcnt(0)
	; wave barrier
	s_and_saveexec_b64 s[4:5], s[0:1]
	s_cbranch_execz .LBB50_19
; %bb.18:
	scratch_load_dwordx4 v[2:5], v14, off
	ds_read_b128 v[6:9], v1
	v_mov_b32_e32 v0, 0
	ds_read_b128 v[10:13], v0 offset:16
	s_waitcnt vmcnt(0) lgkmcnt(1)
	v_mul_f64 v[16:17], v[8:9], v[4:5]
	v_mul_f64 v[4:5], v[6:7], v[4:5]
	v_fma_f64 v[6:7], v[6:7], v[2:3], -v[16:17]
	v_fmac_f64_e32 v[4:5], v[8:9], v[2:3]
	v_add_f64 v[2:3], v[6:7], 0
	v_add_f64 v[6:7], v[4:5], 0
	s_waitcnt lgkmcnt(0)
	v_mul_f64 v[8:9], v[6:7], v[12:13]
	v_mul_f64 v[4:5], v[2:3], v[12:13]
	v_fma_f64 v[2:3], v[2:3], v[10:11], -v[8:9]
	v_fmac_f64_e32 v[4:5], v[6:7], v[10:11]
	scratch_store_dwordx4 off, v[2:5], off offset:32
.LBB50_19:
	s_or_b64 exec, exec, s[4:5]
	; wave barrier
	scratch_load_dwordx4 v[2:5], off, s65
	v_cmp_gt_u32_e32 vcc, 2, v244
	s_waitcnt vmcnt(0)
	ds_write_b128 v1, v[2:5]
	s_waitcnt lgkmcnt(0)
	; wave barrier
	s_and_saveexec_b64 s[4:5], vcc
	s_cbranch_execz .LBB50_23
; %bb.20:
	scratch_load_dwordx4 v[2:5], v14, off
	ds_read_b128 v[6:9], v1
	s_waitcnt vmcnt(0) lgkmcnt(0)
	v_mul_f64 v[10:11], v[8:9], v[4:5]
	v_mul_f64 v[12:13], v[6:7], v[4:5]
	v_fma_f64 v[4:5], v[6:7], v[2:3], -v[10:11]
	v_fmac_f64_e32 v[12:13], v[8:9], v[2:3]
	v_add_f64 v[4:5], v[4:5], 0
	v_add_f64 v[2:3], v[12:13], 0
	s_and_saveexec_b64 s[8:9], s[0:1]
	s_cbranch_execz .LBB50_22
; %bb.21:
	scratch_load_dwordx4 v[6:9], off, off offset:32
	v_mov_b32_e32 v0, 0
	ds_read_b128 v[10:13], v0 offset:832
	s_waitcnt vmcnt(0) lgkmcnt(0)
	v_mul_f64 v[14:15], v[10:11], v[8:9]
	v_mul_f64 v[8:9], v[12:13], v[8:9]
	v_fmac_f64_e32 v[14:15], v[12:13], v[6:7]
	v_fma_f64 v[6:7], v[10:11], v[6:7], -v[8:9]
	v_add_f64 v[2:3], v[2:3], v[14:15]
	v_add_f64 v[4:5], v[4:5], v[6:7]
.LBB50_22:
	s_or_b64 exec, exec, s[8:9]
	v_mov_b32_e32 v0, 0
	ds_read_b128 v[6:9], v0 offset:32
	s_waitcnt lgkmcnt(0)
	v_mul_f64 v[12:13], v[2:3], v[8:9]
	v_mul_f64 v[10:11], v[4:5], v[8:9]
	v_fma_f64 v[8:9], v[4:5], v[6:7], -v[12:13]
	v_fmac_f64_e32 v[10:11], v[2:3], v[6:7]
	scratch_store_dwordx4 off, v[8:11], off offset:48
.LBB50_23:
	s_or_b64 exec, exec, s[4:5]
	; wave barrier
	scratch_load_dwordx4 v[2:5], off, s26
	v_cmp_gt_u32_e32 vcc, 3, v244
	v_add_u32_e32 v6, -1, v244
	s_waitcnt vmcnt(0)
	ds_write_b128 v1, v[2:5]
	s_waitcnt lgkmcnt(0)
	; wave barrier
	s_and_saveexec_b64 s[0:1], vcc
	s_cbranch_execz .LBB50_27
; %bb.24:
	v_add_u32_e32 v7, -1, v244
	v_add_u32_e32 v8, 0x330, v42
	v_add_u32_e32 v9, 16, v42
	v_mov_b64_e32 v[2:3], 0
	s_mov_b64 s[4:5], 0
	v_mov_b64_e32 v[4:5], 0
.LBB50_25:                              ; =>This Inner Loop Header: Depth=1
	scratch_load_dwordx4 v[10:13], v9, off
	ds_read_b128 v[14:17], v8
	v_add_u32_e32 v7, 1, v7
	v_cmp_lt_u32_e32 vcc, 1, v7
	v_add_u32_e32 v8, 16, v8
	v_add_u32_e32 v9, 16, v9
	s_or_b64 s[4:5], vcc, s[4:5]
	s_waitcnt vmcnt(0) lgkmcnt(0)
	v_mul_f64 v[18:19], v[16:17], v[12:13]
	v_mul_f64 v[12:13], v[14:15], v[12:13]
	v_fma_f64 v[14:15], v[14:15], v[10:11], -v[18:19]
	v_fmac_f64_e32 v[12:13], v[16:17], v[10:11]
	v_add_f64 v[4:5], v[4:5], v[14:15]
	v_add_f64 v[2:3], v[2:3], v[12:13]
	s_andn2_b64 exec, exec, s[4:5]
	s_cbranch_execnz .LBB50_25
; %bb.26:
	s_or_b64 exec, exec, s[4:5]
	v_mov_b32_e32 v0, 0
	ds_read_b128 v[8:11], v0 offset:48
	s_waitcnt lgkmcnt(0)
	v_mul_f64 v[14:15], v[2:3], v[10:11]
	v_mul_f64 v[12:13], v[4:5], v[10:11]
	v_fma_f64 v[10:11], v[4:5], v[8:9], -v[14:15]
	v_fmac_f64_e32 v[12:13], v[2:3], v[8:9]
	scratch_store_dwordx4 off, v[10:13], off offset:64
.LBB50_27:
	s_or_b64 exec, exec, s[0:1]
	; wave barrier
	scratch_load_dwordx4 v[2:5], off, s29
	v_cmp_gt_u32_e32 vcc, 4, v244
	s_waitcnt vmcnt(0)
	ds_write_b128 v1, v[2:5]
	s_waitcnt lgkmcnt(0)
	; wave barrier
	s_and_saveexec_b64 s[0:1], vcc
	s_cbranch_execz .LBB50_31
; %bb.28:
	v_add_u32_e32 v7, -1, v244
	v_add_u32_e32 v8, 0x330, v42
	v_add_u32_e32 v9, 16, v42
	v_mov_b64_e32 v[2:3], 0
	s_mov_b64 s[4:5], 0
	v_mov_b64_e32 v[4:5], 0
.LBB50_29:                              ; =>This Inner Loop Header: Depth=1
	scratch_load_dwordx4 v[10:13], v9, off
	ds_read_b128 v[14:17], v8
	v_add_u32_e32 v7, 1, v7
	v_cmp_lt_u32_e32 vcc, 2, v7
	v_add_u32_e32 v8, 16, v8
	v_add_u32_e32 v9, 16, v9
	s_or_b64 s[4:5], vcc, s[4:5]
	s_waitcnt vmcnt(0) lgkmcnt(0)
	v_mul_f64 v[18:19], v[16:17], v[12:13]
	v_mul_f64 v[12:13], v[14:15], v[12:13]
	v_fma_f64 v[14:15], v[14:15], v[10:11], -v[18:19]
	v_fmac_f64_e32 v[12:13], v[16:17], v[10:11]
	v_add_f64 v[4:5], v[4:5], v[14:15]
	v_add_f64 v[2:3], v[2:3], v[12:13]
	s_andn2_b64 exec, exec, s[4:5]
	s_cbranch_execnz .LBB50_29
; %bb.30:
	s_or_b64 exec, exec, s[4:5]
	v_mov_b32_e32 v0, 0
	ds_read_b128 v[8:11], v0 offset:64
	s_waitcnt lgkmcnt(0)
	v_mul_f64 v[14:15], v[2:3], v[10:11]
	v_mul_f64 v[12:13], v[4:5], v[10:11]
	v_fma_f64 v[10:11], v[4:5], v[8:9], -v[14:15]
	v_fmac_f64_e32 v[12:13], v[2:3], v[8:9]
	scratch_store_dwordx4 off, v[10:13], off offset:80
.LBB50_31:
	s_or_b64 exec, exec, s[0:1]
	; wave barrier
	scratch_load_dwordx4 v[2:5], off, s64
	v_cmp_gt_u32_e32 vcc, 5, v244
	s_waitcnt vmcnt(0)
	ds_write_b128 v1, v[2:5]
	s_waitcnt lgkmcnt(0)
	; wave barrier
	s_and_saveexec_b64 s[0:1], vcc
	s_cbranch_execz .LBB50_35
; %bb.32:
	v_add_u32_e32 v7, -1, v244
	v_add_u32_e32 v8, 0x330, v42
	v_add_u32_e32 v9, 16, v42
	v_mov_b64_e32 v[2:3], 0
	s_mov_b64 s[4:5], 0
	v_mov_b64_e32 v[4:5], 0
.LBB50_33:                              ; =>This Inner Loop Header: Depth=1
	scratch_load_dwordx4 v[10:13], v9, off
	ds_read_b128 v[14:17], v8
	v_add_u32_e32 v7, 1, v7
	v_cmp_lt_u32_e32 vcc, 3, v7
	v_add_u32_e32 v8, 16, v8
	v_add_u32_e32 v9, 16, v9
	s_or_b64 s[4:5], vcc, s[4:5]
	s_waitcnt vmcnt(0) lgkmcnt(0)
	v_mul_f64 v[18:19], v[16:17], v[12:13]
	v_mul_f64 v[12:13], v[14:15], v[12:13]
	v_fma_f64 v[14:15], v[14:15], v[10:11], -v[18:19]
	v_fmac_f64_e32 v[12:13], v[16:17], v[10:11]
	v_add_f64 v[4:5], v[4:5], v[14:15]
	v_add_f64 v[2:3], v[2:3], v[12:13]
	s_andn2_b64 exec, exec, s[4:5]
	s_cbranch_execnz .LBB50_33
; %bb.34:
	s_or_b64 exec, exec, s[4:5]
	v_mov_b32_e32 v0, 0
	ds_read_b128 v[8:11], v0 offset:80
	s_waitcnt lgkmcnt(0)
	v_mul_f64 v[14:15], v[2:3], v[10:11]
	v_mul_f64 v[12:13], v[4:5], v[10:11]
	v_fma_f64 v[10:11], v[4:5], v[8:9], -v[14:15]
	v_fmac_f64_e32 v[12:13], v[2:3], v[8:9]
	scratch_store_dwordx4 off, v[10:13], off offset:96
.LBB50_35:
	s_or_b64 exec, exec, s[0:1]
	; wave barrier
	scratch_load_dwordx4 v[2:5], off, s33
	v_cmp_gt_u32_e32 vcc, 6, v244
	s_waitcnt vmcnt(0)
	ds_write_b128 v1, v[2:5]
	s_waitcnt lgkmcnt(0)
	; wave barrier
	s_and_saveexec_b64 s[0:1], vcc
	s_cbranch_execz .LBB50_39
; %bb.36:
	v_add_u32_e32 v7, -1, v244
	v_add_u32_e32 v8, 0x330, v42
	v_add_u32_e32 v9, 16, v42
	v_mov_b64_e32 v[2:3], 0
	s_mov_b64 s[4:5], 0
	v_mov_b64_e32 v[4:5], 0
.LBB50_37:                              ; =>This Inner Loop Header: Depth=1
	scratch_load_dwordx4 v[10:13], v9, off
	ds_read_b128 v[14:17], v8
	v_add_u32_e32 v7, 1, v7
	v_cmp_lt_u32_e32 vcc, 4, v7
	v_add_u32_e32 v8, 16, v8
	v_add_u32_e32 v9, 16, v9
	s_or_b64 s[4:5], vcc, s[4:5]
	s_waitcnt vmcnt(0) lgkmcnt(0)
	v_mul_f64 v[18:19], v[16:17], v[12:13]
	v_mul_f64 v[12:13], v[14:15], v[12:13]
	v_fma_f64 v[14:15], v[14:15], v[10:11], -v[18:19]
	v_fmac_f64_e32 v[12:13], v[16:17], v[10:11]
	v_add_f64 v[4:5], v[4:5], v[14:15]
	v_add_f64 v[2:3], v[2:3], v[12:13]
	s_andn2_b64 exec, exec, s[4:5]
	s_cbranch_execnz .LBB50_37
; %bb.38:
	s_or_b64 exec, exec, s[4:5]
	v_mov_b32_e32 v0, 0
	ds_read_b128 v[8:11], v0 offset:96
	s_waitcnt lgkmcnt(0)
	v_mul_f64 v[14:15], v[2:3], v[10:11]
	v_mul_f64 v[12:13], v[4:5], v[10:11]
	v_fma_f64 v[10:11], v[4:5], v[8:9], -v[14:15]
	v_fmac_f64_e32 v[12:13], v[2:3], v[8:9]
	scratch_store_dwordx4 off, v[10:13], off offset:112
.LBB50_39:
	s_or_b64 exec, exec, s[0:1]
	; wave barrier
	scratch_load_dwordx4 v[2:5], off, s34
	v_cmp_gt_u32_e32 vcc, 7, v244
	s_waitcnt vmcnt(0)
	ds_write_b128 v1, v[2:5]
	s_waitcnt lgkmcnt(0)
	; wave barrier
	s_and_saveexec_b64 s[0:1], vcc
	s_cbranch_execz .LBB50_43
; %bb.40:
	v_add_u32_e32 v7, -1, v244
	v_add_u32_e32 v8, 0x330, v42
	v_add_u32_e32 v9, 16, v42
	v_mov_b64_e32 v[2:3], 0
	s_mov_b64 s[4:5], 0
	v_mov_b64_e32 v[4:5], 0
.LBB50_41:                              ; =>This Inner Loop Header: Depth=1
	scratch_load_dwordx4 v[10:13], v9, off
	ds_read_b128 v[14:17], v8
	v_add_u32_e32 v7, 1, v7
	v_cmp_lt_u32_e32 vcc, 5, v7
	v_add_u32_e32 v8, 16, v8
	v_add_u32_e32 v9, 16, v9
	s_or_b64 s[4:5], vcc, s[4:5]
	s_waitcnt vmcnt(0) lgkmcnt(0)
	v_mul_f64 v[18:19], v[16:17], v[12:13]
	v_mul_f64 v[12:13], v[14:15], v[12:13]
	v_fma_f64 v[14:15], v[14:15], v[10:11], -v[18:19]
	v_fmac_f64_e32 v[12:13], v[16:17], v[10:11]
	v_add_f64 v[4:5], v[4:5], v[14:15]
	v_add_f64 v[2:3], v[2:3], v[12:13]
	s_andn2_b64 exec, exec, s[4:5]
	s_cbranch_execnz .LBB50_41
; %bb.42:
	s_or_b64 exec, exec, s[4:5]
	v_mov_b32_e32 v0, 0
	ds_read_b128 v[8:11], v0 offset:112
	s_waitcnt lgkmcnt(0)
	v_mul_f64 v[14:15], v[2:3], v[10:11]
	v_mul_f64 v[12:13], v[4:5], v[10:11]
	v_fma_f64 v[10:11], v[4:5], v[8:9], -v[14:15]
	v_fmac_f64_e32 v[12:13], v[2:3], v[8:9]
	scratch_store_dwordx4 off, v[10:13], off offset:128
.LBB50_43:
	s_or_b64 exec, exec, s[0:1]
	; wave barrier
	scratch_load_dwordx4 v[2:5], off, s35
	v_cmp_gt_u32_e32 vcc, 8, v244
	s_waitcnt vmcnt(0)
	ds_write_b128 v1, v[2:5]
	s_waitcnt lgkmcnt(0)
	; wave barrier
	s_and_saveexec_b64 s[0:1], vcc
	s_cbranch_execz .LBB50_47
; %bb.44:
	v_add_u32_e32 v7, -1, v244
	v_add_u32_e32 v8, 0x330, v42
	v_add_u32_e32 v9, 16, v42
	v_mov_b64_e32 v[2:3], 0
	s_mov_b64 s[4:5], 0
	v_mov_b64_e32 v[4:5], 0
.LBB50_45:                              ; =>This Inner Loop Header: Depth=1
	scratch_load_dwordx4 v[10:13], v9, off
	ds_read_b128 v[14:17], v8
	v_add_u32_e32 v7, 1, v7
	v_cmp_lt_u32_e32 vcc, 6, v7
	v_add_u32_e32 v8, 16, v8
	v_add_u32_e32 v9, 16, v9
	s_or_b64 s[4:5], vcc, s[4:5]
	s_waitcnt vmcnt(0) lgkmcnt(0)
	v_mul_f64 v[18:19], v[16:17], v[12:13]
	v_mul_f64 v[12:13], v[14:15], v[12:13]
	v_fma_f64 v[14:15], v[14:15], v[10:11], -v[18:19]
	v_fmac_f64_e32 v[12:13], v[16:17], v[10:11]
	v_add_f64 v[4:5], v[4:5], v[14:15]
	v_add_f64 v[2:3], v[2:3], v[12:13]
	s_andn2_b64 exec, exec, s[4:5]
	s_cbranch_execnz .LBB50_45
; %bb.46:
	s_or_b64 exec, exec, s[4:5]
	v_mov_b32_e32 v0, 0
	ds_read_b128 v[8:11], v0 offset:128
	s_waitcnt lgkmcnt(0)
	v_mul_f64 v[14:15], v[2:3], v[10:11]
	v_mul_f64 v[12:13], v[4:5], v[10:11]
	v_fma_f64 v[10:11], v[4:5], v[8:9], -v[14:15]
	v_fmac_f64_e32 v[12:13], v[2:3], v[8:9]
	scratch_store_dwordx4 off, v[10:13], off offset:144
.LBB50_47:
	s_or_b64 exec, exec, s[0:1]
	; wave barrier
	scratch_load_dwordx4 v[2:5], off, s36
	v_cmp_gt_u32_e32 vcc, 9, v244
	s_waitcnt vmcnt(0)
	ds_write_b128 v1, v[2:5]
	s_waitcnt lgkmcnt(0)
	; wave barrier
	s_and_saveexec_b64 s[0:1], vcc
	s_cbranch_execz .LBB50_51
; %bb.48:
	v_add_u32_e32 v7, -1, v244
	v_add_u32_e32 v8, 0x330, v42
	v_add_u32_e32 v9, 16, v42
	v_mov_b64_e32 v[2:3], 0
	s_mov_b64 s[4:5], 0
	v_mov_b64_e32 v[4:5], 0
.LBB50_49:                              ; =>This Inner Loop Header: Depth=1
	scratch_load_dwordx4 v[10:13], v9, off
	ds_read_b128 v[14:17], v8
	v_add_u32_e32 v7, 1, v7
	v_cmp_lt_u32_e32 vcc, 7, v7
	v_add_u32_e32 v8, 16, v8
	v_add_u32_e32 v9, 16, v9
	s_or_b64 s[4:5], vcc, s[4:5]
	s_waitcnt vmcnt(0) lgkmcnt(0)
	v_mul_f64 v[18:19], v[16:17], v[12:13]
	v_mul_f64 v[12:13], v[14:15], v[12:13]
	v_fma_f64 v[14:15], v[14:15], v[10:11], -v[18:19]
	v_fmac_f64_e32 v[12:13], v[16:17], v[10:11]
	v_add_f64 v[4:5], v[4:5], v[14:15]
	v_add_f64 v[2:3], v[2:3], v[12:13]
	s_andn2_b64 exec, exec, s[4:5]
	s_cbranch_execnz .LBB50_49
; %bb.50:
	s_or_b64 exec, exec, s[4:5]
	v_mov_b32_e32 v0, 0
	ds_read_b128 v[8:11], v0 offset:144
	s_waitcnt lgkmcnt(0)
	v_mul_f64 v[14:15], v[2:3], v[10:11]
	v_mul_f64 v[12:13], v[4:5], v[10:11]
	v_fma_f64 v[10:11], v[4:5], v[8:9], -v[14:15]
	v_fmac_f64_e32 v[12:13], v[2:3], v[8:9]
	scratch_store_dwordx4 off, v[10:13], off offset:160
.LBB50_51:
	s_or_b64 exec, exec, s[0:1]
	; wave barrier
	scratch_load_dwordx4 v[2:5], off, s37
	v_cmp_gt_u32_e32 vcc, 10, v244
	s_waitcnt vmcnt(0)
	ds_write_b128 v1, v[2:5]
	s_waitcnt lgkmcnt(0)
	; wave barrier
	s_and_saveexec_b64 s[0:1], vcc
	s_cbranch_execz .LBB50_55
; %bb.52:
	v_add_u32_e32 v7, -1, v244
	v_add_u32_e32 v8, 0x330, v42
	v_add_u32_e32 v9, 16, v42
	v_mov_b64_e32 v[2:3], 0
	s_mov_b64 s[4:5], 0
	v_mov_b64_e32 v[4:5], 0
.LBB50_53:                              ; =>This Inner Loop Header: Depth=1
	scratch_load_dwordx4 v[10:13], v9, off
	ds_read_b128 v[14:17], v8
	v_add_u32_e32 v7, 1, v7
	v_cmp_lt_u32_e32 vcc, 8, v7
	v_add_u32_e32 v8, 16, v8
	v_add_u32_e32 v9, 16, v9
	s_or_b64 s[4:5], vcc, s[4:5]
	s_waitcnt vmcnt(0) lgkmcnt(0)
	v_mul_f64 v[18:19], v[16:17], v[12:13]
	v_mul_f64 v[12:13], v[14:15], v[12:13]
	v_fma_f64 v[14:15], v[14:15], v[10:11], -v[18:19]
	v_fmac_f64_e32 v[12:13], v[16:17], v[10:11]
	v_add_f64 v[4:5], v[4:5], v[14:15]
	v_add_f64 v[2:3], v[2:3], v[12:13]
	s_andn2_b64 exec, exec, s[4:5]
	s_cbranch_execnz .LBB50_53
; %bb.54:
	s_or_b64 exec, exec, s[4:5]
	v_mov_b32_e32 v0, 0
	ds_read_b128 v[8:11], v0 offset:160
	s_waitcnt lgkmcnt(0)
	v_mul_f64 v[14:15], v[2:3], v[10:11]
	v_mul_f64 v[12:13], v[4:5], v[10:11]
	v_fma_f64 v[10:11], v[4:5], v[8:9], -v[14:15]
	v_fmac_f64_e32 v[12:13], v[2:3], v[8:9]
	scratch_store_dwordx4 off, v[10:13], off offset:176
.LBB50_55:
	s_or_b64 exec, exec, s[0:1]
	; wave barrier
	scratch_load_dwordx4 v[2:5], off, s38
	v_cmp_gt_u32_e32 vcc, 11, v244
	s_waitcnt vmcnt(0)
	ds_write_b128 v1, v[2:5]
	s_waitcnt lgkmcnt(0)
	; wave barrier
	s_and_saveexec_b64 s[0:1], vcc
	s_cbranch_execz .LBB50_59
; %bb.56:
	v_add_u32_e32 v7, -1, v244
	v_add_u32_e32 v8, 0x330, v42
	v_add_u32_e32 v9, 16, v42
	v_mov_b64_e32 v[2:3], 0
	s_mov_b64 s[4:5], 0
	v_mov_b64_e32 v[4:5], 0
.LBB50_57:                              ; =>This Inner Loop Header: Depth=1
	scratch_load_dwordx4 v[10:13], v9, off
	ds_read_b128 v[14:17], v8
	v_add_u32_e32 v7, 1, v7
	v_cmp_lt_u32_e32 vcc, 9, v7
	v_add_u32_e32 v8, 16, v8
	v_add_u32_e32 v9, 16, v9
	s_or_b64 s[4:5], vcc, s[4:5]
	s_waitcnt vmcnt(0) lgkmcnt(0)
	v_mul_f64 v[18:19], v[16:17], v[12:13]
	v_mul_f64 v[12:13], v[14:15], v[12:13]
	v_fma_f64 v[14:15], v[14:15], v[10:11], -v[18:19]
	v_fmac_f64_e32 v[12:13], v[16:17], v[10:11]
	v_add_f64 v[4:5], v[4:5], v[14:15]
	v_add_f64 v[2:3], v[2:3], v[12:13]
	s_andn2_b64 exec, exec, s[4:5]
	s_cbranch_execnz .LBB50_57
; %bb.58:
	s_or_b64 exec, exec, s[4:5]
	v_mov_b32_e32 v0, 0
	ds_read_b128 v[8:11], v0 offset:176
	s_waitcnt lgkmcnt(0)
	v_mul_f64 v[14:15], v[2:3], v[10:11]
	v_mul_f64 v[12:13], v[4:5], v[10:11]
	v_fma_f64 v[10:11], v[4:5], v[8:9], -v[14:15]
	v_fmac_f64_e32 v[12:13], v[2:3], v[8:9]
	scratch_store_dwordx4 off, v[10:13], off offset:192
.LBB50_59:
	s_or_b64 exec, exec, s[0:1]
	; wave barrier
	scratch_load_dwordx4 v[2:5], off, s39
	v_cmp_gt_u32_e32 vcc, 12, v244
	s_waitcnt vmcnt(0)
	ds_write_b128 v1, v[2:5]
	s_waitcnt lgkmcnt(0)
	; wave barrier
	s_and_saveexec_b64 s[0:1], vcc
	s_cbranch_execz .LBB50_63
; %bb.60:
	v_add_u32_e32 v7, -1, v244
	v_add_u32_e32 v8, 0x330, v42
	v_add_u32_e32 v9, 16, v42
	v_mov_b64_e32 v[2:3], 0
	s_mov_b64 s[4:5], 0
	v_mov_b64_e32 v[4:5], 0
.LBB50_61:                              ; =>This Inner Loop Header: Depth=1
	scratch_load_dwordx4 v[10:13], v9, off
	ds_read_b128 v[14:17], v8
	v_add_u32_e32 v7, 1, v7
	v_cmp_lt_u32_e32 vcc, 10, v7
	v_add_u32_e32 v8, 16, v8
	v_add_u32_e32 v9, 16, v9
	s_or_b64 s[4:5], vcc, s[4:5]
	s_waitcnt vmcnt(0) lgkmcnt(0)
	v_mul_f64 v[18:19], v[16:17], v[12:13]
	v_mul_f64 v[12:13], v[14:15], v[12:13]
	v_fma_f64 v[14:15], v[14:15], v[10:11], -v[18:19]
	v_fmac_f64_e32 v[12:13], v[16:17], v[10:11]
	v_add_f64 v[4:5], v[4:5], v[14:15]
	v_add_f64 v[2:3], v[2:3], v[12:13]
	s_andn2_b64 exec, exec, s[4:5]
	s_cbranch_execnz .LBB50_61
; %bb.62:
	s_or_b64 exec, exec, s[4:5]
	v_mov_b32_e32 v0, 0
	ds_read_b128 v[8:11], v0 offset:192
	s_waitcnt lgkmcnt(0)
	v_mul_f64 v[14:15], v[2:3], v[10:11]
	v_mul_f64 v[12:13], v[4:5], v[10:11]
	v_fma_f64 v[10:11], v[4:5], v[8:9], -v[14:15]
	v_fmac_f64_e32 v[12:13], v[2:3], v[8:9]
	scratch_store_dwordx4 off, v[10:13], off offset:208
.LBB50_63:
	s_or_b64 exec, exec, s[0:1]
	; wave barrier
	scratch_load_dwordx4 v[2:5], off, s40
	v_cmp_gt_u32_e32 vcc, 13, v244
	s_waitcnt vmcnt(0)
	ds_write_b128 v1, v[2:5]
	s_waitcnt lgkmcnt(0)
	; wave barrier
	s_and_saveexec_b64 s[0:1], vcc
	s_cbranch_execz .LBB50_67
; %bb.64:
	v_add_u32_e32 v7, -1, v244
	v_add_u32_e32 v8, 0x330, v42
	v_add_u32_e32 v9, 16, v42
	v_mov_b64_e32 v[2:3], 0
	s_mov_b64 s[4:5], 0
	v_mov_b64_e32 v[4:5], 0
.LBB50_65:                              ; =>This Inner Loop Header: Depth=1
	scratch_load_dwordx4 v[10:13], v9, off
	ds_read_b128 v[14:17], v8
	v_add_u32_e32 v7, 1, v7
	v_cmp_lt_u32_e32 vcc, 11, v7
	v_add_u32_e32 v8, 16, v8
	v_add_u32_e32 v9, 16, v9
	s_or_b64 s[4:5], vcc, s[4:5]
	s_waitcnt vmcnt(0) lgkmcnt(0)
	v_mul_f64 v[18:19], v[16:17], v[12:13]
	v_mul_f64 v[12:13], v[14:15], v[12:13]
	v_fma_f64 v[14:15], v[14:15], v[10:11], -v[18:19]
	v_fmac_f64_e32 v[12:13], v[16:17], v[10:11]
	v_add_f64 v[4:5], v[4:5], v[14:15]
	v_add_f64 v[2:3], v[2:3], v[12:13]
	s_andn2_b64 exec, exec, s[4:5]
	s_cbranch_execnz .LBB50_65
; %bb.66:
	s_or_b64 exec, exec, s[4:5]
	v_mov_b32_e32 v0, 0
	ds_read_b128 v[8:11], v0 offset:208
	s_waitcnt lgkmcnt(0)
	v_mul_f64 v[14:15], v[2:3], v[10:11]
	v_mul_f64 v[12:13], v[4:5], v[10:11]
	v_fma_f64 v[10:11], v[4:5], v[8:9], -v[14:15]
	v_fmac_f64_e32 v[12:13], v[2:3], v[8:9]
	scratch_store_dwordx4 off, v[10:13], off offset:224
.LBB50_67:
	s_or_b64 exec, exec, s[0:1]
	; wave barrier
	scratch_load_dwordx4 v[2:5], off, s41
	v_cmp_gt_u32_e32 vcc, 14, v244
	s_waitcnt vmcnt(0)
	ds_write_b128 v1, v[2:5]
	s_waitcnt lgkmcnt(0)
	; wave barrier
	s_and_saveexec_b64 s[0:1], vcc
	s_cbranch_execz .LBB50_71
; %bb.68:
	v_add_u32_e32 v7, -1, v244
	v_add_u32_e32 v8, 0x330, v42
	v_add_u32_e32 v9, 16, v42
	v_mov_b64_e32 v[2:3], 0
	s_mov_b64 s[4:5], 0
	v_mov_b64_e32 v[4:5], 0
.LBB50_69:                              ; =>This Inner Loop Header: Depth=1
	scratch_load_dwordx4 v[10:13], v9, off
	ds_read_b128 v[14:17], v8
	v_add_u32_e32 v7, 1, v7
	v_cmp_lt_u32_e32 vcc, 12, v7
	v_add_u32_e32 v8, 16, v8
	v_add_u32_e32 v9, 16, v9
	s_or_b64 s[4:5], vcc, s[4:5]
	s_waitcnt vmcnt(0) lgkmcnt(0)
	v_mul_f64 v[18:19], v[16:17], v[12:13]
	v_mul_f64 v[12:13], v[14:15], v[12:13]
	v_fma_f64 v[14:15], v[14:15], v[10:11], -v[18:19]
	v_fmac_f64_e32 v[12:13], v[16:17], v[10:11]
	v_add_f64 v[4:5], v[4:5], v[14:15]
	v_add_f64 v[2:3], v[2:3], v[12:13]
	s_andn2_b64 exec, exec, s[4:5]
	s_cbranch_execnz .LBB50_69
; %bb.70:
	s_or_b64 exec, exec, s[4:5]
	v_mov_b32_e32 v0, 0
	ds_read_b128 v[8:11], v0 offset:224
	s_waitcnt lgkmcnt(0)
	v_mul_f64 v[14:15], v[2:3], v[10:11]
	v_mul_f64 v[12:13], v[4:5], v[10:11]
	v_fma_f64 v[10:11], v[4:5], v[8:9], -v[14:15]
	v_fmac_f64_e32 v[12:13], v[2:3], v[8:9]
	scratch_store_dwordx4 off, v[10:13], off offset:240
.LBB50_71:
	s_or_b64 exec, exec, s[0:1]
	; wave barrier
	scratch_load_dwordx4 v[2:5], off, s42
	v_cmp_gt_u32_e32 vcc, 15, v244
	s_waitcnt vmcnt(0)
	ds_write_b128 v1, v[2:5]
	s_waitcnt lgkmcnt(0)
	; wave barrier
	s_and_saveexec_b64 s[0:1], vcc
	s_cbranch_execz .LBB50_75
; %bb.72:
	v_add_u32_e32 v7, -1, v244
	v_add_u32_e32 v8, 0x330, v42
	v_add_u32_e32 v9, 16, v42
	v_mov_b64_e32 v[2:3], 0
	s_mov_b64 s[4:5], 0
	v_mov_b64_e32 v[4:5], 0
.LBB50_73:                              ; =>This Inner Loop Header: Depth=1
	scratch_load_dwordx4 v[10:13], v9, off
	ds_read_b128 v[14:17], v8
	v_add_u32_e32 v7, 1, v7
	v_cmp_lt_u32_e32 vcc, 13, v7
	v_add_u32_e32 v8, 16, v8
	v_add_u32_e32 v9, 16, v9
	s_or_b64 s[4:5], vcc, s[4:5]
	s_waitcnt vmcnt(0) lgkmcnt(0)
	v_mul_f64 v[18:19], v[16:17], v[12:13]
	v_mul_f64 v[12:13], v[14:15], v[12:13]
	v_fma_f64 v[14:15], v[14:15], v[10:11], -v[18:19]
	v_fmac_f64_e32 v[12:13], v[16:17], v[10:11]
	v_add_f64 v[4:5], v[4:5], v[14:15]
	v_add_f64 v[2:3], v[2:3], v[12:13]
	s_andn2_b64 exec, exec, s[4:5]
	s_cbranch_execnz .LBB50_73
; %bb.74:
	s_or_b64 exec, exec, s[4:5]
	v_mov_b32_e32 v0, 0
	ds_read_b128 v[8:11], v0 offset:240
	s_waitcnt lgkmcnt(0)
	v_mul_f64 v[14:15], v[2:3], v[10:11]
	v_mul_f64 v[12:13], v[4:5], v[10:11]
	v_fma_f64 v[10:11], v[4:5], v[8:9], -v[14:15]
	v_fmac_f64_e32 v[12:13], v[2:3], v[8:9]
	scratch_store_dwordx4 off, v[10:13], off offset:256
.LBB50_75:
	s_or_b64 exec, exec, s[0:1]
	; wave barrier
	scratch_load_dwordx4 v[2:5], off, s43
	v_cmp_gt_u32_e32 vcc, 16, v244
	s_waitcnt vmcnt(0)
	ds_write_b128 v1, v[2:5]
	s_waitcnt lgkmcnt(0)
	; wave barrier
	s_and_saveexec_b64 s[0:1], vcc
	s_cbranch_execz .LBB50_79
; %bb.76:
	v_add_u32_e32 v7, -1, v244
	v_add_u32_e32 v8, 0x330, v42
	v_add_u32_e32 v9, 16, v42
	v_mov_b64_e32 v[2:3], 0
	s_mov_b64 s[4:5], 0
	v_mov_b64_e32 v[4:5], 0
.LBB50_77:                              ; =>This Inner Loop Header: Depth=1
	scratch_load_dwordx4 v[10:13], v9, off
	ds_read_b128 v[14:17], v8
	v_add_u32_e32 v7, 1, v7
	v_cmp_lt_u32_e32 vcc, 14, v7
	v_add_u32_e32 v8, 16, v8
	v_add_u32_e32 v9, 16, v9
	s_or_b64 s[4:5], vcc, s[4:5]
	s_waitcnt vmcnt(0) lgkmcnt(0)
	v_mul_f64 v[18:19], v[16:17], v[12:13]
	v_mul_f64 v[12:13], v[14:15], v[12:13]
	v_fma_f64 v[14:15], v[14:15], v[10:11], -v[18:19]
	v_fmac_f64_e32 v[12:13], v[16:17], v[10:11]
	v_add_f64 v[4:5], v[4:5], v[14:15]
	v_add_f64 v[2:3], v[2:3], v[12:13]
	s_andn2_b64 exec, exec, s[4:5]
	s_cbranch_execnz .LBB50_77
; %bb.78:
	s_or_b64 exec, exec, s[4:5]
	v_mov_b32_e32 v0, 0
	ds_read_b128 v[8:11], v0 offset:256
	s_waitcnt lgkmcnt(0)
	v_mul_f64 v[14:15], v[2:3], v[10:11]
	v_mul_f64 v[12:13], v[4:5], v[10:11]
	v_fma_f64 v[10:11], v[4:5], v[8:9], -v[14:15]
	v_fmac_f64_e32 v[12:13], v[2:3], v[8:9]
	scratch_store_dwordx4 off, v[10:13], off offset:272
.LBB50_79:
	s_or_b64 exec, exec, s[0:1]
	; wave barrier
	scratch_load_dwordx4 v[2:5], off, s44
	v_cmp_gt_u32_e32 vcc, 17, v244
	s_waitcnt vmcnt(0)
	ds_write_b128 v1, v[2:5]
	s_waitcnt lgkmcnt(0)
	; wave barrier
	s_and_saveexec_b64 s[0:1], vcc
	s_cbranch_execz .LBB50_83
; %bb.80:
	v_add_u32_e32 v7, -1, v244
	v_add_u32_e32 v8, 0x330, v42
	v_add_u32_e32 v9, 16, v42
	v_mov_b64_e32 v[2:3], 0
	s_mov_b64 s[4:5], 0
	v_mov_b64_e32 v[4:5], 0
.LBB50_81:                              ; =>This Inner Loop Header: Depth=1
	scratch_load_dwordx4 v[10:13], v9, off
	ds_read_b128 v[14:17], v8
	v_add_u32_e32 v7, 1, v7
	v_cmp_lt_u32_e32 vcc, 15, v7
	v_add_u32_e32 v8, 16, v8
	v_add_u32_e32 v9, 16, v9
	s_or_b64 s[4:5], vcc, s[4:5]
	s_waitcnt vmcnt(0) lgkmcnt(0)
	v_mul_f64 v[18:19], v[16:17], v[12:13]
	v_mul_f64 v[12:13], v[14:15], v[12:13]
	v_fma_f64 v[14:15], v[14:15], v[10:11], -v[18:19]
	v_fmac_f64_e32 v[12:13], v[16:17], v[10:11]
	v_add_f64 v[4:5], v[4:5], v[14:15]
	v_add_f64 v[2:3], v[2:3], v[12:13]
	s_andn2_b64 exec, exec, s[4:5]
	s_cbranch_execnz .LBB50_81
; %bb.82:
	s_or_b64 exec, exec, s[4:5]
	v_mov_b32_e32 v0, 0
	ds_read_b128 v[8:11], v0 offset:272
	s_waitcnt lgkmcnt(0)
	v_mul_f64 v[14:15], v[2:3], v[10:11]
	v_mul_f64 v[12:13], v[4:5], v[10:11]
	v_fma_f64 v[10:11], v[4:5], v[8:9], -v[14:15]
	v_fmac_f64_e32 v[12:13], v[2:3], v[8:9]
	scratch_store_dwordx4 off, v[10:13], off offset:288
.LBB50_83:
	s_or_b64 exec, exec, s[0:1]
	; wave barrier
	scratch_load_dwordx4 v[2:5], off, s45
	v_cmp_gt_u32_e32 vcc, 18, v244
	s_waitcnt vmcnt(0)
	ds_write_b128 v1, v[2:5]
	s_waitcnt lgkmcnt(0)
	; wave barrier
	s_and_saveexec_b64 s[0:1], vcc
	s_cbranch_execz .LBB50_87
; %bb.84:
	v_add_u32_e32 v7, -1, v244
	v_add_u32_e32 v8, 0x330, v42
	v_add_u32_e32 v9, 16, v42
	v_mov_b64_e32 v[2:3], 0
	s_mov_b64 s[4:5], 0
	v_mov_b64_e32 v[4:5], 0
.LBB50_85:                              ; =>This Inner Loop Header: Depth=1
	scratch_load_dwordx4 v[10:13], v9, off
	ds_read_b128 v[14:17], v8
	v_add_u32_e32 v7, 1, v7
	v_cmp_lt_u32_e32 vcc, 16, v7
	v_add_u32_e32 v8, 16, v8
	v_add_u32_e32 v9, 16, v9
	s_or_b64 s[4:5], vcc, s[4:5]
	s_waitcnt vmcnt(0) lgkmcnt(0)
	v_mul_f64 v[18:19], v[16:17], v[12:13]
	v_mul_f64 v[12:13], v[14:15], v[12:13]
	v_fma_f64 v[14:15], v[14:15], v[10:11], -v[18:19]
	v_fmac_f64_e32 v[12:13], v[16:17], v[10:11]
	v_add_f64 v[4:5], v[4:5], v[14:15]
	v_add_f64 v[2:3], v[2:3], v[12:13]
	s_andn2_b64 exec, exec, s[4:5]
	s_cbranch_execnz .LBB50_85
; %bb.86:
	s_or_b64 exec, exec, s[4:5]
	v_mov_b32_e32 v0, 0
	ds_read_b128 v[8:11], v0 offset:288
	s_waitcnt lgkmcnt(0)
	v_mul_f64 v[14:15], v[2:3], v[10:11]
	v_mul_f64 v[12:13], v[4:5], v[10:11]
	v_fma_f64 v[10:11], v[4:5], v[8:9], -v[14:15]
	v_fmac_f64_e32 v[12:13], v[2:3], v[8:9]
	scratch_store_dwordx4 off, v[10:13], off offset:304
.LBB50_87:
	s_or_b64 exec, exec, s[0:1]
	; wave barrier
	scratch_load_dwordx4 v[2:5], off, s46
	v_cmp_gt_u32_e32 vcc, 19, v244
	s_waitcnt vmcnt(0)
	ds_write_b128 v1, v[2:5]
	s_waitcnt lgkmcnt(0)
	; wave barrier
	s_and_saveexec_b64 s[0:1], vcc
	s_cbranch_execz .LBB50_91
; %bb.88:
	v_add_u32_e32 v7, -1, v244
	v_add_u32_e32 v8, 0x330, v42
	v_add_u32_e32 v9, 16, v42
	v_mov_b64_e32 v[2:3], 0
	s_mov_b64 s[4:5], 0
	v_mov_b64_e32 v[4:5], 0
.LBB50_89:                              ; =>This Inner Loop Header: Depth=1
	scratch_load_dwordx4 v[10:13], v9, off
	ds_read_b128 v[14:17], v8
	v_add_u32_e32 v7, 1, v7
	v_cmp_lt_u32_e32 vcc, 17, v7
	v_add_u32_e32 v8, 16, v8
	v_add_u32_e32 v9, 16, v9
	s_or_b64 s[4:5], vcc, s[4:5]
	s_waitcnt vmcnt(0) lgkmcnt(0)
	v_mul_f64 v[18:19], v[16:17], v[12:13]
	v_mul_f64 v[12:13], v[14:15], v[12:13]
	v_fma_f64 v[14:15], v[14:15], v[10:11], -v[18:19]
	v_fmac_f64_e32 v[12:13], v[16:17], v[10:11]
	v_add_f64 v[4:5], v[4:5], v[14:15]
	v_add_f64 v[2:3], v[2:3], v[12:13]
	s_andn2_b64 exec, exec, s[4:5]
	s_cbranch_execnz .LBB50_89
; %bb.90:
	s_or_b64 exec, exec, s[4:5]
	v_mov_b32_e32 v0, 0
	ds_read_b128 v[8:11], v0 offset:304
	s_waitcnt lgkmcnt(0)
	v_mul_f64 v[14:15], v[2:3], v[10:11]
	v_mul_f64 v[12:13], v[4:5], v[10:11]
	v_fma_f64 v[10:11], v[4:5], v[8:9], -v[14:15]
	v_fmac_f64_e32 v[12:13], v[2:3], v[8:9]
	scratch_store_dwordx4 off, v[10:13], off offset:320
.LBB50_91:
	s_or_b64 exec, exec, s[0:1]
	; wave barrier
	scratch_load_dwordx4 v[2:5], off, s47
	v_cmp_gt_u32_e32 vcc, 20, v244
	s_waitcnt vmcnt(0)
	ds_write_b128 v1, v[2:5]
	s_waitcnt lgkmcnt(0)
	; wave barrier
	s_and_saveexec_b64 s[0:1], vcc
	s_cbranch_execz .LBB50_95
; %bb.92:
	v_add_u32_e32 v7, -1, v244
	v_add_u32_e32 v8, 0x330, v42
	v_add_u32_e32 v9, 16, v42
	v_mov_b64_e32 v[2:3], 0
	s_mov_b64 s[4:5], 0
	v_mov_b64_e32 v[4:5], 0
.LBB50_93:                              ; =>This Inner Loop Header: Depth=1
	scratch_load_dwordx4 v[10:13], v9, off
	ds_read_b128 v[14:17], v8
	v_add_u32_e32 v7, 1, v7
	v_cmp_lt_u32_e32 vcc, 18, v7
	v_add_u32_e32 v8, 16, v8
	v_add_u32_e32 v9, 16, v9
	s_or_b64 s[4:5], vcc, s[4:5]
	s_waitcnt vmcnt(0) lgkmcnt(0)
	v_mul_f64 v[18:19], v[16:17], v[12:13]
	v_mul_f64 v[12:13], v[14:15], v[12:13]
	v_fma_f64 v[14:15], v[14:15], v[10:11], -v[18:19]
	v_fmac_f64_e32 v[12:13], v[16:17], v[10:11]
	v_add_f64 v[4:5], v[4:5], v[14:15]
	v_add_f64 v[2:3], v[2:3], v[12:13]
	s_andn2_b64 exec, exec, s[4:5]
	s_cbranch_execnz .LBB50_93
; %bb.94:
	s_or_b64 exec, exec, s[4:5]
	v_mov_b32_e32 v0, 0
	ds_read_b128 v[8:11], v0 offset:320
	s_waitcnt lgkmcnt(0)
	v_mul_f64 v[14:15], v[2:3], v[10:11]
	v_mul_f64 v[12:13], v[4:5], v[10:11]
	v_fma_f64 v[10:11], v[4:5], v[8:9], -v[14:15]
	v_fmac_f64_e32 v[12:13], v[2:3], v[8:9]
	scratch_store_dwordx4 off, v[10:13], off offset:336
.LBB50_95:
	s_or_b64 exec, exec, s[0:1]
	; wave barrier
	scratch_load_dwordx4 v[2:5], off, s48
	v_cmp_gt_u32_e32 vcc, 21, v244
	s_waitcnt vmcnt(0)
	ds_write_b128 v1, v[2:5]
	s_waitcnt lgkmcnt(0)
	; wave barrier
	s_and_saveexec_b64 s[0:1], vcc
	s_cbranch_execz .LBB50_99
; %bb.96:
	v_add_u32_e32 v7, -1, v244
	v_add_u32_e32 v8, 0x330, v42
	v_add_u32_e32 v9, 16, v42
	v_mov_b64_e32 v[2:3], 0
	s_mov_b64 s[4:5], 0
	v_mov_b64_e32 v[4:5], 0
.LBB50_97:                              ; =>This Inner Loop Header: Depth=1
	scratch_load_dwordx4 v[10:13], v9, off
	ds_read_b128 v[14:17], v8
	v_add_u32_e32 v7, 1, v7
	v_cmp_lt_u32_e32 vcc, 19, v7
	v_add_u32_e32 v8, 16, v8
	v_add_u32_e32 v9, 16, v9
	s_or_b64 s[4:5], vcc, s[4:5]
	s_waitcnt vmcnt(0) lgkmcnt(0)
	v_mul_f64 v[18:19], v[16:17], v[12:13]
	v_mul_f64 v[12:13], v[14:15], v[12:13]
	v_fma_f64 v[14:15], v[14:15], v[10:11], -v[18:19]
	v_fmac_f64_e32 v[12:13], v[16:17], v[10:11]
	v_add_f64 v[4:5], v[4:5], v[14:15]
	v_add_f64 v[2:3], v[2:3], v[12:13]
	s_andn2_b64 exec, exec, s[4:5]
	s_cbranch_execnz .LBB50_97
; %bb.98:
	s_or_b64 exec, exec, s[4:5]
	v_mov_b32_e32 v0, 0
	ds_read_b128 v[8:11], v0 offset:336
	s_waitcnt lgkmcnt(0)
	v_mul_f64 v[14:15], v[2:3], v[10:11]
	v_mul_f64 v[12:13], v[4:5], v[10:11]
	v_fma_f64 v[10:11], v[4:5], v[8:9], -v[14:15]
	v_fmac_f64_e32 v[12:13], v[2:3], v[8:9]
	scratch_store_dwordx4 off, v[10:13], off offset:352
.LBB50_99:
	s_or_b64 exec, exec, s[0:1]
	; wave barrier
	scratch_load_dwordx4 v[2:5], off, s49
	v_cmp_gt_u32_e32 vcc, 22, v244
	s_waitcnt vmcnt(0)
	ds_write_b128 v1, v[2:5]
	s_waitcnt lgkmcnt(0)
	; wave barrier
	s_and_saveexec_b64 s[0:1], vcc
	s_cbranch_execz .LBB50_103
; %bb.100:
	v_add_u32_e32 v7, -1, v244
	v_add_u32_e32 v8, 0x330, v42
	v_add_u32_e32 v9, 16, v42
	v_mov_b64_e32 v[2:3], 0
	s_mov_b64 s[4:5], 0
	v_mov_b64_e32 v[4:5], 0
.LBB50_101:                             ; =>This Inner Loop Header: Depth=1
	scratch_load_dwordx4 v[10:13], v9, off
	ds_read_b128 v[14:17], v8
	v_add_u32_e32 v7, 1, v7
	v_cmp_lt_u32_e32 vcc, 20, v7
	v_add_u32_e32 v8, 16, v8
	v_add_u32_e32 v9, 16, v9
	s_or_b64 s[4:5], vcc, s[4:5]
	s_waitcnt vmcnt(0) lgkmcnt(0)
	v_mul_f64 v[18:19], v[16:17], v[12:13]
	v_mul_f64 v[12:13], v[14:15], v[12:13]
	v_fma_f64 v[14:15], v[14:15], v[10:11], -v[18:19]
	v_fmac_f64_e32 v[12:13], v[16:17], v[10:11]
	v_add_f64 v[4:5], v[4:5], v[14:15]
	v_add_f64 v[2:3], v[2:3], v[12:13]
	s_andn2_b64 exec, exec, s[4:5]
	s_cbranch_execnz .LBB50_101
; %bb.102:
	s_or_b64 exec, exec, s[4:5]
	v_mov_b32_e32 v0, 0
	ds_read_b128 v[8:11], v0 offset:352
	s_waitcnt lgkmcnt(0)
	v_mul_f64 v[14:15], v[2:3], v[10:11]
	v_mul_f64 v[12:13], v[4:5], v[10:11]
	v_fma_f64 v[10:11], v[4:5], v[8:9], -v[14:15]
	v_fmac_f64_e32 v[12:13], v[2:3], v[8:9]
	scratch_store_dwordx4 off, v[10:13], off offset:368
.LBB50_103:
	s_or_b64 exec, exec, s[0:1]
	; wave barrier
	scratch_load_dwordx4 v[2:5], off, s50
	v_cmp_gt_u32_e32 vcc, 23, v244
	s_waitcnt vmcnt(0)
	ds_write_b128 v1, v[2:5]
	s_waitcnt lgkmcnt(0)
	; wave barrier
	s_and_saveexec_b64 s[0:1], vcc
	s_cbranch_execz .LBB50_107
; %bb.104:
	v_add_u32_e32 v7, -1, v244
	v_add_u32_e32 v8, 0x330, v42
	v_add_u32_e32 v9, 16, v42
	v_mov_b64_e32 v[2:3], 0
	s_mov_b64 s[4:5], 0
	v_mov_b64_e32 v[4:5], 0
.LBB50_105:                             ; =>This Inner Loop Header: Depth=1
	scratch_load_dwordx4 v[10:13], v9, off
	ds_read_b128 v[14:17], v8
	v_add_u32_e32 v7, 1, v7
	v_cmp_lt_u32_e32 vcc, 21, v7
	v_add_u32_e32 v8, 16, v8
	v_add_u32_e32 v9, 16, v9
	s_or_b64 s[4:5], vcc, s[4:5]
	s_waitcnt vmcnt(0) lgkmcnt(0)
	v_mul_f64 v[18:19], v[16:17], v[12:13]
	v_mul_f64 v[12:13], v[14:15], v[12:13]
	v_fma_f64 v[14:15], v[14:15], v[10:11], -v[18:19]
	v_fmac_f64_e32 v[12:13], v[16:17], v[10:11]
	v_add_f64 v[4:5], v[4:5], v[14:15]
	v_add_f64 v[2:3], v[2:3], v[12:13]
	s_andn2_b64 exec, exec, s[4:5]
	s_cbranch_execnz .LBB50_105
; %bb.106:
	s_or_b64 exec, exec, s[4:5]
	v_mov_b32_e32 v0, 0
	ds_read_b128 v[8:11], v0 offset:368
	s_waitcnt lgkmcnt(0)
	v_mul_f64 v[14:15], v[2:3], v[10:11]
	v_mul_f64 v[12:13], v[4:5], v[10:11]
	v_fma_f64 v[10:11], v[4:5], v[8:9], -v[14:15]
	v_fmac_f64_e32 v[12:13], v[2:3], v[8:9]
	scratch_store_dwordx4 off, v[10:13], off offset:384
.LBB50_107:
	s_or_b64 exec, exec, s[0:1]
	; wave barrier
	scratch_load_dwordx4 v[2:5], off, s51
	v_cmp_gt_u32_e32 vcc, 24, v244
	;; [unrolled: 45-line block ×27, first 2 shown]
	s_waitcnt vmcnt(0)
	ds_write_b128 v1, v[2:5]
	s_waitcnt lgkmcnt(0)
	; wave barrier
	s_and_saveexec_b64 s[0:1], vcc
	s_cbranch_execz .LBB50_211
; %bb.208:
	v_add_u32_e32 v7, -1, v244
	v_add_u32_e32 v8, 0x330, v42
	v_add_u32_e32 v9, 16, v42
	v_mov_b64_e32 v[2:3], 0
	s_mov_b64 s[4:5], 0
	v_mov_b64_e32 v[4:5], 0
.LBB50_209:                             ; =>This Inner Loop Header: Depth=1
	scratch_load_dwordx4 v[10:13], v9, off
	ds_read_b128 v[14:17], v8
	v_add_u32_e32 v7, 1, v7
	v_cmp_lt_u32_e32 vcc, 47, v7
	v_add_u32_e32 v8, 16, v8
	v_add_u32_e32 v9, 16, v9
	s_or_b64 s[4:5], vcc, s[4:5]
	s_waitcnt vmcnt(0) lgkmcnt(0)
	v_mul_f64 v[18:19], v[16:17], v[12:13]
	v_mul_f64 v[12:13], v[14:15], v[12:13]
	v_fma_f64 v[14:15], v[14:15], v[10:11], -v[18:19]
	v_fmac_f64_e32 v[12:13], v[16:17], v[10:11]
	v_add_f64 v[4:5], v[4:5], v[14:15]
	v_add_f64 v[2:3], v[2:3], v[12:13]
	s_andn2_b64 exec, exec, s[4:5]
	s_cbranch_execnz .LBB50_209
; %bb.210:
	s_or_b64 exec, exec, s[4:5]
	v_mov_b32_e32 v0, 0
	ds_read_b128 v[8:11], v0 offset:784
	s_waitcnt lgkmcnt(0)
	v_mul_f64 v[14:15], v[2:3], v[10:11]
	v_mul_f64 v[12:13], v[4:5], v[10:11]
	v_fma_f64 v[10:11], v[4:5], v[8:9], -v[14:15]
	v_fmac_f64_e32 v[12:13], v[2:3], v[8:9]
	scratch_store_dwordx4 off, v[10:13], off offset:800
.LBB50_211:
	s_or_b64 exec, exec, s[0:1]
	; wave barrier
	scratch_load_dwordx4 v[2:5], off, s13
	v_cmp_ne_u32_e32 vcc, 50, v244
	s_waitcnt vmcnt(0)
	ds_write_b128 v1, v[2:5]
	s_waitcnt lgkmcnt(0)
	; wave barrier
	s_and_saveexec_b64 s[0:1], vcc
	s_cbranch_execz .LBB50_215
; %bb.212:
	v_add_u32_e32 v1, 0x330, v42
	v_add_u32_e32 v7, 16, v42
	v_mov_b64_e32 v[2:3], 0
	s_mov_b64 s[4:5], 0
	v_mov_b64_e32 v[4:5], 0
.LBB50_213:                             ; =>This Inner Loop Header: Depth=1
	scratch_load_dwordx4 v[8:11], v7, off
	ds_read_b128 v[12:15], v1
	v_add_u32_e32 v6, 1, v6
	v_cmp_lt_u32_e32 vcc, 48, v6
	v_add_u32_e32 v1, 16, v1
	v_add_u32_e32 v7, 16, v7
	s_or_b64 s[4:5], vcc, s[4:5]
	s_waitcnt vmcnt(0) lgkmcnt(0)
	v_mul_f64 v[16:17], v[14:15], v[10:11]
	v_mul_f64 v[10:11], v[12:13], v[10:11]
	v_fma_f64 v[12:13], v[12:13], v[8:9], -v[16:17]
	v_fmac_f64_e32 v[10:11], v[14:15], v[8:9]
	v_add_f64 v[4:5], v[4:5], v[12:13]
	v_add_f64 v[2:3], v[2:3], v[10:11]
	s_andn2_b64 exec, exec, s[4:5]
	s_cbranch_execnz .LBB50_213
; %bb.214:
	s_or_b64 exec, exec, s[4:5]
	v_mov_b32_e32 v0, 0
	ds_read_b128 v[6:9], v0 offset:800
	s_waitcnt lgkmcnt(0)
	v_mul_f64 v[12:13], v[2:3], v[8:9]
	v_mul_f64 v[10:11], v[4:5], v[8:9]
	v_fma_f64 v[8:9], v[4:5], v[6:7], -v[12:13]
	v_fmac_f64_e32 v[10:11], v[2:3], v[6:7]
	scratch_store_dwordx4 off, v[8:11], off offset:816
.LBB50_215:
	s_or_b64 exec, exec, s[0:1]
	s_mov_b64 s[4:5], -1
	; wave barrier
.LBB50_216:
	s_and_b64 vcc, exec, s[4:5]
	s_cbranch_vccz .LBB50_218
; %bb.217:
	s_lshl_b64 s[0:1], s[2:3], 2
	s_add_u32 s0, s6, s0
	s_addc_u32 s1, s7, s1
	v_mov_b32_e32 v0, 0
	global_load_dword v0, v0, s[0:1]
	s_waitcnt vmcnt(0)
	v_cmp_ne_u32_e32 vcc, 0, v0
	s_cbranch_vccz .LBB50_219
.LBB50_218:
	s_endpgm
.LBB50_219:
	v_mov_b32_e32 v0, 0x330
	v_lshl_add_u32 v0, v244, 4, v0
	v_accvgpr_write_b32 a103, v0
	v_cmp_eq_u32_e32 vcc, 50, v244
	s_and_saveexec_b64 s[0:1], vcc
	s_cbranch_execz .LBB50_221
; %bb.220:
	scratch_load_dwordx4 v[2:5], off, s12
	v_mov_b32_e32 v6, 0
	v_mov_b32_e32 v7, v6
	;; [unrolled: 1-line block ×4, first 2 shown]
	v_accvgpr_read_b32 v0, a103
	scratch_store_dwordx4 off, v[6:9], off offset:800
	s_waitcnt vmcnt(1)
	ds_write_b128 v0, v[2:5]
.LBB50_221:
	s_or_b64 exec, exec, s[0:1]
	s_waitcnt lgkmcnt(0)
	; wave barrier
	scratch_load_dwordx4 v[4:7], off, off offset:816
	scratch_load_dwordx4 v[8:11], off, off offset:800
	v_mov_b32_e32 v2, 0
	ds_read_b128 v[12:15], v2 offset:1616
	v_cmp_lt_u32_e32 vcc, 48, v244
	s_waitcnt vmcnt(1) lgkmcnt(0)
	v_mul_f64 v[16:17], v[12:13], v[6:7]
	v_mul_f64 v[6:7], v[14:15], v[6:7]
	v_fmac_f64_e32 v[16:17], v[14:15], v[4:5]
	v_fma_f64 v[4:5], v[12:13], v[4:5], -v[6:7]
	v_add_f64 v[6:7], v[16:17], 0
	v_add_f64 v[4:5], v[4:5], 0
	s_waitcnt vmcnt(0)
	v_add_f64 v[4:5], v[8:9], -v[4:5]
	v_add_f64 v[6:7], v[10:11], -v[6:7]
	scratch_store_dwordx4 off, v[4:7], off offset:800
	s_and_saveexec_b64 s[0:1], vcc
	s_cbranch_execz .LBB50_223
; %bb.222:
	scratch_load_dwordx4 v[6:9], off, s15
	v_mov_b32_e32 v3, v2
	v_mov_b32_e32 v4, v2
	;; [unrolled: 1-line block ×3, first 2 shown]
	v_accvgpr_read_b32 v0, a103
	scratch_store_dwordx4 off, v[2:5], off offset:784
	s_waitcnt vmcnt(1)
	ds_write_b128 v0, v[6:9]
.LBB50_223:
	s_or_b64 exec, exec, s[0:1]
	s_waitcnt lgkmcnt(0)
	; wave barrier
	ds_read_b128 v[4:7], v2 offset:1600
	ds_read_b128 v[8:11], v2 offset:1616
	scratch_load_dwordx4 v[12:15], off, off offset:800
	scratch_load_dwordx4 v[16:19], off, off offset:816
	v_cmp_lt_u32_e32 vcc, 47, v244
	s_waitcnt vmcnt(1) lgkmcnt(1)
	v_mul_f64 v[2:3], v[4:5], v[14:15]
	v_fmac_f64_e32 v[2:3], v[6:7], v[12:13]
	s_waitcnt vmcnt(0) lgkmcnt(0)
	v_mul_f64 v[20:21], v[8:9], v[18:19]
	v_add_f64 v[2:3], v[2:3], 0
	v_fmac_f64_e32 v[20:21], v[10:11], v[16:17]
	v_add_f64 v[20:21], v[2:3], v[20:21]
	v_mul_f64 v[2:3], v[6:7], v[14:15]
	v_fma_f64 v[2:3], v[4:5], v[12:13], -v[2:3]
	v_mul_f64 v[4:5], v[10:11], v[18:19]
	v_add_f64 v[2:3], v[2:3], 0
	v_fma_f64 v[4:5], v[8:9], v[16:17], -v[4:5]
	v_add_f64 v[6:7], v[2:3], v[4:5]
	scratch_load_dwordx4 v[2:5], off, off offset:784
	s_waitcnt vmcnt(0)
	v_add_f64 v[2:3], v[2:3], -v[6:7]
	v_add_f64 v[4:5], v[4:5], -v[20:21]
	scratch_store_dwordx4 off, v[2:5], off offset:784
	s_and_saveexec_b64 s[0:1], vcc
	s_cbranch_execz .LBB50_225
; %bb.224:
	scratch_load_dwordx4 v[2:5], off, s14
	v_mov_b32_e32 v6, 0
	v_mov_b32_e32 v7, v6
	;; [unrolled: 1-line block ×4, first 2 shown]
	v_accvgpr_read_b32 v0, a103
	scratch_store_dwordx4 off, v[6:9], off offset:768
	s_waitcnt vmcnt(1)
	ds_write_b128 v0, v[2:5]
.LBB50_225:
	s_or_b64 exec, exec, s[0:1]
	s_waitcnt lgkmcnt(0)
	; wave barrier
	scratch_load_dwordx4 v[4:7], off, off offset:784
	scratch_load_dwordx4 v[8:11], off, off offset:800
	scratch_load_dwordx4 v[12:15], off, off offset:816
	scratch_load_dwordx4 v[16:19], off, off offset:768
	v_mov_b32_e32 v2, 0
	ds_read_b128 v[20:23], v2 offset:1584
	ds_read_b128 v[24:27], v2 offset:1600
	;; [unrolled: 1-line block ×3, first 2 shown]
	v_cmp_lt_u32_e32 vcc, 46, v244
	s_waitcnt vmcnt(3) lgkmcnt(2)
	v_mul_f64 v[32:33], v[20:21], v[6:7]
	v_mul_f64 v[6:7], v[22:23], v[6:7]
	s_waitcnt vmcnt(2) lgkmcnt(1)
	v_mul_f64 v[34:35], v[24:25], v[10:11]
	v_mul_f64 v[10:11], v[26:27], v[10:11]
	v_fmac_f64_e32 v[32:33], v[22:23], v[4:5]
	v_fma_f64 v[4:5], v[20:21], v[4:5], -v[6:7]
	s_waitcnt vmcnt(1) lgkmcnt(0)
	v_mul_f64 v[36:37], v[28:29], v[14:15]
	v_mul_f64 v[14:15], v[30:31], v[14:15]
	v_fmac_f64_e32 v[34:35], v[26:27], v[8:9]
	v_fma_f64 v[6:7], v[24:25], v[8:9], -v[10:11]
	v_add_f64 v[10:11], v[32:33], 0
	v_add_f64 v[4:5], v[4:5], 0
	v_fmac_f64_e32 v[36:37], v[30:31], v[12:13]
	v_fma_f64 v[8:9], v[28:29], v[12:13], -v[14:15]
	v_add_f64 v[10:11], v[10:11], v[34:35]
	v_add_f64 v[4:5], v[4:5], v[6:7]
	;; [unrolled: 1-line block ×4, first 2 shown]
	s_waitcnt vmcnt(0)
	v_add_f64 v[4:5], v[16:17], -v[4:5]
	v_add_f64 v[6:7], v[18:19], -v[6:7]
	scratch_store_dwordx4 off, v[4:7], off offset:768
	s_and_saveexec_b64 s[0:1], vcc
	s_cbranch_execz .LBB50_227
; %bb.226:
	scratch_load_dwordx4 v[6:9], off, s21
	v_mov_b32_e32 v3, v2
	v_mov_b32_e32 v4, v2
	;; [unrolled: 1-line block ×3, first 2 shown]
	v_accvgpr_read_b32 v0, a103
	scratch_store_dwordx4 off, v[2:5], off offset:752
	s_waitcnt vmcnt(1)
	ds_write_b128 v0, v[6:9]
.LBB50_227:
	s_or_b64 exec, exec, s[0:1]
	s_waitcnt lgkmcnt(0)
	; wave barrier
	scratch_load_dwordx4 v[4:7], off, off offset:768
	scratch_load_dwordx4 v[8:11], off, off offset:784
	;; [unrolled: 1-line block ×5, first 2 shown]
	ds_read_b128 v[24:27], v2 offset:1568
	ds_read_b128 v[28:31], v2 offset:1584
	;; [unrolled: 1-line block ×4, first 2 shown]
	v_cmp_lt_u32_e32 vcc, 45, v244
	s_waitcnt vmcnt(4) lgkmcnt(3)
	v_mul_f64 v[2:3], v[24:25], v[6:7]
	v_mul_f64 v[6:7], v[26:27], v[6:7]
	s_waitcnt vmcnt(3) lgkmcnt(2)
	v_mul_f64 v[40:41], v[28:29], v[10:11]
	v_mul_f64 v[10:11], v[30:31], v[10:11]
	v_fmac_f64_e32 v[2:3], v[26:27], v[4:5]
	v_fma_f64 v[4:5], v[24:25], v[4:5], -v[6:7]
	s_waitcnt vmcnt(2) lgkmcnt(1)
	v_mul_f64 v[42:43], v[32:33], v[14:15]
	v_mul_f64 v[14:15], v[34:35], v[14:15]
	v_fmac_f64_e32 v[40:41], v[30:31], v[8:9]
	v_fma_f64 v[6:7], v[28:29], v[8:9], -v[10:11]
	v_add_f64 v[2:3], v[2:3], 0
	v_add_f64 v[4:5], v[4:5], 0
	s_waitcnt vmcnt(1) lgkmcnt(0)
	v_mul_f64 v[44:45], v[36:37], v[18:19]
	v_mul_f64 v[18:19], v[38:39], v[18:19]
	v_fmac_f64_e32 v[42:43], v[34:35], v[12:13]
	v_fma_f64 v[8:9], v[32:33], v[12:13], -v[14:15]
	v_add_f64 v[2:3], v[2:3], v[40:41]
	v_add_f64 v[4:5], v[4:5], v[6:7]
	v_fmac_f64_e32 v[44:45], v[38:39], v[16:17]
	v_fma_f64 v[10:11], v[36:37], v[16:17], -v[18:19]
	v_add_f64 v[2:3], v[2:3], v[42:43]
	v_add_f64 v[4:5], v[4:5], v[8:9]
	;; [unrolled: 1-line block ×4, first 2 shown]
	s_waitcnt vmcnt(0)
	v_add_f64 v[2:3], v[20:21], -v[2:3]
	v_add_f64 v[4:5], v[22:23], -v[6:7]
	scratch_store_dwordx4 off, v[2:5], off offset:752
	s_and_saveexec_b64 s[0:1], vcc
	s_cbranch_execz .LBB50_229
; %bb.228:
	scratch_load_dwordx4 v[2:5], off, s20
	v_mov_b32_e32 v6, 0
	v_mov_b32_e32 v7, v6
	;; [unrolled: 1-line block ×4, first 2 shown]
	v_accvgpr_read_b32 v0, a103
	scratch_store_dwordx4 off, v[6:9], off offset:736
	s_waitcnt vmcnt(1)
	ds_write_b128 v0, v[2:5]
.LBB50_229:
	s_or_b64 exec, exec, s[0:1]
	s_waitcnt lgkmcnt(0)
	; wave barrier
	scratch_load_dwordx4 v[4:7], off, off offset:752
	scratch_load_dwordx4 v[8:11], off, off offset:768
	;; [unrolled: 1-line block ×6, first 2 shown]
	v_mov_b32_e32 v2, 0
	ds_read_b128 v[28:31], v2 offset:1552
	ds_read_b128 v[32:35], v2 offset:1568
	;; [unrolled: 1-line block ×5, first 2 shown]
	v_cmp_lt_u32_e32 vcc, 44, v244
	s_waitcnt vmcnt(5) lgkmcnt(4)
	v_mul_f64 v[48:49], v[28:29], v[6:7]
	v_mul_f64 v[6:7], v[30:31], v[6:7]
	s_waitcnt vmcnt(4) lgkmcnt(3)
	v_mul_f64 v[50:51], v[32:33], v[10:11]
	s_waitcnt vmcnt(3) lgkmcnt(2)
	v_mul_f64 v[52:53], v[36:37], v[14:15]
	v_mul_f64 v[10:11], v[34:35], v[10:11]
	;; [unrolled: 1-line block ×3, first 2 shown]
	v_fmac_f64_e32 v[48:49], v[30:31], v[4:5]
	v_fma_f64 v[4:5], v[28:29], v[4:5], -v[6:7]
	v_fmac_f64_e32 v[50:51], v[34:35], v[8:9]
	v_fma_f64 v[6:7], v[32:33], v[8:9], -v[10:11]
	v_fma_f64 v[8:9], v[36:37], v[12:13], -v[14:15]
	v_add_f64 v[14:15], v[48:49], 0
	v_add_f64 v[4:5], v[4:5], 0
	s_waitcnt vmcnt(2) lgkmcnt(1)
	v_mul_f64 v[54:55], v[40:41], v[18:19]
	v_mul_f64 v[18:19], v[42:43], v[18:19]
	v_fmac_f64_e32 v[52:53], v[38:39], v[12:13]
	v_add_f64 v[14:15], v[14:15], v[50:51]
	v_add_f64 v[4:5], v[4:5], v[6:7]
	s_waitcnt vmcnt(1) lgkmcnt(0)
	v_mul_f64 v[56:57], v[44:45], v[22:23]
	v_mul_f64 v[22:23], v[46:47], v[22:23]
	v_fmac_f64_e32 v[54:55], v[42:43], v[16:17]
	v_fma_f64 v[10:11], v[40:41], v[16:17], -v[18:19]
	v_add_f64 v[6:7], v[14:15], v[52:53]
	v_add_f64 v[4:5], v[4:5], v[8:9]
	v_fmac_f64_e32 v[56:57], v[46:47], v[20:21]
	v_fma_f64 v[12:13], v[44:45], v[20:21], -v[22:23]
	v_add_f64 v[6:7], v[6:7], v[54:55]
	v_add_f64 v[4:5], v[4:5], v[10:11]
	;; [unrolled: 1-line block ×4, first 2 shown]
	s_waitcnt vmcnt(0)
	v_add_f64 v[4:5], v[24:25], -v[4:5]
	v_add_f64 v[6:7], v[26:27], -v[6:7]
	scratch_store_dwordx4 off, v[4:7], off offset:736
	s_and_saveexec_b64 s[0:1], vcc
	s_cbranch_execz .LBB50_231
; %bb.230:
	scratch_load_dwordx4 v[6:9], off, s23
	v_mov_b32_e32 v3, v2
	v_mov_b32_e32 v4, v2
	;; [unrolled: 1-line block ×3, first 2 shown]
	v_accvgpr_read_b32 v0, a103
	scratch_store_dwordx4 off, v[2:5], off offset:720
	s_waitcnt vmcnt(1)
	ds_write_b128 v0, v[6:9]
.LBB50_231:
	s_or_b64 exec, exec, s[0:1]
	s_waitcnt lgkmcnt(0)
	; wave barrier
	ds_read_b128 v[4:7], v2 offset:1536
	ds_read_b128 v[8:11], v2 offset:1552
	;; [unrolled: 1-line block ×4, first 2 shown]
	scratch_load_dwordx4 v[20:23], off, off offset:736
	scratch_load_dwordx4 v[40:43], off, off offset:800
	v_cmp_lt_u32_e32 vcc, 43, v244
	scratch_load_dwordx4 v[48:51], off, off offset:816
	s_waitcnt vmcnt(2) lgkmcnt(3)
	v_mul_f64 v[24:25], v[4:5], v[22:23]
	v_fmac_f64_e32 v[24:25], v[6:7], v[20:21]
	v_add_f64 v[28:29], v[24:25], 0
	scratch_load_dwordx4 v[24:27], off, off offset:752
	s_waitcnt vmcnt(0) lgkmcnt(2)
	v_mul_f64 v[30:31], v[8:9], v[26:27]
	v_fmac_f64_e32 v[30:31], v[10:11], v[24:25]
	v_add_f64 v[32:33], v[28:29], v[30:31]
	;; [unrolled: 5-line block ×4, first 2 shown]
	ds_read_b128 v[36:39], v2 offset:1600
	s_waitcnt lgkmcnt(0)
	v_mul_f64 v[46:47], v[36:37], v[42:43]
	v_fmac_f64_e32 v[46:47], v[38:39], v[40:41]
	v_add_f64 v[52:53], v[44:45], v[46:47]
	ds_read_b128 v[44:47], v2 offset:1616
	s_waitcnt lgkmcnt(0)
	v_mul_f64 v[2:3], v[44:45], v[50:51]
	v_fmac_f64_e32 v[2:3], v[46:47], v[48:49]
	v_add_f64 v[52:53], v[52:53], v[2:3]
	v_mul_f64 v[2:3], v[6:7], v[22:23]
	v_fma_f64 v[2:3], v[4:5], v[20:21], -v[2:3]
	v_mul_f64 v[4:5], v[10:11], v[26:27]
	v_add_f64 v[2:3], v[2:3], 0
	v_fma_f64 v[4:5], v[8:9], v[24:25], -v[4:5]
	v_add_f64 v[2:3], v[2:3], v[4:5]
	v_mul_f64 v[4:5], v[14:15], v[30:31]
	v_fma_f64 v[4:5], v[12:13], v[28:29], -v[4:5]
	v_add_f64 v[2:3], v[2:3], v[4:5]
	v_mul_f64 v[4:5], v[18:19], v[34:35]
	;; [unrolled: 3-line block ×4, first 2 shown]
	v_fma_f64 v[4:5], v[44:45], v[48:49], -v[4:5]
	v_add_f64 v[6:7], v[2:3], v[4:5]
	scratch_load_dwordx4 v[2:5], off, off offset:720
	s_waitcnt vmcnt(0)
	v_add_f64 v[2:3], v[2:3], -v[6:7]
	v_add_f64 v[4:5], v[4:5], -v[52:53]
	scratch_store_dwordx4 off, v[2:5], off offset:720
	s_and_saveexec_b64 s[0:1], vcc
	s_cbranch_execz .LBB50_233
; %bb.232:
	scratch_load_dwordx4 v[2:5], off, s22
	v_mov_b32_e32 v6, 0
	v_mov_b32_e32 v7, v6
	;; [unrolled: 1-line block ×4, first 2 shown]
	v_accvgpr_read_b32 v0, a103
	scratch_store_dwordx4 off, v[6:9], off offset:704
	s_waitcnt vmcnt(1)
	ds_write_b128 v0, v[2:5]
.LBB50_233:
	s_or_b64 exec, exec, s[0:1]
	v_mov_b32_e32 v2, 0
	s_waitcnt lgkmcnt(0)
	; wave barrier
	ds_read_b128 v[4:7], v2 offset:1520
	ds_read_b128 v[8:11], v2 offset:1536
	ds_read_b128 v[12:15], v2 offset:1552
	ds_read_b128 v[16:19], v2 offset:1568
	scratch_load_dwordx4 v[20:23], off, off offset:720
	scratch_load_dwordx4 v[40:43], off, off offset:784
	v_cmp_lt_u32_e32 vcc, 42, v244
	scratch_load_dwordx4 v[48:51], off, off offset:800
	scratch_load_dwordx4 v[56:59], off, off offset:816
	s_waitcnt vmcnt(3) lgkmcnt(3)
	v_mul_f64 v[24:25], v[4:5], v[22:23]
	v_fmac_f64_e32 v[24:25], v[6:7], v[20:21]
	v_add_f64 v[28:29], v[24:25], 0
	scratch_load_dwordx4 v[24:27], off, off offset:736
	v_mul_f64 v[6:7], v[6:7], v[22:23]
	v_fma_f64 v[4:5], v[4:5], v[20:21], -v[6:7]
	v_add_f64 v[4:5], v[4:5], 0
	s_waitcnt vmcnt(0) lgkmcnt(2)
	v_mul_f64 v[30:31], v[8:9], v[26:27]
	v_fmac_f64_e32 v[30:31], v[10:11], v[24:25]
	v_add_f64 v[32:33], v[28:29], v[30:31]
	scratch_load_dwordx4 v[28:31], off, off offset:752
	v_mul_f64 v[6:7], v[10:11], v[26:27]
	v_fma_f64 v[6:7], v[8:9], v[24:25], -v[6:7]
	v_add_f64 v[4:5], v[4:5], v[6:7]
	;; [unrolled: 8-line block ×3, first 2 shown]
	s_waitcnt vmcnt(0) lgkmcnt(0)
	v_mul_f64 v[38:39], v[16:17], v[34:35]
	v_fmac_f64_e32 v[38:39], v[18:19], v[32:33]
	v_add_f64 v[44:45], v[36:37], v[38:39]
	ds_read_b128 v[36:39], v2 offset:1584
	v_mul_f64 v[6:7], v[18:19], v[34:35]
	v_fma_f64 v[6:7], v[16:17], v[32:33], -v[6:7]
	v_add_f64 v[4:5], v[4:5], v[6:7]
	s_waitcnt lgkmcnt(0)
	v_mul_f64 v[46:47], v[36:37], v[42:43]
	v_fmac_f64_e32 v[46:47], v[38:39], v[40:41]
	v_add_f64 v[52:53], v[44:45], v[46:47]
	ds_read_b128 v[44:47], v2 offset:1600
	v_mul_f64 v[6:7], v[38:39], v[42:43]
	v_fma_f64 v[6:7], v[36:37], v[40:41], -v[6:7]
	v_add_f64 v[4:5], v[4:5], v[6:7]
	s_waitcnt lgkmcnt(0)
	;; [unrolled: 8-line block ×3, first 2 shown]
	v_mul_f64 v[6:7], v[54:55], v[58:59]
	v_fma_f64 v[6:7], v[52:53], v[56:57], -v[6:7]
	v_add_f64 v[8:9], v[4:5], v[6:7]
	scratch_load_dwordx4 v[4:7], off, off offset:704
	v_mul_f64 v[62:63], v[52:53], v[58:59]
	v_fmac_f64_e32 v[62:63], v[54:55], v[56:57]
	v_add_f64 v[60:61], v[60:61], v[62:63]
	s_waitcnt vmcnt(0)
	v_add_f64 v[4:5], v[4:5], -v[8:9]
	v_add_f64 v[6:7], v[6:7], -v[60:61]
	scratch_store_dwordx4 off, v[4:7], off offset:704
	s_and_saveexec_b64 s[0:1], vcc
	s_cbranch_execz .LBB50_235
; %bb.234:
	scratch_load_dwordx4 v[6:9], off, s25
	v_mov_b32_e32 v3, v2
	v_mov_b32_e32 v4, v2
	;; [unrolled: 1-line block ×3, first 2 shown]
	v_accvgpr_read_b32 v0, a103
	scratch_store_dwordx4 off, v[2:5], off offset:688
	s_waitcnt vmcnt(1)
	ds_write_b128 v0, v[6:9]
.LBB50_235:
	s_or_b64 exec, exec, s[0:1]
	s_waitcnt lgkmcnt(0)
	; wave barrier
	scratch_load_dwordx4 v[4:7], off, off offset:704
	scratch_load_dwordx4 v[8:11], off, off offset:720
	;; [unrolled: 1-line block ×9, first 2 shown]
	ds_read_b128 v[40:43], v2 offset:1504
	ds_read_b128 v[44:47], v2 offset:1520
	ds_read_b128 v[48:51], v2 offset:1536
	ds_read_b128 v[52:55], v2 offset:1552
	ds_read_b128 v[56:59], v2 offset:1568
	ds_read_b128 v[60:63], v2 offset:1584
	ds_read_b128 v[64:67], v2 offset:1600
	ds_read_b128 v[68:71], v2 offset:1616
	v_cmp_lt_u32_e32 vcc, 41, v244
	s_waitcnt vmcnt(8) lgkmcnt(7)
	v_mul_f64 v[2:3], v[40:41], v[6:7]
	v_mul_f64 v[6:7], v[42:43], v[6:7]
	s_waitcnt vmcnt(7) lgkmcnt(6)
	v_mul_f64 v[72:73], v[44:45], v[10:11]
	v_mul_f64 v[10:11], v[46:47], v[10:11]
	v_fmac_f64_e32 v[2:3], v[42:43], v[4:5]
	v_fma_f64 v[4:5], v[40:41], v[4:5], -v[6:7]
	s_waitcnt vmcnt(6) lgkmcnt(5)
	v_mul_f64 v[74:75], v[48:49], v[14:15]
	v_mul_f64 v[14:15], v[50:51], v[14:15]
	v_fmac_f64_e32 v[72:73], v[46:47], v[8:9]
	v_fma_f64 v[6:7], v[44:45], v[8:9], -v[10:11]
	v_add_f64 v[2:3], v[2:3], 0
	v_add_f64 v[4:5], v[4:5], 0
	s_waitcnt vmcnt(5) lgkmcnt(4)
	v_mul_f64 v[76:77], v[52:53], v[18:19]
	v_mul_f64 v[18:19], v[54:55], v[18:19]
	v_fmac_f64_e32 v[74:75], v[50:51], v[12:13]
	v_fma_f64 v[8:9], v[48:49], v[12:13], -v[14:15]
	v_add_f64 v[2:3], v[2:3], v[72:73]
	v_add_f64 v[4:5], v[4:5], v[6:7]
	;; [unrolled: 7-line block ×6, first 2 shown]
	v_fmac_f64_e32 v[84:85], v[70:71], v[32:33]
	v_fma_f64 v[18:19], v[68:69], v[32:33], -v[34:35]
	v_add_f64 v[2:3], v[2:3], v[82:83]
	v_add_f64 v[4:5], v[4:5], v[16:17]
	;; [unrolled: 1-line block ×4, first 2 shown]
	s_waitcnt vmcnt(0)
	v_add_f64 v[2:3], v[36:37], -v[2:3]
	v_add_f64 v[4:5], v[38:39], -v[6:7]
	scratch_store_dwordx4 off, v[2:5], off offset:688
	s_and_saveexec_b64 s[0:1], vcc
	s_cbranch_execz .LBB50_237
; %bb.236:
	scratch_load_dwordx4 v[2:5], off, s24
	v_mov_b32_e32 v6, 0
	v_mov_b32_e32 v7, v6
	;; [unrolled: 1-line block ×4, first 2 shown]
	v_accvgpr_read_b32 v0, a103
	scratch_store_dwordx4 off, v[6:9], off offset:672
	s_waitcnt vmcnt(1)
	ds_write_b128 v0, v[2:5]
.LBB50_237:
	s_or_b64 exec, exec, s[0:1]
	s_waitcnt lgkmcnt(0)
	; wave barrier
	scratch_load_dwordx4 v[4:7], off, off offset:688
	scratch_load_dwordx4 v[8:11], off, off offset:704
	;; [unrolled: 1-line block ×10, first 2 shown]
	v_mov_b32_e32 v2, 0
	ds_read_b128 v[44:47], v2 offset:1488
	ds_read_b128 v[48:51], v2 offset:1504
	;; [unrolled: 1-line block ×9, first 2 shown]
	v_cmp_lt_u32_e32 vcc, 40, v244
	s_waitcnt vmcnt(9) lgkmcnt(8)
	v_mul_f64 v[80:81], v[44:45], v[6:7]
	v_mul_f64 v[6:7], v[46:47], v[6:7]
	s_waitcnt vmcnt(8) lgkmcnt(7)
	v_mul_f64 v[82:83], v[48:49], v[10:11]
	s_waitcnt vmcnt(7) lgkmcnt(6)
	;; [unrolled: 2-line block ×3, first 2 shown]
	v_mul_f64 v[88:89], v[60:61], v[22:23]
	v_mul_f64 v[10:11], v[50:51], v[10:11]
	v_mul_f64 v[14:15], v[54:55], v[14:15]
	v_mul_f64 v[22:23], v[62:63], v[22:23]
	v_fmac_f64_e32 v[80:81], v[46:47], v[4:5]
	v_fma_f64 v[4:5], v[44:45], v[4:5], -v[6:7]
	v_fmac_f64_e32 v[82:83], v[50:51], v[8:9]
	v_fmac_f64_e32 v[84:85], v[54:55], v[12:13]
	v_fma_f64 v[6:7], v[48:49], v[8:9], -v[10:11]
	v_fma_f64 v[8:9], v[52:53], v[12:13], -v[14:15]
	;; [unrolled: 1-line block ×3, first 2 shown]
	v_add_f64 v[22:23], v[80:81], 0
	v_add_f64 v[4:5], v[4:5], 0
	v_mul_f64 v[86:87], v[56:57], v[18:19]
	v_mul_f64 v[18:19], v[58:59], v[18:19]
	v_add_f64 v[22:23], v[22:23], v[82:83]
	v_add_f64 v[4:5], v[4:5], v[6:7]
	v_fmac_f64_e32 v[86:87], v[58:59], v[16:17]
	v_fma_f64 v[10:11], v[56:57], v[16:17], -v[18:19]
	v_add_f64 v[6:7], v[22:23], v[84:85]
	v_add_f64 v[4:5], v[4:5], v[8:9]
	s_waitcnt vmcnt(4) lgkmcnt(3)
	v_mul_f64 v[90:91], v[64:65], v[26:27]
	v_mul_f64 v[26:27], v[66:67], v[26:27]
	v_fmac_f64_e32 v[88:89], v[62:63], v[20:21]
	v_add_f64 v[6:7], v[6:7], v[86:87]
	v_add_f64 v[4:5], v[4:5], v[10:11]
	s_waitcnt vmcnt(3) lgkmcnt(2)
	v_mul_f64 v[92:93], v[68:69], v[30:31]
	v_mul_f64 v[30:31], v[70:71], v[30:31]
	v_fmac_f64_e32 v[90:91], v[66:67], v[24:25]
	v_fma_f64 v[14:15], v[64:65], v[24:25], -v[26:27]
	v_add_f64 v[6:7], v[6:7], v[88:89]
	v_add_f64 v[4:5], v[4:5], v[12:13]
	s_waitcnt vmcnt(2) lgkmcnt(1)
	v_mul_f64 v[94:95], v[72:73], v[34:35]
	v_mul_f64 v[34:35], v[74:75], v[34:35]
	v_fmac_f64_e32 v[92:93], v[70:71], v[28:29]
	v_fma_f64 v[16:17], v[68:69], v[28:29], -v[30:31]
	;; [unrolled: 7-line block ×3, first 2 shown]
	v_add_f64 v[6:7], v[6:7], v[92:93]
	v_add_f64 v[4:5], v[4:5], v[16:17]
	v_fmac_f64_e32 v[96:97], v[78:79], v[36:37]
	v_fma_f64 v[20:21], v[76:77], v[36:37], -v[38:39]
	v_add_f64 v[6:7], v[6:7], v[94:95]
	v_add_f64 v[4:5], v[4:5], v[18:19]
	;; [unrolled: 1-line block ×4, first 2 shown]
	s_waitcnt vmcnt(0)
	v_add_f64 v[4:5], v[40:41], -v[4:5]
	v_add_f64 v[6:7], v[42:43], -v[6:7]
	scratch_store_dwordx4 off, v[4:7], off offset:672
	s_and_saveexec_b64 s[0:1], vcc
	s_cbranch_execz .LBB50_239
; %bb.238:
	scratch_load_dwordx4 v[6:9], off, s28
	v_mov_b32_e32 v3, v2
	v_mov_b32_e32 v4, v2
	;; [unrolled: 1-line block ×3, first 2 shown]
	v_accvgpr_read_b32 v0, a103
	scratch_store_dwordx4 off, v[2:5], off offset:656
	s_waitcnt vmcnt(1)
	ds_write_b128 v0, v[6:9]
.LBB50_239:
	s_or_b64 exec, exec, s[0:1]
	s_waitcnt lgkmcnt(0)
	; wave barrier
	scratch_load_dwordx4 v[4:7], off, off offset:672
	scratch_load_dwordx4 v[8:11], off, off offset:688
	scratch_load_dwordx4 v[12:15], off, off offset:704
	scratch_load_dwordx4 v[16:19], off, off offset:720
	scratch_load_dwordx4 v[20:23], off, off offset:736
	scratch_load_dwordx4 v[24:27], off, off offset:752
	scratch_load_dwordx4 v[28:31], off, off offset:768
	scratch_load_dwordx4 v[32:35], off, off offset:784
	scratch_load_dwordx4 v[36:39], off, off offset:800
	scratch_load_dwordx4 v[40:43], off, off offset:816
	scratch_load_dwordx4 v[44:47], off, off offset:656
	ds_read_b128 v[48:51], v2 offset:1472
	ds_read_b128 v[52:55], v2 offset:1488
	;; [unrolled: 1-line block ×10, first 2 shown]
	v_cmp_lt_u32_e32 vcc, 39, v244
	s_waitcnt vmcnt(10) lgkmcnt(9)
	v_mul_f64 v[2:3], v[48:49], v[6:7]
	v_mul_f64 v[6:7], v[50:51], v[6:7]
	s_waitcnt vmcnt(9) lgkmcnt(8)
	v_mul_f64 v[88:89], v[52:53], v[10:11]
	v_mul_f64 v[10:11], v[54:55], v[10:11]
	v_fmac_f64_e32 v[2:3], v[50:51], v[4:5]
	v_fma_f64 v[4:5], v[48:49], v[4:5], -v[6:7]
	s_waitcnt vmcnt(8) lgkmcnt(7)
	v_mul_f64 v[90:91], v[56:57], v[14:15]
	v_mul_f64 v[14:15], v[58:59], v[14:15]
	v_fmac_f64_e32 v[88:89], v[54:55], v[8:9]
	v_fma_f64 v[6:7], v[52:53], v[8:9], -v[10:11]
	v_add_f64 v[2:3], v[2:3], 0
	v_add_f64 v[4:5], v[4:5], 0
	s_waitcnt vmcnt(7) lgkmcnt(6)
	v_mul_f64 v[92:93], v[60:61], v[18:19]
	v_mul_f64 v[18:19], v[62:63], v[18:19]
	v_fmac_f64_e32 v[90:91], v[58:59], v[12:13]
	v_fma_f64 v[8:9], v[56:57], v[12:13], -v[14:15]
	v_add_f64 v[2:3], v[2:3], v[88:89]
	v_add_f64 v[4:5], v[4:5], v[6:7]
	;; [unrolled: 7-line block ×8, first 2 shown]
	v_fmac_f64_e32 v[104:105], v[86:87], v[40:41]
	v_fma_f64 v[22:23], v[84:85], v[40:41], -v[42:43]
	v_add_f64 v[2:3], v[2:3], v[102:103]
	v_add_f64 v[4:5], v[4:5], v[20:21]
	v_add_f64 v[6:7], v[2:3], v[104:105]
	v_add_f64 v[2:3], v[4:5], v[22:23]
	s_waitcnt vmcnt(0)
	v_add_f64 v[2:3], v[44:45], -v[2:3]
	v_add_f64 v[4:5], v[46:47], -v[6:7]
	scratch_store_dwordx4 off, v[2:5], off offset:656
	s_and_saveexec_b64 s[0:1], vcc
	s_cbranch_execz .LBB50_241
; %bb.240:
	scratch_load_dwordx4 v[2:5], off, s27
	v_mov_b32_e32 v6, 0
	v_mov_b32_e32 v7, v6
	;; [unrolled: 1-line block ×4, first 2 shown]
	v_accvgpr_read_b32 v0, a103
	scratch_store_dwordx4 off, v[6:9], off offset:640
	s_waitcnt vmcnt(1)
	ds_write_b128 v0, v[2:5]
.LBB50_241:
	s_or_b64 exec, exec, s[0:1]
	s_waitcnt lgkmcnt(0)
	; wave barrier
	scratch_load_dwordx4 v[4:7], off, off offset:656
	scratch_load_dwordx4 v[8:11], off, off offset:672
	;; [unrolled: 1-line block ×12, first 2 shown]
	v_mov_b32_e32 v2, 0
	ds_read_b128 v[52:55], v2 offset:1456
	ds_read_b128 v[56:59], v2 offset:1472
	;; [unrolled: 1-line block ×11, first 2 shown]
	v_cmp_lt_u32_e32 vcc, 38, v244
	s_waitcnt vmcnt(11) lgkmcnt(10)
	v_mul_f64 v[96:97], v[52:53], v[6:7]
	v_mul_f64 v[6:7], v[54:55], v[6:7]
	s_waitcnt vmcnt(10) lgkmcnt(9)
	v_mul_f64 v[98:99], v[56:57], v[10:11]
	s_waitcnt vmcnt(9) lgkmcnt(8)
	v_mul_f64 v[100:101], v[60:61], v[14:15]
	v_mul_f64 v[10:11], v[58:59], v[10:11]
	s_waitcnt vmcnt(6) lgkmcnt(5)
	v_mul_f64 v[106:107], v[72:73], v[26:27]
	v_mul_f64 v[14:15], v[62:63], v[14:15]
	v_mul_f64 v[26:27], v[74:75], v[26:27]
	v_fmac_f64_e32 v[96:97], v[54:55], v[4:5]
	v_fma_f64 v[4:5], v[52:53], v[4:5], -v[6:7]
	v_fmac_f64_e32 v[98:99], v[58:59], v[8:9]
	v_fma_f64 v[6:7], v[56:57], v[8:9], -v[10:11]
	v_fma_f64 v[8:9], v[60:61], v[12:13], -v[14:15]
	;; [unrolled: 1-line block ×3, first 2 shown]
	v_add_f64 v[26:27], v[96:97], 0
	v_add_f64 v[4:5], v[4:5], 0
	v_mul_f64 v[102:103], v[64:65], v[18:19]
	v_mul_f64 v[18:19], v[66:67], v[18:19]
	v_fmac_f64_e32 v[100:101], v[62:63], v[12:13]
	v_add_f64 v[26:27], v[26:27], v[98:99]
	v_add_f64 v[4:5], v[4:5], v[6:7]
	v_mul_f64 v[104:105], v[68:69], v[22:23]
	v_mul_f64 v[22:23], v[70:71], v[22:23]
	v_fmac_f64_e32 v[102:103], v[66:67], v[16:17]
	v_fma_f64 v[10:11], v[64:65], v[16:17], -v[18:19]
	v_add_f64 v[6:7], v[26:27], v[100:101]
	v_add_f64 v[4:5], v[4:5], v[8:9]
	v_fmac_f64_e32 v[104:105], v[70:71], v[20:21]
	v_fma_f64 v[12:13], v[68:69], v[20:21], -v[22:23]
	v_add_f64 v[6:7], v[6:7], v[102:103]
	v_add_f64 v[4:5], v[4:5], v[10:11]
	s_waitcnt vmcnt(5) lgkmcnt(4)
	v_mul_f64 v[108:109], v[76:77], v[30:31]
	v_mul_f64 v[30:31], v[78:79], v[30:31]
	v_fmac_f64_e32 v[106:107], v[74:75], v[24:25]
	v_add_f64 v[6:7], v[6:7], v[104:105]
	v_add_f64 v[4:5], v[4:5], v[12:13]
	s_waitcnt vmcnt(4) lgkmcnt(3)
	v_mul_f64 v[110:111], v[80:81], v[34:35]
	v_mul_f64 v[34:35], v[82:83], v[34:35]
	v_fmac_f64_e32 v[108:109], v[78:79], v[28:29]
	v_fma_f64 v[16:17], v[76:77], v[28:29], -v[30:31]
	v_add_f64 v[6:7], v[6:7], v[106:107]
	v_add_f64 v[4:5], v[4:5], v[14:15]
	s_waitcnt vmcnt(3) lgkmcnt(2)
	v_mul_f64 v[112:113], v[84:85], v[38:39]
	v_mul_f64 v[38:39], v[86:87], v[38:39]
	v_fmac_f64_e32 v[110:111], v[82:83], v[32:33]
	v_fma_f64 v[18:19], v[80:81], v[32:33], -v[34:35]
	;; [unrolled: 7-line block ×4, first 2 shown]
	v_add_f64 v[6:7], v[6:7], v[112:113]
	v_add_f64 v[4:5], v[4:5], v[20:21]
	v_fmac_f64_e32 v[116:117], v[94:95], v[44:45]
	v_fma_f64 v[24:25], v[92:93], v[44:45], -v[46:47]
	v_add_f64 v[6:7], v[6:7], v[114:115]
	v_add_f64 v[4:5], v[4:5], v[22:23]
	v_add_f64 v[6:7], v[6:7], v[116:117]
	v_add_f64 v[4:5], v[4:5], v[24:25]
	s_waitcnt vmcnt(0)
	v_add_f64 v[4:5], v[48:49], -v[4:5]
	v_add_f64 v[6:7], v[50:51], -v[6:7]
	scratch_store_dwordx4 off, v[4:7], off offset:640
	s_and_saveexec_b64 s[0:1], vcc
	s_cbranch_execz .LBB50_243
; %bb.242:
	scratch_load_dwordx4 v[6:9], off, s31
	v_mov_b32_e32 v3, v2
	v_mov_b32_e32 v4, v2
	;; [unrolled: 1-line block ×3, first 2 shown]
	v_accvgpr_read_b32 v0, a103
	scratch_store_dwordx4 off, v[2:5], off offset:624
	s_waitcnt vmcnt(1)
	ds_write_b128 v0, v[6:9]
.LBB50_243:
	s_or_b64 exec, exec, s[0:1]
	s_waitcnt lgkmcnt(0)
	; wave barrier
	scratch_load_dwordx4 v[4:7], off, off offset:640
	scratch_load_dwordx4 v[8:11], off, off offset:656
	;; [unrolled: 1-line block ×12, first 2 shown]
	ds_read_b128 v[52:55], v2 offset:1440
	ds_read_b128 v[56:59], v2 offset:1456
	;; [unrolled: 1-line block ×4, first 2 shown]
	scratch_load_dwordx4 v[68:71], off, off offset:624
	ds_read_b128 v[72:75], v2 offset:1504
	ds_read_b128 v[76:79], v2 offset:1520
	;; [unrolled: 1-line block ×8, first 2 shown]
	v_cmp_lt_u32_e32 vcc, 37, v244
	s_waitcnt vmcnt(12) lgkmcnt(11)
	v_mul_f64 v[2:3], v[52:53], v[6:7]
	s_waitcnt vmcnt(11) lgkmcnt(10)
	v_mul_f64 v[104:105], v[56:57], v[10:11]
	v_fmac_f64_e32 v[2:3], v[54:55], v[4:5]
	s_waitcnt vmcnt(10) lgkmcnt(9)
	v_mul_f64 v[106:107], v[60:61], v[14:15]
	v_mul_f64 v[6:7], v[54:55], v[6:7]
	v_fmac_f64_e32 v[104:105], v[58:59], v[8:9]
	v_add_f64 v[2:3], v[2:3], 0
	s_waitcnt vmcnt(9) lgkmcnt(8)
	v_mul_f64 v[108:109], v[64:65], v[18:19]
	v_mul_f64 v[10:11], v[58:59], v[10:11]
	v_fmac_f64_e32 v[106:107], v[62:63], v[12:13]
	v_fma_f64 v[4:5], v[52:53], v[4:5], -v[6:7]
	v_add_f64 v[2:3], v[2:3], v[104:105]
	s_waitcnt vmcnt(8) lgkmcnt(7)
	v_mul_f64 v[110:111], v[72:73], v[22:23]
	v_mul_f64 v[14:15], v[62:63], v[14:15]
	v_fmac_f64_e32 v[108:109], v[66:67], v[16:17]
	v_fma_f64 v[6:7], v[56:57], v[8:9], -v[10:11]
	v_add_f64 v[4:5], v[4:5], 0
	v_add_f64 v[2:3], v[2:3], v[106:107]
	s_waitcnt vmcnt(7) lgkmcnt(6)
	v_mul_f64 v[112:113], v[76:77], v[26:27]
	v_mul_f64 v[18:19], v[66:67], v[18:19]
	v_fmac_f64_e32 v[110:111], v[74:75], v[20:21]
	v_fma_f64 v[8:9], v[60:61], v[12:13], -v[14:15]
	v_add_f64 v[4:5], v[4:5], v[6:7]
	;; [unrolled: 7-line block ×8, first 2 shown]
	v_add_f64 v[2:3], v[2:3], v[120:121]
	v_mul_f64 v[46:47], v[98:99], v[46:47]
	v_fmac_f64_e32 v[124:125], v[102:103], v[48:49]
	v_fma_f64 v[22:23], v[92:93], v[40:41], -v[42:43]
	v_add_f64 v[4:5], v[4:5], v[20:21]
	v_add_f64 v[2:3], v[2:3], v[122:123]
	;; [unrolled: 1-line block ×4, first 2 shown]
	v_fma_f64 v[2:3], v[96:97], v[44:45], -v[46:47]
	v_add_f64 v[2:3], v[4:5], v[2:3]
	v_mul_f64 v[4:5], v[102:103], v[50:51]
	v_fma_f64 v[4:5], v[100:101], v[48:49], -v[4:5]
	v_add_f64 v[2:3], v[2:3], v[4:5]
	s_waitcnt vmcnt(0)
	v_add_f64 v[2:3], v[68:69], -v[2:3]
	v_add_f64 v[4:5], v[70:71], -v[6:7]
	scratch_store_dwordx4 off, v[2:5], off offset:624
	s_and_saveexec_b64 s[0:1], vcc
	s_cbranch_execz .LBB50_245
; %bb.244:
	scratch_load_dwordx4 v[2:5], off, s30
	v_mov_b32_e32 v6, 0
	v_mov_b32_e32 v7, v6
	;; [unrolled: 1-line block ×4, first 2 shown]
	v_accvgpr_read_b32 v0, a103
	scratch_store_dwordx4 off, v[6:9], off offset:608
	s_waitcnt vmcnt(1)
	ds_write_b128 v0, v[2:5]
.LBB50_245:
	s_or_b64 exec, exec, s[0:1]
	s_waitcnt lgkmcnt(0)
	; wave barrier
	scratch_load_dwordx4 v[4:7], off, off offset:624
	scratch_load_dwordx4 v[8:11], off, off offset:640
	;; [unrolled: 1-line block ×14, first 2 shown]
	v_mov_b32_e32 v2, 0
	ds_read_b128 v[60:63], v2 offset:1424
	ds_read_b128 v[64:67], v2 offset:1440
	;; [unrolled: 1-line block ×13, first 2 shown]
	v_cmp_lt_u32_e32 vcc, 36, v244
	s_waitcnt vmcnt(13) lgkmcnt(12)
	v_mul_f64 v[112:113], v[60:61], v[6:7]
	v_mul_f64 v[6:7], v[62:63], v[6:7]
	s_waitcnt vmcnt(12) lgkmcnt(11)
	v_mul_f64 v[114:115], v[64:65], v[10:11]
	v_mul_f64 v[10:11], v[66:67], v[10:11]
	v_fmac_f64_e32 v[112:113], v[62:63], v[4:5]
	v_fma_f64 v[4:5], v[60:61], v[4:5], -v[6:7]
	s_waitcnt vmcnt(11) lgkmcnt(10)
	v_mul_f64 v[116:117], v[68:69], v[14:15]
	v_mul_f64 v[14:15], v[70:71], v[14:15]
	v_fma_f64 v[6:7], v[64:65], v[8:9], -v[10:11]
	v_add_f64 v[4:5], v[4:5], 0
	s_waitcnt vmcnt(10) lgkmcnt(9)
	v_mul_f64 v[118:119], v[72:73], v[18:19]
	v_mul_f64 v[18:19], v[74:75], v[18:19]
	v_fmac_f64_e32 v[114:115], v[66:67], v[8:9]
	v_fma_f64 v[8:9], v[68:69], v[12:13], -v[14:15]
	v_add_f64 v[4:5], v[4:5], v[6:7]
	s_waitcnt vmcnt(9) lgkmcnt(8)
	v_mul_f64 v[120:121], v[76:77], v[22:23]
	v_mul_f64 v[22:23], v[78:79], v[22:23]
	v_fma_f64 v[10:11], v[72:73], v[16:17], -v[18:19]
	v_add_f64 v[4:5], v[4:5], v[8:9]
	s_waitcnt vmcnt(8) lgkmcnt(7)
	v_mul_f64 v[122:123], v[80:81], v[26:27]
	v_mul_f64 v[26:27], v[82:83], v[26:27]
	v_fmac_f64_e32 v[116:117], v[70:71], v[12:13]
	v_fma_f64 v[12:13], v[76:77], v[20:21], -v[22:23]
	v_add_f64 v[22:23], v[112:113], 0
	v_add_f64 v[4:5], v[4:5], v[10:11]
	s_waitcnt vmcnt(7) lgkmcnt(6)
	v_mul_f64 v[124:125], v[84:85], v[30:31]
	v_mul_f64 v[30:31], v[86:87], v[30:31]
	v_fma_f64 v[14:15], v[80:81], v[24:25], -v[26:27]
	v_add_f64 v[22:23], v[22:23], v[114:115]
	v_add_f64 v[4:5], v[4:5], v[12:13]
	s_waitcnt vmcnt(6) lgkmcnt(5)
	v_mul_f64 v[126:127], v[88:89], v[34:35]
	v_mul_f64 v[34:35], v[90:91], v[34:35]
	v_fmac_f64_e32 v[118:119], v[74:75], v[16:17]
	v_fma_f64 v[16:17], v[84:85], v[28:29], -v[30:31]
	v_add_f64 v[6:7], v[22:23], v[116:117]
	v_add_f64 v[4:5], v[4:5], v[14:15]
	s_waitcnt vmcnt(5) lgkmcnt(4)
	v_mul_f64 v[128:129], v[92:93], v[38:39]
	v_mul_f64 v[38:39], v[94:95], v[38:39]
	v_fmac_f64_e32 v[120:121], v[78:79], v[20:21]
	v_fma_f64 v[18:19], v[88:89], v[32:33], -v[34:35]
	v_add_f64 v[6:7], v[6:7], v[118:119]
	v_add_f64 v[4:5], v[4:5], v[16:17]
	v_fmac_f64_e32 v[122:123], v[82:83], v[24:25]
	v_fma_f64 v[20:21], v[92:93], v[36:37], -v[38:39]
	v_add_f64 v[6:7], v[6:7], v[120:121]
	v_add_f64 v[4:5], v[4:5], v[18:19]
	s_waitcnt vmcnt(4) lgkmcnt(3)
	v_mul_f64 v[8:9], v[98:99], v[42:43]
	v_fmac_f64_e32 v[124:125], v[86:87], v[28:29]
	v_add_f64 v[6:7], v[6:7], v[122:123]
	v_add_f64 v[4:5], v[4:5], v[20:21]
	v_fma_f64 v[8:9], v[96:97], v[40:41], -v[8:9]
	v_fmac_f64_e32 v[126:127], v[90:91], v[32:33]
	v_add_f64 v[6:7], v[6:7], v[124:125]
	v_add_f64 v[4:5], v[4:5], v[8:9]
	s_waitcnt vmcnt(3) lgkmcnt(2)
	v_mul_f64 v[8:9], v[102:103], v[46:47]
	v_mul_f64 v[130:131], v[96:97], v[42:43]
	v_fmac_f64_e32 v[128:129], v[94:95], v[36:37]
	v_add_f64 v[6:7], v[6:7], v[126:127]
	v_fma_f64 v[8:9], v[100:101], v[44:45], -v[8:9]
	v_mul_f64 v[132:133], v[100:101], v[46:47]
	v_fmac_f64_e32 v[130:131], v[98:99], v[40:41]
	v_add_f64 v[6:7], v[6:7], v[128:129]
	v_add_f64 v[4:5], v[4:5], v[8:9]
	s_waitcnt vmcnt(2) lgkmcnt(1)
	v_mul_f64 v[8:9], v[106:107], v[50:51]
	v_mul_f64 v[134:135], v[104:105], v[50:51]
	v_fmac_f64_e32 v[132:133], v[102:103], v[44:45]
	v_add_f64 v[6:7], v[6:7], v[130:131]
	v_fma_f64 v[8:9], v[104:105], v[48:49], -v[8:9]
	s_waitcnt vmcnt(1) lgkmcnt(0)
	v_mul_f64 v[136:137], v[108:109], v[54:55]
	v_fmac_f64_e32 v[134:135], v[106:107], v[48:49]
	v_add_f64 v[6:7], v[6:7], v[132:133]
	v_add_f64 v[4:5], v[4:5], v[8:9]
	v_mul_f64 v[8:9], v[110:111], v[54:55]
	v_fmac_f64_e32 v[136:137], v[110:111], v[52:53]
	v_add_f64 v[6:7], v[6:7], v[134:135]
	v_fma_f64 v[8:9], v[108:109], v[52:53], -v[8:9]
	v_add_f64 v[6:7], v[6:7], v[136:137]
	v_add_f64 v[4:5], v[4:5], v[8:9]
	s_waitcnt vmcnt(0)
	v_add_f64 v[4:5], v[56:57], -v[4:5]
	v_add_f64 v[6:7], v[58:59], -v[6:7]
	scratch_store_dwordx4 off, v[4:7], off offset:608
	s_and_saveexec_b64 s[0:1], vcc
	s_cbranch_execz .LBB50_247
; %bb.246:
	scratch_load_dwordx4 v[6:9], off, s63
	v_mov_b32_e32 v3, v2
	v_mov_b32_e32 v4, v2
	;; [unrolled: 1-line block ×3, first 2 shown]
	v_accvgpr_read_b32 v0, a103
	scratch_store_dwordx4 off, v[2:5], off offset:592
	s_waitcnt vmcnt(1)
	ds_write_b128 v0, v[6:9]
.LBB50_247:
	s_or_b64 exec, exec, s[0:1]
	s_waitcnt lgkmcnt(0)
	; wave barrier
	scratch_load_dwordx4 v[4:7], off, off offset:608
	scratch_load_dwordx4 v[8:11], off, off offset:624
	;; [unrolled: 1-line block ×14, first 2 shown]
	ds_read_b128 v[60:63], v2 offset:1408
	ds_read_b128 v[64:67], v2 offset:1424
	;; [unrolled: 1-line block ×14, first 2 shown]
	scratch_load_dwordx4 v[116:119], off, off offset:592
	v_cmp_lt_u32_e32 vcc, 35, v244
	s_waitcnt vmcnt(14) lgkmcnt(13)
	v_mul_f64 v[2:3], v[60:61], v[6:7]
	s_waitcnt vmcnt(13) lgkmcnt(12)
	v_mul_f64 v[120:121], v[64:65], v[10:11]
	v_fmac_f64_e32 v[2:3], v[62:63], v[4:5]
	s_waitcnt vmcnt(12) lgkmcnt(11)
	v_mul_f64 v[122:123], v[68:69], v[14:15]
	v_fmac_f64_e32 v[120:121], v[66:67], v[8:9]
	v_add_f64 v[2:3], v[2:3], 0
	s_waitcnt vmcnt(11) lgkmcnt(10)
	v_mul_f64 v[124:125], v[72:73], v[18:19]
	v_fmac_f64_e32 v[122:123], v[70:71], v[12:13]
	v_add_f64 v[2:3], v[2:3], v[120:121]
	;; [unrolled: 4-line block ×4, first 2 shown]
	s_waitcnt vmcnt(8) lgkmcnt(7)
	v_mul_f64 v[130:131], v[84:85], v[30:31]
	v_mul_f64 v[6:7], v[62:63], v[6:7]
	v_fmac_f64_e32 v[128:129], v[82:83], v[24:25]
	v_add_f64 v[2:3], v[2:3], v[126:127]
	s_waitcnt vmcnt(7) lgkmcnt(6)
	v_mul_f64 v[132:133], v[88:89], v[34:35]
	v_mul_f64 v[10:11], v[66:67], v[10:11]
	v_fmac_f64_e32 v[130:131], v[86:87], v[28:29]
	v_fma_f64 v[4:5], v[60:61], v[4:5], -v[6:7]
	v_add_f64 v[2:3], v[2:3], v[128:129]
	s_waitcnt vmcnt(6) lgkmcnt(5)
	v_mul_f64 v[134:135], v[92:93], v[38:39]
	v_mul_f64 v[14:15], v[70:71], v[14:15]
	v_fmac_f64_e32 v[132:133], v[90:91], v[32:33]
	v_fma_f64 v[6:7], v[64:65], v[8:9], -v[10:11]
	v_add_f64 v[4:5], v[4:5], 0
	v_add_f64 v[2:3], v[2:3], v[130:131]
	s_waitcnt vmcnt(5) lgkmcnt(4)
	v_mul_f64 v[136:137], v[96:97], v[42:43]
	v_mul_f64 v[18:19], v[74:75], v[18:19]
	v_fmac_f64_e32 v[134:135], v[94:95], v[36:37]
	v_fma_f64 v[8:9], v[68:69], v[12:13], -v[14:15]
	v_add_f64 v[4:5], v[4:5], v[6:7]
	v_add_f64 v[2:3], v[2:3], v[132:133]
	s_waitcnt vmcnt(4) lgkmcnt(3)
	v_mul_f64 v[138:139], v[100:101], v[46:47]
	v_mul_f64 v[22:23], v[78:79], v[22:23]
	v_fmac_f64_e32 v[136:137], v[98:99], v[40:41]
	v_fma_f64 v[10:11], v[72:73], v[16:17], -v[18:19]
	v_add_f64 v[4:5], v[4:5], v[8:9]
	v_add_f64 v[2:3], v[2:3], v[134:135]
	s_waitcnt vmcnt(3) lgkmcnt(2)
	v_mul_f64 v[140:141], v[104:105], v[50:51]
	v_mul_f64 v[26:27], v[82:83], v[26:27]
	v_fmac_f64_e32 v[138:139], v[102:103], v[44:45]
	v_fma_f64 v[12:13], v[76:77], v[20:21], -v[22:23]
	v_add_f64 v[4:5], v[4:5], v[10:11]
	v_add_f64 v[2:3], v[2:3], v[136:137]
	s_waitcnt vmcnt(2) lgkmcnt(1)
	v_mul_f64 v[142:143], v[108:109], v[54:55]
	v_mul_f64 v[30:31], v[86:87], v[30:31]
	v_fmac_f64_e32 v[140:141], v[106:107], v[48:49]
	v_fma_f64 v[14:15], v[80:81], v[24:25], -v[26:27]
	v_add_f64 v[4:5], v[4:5], v[12:13]
	v_add_f64 v[2:3], v[2:3], v[138:139]
	s_waitcnt vmcnt(1) lgkmcnt(0)
	v_mul_f64 v[144:145], v[112:113], v[58:59]
	v_mul_f64 v[34:35], v[90:91], v[34:35]
	v_fmac_f64_e32 v[142:143], v[110:111], v[52:53]
	v_fma_f64 v[16:17], v[84:85], v[28:29], -v[30:31]
	v_add_f64 v[4:5], v[4:5], v[14:15]
	v_add_f64 v[2:3], v[2:3], v[140:141]
	v_fmac_f64_e32 v[144:145], v[114:115], v[56:57]
	v_fma_f64 v[18:19], v[88:89], v[32:33], -v[34:35]
	v_add_f64 v[4:5], v[4:5], v[16:17]
	v_add_f64 v[2:3], v[2:3], v[142:143]
	v_add_f64 v[6:7], v[2:3], v[144:145]
	v_add_f64 v[2:3], v[4:5], v[18:19]
	v_mul_f64 v[4:5], v[94:95], v[38:39]
	v_fma_f64 v[4:5], v[92:93], v[36:37], -v[4:5]
	v_add_f64 v[2:3], v[2:3], v[4:5]
	v_mul_f64 v[4:5], v[98:99], v[42:43]
	v_fma_f64 v[4:5], v[96:97], v[40:41], -v[4:5]
	v_add_f64 v[2:3], v[2:3], v[4:5]
	v_mul_f64 v[4:5], v[102:103], v[46:47]
	v_fma_f64 v[4:5], v[100:101], v[44:45], -v[4:5]
	v_add_f64 v[2:3], v[2:3], v[4:5]
	v_mul_f64 v[4:5], v[106:107], v[50:51]
	v_fma_f64 v[4:5], v[104:105], v[48:49], -v[4:5]
	v_add_f64 v[2:3], v[2:3], v[4:5]
	v_mul_f64 v[4:5], v[110:111], v[54:55]
	v_fma_f64 v[4:5], v[108:109], v[52:53], -v[4:5]
	v_add_f64 v[2:3], v[2:3], v[4:5]
	v_mul_f64 v[4:5], v[114:115], v[58:59]
	v_fma_f64 v[4:5], v[112:113], v[56:57], -v[4:5]
	v_add_f64 v[2:3], v[2:3], v[4:5]
	s_waitcnt vmcnt(0)
	v_add_f64 v[2:3], v[116:117], -v[2:3]
	v_add_f64 v[4:5], v[118:119], -v[6:7]
	scratch_store_dwordx4 off, v[2:5], off offset:592
	s_and_saveexec_b64 s[0:1], vcc
	s_cbranch_execz .LBB50_249
; %bb.248:
	scratch_load_dwordx4 v[2:5], off, s62
	v_mov_b32_e32 v6, 0
	v_mov_b32_e32 v7, v6
	;; [unrolled: 1-line block ×4, first 2 shown]
	v_accvgpr_read_b32 v0, a103
	scratch_store_dwordx4 off, v[6:9], off offset:576
	s_waitcnt vmcnt(1)
	ds_write_b128 v0, v[2:5]
.LBB50_249:
	s_or_b64 exec, exec, s[0:1]
	v_mov_b32_e32 v2, 0
	s_waitcnt lgkmcnt(0)
	; wave barrier
	ds_read_b128 v[16:19], v2 offset:1392
	ds_read_b128 v[12:15], v2 offset:1408
	;; [unrolled: 1-line block ×4, first 2 shown]
	scratch_load_dwordx4 v[20:23], off, off offset:592
	scratch_load_dwordx4 v[40:43], off, off offset:656
	;; [unrolled: 1-line block ×9, first 2 shown]
	v_cmp_lt_u32_e32 vcc, 34, v244
	scratch_load_dwordx4 v[50:53], off, off offset:672
	scratch_load_dwordx4 v[58:61], off, off offset:688
	;; [unrolled: 1-line block ×3, first 2 shown]
	s_waitcnt vmcnt(11) lgkmcnt(3)
	v_mul_f64 v[24:25], v[16:17], v[22:23]
	v_fmac_f64_e32 v[24:25], v[18:19], v[20:21]
	v_add_f64 v[28:29], v[24:25], 0
	scratch_load_dwordx4 v[24:27], off, off offset:608
	v_mul_f64 v[18:19], v[18:19], v[22:23]
	v_fma_f64 v[16:17], v[16:17], v[20:21], -v[18:19]
	v_add_f64 v[16:17], v[16:17], 0
	s_waitcnt vmcnt(0) lgkmcnt(2)
	v_mul_f64 v[30:31], v[12:13], v[26:27]
	v_fmac_f64_e32 v[30:31], v[14:15], v[24:25]
	v_add_f64 v[32:33], v[28:29], v[30:31]
	scratch_load_dwordx4 v[28:31], off, off offset:624
	v_mul_f64 v[14:15], v[14:15], v[26:27]
	v_fma_f64 v[12:13], v[12:13], v[24:25], -v[14:15]
	v_add_f64 v[12:13], v[16:17], v[12:13]
	;; [unrolled: 8-line block ×3, first 2 shown]
	s_waitcnt vmcnt(0) lgkmcnt(0)
	v_mul_f64 v[38:39], v[4:5], v[34:35]
	v_fmac_f64_e32 v[38:39], v[6:7], v[32:33]
	v_add_f64 v[44:45], v[36:37], v[38:39]
	ds_read_b128 v[36:39], v2 offset:1456
	v_mul_f64 v[6:7], v[6:7], v[34:35]
	v_fma_f64 v[4:5], v[4:5], v[32:33], -v[6:7]
	v_add_f64 v[4:5], v[8:9], v[4:5]
	s_waitcnt lgkmcnt(0)
	v_mul_f64 v[46:47], v[36:37], v[42:43]
	v_fmac_f64_e32 v[46:47], v[38:39], v[40:41]
	v_add_f64 v[48:49], v[44:45], v[46:47]
	ds_read_b128 v[44:47], v2 offset:1472
	v_mul_f64 v[6:7], v[38:39], v[42:43]
	v_fma_f64 v[6:7], v[36:37], v[40:41], -v[6:7]
	v_add_f64 v[4:5], v[4:5], v[6:7]
	s_waitcnt lgkmcnt(0)
	;; [unrolled: 8-line block ×11, first 2 shown]
	v_mul_f64 v[6:7], v[120:121], v[124:125]
	v_fma_f64 v[6:7], v[118:119], v[122:123], -v[6:7]
	v_add_f64 v[8:9], v[4:5], v[6:7]
	scratch_load_dwordx4 v[4:7], off, off offset:576
	v_mul_f64 v[126:127], v[118:119], v[124:125]
	v_fmac_f64_e32 v[126:127], v[120:121], v[122:123]
	v_add_f64 v[48:49], v[48:49], v[126:127]
	s_waitcnt vmcnt(0)
	v_add_f64 v[4:5], v[4:5], -v[8:9]
	v_add_f64 v[6:7], v[6:7], -v[48:49]
	scratch_store_dwordx4 off, v[4:7], off offset:576
	s_and_saveexec_b64 s[0:1], vcc
	s_cbranch_execz .LBB50_251
; %bb.250:
	scratch_load_dwordx4 v[6:9], off, s61
	v_mov_b32_e32 v3, v2
	v_mov_b32_e32 v4, v2
	;; [unrolled: 1-line block ×3, first 2 shown]
	v_accvgpr_read_b32 v0, a103
	scratch_store_dwordx4 off, v[2:5], off offset:560
	s_waitcnt vmcnt(1)
	ds_write_b128 v0, v[6:9]
.LBB50_251:
	s_or_b64 exec, exec, s[0:1]
	s_waitcnt lgkmcnt(0)
	; wave barrier
	ds_read_b128 v[16:19], v2 offset:1376
	ds_read_b128 v[12:15], v2 offset:1392
	;; [unrolled: 1-line block ×4, first 2 shown]
	scratch_load_dwordx4 v[20:23], off, off offset:576
	scratch_load_dwordx4 v[40:43], off, off offset:640
	;; [unrolled: 1-line block ×10, first 2 shown]
	v_cmp_lt_u32_e32 vcc, 33, v244
	scratch_load_dwordx4 v[48:51], off, off offset:656
	scratch_load_dwordx4 v[56:59], off, off offset:672
	;; [unrolled: 1-line block ×3, first 2 shown]
	s_waitcnt vmcnt(12) lgkmcnt(3)
	v_mul_f64 v[24:25], v[16:17], v[22:23]
	v_fmac_f64_e32 v[24:25], v[18:19], v[20:21]
	v_add_f64 v[28:29], v[24:25], 0
	scratch_load_dwordx4 v[24:27], off, off offset:592
	s_waitcnt vmcnt(0) lgkmcnt(2)
	v_mul_f64 v[30:31], v[12:13], v[26:27]
	v_fmac_f64_e32 v[30:31], v[14:15], v[24:25]
	v_add_f64 v[32:33], v[28:29], v[30:31]
	scratch_load_dwordx4 v[28:31], off, off offset:608
	v_mul_f64 v[14:15], v[14:15], v[26:27]
	v_fma_f64 v[12:13], v[12:13], v[24:25], -v[14:15]
	s_waitcnt vmcnt(0) lgkmcnt(1)
	v_mul_f64 v[34:35], v[8:9], v[30:31]
	v_fmac_f64_e32 v[34:35], v[10:11], v[28:29]
	v_add_f64 v[36:37], v[32:33], v[34:35]
	scratch_load_dwordx4 v[32:35], off, off offset:624
	v_mul_f64 v[10:11], v[10:11], v[30:31]
	v_fma_f64 v[8:9], v[8:9], v[28:29], -v[10:11]
	s_waitcnt vmcnt(0) lgkmcnt(0)
	v_mul_f64 v[38:39], v[4:5], v[34:35]
	v_fmac_f64_e32 v[38:39], v[6:7], v[32:33]
	v_add_f64 v[44:45], v[36:37], v[38:39]
	ds_read_b128 v[36:39], v2 offset:1440
	v_mul_f64 v[6:7], v[6:7], v[34:35]
	v_fma_f64 v[4:5], v[4:5], v[32:33], -v[6:7]
	s_waitcnt lgkmcnt(0)
	v_mul_f64 v[46:47], v[36:37], v[42:43]
	v_fmac_f64_e32 v[46:47], v[38:39], v[40:41]
	v_add_f64 v[52:53], v[44:45], v[46:47]
	ds_read_b128 v[44:47], v2 offset:1456
	s_waitcnt lgkmcnt(0)
	v_mul_f64 v[54:55], v[44:45], v[50:51]
	v_fmac_f64_e32 v[54:55], v[46:47], v[48:49]
	v_add_f64 v[60:61], v[52:53], v[54:55]
	ds_read_b128 v[52:55], v2 offset:1472
	;; [unrolled: 5-line block ×11, first 2 shown]
	s_waitcnt lgkmcnt(0)
	v_mul_f64 v[2:3], v[126:127], v[132:133]
	v_fmac_f64_e32 v[2:3], v[128:129], v[130:131]
	v_add_f64 v[64:65], v[64:65], v[2:3]
	v_mul_f64 v[2:3], v[18:19], v[22:23]
	v_fma_f64 v[2:3], v[16:17], v[20:21], -v[2:3]
	v_add_f64 v[2:3], v[2:3], 0
	v_add_f64 v[2:3], v[2:3], v[12:13]
	v_add_f64 v[2:3], v[2:3], v[8:9]
	v_add_f64 v[2:3], v[2:3], v[4:5]
	v_mul_f64 v[4:5], v[38:39], v[42:43]
	v_fma_f64 v[4:5], v[36:37], v[40:41], -v[4:5]
	v_add_f64 v[2:3], v[2:3], v[4:5]
	v_mul_f64 v[4:5], v[46:47], v[50:51]
	v_fma_f64 v[4:5], v[44:45], v[48:49], -v[4:5]
	v_add_f64 v[2:3], v[2:3], v[4:5]
	;; [unrolled: 3-line block ×12, first 2 shown]
	scratch_load_dwordx4 v[2:5], off, off offset:560
	s_waitcnt vmcnt(0)
	v_add_f64 v[2:3], v[2:3], -v[6:7]
	v_add_f64 v[4:5], v[4:5], -v[64:65]
	scratch_store_dwordx4 off, v[2:5], off offset:560
	s_and_saveexec_b64 s[0:1], vcc
	s_cbranch_execz .LBB50_253
; %bb.252:
	scratch_load_dwordx4 v[2:5], off, s60
	v_mov_b32_e32 v6, 0
	v_mov_b32_e32 v7, v6
	v_mov_b32_e32 v8, v6
	v_mov_b32_e32 v9, v6
	v_accvgpr_read_b32 v0, a103
	scratch_store_dwordx4 off, v[6:9], off offset:544
	s_waitcnt vmcnt(1)
	ds_write_b128 v0, v[2:5]
.LBB50_253:
	s_or_b64 exec, exec, s[0:1]
	v_mov_b32_e32 v2, 0
	s_waitcnt lgkmcnt(0)
	; wave barrier
	ds_read_b128 v[16:19], v2 offset:1360
	ds_read_b128 v[12:15], v2 offset:1376
	;; [unrolled: 1-line block ×4, first 2 shown]
	scratch_load_dwordx4 v[20:23], off, off offset:560
	scratch_load_dwordx4 v[40:43], off, off offset:624
	;; [unrolled: 1-line block ×11, first 2 shown]
	v_cmp_lt_u32_e32 vcc, 32, v244
	scratch_load_dwordx4 v[48:51], off, off offset:640
	scratch_load_dwordx4 v[56:59], off, off offset:656
	;; [unrolled: 1-line block ×3, first 2 shown]
	s_waitcnt vmcnt(13) lgkmcnt(3)
	v_mul_f64 v[24:25], v[16:17], v[22:23]
	v_fmac_f64_e32 v[24:25], v[18:19], v[20:21]
	v_add_f64 v[28:29], v[24:25], 0
	scratch_load_dwordx4 v[24:27], off, off offset:576
	v_mul_f64 v[18:19], v[18:19], v[22:23]
	v_fma_f64 v[16:17], v[16:17], v[20:21], -v[18:19]
	v_add_f64 v[16:17], v[16:17], 0
	s_waitcnt vmcnt(0) lgkmcnt(2)
	v_mul_f64 v[30:31], v[12:13], v[26:27]
	v_fmac_f64_e32 v[30:31], v[14:15], v[24:25]
	v_add_f64 v[32:33], v[28:29], v[30:31]
	scratch_load_dwordx4 v[28:31], off, off offset:592
	v_mul_f64 v[14:15], v[14:15], v[26:27]
	v_fma_f64 v[12:13], v[12:13], v[24:25], -v[14:15]
	v_add_f64 v[12:13], v[16:17], v[12:13]
	;; [unrolled: 8-line block ×3, first 2 shown]
	s_waitcnt vmcnt(0) lgkmcnt(0)
	v_mul_f64 v[38:39], v[4:5], v[34:35]
	v_fmac_f64_e32 v[38:39], v[6:7], v[32:33]
	v_add_f64 v[44:45], v[36:37], v[38:39]
	ds_read_b128 v[36:39], v2 offset:1424
	v_mul_f64 v[6:7], v[6:7], v[34:35]
	v_fma_f64 v[4:5], v[4:5], v[32:33], -v[6:7]
	v_add_f64 v[4:5], v[8:9], v[4:5]
	s_waitcnt lgkmcnt(0)
	v_mul_f64 v[46:47], v[36:37], v[42:43]
	v_fmac_f64_e32 v[46:47], v[38:39], v[40:41]
	v_add_f64 v[52:53], v[44:45], v[46:47]
	ds_read_b128 v[44:47], v2 offset:1440
	v_mul_f64 v[6:7], v[38:39], v[42:43]
	v_fma_f64 v[6:7], v[36:37], v[40:41], -v[6:7]
	v_add_f64 v[4:5], v[4:5], v[6:7]
	s_waitcnt lgkmcnt(0)
	;; [unrolled: 8-line block ×13, first 2 shown]
	v_mul_f64 v[6:7], v[136:137], v[140:141]
	v_fma_f64 v[6:7], v[134:135], v[138:139], -v[6:7]
	v_add_f64 v[8:9], v[4:5], v[6:7]
	scratch_load_dwordx4 v[4:7], off, off offset:544
	v_mul_f64 v[142:143], v[134:135], v[140:141]
	v_fmac_f64_e32 v[142:143], v[136:137], v[138:139]
	v_add_f64 v[72:73], v[72:73], v[142:143]
	s_waitcnt vmcnt(0)
	v_add_f64 v[4:5], v[4:5], -v[8:9]
	v_add_f64 v[6:7], v[6:7], -v[72:73]
	scratch_store_dwordx4 off, v[4:7], off offset:544
	s_and_saveexec_b64 s[0:1], vcc
	s_cbranch_execz .LBB50_255
; %bb.254:
	scratch_load_dwordx4 v[6:9], off, s59
	v_mov_b32_e32 v3, v2
	v_mov_b32_e32 v4, v2
	;; [unrolled: 1-line block ×3, first 2 shown]
	v_accvgpr_read_b32 v0, a103
	scratch_store_dwordx4 off, v[2:5], off offset:528
	s_waitcnt vmcnt(1)
	ds_write_b128 v0, v[6:9]
.LBB50_255:
	s_or_b64 exec, exec, s[0:1]
	s_waitcnt lgkmcnt(0)
	; wave barrier
	ds_read_b128 v[16:19], v2 offset:1344
	ds_read_b128 v[12:15], v2 offset:1360
	;; [unrolled: 1-line block ×4, first 2 shown]
	scratch_load_dwordx4 v[20:23], off, off offset:544
	scratch_load_dwordx4 v[40:43], off, off offset:608
	;; [unrolled: 1-line block ×12, first 2 shown]
	v_cmp_lt_u32_e32 vcc, 31, v244
	scratch_load_dwordx4 v[48:51], off, off offset:624
	scratch_load_dwordx4 v[56:59], off, off offset:640
	;; [unrolled: 1-line block ×3, first 2 shown]
	s_waitcnt vmcnt(14) lgkmcnt(3)
	v_mul_f64 v[24:25], v[16:17], v[22:23]
	v_fmac_f64_e32 v[24:25], v[18:19], v[20:21]
	v_add_f64 v[28:29], v[24:25], 0
	scratch_load_dwordx4 v[24:27], off, off offset:560
	s_waitcnt vmcnt(0) lgkmcnt(2)
	v_mul_f64 v[30:31], v[12:13], v[26:27]
	v_fmac_f64_e32 v[30:31], v[14:15], v[24:25]
	v_add_f64 v[32:33], v[28:29], v[30:31]
	scratch_load_dwordx4 v[28:31], off, off offset:576
	v_mul_f64 v[14:15], v[14:15], v[26:27]
	v_fma_f64 v[12:13], v[12:13], v[24:25], -v[14:15]
	s_waitcnt vmcnt(0) lgkmcnt(1)
	v_mul_f64 v[34:35], v[8:9], v[30:31]
	v_fmac_f64_e32 v[34:35], v[10:11], v[28:29]
	v_add_f64 v[36:37], v[32:33], v[34:35]
	scratch_load_dwordx4 v[32:35], off, off offset:592
	v_mul_f64 v[10:11], v[10:11], v[30:31]
	v_fma_f64 v[8:9], v[8:9], v[28:29], -v[10:11]
	s_waitcnt vmcnt(0) lgkmcnt(0)
	v_mul_f64 v[38:39], v[4:5], v[34:35]
	v_fmac_f64_e32 v[38:39], v[6:7], v[32:33]
	v_add_f64 v[44:45], v[36:37], v[38:39]
	ds_read_b128 v[36:39], v2 offset:1408
	v_mul_f64 v[6:7], v[6:7], v[34:35]
	v_fma_f64 v[4:5], v[4:5], v[32:33], -v[6:7]
	s_waitcnt lgkmcnt(0)
	v_mul_f64 v[46:47], v[36:37], v[42:43]
	v_fmac_f64_e32 v[46:47], v[38:39], v[40:41]
	v_add_f64 v[52:53], v[44:45], v[46:47]
	ds_read_b128 v[44:47], v2 offset:1424
	s_waitcnt lgkmcnt(0)
	v_mul_f64 v[54:55], v[44:45], v[50:51]
	v_fmac_f64_e32 v[54:55], v[46:47], v[48:49]
	v_add_f64 v[60:61], v[52:53], v[54:55]
	ds_read_b128 v[52:55], v2 offset:1440
	;; [unrolled: 5-line block ×13, first 2 shown]
	s_waitcnt lgkmcnt(0)
	v_mul_f64 v[2:3], v[142:143], v[148:149]
	v_fmac_f64_e32 v[2:3], v[144:145], v[146:147]
	v_add_f64 v[80:81], v[80:81], v[2:3]
	v_mul_f64 v[2:3], v[18:19], v[22:23]
	v_fma_f64 v[2:3], v[16:17], v[20:21], -v[2:3]
	v_add_f64 v[2:3], v[2:3], 0
	v_add_f64 v[2:3], v[2:3], v[12:13]
	;; [unrolled: 1-line block ×4, first 2 shown]
	v_mul_f64 v[4:5], v[38:39], v[42:43]
	v_fma_f64 v[4:5], v[36:37], v[40:41], -v[4:5]
	v_add_f64 v[2:3], v[2:3], v[4:5]
	v_mul_f64 v[4:5], v[46:47], v[50:51]
	v_fma_f64 v[4:5], v[44:45], v[48:49], -v[4:5]
	v_add_f64 v[2:3], v[2:3], v[4:5]
	v_mul_f64 v[4:5], v[54:55], v[58:59]
	v_fma_f64 v[4:5], v[52:53], v[56:57], -v[4:5]
	v_add_f64 v[2:3], v[2:3], v[4:5]
	v_mul_f64 v[4:5], v[62:63], v[66:67]
	v_fma_f64 v[4:5], v[60:61], v[64:65], -v[4:5]
	v_add_f64 v[2:3], v[2:3], v[4:5]
	v_mul_f64 v[4:5], v[70:71], v[74:75]
	v_fma_f64 v[4:5], v[68:69], v[72:73], -v[4:5]
	v_add_f64 v[2:3], v[2:3], v[4:5]
	v_mul_f64 v[4:5], v[78:79], v[84:85]
	v_fma_f64 v[4:5], v[76:77], v[82:83], -v[4:5]
	v_add_f64 v[2:3], v[2:3], v[4:5]
	v_mul_f64 v[4:5], v[88:89], v[92:93]
	v_fma_f64 v[4:5], v[86:87], v[90:91], -v[4:5]
	v_add_f64 v[2:3], v[2:3], v[4:5]
	v_mul_f64 v[4:5], v[96:97], v[100:101]
	v_fma_f64 v[4:5], v[94:95], v[98:99], -v[4:5]
	v_add_f64 v[2:3], v[2:3], v[4:5]
	v_mul_f64 v[4:5], v[104:105], v[108:109]
	v_fma_f64 v[4:5], v[102:103], v[106:107], -v[4:5]
	v_add_f64 v[2:3], v[2:3], v[4:5]
	v_mul_f64 v[4:5], v[112:113], v[116:117]
	v_fma_f64 v[4:5], v[110:111], v[114:115], -v[4:5]
	v_add_f64 v[2:3], v[2:3], v[4:5]
	v_mul_f64 v[4:5], v[120:121], v[124:125]
	v_fma_f64 v[4:5], v[118:119], v[122:123], -v[4:5]
	v_add_f64 v[2:3], v[2:3], v[4:5]
	v_mul_f64 v[4:5], v[128:129], v[132:133]
	v_fma_f64 v[4:5], v[126:127], v[130:131], -v[4:5]
	v_add_f64 v[2:3], v[2:3], v[4:5]
	v_mul_f64 v[4:5], v[136:137], v[140:141]
	v_fma_f64 v[4:5], v[134:135], v[138:139], -v[4:5]
	v_add_f64 v[2:3], v[2:3], v[4:5]
	v_mul_f64 v[4:5], v[144:145], v[148:149]
	v_fma_f64 v[4:5], v[142:143], v[146:147], -v[4:5]
	v_add_f64 v[6:7], v[2:3], v[4:5]
	scratch_load_dwordx4 v[2:5], off, off offset:528
	s_waitcnt vmcnt(0)
	v_add_f64 v[2:3], v[2:3], -v[6:7]
	v_add_f64 v[4:5], v[4:5], -v[80:81]
	scratch_store_dwordx4 off, v[2:5], off offset:528
	s_and_saveexec_b64 s[0:1], vcc
	s_cbranch_execz .LBB50_257
; %bb.256:
	scratch_load_dwordx4 v[2:5], off, s58
	v_mov_b32_e32 v6, 0
	v_mov_b32_e32 v7, v6
	v_mov_b32_e32 v8, v6
	v_mov_b32_e32 v9, v6
	v_accvgpr_read_b32 v0, a103
	scratch_store_dwordx4 off, v[6:9], off offset:512
	s_waitcnt vmcnt(1)
	ds_write_b128 v0, v[2:5]
.LBB50_257:
	s_or_b64 exec, exec, s[0:1]
	v_mov_b32_e32 v2, 0
	s_waitcnt lgkmcnt(0)
	; wave barrier
	ds_read_b128 v[16:19], v2 offset:1328
	ds_read_b128 v[12:15], v2 offset:1344
	;; [unrolled: 1-line block ×4, first 2 shown]
	scratch_load_dwordx4 v[20:23], off, off offset:528
	scratch_load_dwordx4 v[40:43], off, off offset:592
	;; [unrolled: 1-line block ×13, first 2 shown]
	v_cmp_lt_u32_e32 vcc, 30, v244
	scratch_load_dwordx4 v[48:51], off, off offset:608
	scratch_load_dwordx4 v[56:59], off, off offset:624
	;; [unrolled: 1-line block ×3, first 2 shown]
	s_waitcnt vmcnt(15) lgkmcnt(3)
	v_mul_f64 v[24:25], v[16:17], v[22:23]
	v_fmac_f64_e32 v[24:25], v[18:19], v[20:21]
	v_add_f64 v[28:29], v[24:25], 0
	scratch_load_dwordx4 v[24:27], off, off offset:544
	v_mul_f64 v[18:19], v[18:19], v[22:23]
	v_fma_f64 v[16:17], v[16:17], v[20:21], -v[18:19]
	v_add_f64 v[16:17], v[16:17], 0
	s_waitcnt vmcnt(0) lgkmcnt(2)
	v_mul_f64 v[30:31], v[12:13], v[26:27]
	v_fmac_f64_e32 v[30:31], v[14:15], v[24:25]
	v_add_f64 v[32:33], v[28:29], v[30:31]
	scratch_load_dwordx4 v[28:31], off, off offset:560
	v_mul_f64 v[14:15], v[14:15], v[26:27]
	v_fma_f64 v[12:13], v[12:13], v[24:25], -v[14:15]
	v_add_f64 v[12:13], v[16:17], v[12:13]
	;; [unrolled: 8-line block ×3, first 2 shown]
	s_waitcnt vmcnt(0) lgkmcnt(0)
	v_mul_f64 v[38:39], v[4:5], v[34:35]
	v_fmac_f64_e32 v[38:39], v[6:7], v[32:33]
	v_add_f64 v[44:45], v[36:37], v[38:39]
	ds_read_b128 v[36:39], v2 offset:1392
	v_mul_f64 v[6:7], v[6:7], v[34:35]
	v_fma_f64 v[4:5], v[4:5], v[32:33], -v[6:7]
	v_add_f64 v[4:5], v[8:9], v[4:5]
	s_waitcnt lgkmcnt(0)
	v_mul_f64 v[46:47], v[36:37], v[42:43]
	v_fmac_f64_e32 v[46:47], v[38:39], v[40:41]
	v_add_f64 v[52:53], v[44:45], v[46:47]
	ds_read_b128 v[44:47], v2 offset:1408
	v_mul_f64 v[6:7], v[38:39], v[42:43]
	v_fma_f64 v[6:7], v[36:37], v[40:41], -v[6:7]
	v_add_f64 v[4:5], v[4:5], v[6:7]
	s_waitcnt lgkmcnt(0)
	;; [unrolled: 8-line block ×15, first 2 shown]
	v_mul_f64 v[6:7], v[152:153], v[156:157]
	v_fma_f64 v[6:7], v[150:151], v[154:155], -v[6:7]
	v_add_f64 v[8:9], v[4:5], v[6:7]
	scratch_load_dwordx4 v[4:7], off, off offset:512
	v_mul_f64 v[158:159], v[150:151], v[156:157]
	v_fmac_f64_e32 v[158:159], v[152:153], v[154:155]
	v_add_f64 v[88:89], v[88:89], v[158:159]
	s_waitcnt vmcnt(0)
	v_add_f64 v[4:5], v[4:5], -v[8:9]
	v_add_f64 v[6:7], v[6:7], -v[88:89]
	scratch_store_dwordx4 off, v[4:7], off offset:512
	s_and_saveexec_b64 s[0:1], vcc
	s_cbranch_execz .LBB50_259
; %bb.258:
	scratch_load_dwordx4 v[6:9], off, s57
	v_mov_b32_e32 v3, v2
	v_mov_b32_e32 v4, v2
	;; [unrolled: 1-line block ×3, first 2 shown]
	v_accvgpr_read_b32 v0, a103
	scratch_store_dwordx4 off, v[2:5], off offset:496
	s_waitcnt vmcnt(1)
	ds_write_b128 v0, v[6:9]
.LBB50_259:
	s_or_b64 exec, exec, s[0:1]
	s_waitcnt lgkmcnt(0)
	; wave barrier
	ds_read_b128 v[16:19], v2 offset:1312
	ds_read_b128 v[12:15], v2 offset:1328
	ds_read_b128 v[8:11], v2 offset:1344
	ds_read_b128 v[4:7], v2 offset:1360
	scratch_load_dwordx4 v[20:23], off, off offset:512
	scratch_load_dwordx4 v[40:43], off, off offset:576
	scratch_load_dwordx4 v[72:75], off, off offset:640
	scratch_load_dwordx4 v[80:83], off, off offset:656
	scratch_load_dwordx4 v[88:91], off, off offset:672
	scratch_load_dwordx4 v[98:101], off, off offset:688
	scratch_load_dwordx4 v[106:109], off, off offset:704
	scratch_load_dwordx4 v[114:117], off, off offset:720
	scratch_load_dwordx4 v[122:125], off, off offset:736
	scratch_load_dwordx4 v[130:133], off, off offset:752
	scratch_load_dwordx4 v[138:141], off, off offset:768
	scratch_load_dwordx4 v[146:149], off, off offset:784
	scratch_load_dwordx4 v[154:157], off, off offset:800
	scratch_load_dwordx4 v[162:165], off, off offset:816
	v_cmp_lt_u32_e32 vcc, 29, v244
	scratch_load_dwordx4 v[48:51], off, off offset:592
	scratch_load_dwordx4 v[56:59], off, off offset:608
	;; [unrolled: 1-line block ×3, first 2 shown]
	s_waitcnt vmcnt(16) lgkmcnt(3)
	v_mul_f64 v[24:25], v[16:17], v[22:23]
	v_fmac_f64_e32 v[24:25], v[18:19], v[20:21]
	v_add_f64 v[28:29], v[24:25], 0
	scratch_load_dwordx4 v[24:27], off, off offset:528
	s_waitcnt vmcnt(0) lgkmcnt(2)
	v_mul_f64 v[30:31], v[12:13], v[26:27]
	v_fmac_f64_e32 v[30:31], v[14:15], v[24:25]
	v_add_f64 v[32:33], v[28:29], v[30:31]
	scratch_load_dwordx4 v[28:31], off, off offset:544
	v_mul_f64 v[14:15], v[14:15], v[26:27]
	v_fma_f64 v[12:13], v[12:13], v[24:25], -v[14:15]
	s_waitcnt vmcnt(0) lgkmcnt(1)
	v_mul_f64 v[34:35], v[8:9], v[30:31]
	v_fmac_f64_e32 v[34:35], v[10:11], v[28:29]
	v_add_f64 v[36:37], v[32:33], v[34:35]
	scratch_load_dwordx4 v[32:35], off, off offset:560
	v_mul_f64 v[10:11], v[10:11], v[30:31]
	v_fma_f64 v[8:9], v[8:9], v[28:29], -v[10:11]
	s_waitcnt vmcnt(0) lgkmcnt(0)
	v_mul_f64 v[38:39], v[4:5], v[34:35]
	v_fmac_f64_e32 v[38:39], v[6:7], v[32:33]
	v_add_f64 v[44:45], v[36:37], v[38:39]
	ds_read_b128 v[36:39], v2 offset:1376
	v_mul_f64 v[6:7], v[6:7], v[34:35]
	v_fma_f64 v[4:5], v[4:5], v[32:33], -v[6:7]
	s_waitcnt lgkmcnt(0)
	v_mul_f64 v[46:47], v[36:37], v[42:43]
	v_fmac_f64_e32 v[46:47], v[38:39], v[40:41]
	v_add_f64 v[52:53], v[44:45], v[46:47]
	ds_read_b128 v[44:47], v2 offset:1392
	s_waitcnt lgkmcnt(0)
	v_mul_f64 v[54:55], v[44:45], v[50:51]
	v_fmac_f64_e32 v[54:55], v[46:47], v[48:49]
	v_add_f64 v[60:61], v[52:53], v[54:55]
	ds_read_b128 v[52:55], v2 offset:1408
	;; [unrolled: 5-line block ×15, first 2 shown]
	s_waitcnt lgkmcnt(0)
	v_mul_f64 v[2:3], v[158:159], v[164:165]
	v_fmac_f64_e32 v[2:3], v[160:161], v[162:163]
	v_add_f64 v[96:97], v[96:97], v[2:3]
	v_mul_f64 v[2:3], v[18:19], v[22:23]
	v_fma_f64 v[2:3], v[16:17], v[20:21], -v[2:3]
	v_add_f64 v[2:3], v[2:3], 0
	v_add_f64 v[2:3], v[2:3], v[12:13]
	;; [unrolled: 1-line block ×4, first 2 shown]
	v_mul_f64 v[4:5], v[38:39], v[42:43]
	v_fma_f64 v[4:5], v[36:37], v[40:41], -v[4:5]
	v_add_f64 v[2:3], v[2:3], v[4:5]
	v_mul_f64 v[4:5], v[46:47], v[50:51]
	v_fma_f64 v[4:5], v[44:45], v[48:49], -v[4:5]
	v_add_f64 v[2:3], v[2:3], v[4:5]
	;; [unrolled: 3-line block ×16, first 2 shown]
	scratch_load_dwordx4 v[2:5], off, off offset:496
	s_waitcnt vmcnt(0)
	v_add_f64 v[2:3], v[2:3], -v[6:7]
	v_add_f64 v[4:5], v[4:5], -v[96:97]
	scratch_store_dwordx4 off, v[2:5], off offset:496
	s_and_saveexec_b64 s[0:1], vcc
	s_cbranch_execz .LBB50_261
; %bb.260:
	scratch_load_dwordx4 v[2:5], off, s56
	v_mov_b32_e32 v6, 0
	v_mov_b32_e32 v7, v6
	;; [unrolled: 1-line block ×4, first 2 shown]
	v_accvgpr_read_b32 v0, a103
	scratch_store_dwordx4 off, v[6:9], off offset:480
	s_waitcnt vmcnt(1)
	ds_write_b128 v0, v[2:5]
.LBB50_261:
	s_or_b64 exec, exec, s[0:1]
	v_mov_b32_e32 v2, 0
	s_waitcnt lgkmcnt(0)
	; wave barrier
	ds_read_b128 v[16:19], v2 offset:1296
	ds_read_b128 v[12:15], v2 offset:1312
	;; [unrolled: 1-line block ×4, first 2 shown]
	scratch_load_dwordx4 v[20:23], off, off offset:496
	scratch_load_dwordx4 v[40:43], off, off offset:560
	;; [unrolled: 1-line block ×15, first 2 shown]
	v_cmp_lt_u32_e32 vcc, 28, v244
	scratch_load_dwordx4 v[48:51], off, off offset:576
	scratch_load_dwordx4 v[56:59], off, off offset:592
	;; [unrolled: 1-line block ×3, first 2 shown]
	s_waitcnt vmcnt(17) lgkmcnt(3)
	v_mul_f64 v[24:25], v[16:17], v[22:23]
	v_fmac_f64_e32 v[24:25], v[18:19], v[20:21]
	v_add_f64 v[28:29], v[24:25], 0
	scratch_load_dwordx4 v[24:27], off, off offset:512
	v_mul_f64 v[18:19], v[18:19], v[22:23]
	v_fma_f64 v[16:17], v[16:17], v[20:21], -v[18:19]
	v_add_f64 v[16:17], v[16:17], 0
	s_waitcnt vmcnt(0) lgkmcnt(2)
	v_mul_f64 v[30:31], v[12:13], v[26:27]
	v_fmac_f64_e32 v[30:31], v[14:15], v[24:25]
	v_add_f64 v[32:33], v[28:29], v[30:31]
	scratch_load_dwordx4 v[28:31], off, off offset:528
	v_mul_f64 v[14:15], v[14:15], v[26:27]
	v_fma_f64 v[12:13], v[12:13], v[24:25], -v[14:15]
	v_add_f64 v[12:13], v[16:17], v[12:13]
	;; [unrolled: 8-line block ×3, first 2 shown]
	s_waitcnt vmcnt(0) lgkmcnt(0)
	v_mul_f64 v[38:39], v[4:5], v[34:35]
	v_fmac_f64_e32 v[38:39], v[6:7], v[32:33]
	v_add_f64 v[44:45], v[36:37], v[38:39]
	ds_read_b128 v[36:39], v2 offset:1360
	v_mul_f64 v[6:7], v[6:7], v[34:35]
	v_fma_f64 v[4:5], v[4:5], v[32:33], -v[6:7]
	v_add_f64 v[4:5], v[8:9], v[4:5]
	s_waitcnt lgkmcnt(0)
	v_mul_f64 v[46:47], v[36:37], v[42:43]
	v_fmac_f64_e32 v[46:47], v[38:39], v[40:41]
	v_add_f64 v[52:53], v[44:45], v[46:47]
	ds_read_b128 v[44:47], v2 offset:1376
	v_mul_f64 v[6:7], v[38:39], v[42:43]
	v_fma_f64 v[6:7], v[36:37], v[40:41], -v[6:7]
	v_add_f64 v[4:5], v[4:5], v[6:7]
	s_waitcnt lgkmcnt(0)
	;; [unrolled: 8-line block ×17, first 2 shown]
	v_mul_f64 v[6:7], v[168:169], v[172:173]
	v_fma_f64 v[6:7], v[166:167], v[170:171], -v[6:7]
	v_add_f64 v[8:9], v[4:5], v[6:7]
	scratch_load_dwordx4 v[4:7], off, off offset:480
	v_mul_f64 v[174:175], v[166:167], v[172:173]
	v_fmac_f64_e32 v[174:175], v[168:169], v[170:171]
	v_add_f64 v[104:105], v[104:105], v[174:175]
	s_waitcnt vmcnt(0)
	v_add_f64 v[4:5], v[4:5], -v[8:9]
	v_add_f64 v[6:7], v[6:7], -v[104:105]
	scratch_store_dwordx4 off, v[4:7], off offset:480
	s_and_saveexec_b64 s[0:1], vcc
	s_cbranch_execz .LBB50_263
; %bb.262:
	scratch_load_dwordx4 v[6:9], off, s55
	v_mov_b32_e32 v3, v2
	v_mov_b32_e32 v4, v2
	v_mov_b32_e32 v5, v2
	v_accvgpr_read_b32 v0, a103
	scratch_store_dwordx4 off, v[2:5], off offset:464
	s_waitcnt vmcnt(1)
	ds_write_b128 v0, v[6:9]
.LBB50_263:
	s_or_b64 exec, exec, s[0:1]
	s_waitcnt lgkmcnt(0)
	; wave barrier
	ds_read_b128 v[16:19], v2 offset:1280
	ds_read_b128 v[12:15], v2 offset:1296
	;; [unrolled: 1-line block ×4, first 2 shown]
	scratch_load_dwordx4 v[20:23], off, off offset:480
	scratch_load_dwordx4 v[40:43], off, off offset:544
	;; [unrolled: 1-line block ×16, first 2 shown]
	v_cmp_lt_u32_e32 vcc, 27, v244
	scratch_load_dwordx4 v[48:51], off, off offset:560
	scratch_load_dwordx4 v[56:59], off, off offset:576
	;; [unrolled: 1-line block ×3, first 2 shown]
	s_waitcnt vmcnt(18) lgkmcnt(3)
	v_mul_f64 v[24:25], v[16:17], v[22:23]
	v_fmac_f64_e32 v[24:25], v[18:19], v[20:21]
	v_add_f64 v[28:29], v[24:25], 0
	scratch_load_dwordx4 v[24:27], off, off offset:496
	s_waitcnt vmcnt(0) lgkmcnt(2)
	v_mul_f64 v[30:31], v[12:13], v[26:27]
	v_fmac_f64_e32 v[30:31], v[14:15], v[24:25]
	v_add_f64 v[32:33], v[28:29], v[30:31]
	scratch_load_dwordx4 v[28:31], off, off offset:512
	v_mul_f64 v[14:15], v[14:15], v[26:27]
	v_fma_f64 v[12:13], v[12:13], v[24:25], -v[14:15]
	s_waitcnt vmcnt(0) lgkmcnt(1)
	v_mul_f64 v[34:35], v[8:9], v[30:31]
	v_fmac_f64_e32 v[34:35], v[10:11], v[28:29]
	v_add_f64 v[36:37], v[32:33], v[34:35]
	scratch_load_dwordx4 v[32:35], off, off offset:528
	v_mul_f64 v[10:11], v[10:11], v[30:31]
	v_fma_f64 v[8:9], v[8:9], v[28:29], -v[10:11]
	s_waitcnt vmcnt(0) lgkmcnt(0)
	v_mul_f64 v[38:39], v[4:5], v[34:35]
	v_fmac_f64_e32 v[38:39], v[6:7], v[32:33]
	v_add_f64 v[44:45], v[36:37], v[38:39]
	ds_read_b128 v[36:39], v2 offset:1344
	v_mul_f64 v[6:7], v[6:7], v[34:35]
	v_fma_f64 v[4:5], v[4:5], v[32:33], -v[6:7]
	s_waitcnt lgkmcnt(0)
	v_mul_f64 v[46:47], v[36:37], v[42:43]
	v_fmac_f64_e32 v[46:47], v[38:39], v[40:41]
	v_add_f64 v[52:53], v[44:45], v[46:47]
	ds_read_b128 v[44:47], v2 offset:1360
	s_waitcnt lgkmcnt(0)
	v_mul_f64 v[54:55], v[44:45], v[50:51]
	v_fmac_f64_e32 v[54:55], v[46:47], v[48:49]
	v_add_f64 v[60:61], v[52:53], v[54:55]
	ds_read_b128 v[52:55], v2 offset:1376
	;; [unrolled: 5-line block ×17, first 2 shown]
	s_waitcnt lgkmcnt(0)
	v_mul_f64 v[2:3], v[174:175], v[180:181]
	v_fmac_f64_e32 v[2:3], v[176:177], v[178:179]
	v_add_f64 v[120:121], v[120:121], v[2:3]
	v_mul_f64 v[2:3], v[18:19], v[22:23]
	v_fma_f64 v[2:3], v[16:17], v[20:21], -v[2:3]
	v_add_f64 v[2:3], v[2:3], 0
	v_add_f64 v[2:3], v[2:3], v[12:13]
	;; [unrolled: 1-line block ×4, first 2 shown]
	v_mul_f64 v[4:5], v[38:39], v[42:43]
	v_fma_f64 v[4:5], v[36:37], v[40:41], -v[4:5]
	v_add_f64 v[2:3], v[2:3], v[4:5]
	v_mul_f64 v[4:5], v[46:47], v[50:51]
	v_fma_f64 v[4:5], v[44:45], v[48:49], -v[4:5]
	v_add_f64 v[2:3], v[2:3], v[4:5]
	;; [unrolled: 3-line block ×18, first 2 shown]
	scratch_load_dwordx4 v[2:5], off, off offset:464
	s_waitcnt vmcnt(0)
	v_add_f64 v[2:3], v[2:3], -v[6:7]
	v_add_f64 v[4:5], v[4:5], -v[120:121]
	scratch_store_dwordx4 off, v[2:5], off offset:464
	s_and_saveexec_b64 s[0:1], vcc
	s_cbranch_execz .LBB50_265
; %bb.264:
	scratch_load_dwordx4 v[2:5], off, s54
	v_mov_b32_e32 v6, 0
	v_mov_b32_e32 v7, v6
	;; [unrolled: 1-line block ×4, first 2 shown]
	v_accvgpr_read_b32 v0, a103
	scratch_store_dwordx4 off, v[6:9], off offset:448
	s_waitcnt vmcnt(1)
	ds_write_b128 v0, v[2:5]
.LBB50_265:
	s_or_b64 exec, exec, s[0:1]
	v_mov_b32_e32 v2, 0
	s_waitcnt lgkmcnt(0)
	; wave barrier
	ds_read_b128 v[16:19], v2 offset:1264
	ds_read_b128 v[12:15], v2 offset:1280
	;; [unrolled: 1-line block ×4, first 2 shown]
	scratch_load_dwordx4 v[20:23], off, off offset:464
	scratch_load_dwordx4 v[40:43], off, off offset:528
	;; [unrolled: 1-line block ×17, first 2 shown]
	v_cmp_lt_u32_e32 vcc, 26, v244
	scratch_load_dwordx4 v[48:51], off, off offset:544
	scratch_load_dwordx4 v[56:59], off, off offset:560
	;; [unrolled: 1-line block ×3, first 2 shown]
	s_waitcnt vmcnt(19) lgkmcnt(3)
	v_mul_f64 v[24:25], v[16:17], v[22:23]
	v_fmac_f64_e32 v[24:25], v[18:19], v[20:21]
	v_add_f64 v[28:29], v[24:25], 0
	scratch_load_dwordx4 v[24:27], off, off offset:480
	v_mul_f64 v[18:19], v[18:19], v[22:23]
	v_fma_f64 v[16:17], v[16:17], v[20:21], -v[18:19]
	v_add_f64 v[16:17], v[16:17], 0
	s_waitcnt vmcnt(0) lgkmcnt(2)
	v_mul_f64 v[30:31], v[12:13], v[26:27]
	v_fmac_f64_e32 v[30:31], v[14:15], v[24:25]
	v_add_f64 v[32:33], v[28:29], v[30:31]
	scratch_load_dwordx4 v[28:31], off, off offset:496
	v_mul_f64 v[14:15], v[14:15], v[26:27]
	v_fma_f64 v[12:13], v[12:13], v[24:25], -v[14:15]
	v_add_f64 v[12:13], v[16:17], v[12:13]
	s_waitcnt vmcnt(0) lgkmcnt(1)
	v_mul_f64 v[34:35], v[8:9], v[30:31]
	v_fmac_f64_e32 v[34:35], v[10:11], v[28:29]
	v_add_f64 v[36:37], v[32:33], v[34:35]
	scratch_load_dwordx4 v[32:35], off, off offset:512
	v_mul_f64 v[10:11], v[10:11], v[30:31]
	v_fma_f64 v[8:9], v[8:9], v[28:29], -v[10:11]
	v_add_f64 v[8:9], v[12:13], v[8:9]
	s_waitcnt vmcnt(0) lgkmcnt(0)
	v_mul_f64 v[38:39], v[4:5], v[34:35]
	v_fmac_f64_e32 v[38:39], v[6:7], v[32:33]
	v_add_f64 v[44:45], v[36:37], v[38:39]
	ds_read_b128 v[36:39], v2 offset:1328
	v_mul_f64 v[6:7], v[6:7], v[34:35]
	v_fma_f64 v[4:5], v[4:5], v[32:33], -v[6:7]
	v_add_f64 v[4:5], v[8:9], v[4:5]
	s_waitcnt lgkmcnt(0)
	v_mul_f64 v[46:47], v[36:37], v[42:43]
	v_fmac_f64_e32 v[46:47], v[38:39], v[40:41]
	v_add_f64 v[52:53], v[44:45], v[46:47]
	ds_read_b128 v[44:47], v2 offset:1344
	v_mul_f64 v[6:7], v[38:39], v[42:43]
	v_fma_f64 v[6:7], v[36:37], v[40:41], -v[6:7]
	v_add_f64 v[4:5], v[4:5], v[6:7]
	s_waitcnt lgkmcnt(0)
	;; [unrolled: 8-line block ×19, first 2 shown]
	v_mul_f64 v[6:7], v[184:185], v[188:189]
	v_fma_f64 v[6:7], v[182:183], v[186:187], -v[6:7]
	v_add_f64 v[8:9], v[4:5], v[6:7]
	scratch_load_dwordx4 v[4:7], off, off offset:448
	v_mul_f64 v[190:191], v[182:183], v[188:189]
	v_fmac_f64_e32 v[190:191], v[184:185], v[186:187]
	v_add_f64 v[128:129], v[128:129], v[190:191]
	s_waitcnt vmcnt(0)
	v_add_f64 v[4:5], v[4:5], -v[8:9]
	v_add_f64 v[6:7], v[6:7], -v[128:129]
	scratch_store_dwordx4 off, v[4:7], off offset:448
	s_and_saveexec_b64 s[0:1], vcc
	s_cbranch_execz .LBB50_267
; %bb.266:
	scratch_load_dwordx4 v[6:9], off, s53
	v_mov_b32_e32 v3, v2
	v_mov_b32_e32 v4, v2
	;; [unrolled: 1-line block ×3, first 2 shown]
	v_accvgpr_read_b32 v0, a103
	scratch_store_dwordx4 off, v[2:5], off offset:432
	s_waitcnt vmcnt(1)
	ds_write_b128 v0, v[6:9]
.LBB50_267:
	s_or_b64 exec, exec, s[0:1]
	s_waitcnt lgkmcnt(0)
	; wave barrier
	ds_read_b128 v[16:19], v2 offset:1248
	ds_read_b128 v[12:15], v2 offset:1264
	;; [unrolled: 1-line block ×4, first 2 shown]
	scratch_load_dwordx4 v[20:23], off, off offset:448
	scratch_load_dwordx4 v[40:43], off, off offset:512
	;; [unrolled: 1-line block ×18, first 2 shown]
	v_cmp_lt_u32_e32 vcc, 25, v244
	scratch_load_dwordx4 v[48:51], off, off offset:528
	scratch_load_dwordx4 v[56:59], off, off offset:544
	scratch_load_dwordx4 v[64:67], off, off offset:560
	s_waitcnt vmcnt(20) lgkmcnt(3)
	v_mul_f64 v[24:25], v[16:17], v[22:23]
	v_fmac_f64_e32 v[24:25], v[18:19], v[20:21]
	v_add_f64 v[28:29], v[24:25], 0
	scratch_load_dwordx4 v[24:27], off, off offset:464
	s_waitcnt vmcnt(0) lgkmcnt(2)
	v_mul_f64 v[30:31], v[12:13], v[26:27]
	v_fmac_f64_e32 v[30:31], v[14:15], v[24:25]
	v_add_f64 v[32:33], v[28:29], v[30:31]
	scratch_load_dwordx4 v[28:31], off, off offset:480
	v_mul_f64 v[14:15], v[14:15], v[26:27]
	v_fma_f64 v[12:13], v[12:13], v[24:25], -v[14:15]
	s_waitcnt vmcnt(0) lgkmcnt(1)
	v_mul_f64 v[34:35], v[8:9], v[30:31]
	v_fmac_f64_e32 v[34:35], v[10:11], v[28:29]
	v_add_f64 v[36:37], v[32:33], v[34:35]
	scratch_load_dwordx4 v[32:35], off, off offset:496
	v_mul_f64 v[10:11], v[10:11], v[30:31]
	v_fma_f64 v[8:9], v[8:9], v[28:29], -v[10:11]
	s_waitcnt vmcnt(0) lgkmcnt(0)
	v_mul_f64 v[38:39], v[4:5], v[34:35]
	v_fmac_f64_e32 v[38:39], v[6:7], v[32:33]
	v_add_f64 v[44:45], v[36:37], v[38:39]
	ds_read_b128 v[36:39], v2 offset:1312
	v_mul_f64 v[6:7], v[6:7], v[34:35]
	v_fma_f64 v[4:5], v[4:5], v[32:33], -v[6:7]
	s_waitcnt lgkmcnt(0)
	v_mul_f64 v[46:47], v[36:37], v[42:43]
	v_fmac_f64_e32 v[46:47], v[38:39], v[40:41]
	v_add_f64 v[52:53], v[44:45], v[46:47]
	ds_read_b128 v[44:47], v2 offset:1328
	s_waitcnt lgkmcnt(0)
	v_mul_f64 v[54:55], v[44:45], v[50:51]
	v_fmac_f64_e32 v[54:55], v[46:47], v[48:49]
	v_add_f64 v[60:61], v[52:53], v[54:55]
	ds_read_b128 v[52:55], v2 offset:1344
	;; [unrolled: 5-line block ×19, first 2 shown]
	s_waitcnt lgkmcnt(0)
	v_mul_f64 v[2:3], v[190:191], v[196:197]
	v_fmac_f64_e32 v[2:3], v[192:193], v[194:195]
	v_add_f64 v[148:149], v[148:149], v[2:3]
	v_mul_f64 v[2:3], v[18:19], v[22:23]
	v_fma_f64 v[2:3], v[16:17], v[20:21], -v[2:3]
	v_add_f64 v[2:3], v[2:3], 0
	v_add_f64 v[2:3], v[2:3], v[12:13]
	;; [unrolled: 1-line block ×4, first 2 shown]
	v_mul_f64 v[4:5], v[38:39], v[42:43]
	v_fma_f64 v[4:5], v[36:37], v[40:41], -v[4:5]
	v_add_f64 v[2:3], v[2:3], v[4:5]
	v_mul_f64 v[4:5], v[46:47], v[50:51]
	v_fma_f64 v[4:5], v[44:45], v[48:49], -v[4:5]
	v_add_f64 v[2:3], v[2:3], v[4:5]
	;; [unrolled: 3-line block ×20, first 2 shown]
	scratch_load_dwordx4 v[2:5], off, off offset:432
	s_waitcnt vmcnt(0)
	v_add_f64 v[2:3], v[2:3], -v[6:7]
	v_add_f64 v[4:5], v[4:5], -v[148:149]
	scratch_store_dwordx4 off, v[2:5], off offset:432
	s_and_saveexec_b64 s[0:1], vcc
	s_cbranch_execz .LBB50_269
; %bb.268:
	scratch_load_dwordx4 v[2:5], off, s52
	v_mov_b32_e32 v6, 0
	v_mov_b32_e32 v7, v6
	;; [unrolled: 1-line block ×4, first 2 shown]
	v_accvgpr_read_b32 v0, a103
	scratch_store_dwordx4 off, v[6:9], off offset:416
	s_waitcnt vmcnt(1)
	ds_write_b128 v0, v[2:5]
.LBB50_269:
	s_or_b64 exec, exec, s[0:1]
	v_mov_b32_e32 v2, 0
	s_waitcnt lgkmcnt(0)
	; wave barrier
	ds_read_b128 v[16:19], v2 offset:1232
	ds_read_b128 v[12:15], v2 offset:1248
	;; [unrolled: 1-line block ×4, first 2 shown]
	scratch_load_dwordx4 v[20:23], off, off offset:432
	scratch_load_dwordx4 v[40:43], off, off offset:496
	;; [unrolled: 1-line block ×19, first 2 shown]
	v_cmp_lt_u32_e32 vcc, 24, v244
	scratch_load_dwordx4 v[48:51], off, off offset:512
	scratch_load_dwordx4 v[56:59], off, off offset:528
	scratch_load_dwordx4 v[64:67], off, off offset:544
	s_waitcnt vmcnt(21) lgkmcnt(3)
	v_mul_f64 v[24:25], v[16:17], v[22:23]
	v_fmac_f64_e32 v[24:25], v[18:19], v[20:21]
	v_add_f64 v[28:29], v[24:25], 0
	scratch_load_dwordx4 v[24:27], off, off offset:448
	v_mul_f64 v[18:19], v[18:19], v[22:23]
	v_fma_f64 v[16:17], v[16:17], v[20:21], -v[18:19]
	v_add_f64 v[16:17], v[16:17], 0
	s_waitcnt vmcnt(0) lgkmcnt(2)
	v_mul_f64 v[30:31], v[12:13], v[26:27]
	v_fmac_f64_e32 v[30:31], v[14:15], v[24:25]
	v_add_f64 v[32:33], v[28:29], v[30:31]
	scratch_load_dwordx4 v[28:31], off, off offset:464
	v_mul_f64 v[14:15], v[14:15], v[26:27]
	v_fma_f64 v[12:13], v[12:13], v[24:25], -v[14:15]
	v_add_f64 v[12:13], v[16:17], v[12:13]
	;; [unrolled: 8-line block ×3, first 2 shown]
	s_waitcnt vmcnt(0) lgkmcnt(0)
	v_mul_f64 v[38:39], v[4:5], v[34:35]
	v_fmac_f64_e32 v[38:39], v[6:7], v[32:33]
	v_add_f64 v[44:45], v[36:37], v[38:39]
	ds_read_b128 v[36:39], v2 offset:1296
	v_mul_f64 v[6:7], v[6:7], v[34:35]
	v_fma_f64 v[4:5], v[4:5], v[32:33], -v[6:7]
	v_add_f64 v[4:5], v[8:9], v[4:5]
	s_waitcnt lgkmcnt(0)
	v_mul_f64 v[46:47], v[36:37], v[42:43]
	v_fmac_f64_e32 v[46:47], v[38:39], v[40:41]
	v_add_f64 v[52:53], v[44:45], v[46:47]
	ds_read_b128 v[44:47], v2 offset:1312
	v_mul_f64 v[6:7], v[38:39], v[42:43]
	v_fma_f64 v[6:7], v[36:37], v[40:41], -v[6:7]
	v_add_f64 v[4:5], v[4:5], v[6:7]
	s_waitcnt lgkmcnt(0)
	;; [unrolled: 8-line block ×21, first 2 shown]
	v_mul_f64 v[6:7], v[200:201], v[204:205]
	v_fma_f64 v[6:7], v[198:199], v[202:203], -v[6:7]
	v_add_f64 v[8:9], v[4:5], v[6:7]
	scratch_load_dwordx4 v[4:7], off, off offset:416
	v_mul_f64 v[206:207], v[198:199], v[204:205]
	v_fmac_f64_e32 v[206:207], v[200:201], v[202:203]
	v_add_f64 v[144:145], v[144:145], v[206:207]
	s_waitcnt vmcnt(0)
	v_add_f64 v[4:5], v[4:5], -v[8:9]
	v_add_f64 v[6:7], v[6:7], -v[144:145]
	scratch_store_dwordx4 off, v[4:7], off offset:416
	s_and_saveexec_b64 s[0:1], vcc
	s_cbranch_execz .LBB50_271
; %bb.270:
	scratch_load_dwordx4 v[6:9], off, s51
	v_mov_b32_e32 v3, v2
	v_mov_b32_e32 v4, v2
	;; [unrolled: 1-line block ×3, first 2 shown]
	v_accvgpr_read_b32 v0, a103
	scratch_store_dwordx4 off, v[2:5], off offset:400
	s_waitcnt vmcnt(1)
	ds_write_b128 v0, v[6:9]
.LBB50_271:
	s_or_b64 exec, exec, s[0:1]
	s_waitcnt lgkmcnt(0)
	; wave barrier
	ds_read_b128 v[16:19], v2 offset:1216
	ds_read_b128 v[12:15], v2 offset:1232
	;; [unrolled: 1-line block ×4, first 2 shown]
	scratch_load_dwordx4 v[20:23], off, off offset:416
	scratch_load_dwordx4 v[40:43], off, off offset:480
	scratch_load_dwordx4 v[72:75], off, off offset:544
	scratch_load_dwordx4 v[80:83], off, off offset:560
	scratch_load_dwordx4 v[88:91], off, off offset:576
	scratch_load_dwordx4 v[96:99], off, off offset:592
	scratch_load_dwordx4 v[104:107], off, off offset:608
	scratch_load_dwordx4 v[112:115], off, off offset:624
	scratch_load_dwordx4 v[120:123], off, off offset:640
	scratch_load_dwordx4 v[128:131], off, off offset:656
	scratch_load_dwordx4 v[136:139], off, off offset:672
	scratch_load_dwordx4 v[144:147], off, off offset:688
	scratch_load_dwordx4 v[152:155], off, off offset:704
	scratch_load_dwordx4 v[160:163], off, off offset:720
	scratch_load_dwordx4 v[170:173], off, off offset:736
	scratch_load_dwordx4 v[178:181], off, off offset:752
	scratch_load_dwordx4 v[186:189], off, off offset:768
	scratch_load_dwordx4 v[194:197], off, off offset:784
	scratch_load_dwordx4 v[202:205], off, off offset:800
	scratch_load_dwordx4 v[210:213], off, off offset:816
	v_cmp_lt_u32_e32 vcc, 23, v244
	scratch_load_dwordx4 v[48:51], off, off offset:496
	scratch_load_dwordx4 v[56:59], off, off offset:512
	;; [unrolled: 1-line block ×3, first 2 shown]
	s_waitcnt vmcnt(22) lgkmcnt(3)
	v_mul_f64 v[24:25], v[16:17], v[22:23]
	v_fmac_f64_e32 v[24:25], v[18:19], v[20:21]
	v_add_f64 v[28:29], v[24:25], 0
	scratch_load_dwordx4 v[24:27], off, off offset:432
	s_waitcnt vmcnt(0) lgkmcnt(2)
	v_mul_f64 v[30:31], v[12:13], v[26:27]
	v_fmac_f64_e32 v[30:31], v[14:15], v[24:25]
	v_add_f64 v[32:33], v[28:29], v[30:31]
	scratch_load_dwordx4 v[28:31], off, off offset:448
	v_mul_f64 v[14:15], v[14:15], v[26:27]
	v_fma_f64 v[12:13], v[12:13], v[24:25], -v[14:15]
	s_waitcnt vmcnt(0) lgkmcnt(1)
	v_mul_f64 v[34:35], v[8:9], v[30:31]
	v_fmac_f64_e32 v[34:35], v[10:11], v[28:29]
	v_add_f64 v[36:37], v[32:33], v[34:35]
	scratch_load_dwordx4 v[32:35], off, off offset:464
	v_mul_f64 v[10:11], v[10:11], v[30:31]
	v_fma_f64 v[8:9], v[8:9], v[28:29], -v[10:11]
	s_waitcnt vmcnt(0) lgkmcnt(0)
	v_mul_f64 v[38:39], v[4:5], v[34:35]
	v_fmac_f64_e32 v[38:39], v[6:7], v[32:33]
	v_add_f64 v[44:45], v[36:37], v[38:39]
	ds_read_b128 v[36:39], v2 offset:1280
	v_mul_f64 v[6:7], v[6:7], v[34:35]
	v_fma_f64 v[4:5], v[4:5], v[32:33], -v[6:7]
	s_waitcnt lgkmcnt(0)
	v_mul_f64 v[46:47], v[36:37], v[42:43]
	v_fmac_f64_e32 v[46:47], v[38:39], v[40:41]
	v_add_f64 v[52:53], v[44:45], v[46:47]
	ds_read_b128 v[44:47], v2 offset:1296
	s_waitcnt lgkmcnt(0)
	v_mul_f64 v[54:55], v[44:45], v[50:51]
	v_fmac_f64_e32 v[54:55], v[46:47], v[48:49]
	v_add_f64 v[60:61], v[52:53], v[54:55]
	ds_read_b128 v[52:55], v2 offset:1312
	;; [unrolled: 5-line block ×21, first 2 shown]
	s_waitcnt lgkmcnt(0)
	v_mul_f64 v[2:3], v[206:207], v[212:213]
	v_fmac_f64_e32 v[2:3], v[208:209], v[210:211]
	v_add_f64 v[168:169], v[168:169], v[2:3]
	v_mul_f64 v[2:3], v[18:19], v[22:23]
	v_fma_f64 v[2:3], v[16:17], v[20:21], -v[2:3]
	v_add_f64 v[2:3], v[2:3], 0
	v_add_f64 v[2:3], v[2:3], v[12:13]
	v_add_f64 v[2:3], v[2:3], v[8:9]
	v_add_f64 v[2:3], v[2:3], v[4:5]
	v_mul_f64 v[4:5], v[38:39], v[42:43]
	v_fma_f64 v[4:5], v[36:37], v[40:41], -v[4:5]
	v_add_f64 v[2:3], v[2:3], v[4:5]
	v_mul_f64 v[4:5], v[46:47], v[50:51]
	v_fma_f64 v[4:5], v[44:45], v[48:49], -v[4:5]
	v_add_f64 v[2:3], v[2:3], v[4:5]
	;; [unrolled: 3-line block ×22, first 2 shown]
	scratch_load_dwordx4 v[2:5], off, off offset:400
	s_waitcnt vmcnt(0)
	v_add_f64 v[2:3], v[2:3], -v[6:7]
	v_add_f64 v[4:5], v[4:5], -v[168:169]
	scratch_store_dwordx4 off, v[2:5], off offset:400
	s_and_saveexec_b64 s[0:1], vcc
	s_cbranch_execz .LBB50_273
; %bb.272:
	scratch_load_dwordx4 v[2:5], off, s50
	v_mov_b32_e32 v6, 0
	v_mov_b32_e32 v7, v6
	;; [unrolled: 1-line block ×4, first 2 shown]
	v_accvgpr_read_b32 v0, a103
	scratch_store_dwordx4 off, v[6:9], off offset:384
	s_waitcnt vmcnt(1)
	ds_write_b128 v0, v[2:5]
.LBB50_273:
	s_or_b64 exec, exec, s[0:1]
	v_mov_b32_e32 v2, 0
	s_waitcnt lgkmcnt(0)
	; wave barrier
	ds_read_b128 v[16:19], v2 offset:1200
	ds_read_b128 v[12:15], v2 offset:1216
	;; [unrolled: 1-line block ×4, first 2 shown]
	scratch_load_dwordx4 v[20:23], off, off offset:400
	scratch_load_dwordx4 v[40:43], off, off offset:464
	;; [unrolled: 1-line block ×21, first 2 shown]
	v_cmp_lt_u32_e32 vcc, 22, v244
	scratch_load_dwordx4 v[48:51], off, off offset:480
	scratch_load_dwordx4 v[56:59], off, off offset:496
	;; [unrolled: 1-line block ×3, first 2 shown]
	s_waitcnt vmcnt(23) lgkmcnt(3)
	v_mul_f64 v[24:25], v[16:17], v[22:23]
	v_fmac_f64_e32 v[24:25], v[18:19], v[20:21]
	v_add_f64 v[28:29], v[24:25], 0
	scratch_load_dwordx4 v[24:27], off, off offset:416
	v_mul_f64 v[18:19], v[18:19], v[22:23]
	v_fma_f64 v[16:17], v[16:17], v[20:21], -v[18:19]
	v_add_f64 v[16:17], v[16:17], 0
	s_waitcnt vmcnt(0) lgkmcnt(2)
	v_mul_f64 v[30:31], v[12:13], v[26:27]
	v_fmac_f64_e32 v[30:31], v[14:15], v[24:25]
	v_add_f64 v[32:33], v[28:29], v[30:31]
	scratch_load_dwordx4 v[28:31], off, off offset:432
	v_mul_f64 v[14:15], v[14:15], v[26:27]
	v_fma_f64 v[12:13], v[12:13], v[24:25], -v[14:15]
	v_add_f64 v[12:13], v[16:17], v[12:13]
	;; [unrolled: 8-line block ×3, first 2 shown]
	s_waitcnt vmcnt(0) lgkmcnt(0)
	v_mul_f64 v[38:39], v[4:5], v[34:35]
	v_fmac_f64_e32 v[38:39], v[6:7], v[32:33]
	v_add_f64 v[44:45], v[36:37], v[38:39]
	ds_read_b128 v[36:39], v2 offset:1264
	v_mul_f64 v[6:7], v[6:7], v[34:35]
	v_fma_f64 v[4:5], v[4:5], v[32:33], -v[6:7]
	v_add_f64 v[4:5], v[8:9], v[4:5]
	s_waitcnt lgkmcnt(0)
	v_mul_f64 v[46:47], v[36:37], v[42:43]
	v_fmac_f64_e32 v[46:47], v[38:39], v[40:41]
	v_add_f64 v[52:53], v[44:45], v[46:47]
	ds_read_b128 v[44:47], v2 offset:1280
	v_mul_f64 v[6:7], v[38:39], v[42:43]
	v_fma_f64 v[6:7], v[36:37], v[40:41], -v[6:7]
	v_add_f64 v[4:5], v[4:5], v[6:7]
	s_waitcnt lgkmcnt(0)
	;; [unrolled: 8-line block ×23, first 2 shown]
	v_mul_f64 v[6:7], v[216:217], v[220:221]
	v_fma_f64 v[6:7], v[214:215], v[218:219], -v[6:7]
	v_add_f64 v[8:9], v[4:5], v[6:7]
	scratch_load_dwordx4 v[4:7], off, off offset:384
	v_mul_f64 v[222:223], v[214:215], v[220:221]
	v_fmac_f64_e32 v[222:223], v[216:217], v[218:219]
	v_add_f64 v[160:161], v[160:161], v[222:223]
	s_waitcnt vmcnt(0)
	v_add_f64 v[4:5], v[4:5], -v[8:9]
	v_add_f64 v[6:7], v[6:7], -v[160:161]
	scratch_store_dwordx4 off, v[4:7], off offset:384
	s_and_saveexec_b64 s[0:1], vcc
	s_cbranch_execz .LBB50_275
; %bb.274:
	scratch_load_dwordx4 v[6:9], off, s49
	v_mov_b32_e32 v3, v2
	v_mov_b32_e32 v4, v2
	;; [unrolled: 1-line block ×3, first 2 shown]
	v_accvgpr_read_b32 v0, a103
	scratch_store_dwordx4 off, v[2:5], off offset:368
	s_waitcnt vmcnt(1)
	ds_write_b128 v0, v[6:9]
.LBB50_275:
	s_or_b64 exec, exec, s[0:1]
	s_waitcnt lgkmcnt(0)
	; wave barrier
	ds_read_b128 v[16:19], v2 offset:1184
	ds_read_b128 v[12:15], v2 offset:1200
	;; [unrolled: 1-line block ×4, first 2 shown]
	scratch_load_dwordx4 v[20:23], off, off offset:384
	scratch_load_dwordx4 v[40:43], off, off offset:448
	;; [unrolled: 1-line block ×22, first 2 shown]
	v_cmp_lt_u32_e32 vcc, 21, v244
	scratch_load_dwordx4 v[48:51], off, off offset:464
	scratch_load_dwordx4 v[56:59], off, off offset:480
	scratch_load_dwordx4 v[64:67], off, off offset:496
	s_waitcnt vmcnt(24) lgkmcnt(3)
	v_mul_f64 v[24:25], v[16:17], v[22:23]
	v_fmac_f64_e32 v[24:25], v[18:19], v[20:21]
	v_add_f64 v[28:29], v[24:25], 0
	scratch_load_dwordx4 v[24:27], off, off offset:400
	s_waitcnt vmcnt(0) lgkmcnt(2)
	v_mul_f64 v[30:31], v[12:13], v[26:27]
	v_fmac_f64_e32 v[30:31], v[14:15], v[24:25]
	v_add_f64 v[32:33], v[28:29], v[30:31]
	scratch_load_dwordx4 v[28:31], off, off offset:416
	v_mul_f64 v[14:15], v[14:15], v[26:27]
	v_fma_f64 v[12:13], v[12:13], v[24:25], -v[14:15]
	s_waitcnt vmcnt(0) lgkmcnt(1)
	v_mul_f64 v[34:35], v[8:9], v[30:31]
	v_fmac_f64_e32 v[34:35], v[10:11], v[28:29]
	v_add_f64 v[36:37], v[32:33], v[34:35]
	scratch_load_dwordx4 v[32:35], off, off offset:432
	v_mul_f64 v[10:11], v[10:11], v[30:31]
	v_fma_f64 v[8:9], v[8:9], v[28:29], -v[10:11]
	s_waitcnt vmcnt(0) lgkmcnt(0)
	v_mul_f64 v[38:39], v[4:5], v[34:35]
	v_fmac_f64_e32 v[38:39], v[6:7], v[32:33]
	v_add_f64 v[44:45], v[36:37], v[38:39]
	ds_read_b128 v[36:39], v2 offset:1248
	v_mul_f64 v[6:7], v[6:7], v[34:35]
	v_fma_f64 v[4:5], v[4:5], v[32:33], -v[6:7]
	s_waitcnt lgkmcnt(0)
	v_mul_f64 v[46:47], v[36:37], v[42:43]
	v_fmac_f64_e32 v[46:47], v[38:39], v[40:41]
	v_add_f64 v[52:53], v[44:45], v[46:47]
	ds_read_b128 v[44:47], v2 offset:1264
	s_waitcnt lgkmcnt(0)
	v_mul_f64 v[54:55], v[44:45], v[50:51]
	v_fmac_f64_e32 v[54:55], v[46:47], v[48:49]
	v_add_f64 v[60:61], v[52:53], v[54:55]
	ds_read_b128 v[52:55], v2 offset:1280
	;; [unrolled: 5-line block ×23, first 2 shown]
	s_waitcnt lgkmcnt(0)
	v_mul_f64 v[2:3], v[222:223], v[228:229]
	v_fmac_f64_e32 v[2:3], v[224:225], v[226:227]
	v_add_f64 v[176:177], v[176:177], v[2:3]
	v_mul_f64 v[2:3], v[18:19], v[22:23]
	v_fma_f64 v[2:3], v[16:17], v[20:21], -v[2:3]
	v_add_f64 v[2:3], v[2:3], 0
	v_add_f64 v[2:3], v[2:3], v[12:13]
	;; [unrolled: 1-line block ×4, first 2 shown]
	v_mul_f64 v[4:5], v[38:39], v[42:43]
	v_fma_f64 v[4:5], v[36:37], v[40:41], -v[4:5]
	v_add_f64 v[2:3], v[2:3], v[4:5]
	v_mul_f64 v[4:5], v[46:47], v[50:51]
	v_fma_f64 v[4:5], v[44:45], v[48:49], -v[4:5]
	v_add_f64 v[2:3], v[2:3], v[4:5]
	v_mul_f64 v[4:5], v[54:55], v[58:59]
	v_fma_f64 v[4:5], v[52:53], v[56:57], -v[4:5]
	v_add_f64 v[2:3], v[2:3], v[4:5]
	v_mul_f64 v[4:5], v[62:63], v[66:67]
	v_fma_f64 v[4:5], v[60:61], v[64:65], -v[4:5]
	v_add_f64 v[2:3], v[2:3], v[4:5]
	v_mul_f64 v[4:5], v[70:71], v[74:75]
	v_fma_f64 v[4:5], v[68:69], v[72:73], -v[4:5]
	v_add_f64 v[2:3], v[2:3], v[4:5]
	v_mul_f64 v[4:5], v[78:79], v[82:83]
	v_fma_f64 v[4:5], v[76:77], v[80:81], -v[4:5]
	v_add_f64 v[2:3], v[2:3], v[4:5]
	v_mul_f64 v[4:5], v[86:87], v[90:91]
	v_fma_f64 v[4:5], v[84:85], v[88:89], -v[4:5]
	v_add_f64 v[2:3], v[2:3], v[4:5]
	v_mul_f64 v[4:5], v[94:95], v[98:99]
	v_fma_f64 v[4:5], v[92:93], v[96:97], -v[4:5]
	v_add_f64 v[2:3], v[2:3], v[4:5]
	v_mul_f64 v[4:5], v[102:103], v[106:107]
	v_fma_f64 v[4:5], v[100:101], v[104:105], -v[4:5]
	v_add_f64 v[2:3], v[2:3], v[4:5]
	v_mul_f64 v[4:5], v[110:111], v[114:115]
	v_fma_f64 v[4:5], v[108:109], v[112:113], -v[4:5]
	v_add_f64 v[2:3], v[2:3], v[4:5]
	v_mul_f64 v[4:5], v[118:119], v[122:123]
	v_fma_f64 v[4:5], v[116:117], v[120:121], -v[4:5]
	v_add_f64 v[2:3], v[2:3], v[4:5]
	v_mul_f64 v[4:5], v[126:127], v[130:131]
	v_fma_f64 v[4:5], v[124:125], v[128:129], -v[4:5]
	v_add_f64 v[2:3], v[2:3], v[4:5]
	v_mul_f64 v[4:5], v[134:135], v[138:139]
	v_fma_f64 v[4:5], v[132:133], v[136:137], -v[4:5]
	v_add_f64 v[2:3], v[2:3], v[4:5]
	v_mul_f64 v[4:5], v[142:143], v[146:147]
	v_fma_f64 v[4:5], v[140:141], v[144:145], -v[4:5]
	v_add_f64 v[2:3], v[2:3], v[4:5]
	v_mul_f64 v[4:5], v[150:151], v[154:155]
	v_fma_f64 v[4:5], v[148:149], v[152:153], -v[4:5]
	v_add_f64 v[2:3], v[2:3], v[4:5]
	v_mul_f64 v[4:5], v[158:159], v[162:163]
	v_fma_f64 v[4:5], v[156:157], v[160:161], -v[4:5]
	v_add_f64 v[2:3], v[2:3], v[4:5]
	v_mul_f64 v[4:5], v[166:167], v[170:171]
	v_fma_f64 v[4:5], v[164:165], v[168:169], -v[4:5]
	v_add_f64 v[2:3], v[2:3], v[4:5]
	v_mul_f64 v[4:5], v[174:175], v[180:181]
	v_fma_f64 v[4:5], v[172:173], v[178:179], -v[4:5]
	v_add_f64 v[2:3], v[2:3], v[4:5]
	v_mul_f64 v[4:5], v[184:185], v[188:189]
	v_fma_f64 v[4:5], v[182:183], v[186:187], -v[4:5]
	v_add_f64 v[2:3], v[2:3], v[4:5]
	v_mul_f64 v[4:5], v[192:193], v[196:197]
	v_fma_f64 v[4:5], v[190:191], v[194:195], -v[4:5]
	v_add_f64 v[2:3], v[2:3], v[4:5]
	v_mul_f64 v[4:5], v[200:201], v[204:205]
	v_fma_f64 v[4:5], v[198:199], v[202:203], -v[4:5]
	v_add_f64 v[2:3], v[2:3], v[4:5]
	v_mul_f64 v[4:5], v[208:209], v[212:213]
	v_fma_f64 v[4:5], v[206:207], v[210:211], -v[4:5]
	v_add_f64 v[2:3], v[2:3], v[4:5]
	v_mul_f64 v[4:5], v[216:217], v[220:221]
	v_fma_f64 v[4:5], v[214:215], v[218:219], -v[4:5]
	v_add_f64 v[2:3], v[2:3], v[4:5]
	v_mul_f64 v[4:5], v[224:225], v[228:229]
	v_fma_f64 v[4:5], v[222:223], v[226:227], -v[4:5]
	v_add_f64 v[6:7], v[2:3], v[4:5]
	scratch_load_dwordx4 v[2:5], off, off offset:368
	s_waitcnt vmcnt(0)
	v_add_f64 v[2:3], v[2:3], -v[6:7]
	v_add_f64 v[4:5], v[4:5], -v[176:177]
	scratch_store_dwordx4 off, v[2:5], off offset:368
	s_and_saveexec_b64 s[0:1], vcc
	s_cbranch_execz .LBB50_277
; %bb.276:
	scratch_load_dwordx4 v[2:5], off, s48
	v_mov_b32_e32 v6, 0
	v_mov_b32_e32 v7, v6
	;; [unrolled: 1-line block ×4, first 2 shown]
	v_accvgpr_read_b32 v0, a103
	scratch_store_dwordx4 off, v[6:9], off offset:352
	s_waitcnt vmcnt(1)
	ds_write_b128 v0, v[2:5]
.LBB50_277:
	s_or_b64 exec, exec, s[0:1]
	v_mov_b32_e32 v2, 0
	s_waitcnt lgkmcnt(0)
	; wave barrier
	ds_read_b128 v[16:19], v2 offset:1168
	ds_read_b128 v[12:15], v2 offset:1184
	;; [unrolled: 1-line block ×4, first 2 shown]
	scratch_load_dwordx4 v[20:23], off, off offset:368
	scratch_load_dwordx4 v[40:43], off, off offset:432
	;; [unrolled: 1-line block ×23, first 2 shown]
	v_cmp_lt_u32_e32 vcc, 20, v244
	scratch_load_dwordx4 v[48:51], off, off offset:448
	scratch_load_dwordx4 v[56:59], off, off offset:464
	;; [unrolled: 1-line block ×3, first 2 shown]
	s_waitcnt vmcnt(25) lgkmcnt(3)
	v_mul_f64 v[24:25], v[16:17], v[22:23]
	v_fmac_f64_e32 v[24:25], v[18:19], v[20:21]
	v_add_f64 v[28:29], v[24:25], 0
	scratch_load_dwordx4 v[24:27], off, off offset:384
	v_mul_f64 v[18:19], v[18:19], v[22:23]
	v_fma_f64 v[16:17], v[16:17], v[20:21], -v[18:19]
	v_add_f64 v[16:17], v[16:17], 0
	s_waitcnt vmcnt(0) lgkmcnt(2)
	v_mul_f64 v[30:31], v[12:13], v[26:27]
	v_fmac_f64_e32 v[30:31], v[14:15], v[24:25]
	v_add_f64 v[32:33], v[28:29], v[30:31]
	scratch_load_dwordx4 v[28:31], off, off offset:400
	v_mul_f64 v[14:15], v[14:15], v[26:27]
	v_fma_f64 v[12:13], v[12:13], v[24:25], -v[14:15]
	v_add_f64 v[12:13], v[16:17], v[12:13]
	;; [unrolled: 8-line block ×3, first 2 shown]
	s_waitcnt vmcnt(0) lgkmcnt(0)
	v_mul_f64 v[38:39], v[4:5], v[34:35]
	v_fmac_f64_e32 v[38:39], v[6:7], v[32:33]
	v_add_f64 v[44:45], v[36:37], v[38:39]
	ds_read_b128 v[36:39], v2 offset:1232
	v_mul_f64 v[6:7], v[6:7], v[34:35]
	v_fma_f64 v[4:5], v[4:5], v[32:33], -v[6:7]
	v_add_f64 v[4:5], v[8:9], v[4:5]
	s_waitcnt lgkmcnt(0)
	v_mul_f64 v[46:47], v[36:37], v[42:43]
	v_fmac_f64_e32 v[46:47], v[38:39], v[40:41]
	v_add_f64 v[52:53], v[44:45], v[46:47]
	ds_read_b128 v[44:47], v2 offset:1248
	v_mul_f64 v[6:7], v[38:39], v[42:43]
	v_fma_f64 v[6:7], v[36:37], v[40:41], -v[6:7]
	v_add_f64 v[4:5], v[4:5], v[6:7]
	s_waitcnt lgkmcnt(0)
	;; [unrolled: 8-line block ×25, first 2 shown]
	v_mul_f64 v[6:7], v[232:233], v[236:237]
	v_fma_f64 v[6:7], v[230:231], v[234:235], -v[6:7]
	v_add_f64 v[8:9], v[4:5], v[6:7]
	scratch_load_dwordx4 v[4:7], off, off offset:352
	v_mul_f64 v[238:239], v[230:231], v[236:237]
	v_fmac_f64_e32 v[238:239], v[232:233], v[234:235]
	v_add_f64 v[176:177], v[176:177], v[238:239]
	s_waitcnt vmcnt(0)
	v_add_f64 v[4:5], v[4:5], -v[8:9]
	v_add_f64 v[6:7], v[6:7], -v[176:177]
	scratch_store_dwordx4 off, v[4:7], off offset:352
	s_and_saveexec_b64 s[0:1], vcc
	s_cbranch_execz .LBB50_279
; %bb.278:
	scratch_load_dwordx4 v[6:9], off, s47
	v_mov_b32_e32 v3, v2
	v_mov_b32_e32 v4, v2
	;; [unrolled: 1-line block ×3, first 2 shown]
	v_accvgpr_read_b32 v0, a103
	scratch_store_dwordx4 off, v[2:5], off offset:336
	s_waitcnt vmcnt(1)
	ds_write_b128 v0, v[6:9]
.LBB50_279:
	s_or_b64 exec, exec, s[0:1]
	s_waitcnt lgkmcnt(0)
	; wave barrier
	ds_read_b128 v[16:19], v2 offset:1152
	ds_read_b128 v[12:15], v2 offset:1168
	;; [unrolled: 1-line block ×4, first 2 shown]
	scratch_load_dwordx4 v[20:23], off, off offset:352
	scratch_load_dwordx4 v[40:43], off, off offset:416
	;; [unrolled: 1-line block ×24, first 2 shown]
	v_cmp_lt_u32_e32 vcc, 19, v244
	scratch_load_dwordx4 v[48:51], off, off offset:432
	scratch_load_dwordx4 v[56:59], off, off offset:448
	;; [unrolled: 1-line block ×3, first 2 shown]
	ds_read_b128 v[246:249], v2 offset:1616
	s_waitcnt vmcnt(26) lgkmcnt(4)
	v_mul_f64 v[24:25], v[16:17], v[22:23]
	v_fmac_f64_e32 v[24:25], v[18:19], v[20:21]
	v_add_f64 v[28:29], v[24:25], 0
	scratch_load_dwordx4 v[24:27], off, off offset:368
	s_waitcnt vmcnt(0) lgkmcnt(3)
	v_mul_f64 v[30:31], v[12:13], v[26:27]
	v_fmac_f64_e32 v[30:31], v[14:15], v[24:25]
	v_add_f64 v[32:33], v[28:29], v[30:31]
	scratch_load_dwordx4 v[28:31], off, off offset:384
	v_mul_f64 v[14:15], v[14:15], v[26:27]
	v_fma_f64 v[12:13], v[12:13], v[24:25], -v[14:15]
	s_waitcnt vmcnt(0) lgkmcnt(2)
	v_mul_f64 v[34:35], v[8:9], v[30:31]
	v_fmac_f64_e32 v[34:35], v[10:11], v[28:29]
	v_add_f64 v[36:37], v[32:33], v[34:35]
	scratch_load_dwordx4 v[32:35], off, off offset:400
	v_mul_f64 v[10:11], v[10:11], v[30:31]
	v_fma_f64 v[8:9], v[8:9], v[28:29], -v[10:11]
	s_waitcnt vmcnt(0) lgkmcnt(1)
	v_mul_f64 v[38:39], v[4:5], v[34:35]
	v_fmac_f64_e32 v[38:39], v[6:7], v[32:33]
	v_add_f64 v[44:45], v[36:37], v[38:39]
	ds_read_b128 v[36:39], v2 offset:1216
	v_mul_f64 v[6:7], v[6:7], v[34:35]
	v_fma_f64 v[4:5], v[4:5], v[32:33], -v[6:7]
	s_waitcnt lgkmcnt(0)
	v_mul_f64 v[46:47], v[36:37], v[42:43]
	v_fmac_f64_e32 v[46:47], v[38:39], v[40:41]
	v_add_f64 v[52:53], v[44:45], v[46:47]
	ds_read_b128 v[44:47], v2 offset:1232
	s_waitcnt lgkmcnt(0)
	v_mul_f64 v[54:55], v[44:45], v[50:51]
	v_fmac_f64_e32 v[54:55], v[46:47], v[48:49]
	v_add_f64 v[60:61], v[52:53], v[54:55]
	ds_read_b128 v[52:55], v2 offset:1248
	;; [unrolled: 5-line block ×24, first 2 shown]
	v_mul_f64 v[2:3], v[246:247], v[252:253]
	v_fmac_f64_e32 v[2:3], v[248:249], v[250:251]
	s_waitcnt lgkmcnt(0)
	v_mul_f64 v[238:239], v[230:231], v[236:237]
	v_fmac_f64_e32 v[238:239], v[232:233], v[234:235]
	v_add_f64 v[184:185], v[184:185], v[238:239]
	v_add_f64 v[184:185], v[184:185], v[2:3]
	v_mul_f64 v[2:3], v[18:19], v[22:23]
	v_fma_f64 v[2:3], v[16:17], v[20:21], -v[2:3]
	v_add_f64 v[2:3], v[2:3], 0
	v_add_f64 v[2:3], v[2:3], v[12:13]
	;; [unrolled: 1-line block ×4, first 2 shown]
	v_mul_f64 v[4:5], v[38:39], v[42:43]
	v_fma_f64 v[4:5], v[36:37], v[40:41], -v[4:5]
	v_add_f64 v[2:3], v[2:3], v[4:5]
	v_mul_f64 v[4:5], v[46:47], v[50:51]
	v_fma_f64 v[4:5], v[44:45], v[48:49], -v[4:5]
	v_add_f64 v[2:3], v[2:3], v[4:5]
	;; [unrolled: 3-line block ×26, first 2 shown]
	scratch_load_dwordx4 v[2:5], off, off offset:336
	s_waitcnt vmcnt(0)
	v_add_f64 v[2:3], v[2:3], -v[6:7]
	v_add_f64 v[4:5], v[4:5], -v[184:185]
	scratch_store_dwordx4 off, v[2:5], off offset:336
	s_and_saveexec_b64 s[0:1], vcc
	s_cbranch_execz .LBB50_281
; %bb.280:
	scratch_load_dwordx4 v[2:5], off, s46
	v_mov_b32_e32 v6, 0
	v_mov_b32_e32 v7, v6
	;; [unrolled: 1-line block ×4, first 2 shown]
	v_accvgpr_read_b32 v0, a103
	scratch_store_dwordx4 off, v[6:9], off offset:320
	s_waitcnt vmcnt(1)
	ds_write_b128 v0, v[2:5]
.LBB50_281:
	s_or_b64 exec, exec, s[0:1]
	s_waitcnt lgkmcnt(0)
	; wave barrier
	scratch_load_dwordx4 v[16:19], off, off offset:336
	scratch_load_dwordx4 v[12:15], off, off offset:352
	;; [unrolled: 1-line block ×32, first 2 shown]
	v_mov_b32_e32 v2, 0
	ds_read_b128 v[132:135], v2 offset:1136
	ds_read_b128 v[136:139], v2 offset:1152
	;; [unrolled: 1-line block ×17, first 2 shown]
	v_cmp_lt_u32_e32 vcc, 18, v244
	s_waitcnt vmcnt(31) lgkmcnt(14)
	v_mul_f64 v[200:201], v[132:133], v[18:19]
	s_waitcnt vmcnt(30)
	v_mul_f64 v[202:203], v[136:137], v[14:15]
	v_fmac_f64_e32 v[200:201], v[134:135], v[16:17]
	s_waitcnt vmcnt(29)
	v_mul_f64 v[204:205], v[140:141], v[10:11]
	v_fmac_f64_e32 v[202:203], v[138:139], v[12:13]
	v_add_f64 v[200:201], v[200:201], 0
	s_waitcnt vmcnt(28) lgkmcnt(13)
	v_mul_f64 v[206:207], v[144:145], v[6:7]
	v_fmac_f64_e32 v[204:205], v[142:143], v[8:9]
	v_add_f64 v[200:201], v[200:201], v[202:203]
	s_waitcnt vmcnt(27) lgkmcnt(12)
	;; [unrolled: 4-line block ×12, first 2 shown]
	v_mul_f64 v[228:229], v[188:189], v[62:63]
	v_fmac_f64_e32 v[226:227], v[186:187], v[56:57]
	v_add_f64 v[200:201], v[200:201], v[224:225]
	v_fmac_f64_e32 v[228:229], v[190:191], v[60:61]
	v_add_f64 v[200:201], v[200:201], v[226:227]
	s_waitcnt vmcnt(16) lgkmcnt(1)
	v_mul_f64 v[202:203], v[192:193], v[66:67]
	v_add_f64 v[200:201], v[200:201], v[228:229]
	v_fmac_f64_e32 v[202:203], v[194:195], v[64:65]
	s_waitcnt vmcnt(15) lgkmcnt(0)
	v_mul_f64 v[206:207], v[196:197], v[70:71]
	v_add_f64 v[204:205], v[200:201], v[202:203]
	ds_read_b128 v[200:203], v2 offset:1408
	v_fmac_f64_e32 v[206:207], v[198:199], v[68:69]
	v_add_f64 v[208:209], v[204:205], v[206:207]
	ds_read_b128 v[204:207], v2 offset:1424
	v_mul_f64 v[18:19], v[134:135], v[18:19]
	s_waitcnt vmcnt(14) lgkmcnt(1)
	v_mul_f64 v[210:211], v[200:201], v[74:75]
	v_fmac_f64_e32 v[210:211], v[202:203], v[72:73]
	v_add_f64 v[212:213], v[208:209], v[210:211]
	s_waitcnt vmcnt(13) lgkmcnt(0)
	v_mul_f64 v[214:215], v[204:205], v[78:79]
	ds_read_b128 v[208:211], v2 offset:1440
	v_fmac_f64_e32 v[214:215], v[206:207], v[76:77]
	v_add_f64 v[216:217], v[212:213], v[214:215]
	ds_read_b128 v[212:215], v2 offset:1456
	v_fma_f64 v[248:249], v[132:133], v[16:17], -v[18:19]
	s_waitcnt vmcnt(12) lgkmcnt(1)
	v_mul_f64 v[218:219], v[208:209], v[82:83]
	v_fmac_f64_e32 v[218:219], v[210:211], v[80:81]
	v_add_f64 v[220:221], v[216:217], v[218:219]
	s_waitcnt vmcnt(11) lgkmcnt(0)
	v_mul_f64 v[222:223], v[212:213], v[86:87]
	ds_read_b128 v[216:219], v2 offset:1472
	v_fmac_f64_e32 v[222:223], v[214:215], v[84:85]
	v_add_f64 v[224:225], v[220:221], v[222:223]
	ds_read_b128 v[220:223], v2 offset:1488
	ds_read_b128 v[16:19], v2 offset:1568
	s_waitcnt vmcnt(10) lgkmcnt(2)
	v_mul_f64 v[226:227], v[216:217], v[90:91]
	v_fmac_f64_e32 v[226:227], v[218:219], v[88:89]
	v_add_f64 v[228:229], v[224:225], v[226:227]
	s_waitcnt vmcnt(9) lgkmcnt(1)
	v_mul_f64 v[230:231], v[220:221], v[94:95]
	ds_read_b128 v[224:227], v2 offset:1504
	v_fmac_f64_e32 v[230:231], v[222:223], v[92:93]
	v_add_f64 v[232:233], v[228:229], v[230:231]
	ds_read_b128 v[228:231], v2 offset:1520
	v_mul_f64 v[14:15], v[138:139], v[14:15]
	s_waitcnt vmcnt(8) lgkmcnt(1)
	v_mul_f64 v[234:235], v[224:225], v[98:99]
	v_fmac_f64_e32 v[234:235], v[226:227], v[96:97]
	v_add_f64 v[236:237], v[232:233], v[234:235]
	s_waitcnt vmcnt(7) lgkmcnt(0)
	v_mul_f64 v[238:239], v[228:229], v[102:103]
	ds_read_b128 v[232:235], v2 offset:1536
	v_fmac_f64_e32 v[238:239], v[230:231], v[100:101]
	v_add_f64 v[246:247], v[236:237], v[238:239]
	ds_read_b128 v[236:239], v2 offset:1552
	v_fma_f64 v[136:137], v[136:137], v[12:13], -v[14:15]
	s_waitcnt vmcnt(6) lgkmcnt(1)
	v_mul_f64 v[132:133], v[232:233], v[106:107]
	v_fmac_f64_e32 v[132:133], v[234:235], v[104:105]
	v_add_f64 v[132:133], v[246:247], v[132:133]
	s_waitcnt vmcnt(5) lgkmcnt(0)
	v_mul_f64 v[134:135], v[236:237], v[110:111]
	v_fmac_f64_e32 v[134:135], v[238:239], v[108:109]
	v_add_f64 v[132:133], v[132:133], v[134:135]
	ds_read_b128 v[12:15], v2 offset:1584
	s_waitcnt vmcnt(4)
	v_mul_f64 v[134:135], v[16:17], v[114:115]
	v_fmac_f64_e32 v[134:135], v[18:19], v[112:113]
	v_add_f64 v[138:139], v[132:133], v[134:135]
	ds_read_b128 v[132:135], v2 offset:1600
	v_mul_f64 v[10:11], v[142:143], v[10:11]
	v_fma_f64 v[140:141], v[140:141], v[8:9], -v[10:11]
	ds_read_b128 v[8:11], v2 offset:1616
	s_waitcnt vmcnt(3) lgkmcnt(2)
	v_mul_f64 v[142:143], v[12:13], v[118:119]
	v_fmac_f64_e32 v[142:143], v[14:15], v[116:117]
	v_add_f64 v[138:139], v[138:139], v[142:143]
	s_waitcnt vmcnt(2) lgkmcnt(1)
	v_mul_f64 v[142:143], v[132:133], v[122:123]
	v_fmac_f64_e32 v[142:143], v[134:135], v[120:121]
	v_add_f64 v[138:139], v[138:139], v[142:143]
	;; [unrolled: 4-line block ×3, first 2 shown]
	v_add_f64 v[142:143], v[248:249], 0
	v_add_f64 v[136:137], v[142:143], v[136:137]
	v_mul_f64 v[6:7], v[146:147], v[6:7]
	v_add_f64 v[136:137], v[136:137], v[140:141]
	v_fma_f64 v[4:5], v[144:145], v[4:5], -v[6:7]
	v_mul_f64 v[6:7], v[150:151], v[22:23]
	v_add_f64 v[4:5], v[136:137], v[4:5]
	v_fma_f64 v[6:7], v[148:149], v[20:21], -v[6:7]
	v_add_f64 v[4:5], v[4:5], v[6:7]
	v_mul_f64 v[6:7], v[154:155], v[26:27]
	v_fma_f64 v[6:7], v[152:153], v[24:25], -v[6:7]
	v_add_f64 v[4:5], v[4:5], v[6:7]
	v_mul_f64 v[6:7], v[158:159], v[30:31]
	;; [unrolled: 3-line block ×26, first 2 shown]
	v_fma_f64 v[6:7], v[8:9], v[124:125], -v[6:7]
	v_add_f64 v[4:5], v[4:5], v[6:7]
	s_waitcnt vmcnt(0)
	v_add_f64 v[4:5], v[128:129], -v[4:5]
	v_add_f64 v[6:7], v[130:131], -v[138:139]
	scratch_store_dwordx4 off, v[4:7], off offset:320
	s_and_saveexec_b64 s[0:1], vcc
	s_cbranch_execz .LBB50_283
; %bb.282:
	scratch_load_dwordx4 v[6:9], off, s45
	v_mov_b32_e32 v3, v2
	v_mov_b32_e32 v4, v2
	;; [unrolled: 1-line block ×3, first 2 shown]
	v_accvgpr_read_b32 v0, a103
	scratch_store_dwordx4 off, v[2:5], off offset:304
	s_waitcnt vmcnt(1)
	ds_write_b128 v0, v[6:9]
.LBB50_283:
	s_or_b64 exec, exec, s[0:1]
	s_waitcnt lgkmcnt(0)
	; wave barrier
	scratch_load_dwordx4 v[140:143], off, off offset:320
	scratch_load_dwordx4 v[148:151], off, off offset:336
	;; [unrolled: 1-line block ×16, first 2 shown]
	ds_read_b128 v[188:191], v2 offset:1120
	ds_read_b128 v[184:187], v2 offset:1136
	scratch_load_dwordx4 v[56:59], off, off offset:576
	ds_read_b128 v[192:195], v2 offset:1152
	ds_read_b128 v[68:71], v2 offset:1168
	scratch_load_dwordx4 v[60:63], off, off offset:592
	ds_read_b128 v[88:91], v2 offset:1184
	ds_read_b128 v[84:87], v2 offset:1200
	;; [unrolled: 1-line block ×4, first 2 shown]
	scratch_load_dwordx4 v[64:67], off, off offset:608
	ds_read_b128 v[100:103], v2 offset:1248
	ds_read_b128 v[96:99], v2 offset:1264
	scratch_load_dwordx4 v[72:75], off, off offset:624
	ds_read_b128 v[116:119], v2 offset:1280
	ds_read_b128 v[112:115], v2 offset:1296
	;; [unrolled: 1-line block ×4, first 2 shown]
	scratch_load_dwordx4 v[92:95], off, off offset:640
	ds_read_b128 v[132:135], v2 offset:1344
	ds_read_b128 v[128:131], v2 offset:1360
	;; [unrolled: 1-line block ×3, first 2 shown]
	scratch_load_dwordx4 v[120:123], off, off offset:656
	scratch_load_dwordx4 v[136:139], off, off offset:672
	;; [unrolled: 1-line block ×11, first 2 shown]
	v_cmp_lt_u32_e32 vcc, 17, v244
	s_waitcnt vmcnt(31) lgkmcnt(14)
	v_mul_f64 v[200:201], v[188:189], v[142:143]
	s_waitcnt vmcnt(30)
	v_mul_f64 v[202:203], v[184:185], v[150:151]
	v_fmac_f64_e32 v[200:201], v[190:191], v[140:141]
	s_waitcnt vmcnt(29)
	v_mul_f64 v[204:205], v[192:193], v[154:155]
	v_fmac_f64_e32 v[202:203], v[186:187], v[148:149]
	v_add_f64 v[200:201], v[200:201], 0
	s_waitcnt vmcnt(28) lgkmcnt(13)
	v_mul_f64 v[206:207], v[68:69], v[6:7]
	v_fmac_f64_e32 v[204:205], v[194:195], v[152:153]
	v_add_f64 v[200:201], v[200:201], v[202:203]
	s_waitcnt vmcnt(27) lgkmcnt(12)
	;; [unrolled: 4-line block ×13, first 2 shown]
	v_mul_f64 v[230:231], v[128:129], v[54:55]
	v_fmac_f64_e32 v[228:229], v[134:135], v[48:49]
	v_add_f64 v[200:201], v[200:201], v[226:227]
	v_add_f64 v[200:201], v[200:201], v[228:229]
	v_fmac_f64_e32 v[230:231], v[130:131], v[52:53]
	v_add_f64 v[204:205], v[200:201], v[230:231]
	ds_read_b128 v[200:203], v2 offset:1392
	s_waitcnt vmcnt(15) lgkmcnt(1)
	v_mul_f64 v[206:207], v[124:125], v[58:59]
	v_fmac_f64_e32 v[206:207], v[126:127], v[56:57]
	v_add_f64 v[208:209], v[204:205], v[206:207]
	ds_read_b128 v[204:207], v2 offset:1408
	s_waitcnt vmcnt(14) lgkmcnt(1)
	v_mul_f64 v[210:211], v[200:201], v[62:63]
	;; [unrolled: 5-line block ×10, first 2 shown]
	v_fmac_f64_e32 v[248:249], v[234:235], v[160:161]
	v_mul_f64 v[142:143], v[190:191], v[142:143]
	v_add_f64 v[248:249], v[246:247], v[248:249]
	v_fma_f64 v[246:247], v[188:189], v[140:141], -v[142:143]
	ds_read_b128 v[140:143], v2 offset:1552
	s_waitcnt vmcnt(5) lgkmcnt(1)
	v_mul_f64 v[188:189], v[236:237], v[166:167]
	v_fmac_f64_e32 v[188:189], v[238:239], v[164:165]
	v_mul_f64 v[150:151], v[186:187], v[150:151]
	v_add_f64 v[188:189], v[248:249], v[188:189]
	v_fma_f64 v[248:249], v[184:185], v[148:149], -v[150:151]
	ds_read_b128 v[148:151], v2 offset:1568
	s_waitcnt vmcnt(4) lgkmcnt(1)
	v_mul_f64 v[184:185], v[140:141], v[170:171]
	v_fmac_f64_e32 v[184:185], v[142:143], v[168:169]
	v_add_f64 v[188:189], v[188:189], v[184:185]
	ds_read_b128 v[184:187], v2 offset:1584
	v_mul_f64 v[154:155], v[194:195], v[154:155]
	s_waitcnt vmcnt(3) lgkmcnt(1)
	v_mul_f64 v[190:191], v[148:149], v[174:175]
	v_fma_f64 v[252:253], v[192:193], v[152:153], -v[154:155]
	ds_read_b128 v[152:155], v2 offset:1600
	v_fmac_f64_e32 v[190:191], v[150:151], v[172:173]
	v_add_f64 v[250:251], v[188:189], v[190:191]
	ds_read_b128 v[188:191], v2 offset:1616
	s_waitcnt vmcnt(2) lgkmcnt(2)
	v_mul_f64 v[192:193], v[184:185], v[178:179]
	v_fmac_f64_e32 v[192:193], v[186:187], v[176:177]
	v_add_f64 v[2:3], v[250:251], v[192:193]
	s_waitcnt vmcnt(1) lgkmcnt(1)
	v_mul_f64 v[192:193], v[152:153], v[182:183]
	v_fmac_f64_e32 v[192:193], v[154:155], v[180:181]
	v_add_f64 v[2:3], v[2:3], v[192:193]
	;; [unrolled: 4-line block ×3, first 2 shown]
	scratch_load_dwordx4 v[192:195], off, off offset:304
	v_add_f64 v[246:247], v[246:247], 0
	v_add_f64 v[246:247], v[246:247], v[248:249]
	v_mul_f64 v[6:7], v[70:71], v[6:7]
	v_add_f64 v[246:247], v[246:247], v[252:253]
	v_fma_f64 v[4:5], v[68:69], v[4:5], -v[6:7]
	v_mul_f64 v[6:7], v[90:91], v[10:11]
	v_add_f64 v[4:5], v[246:247], v[4:5]
	v_fma_f64 v[6:7], v[88:89], v[8:9], -v[6:7]
	v_add_f64 v[4:5], v[4:5], v[6:7]
	v_mul_f64 v[6:7], v[86:87], v[14:15]
	v_fma_f64 v[6:7], v[84:85], v[12:13], -v[6:7]
	v_add_f64 v[4:5], v[4:5], v[6:7]
	v_mul_f64 v[6:7], v[82:83], v[18:19]
	;; [unrolled: 3-line block ×27, first 2 shown]
	v_fma_f64 v[6:7], v[188:189], v[196:197], -v[6:7]
	v_add_f64 v[4:5], v[4:5], v[6:7]
	s_waitcnt vmcnt(0)
	v_add_f64 v[4:5], v[192:193], -v[4:5]
	v_add_f64 v[6:7], v[194:195], -v[2:3]
	scratch_store_dwordx4 off, v[4:7], off offset:304
	s_and_saveexec_b64 s[0:1], vcc
	s_cbranch_execz .LBB50_285
; %bb.284:
	scratch_load_dwordx4 v[2:5], off, s44
	v_mov_b32_e32 v6, 0
	v_mov_b32_e32 v7, v6
	;; [unrolled: 1-line block ×4, first 2 shown]
	v_accvgpr_read_b32 v0, a103
	scratch_store_dwordx4 off, v[6:9], off offset:288
	s_waitcnt vmcnt(1)
	ds_write_b128 v0, v[2:5]
.LBB50_285:
	s_or_b64 exec, exec, s[0:1]
	s_waitcnt lgkmcnt(0)
	; wave barrier
	scratch_load_dwordx4 v[108:111], off, off offset:304
	scratch_load_dwordx4 v[116:119], off, off offset:320
	;; [unrolled: 1-line block ×33, first 2 shown]
	v_mov_b32_e32 v2, 0
	ds_read_b128 v[220:223], v2 offset:1104
	ds_read_b128 v[224:227], v2 offset:1120
	ds_read_b128 v[234:237], v2 offset:1136
	ds_read_b128 v[246:249], v2 offset:1152
	ds_read_b128 v[250:253], v2 offset:1168
	ds_read_b128 v[176:179], v2 offset:1184
	ds_read_b128 v[172:175], v2 offset:1200
	ds_read_b128 v[168:171], v2 offset:1216
	ds_read_b128 v[164:167], v2 offset:1232
	ds_read_b128 v[160:163], v2 offset:1248
	ds_read_b128 v[156:159], v2 offset:1264
	ds_read_b128 v[152:155], v2 offset:1280
	ds_read_b128 v[148:151], v2 offset:1296
	ds_read_b128 v[144:147], v2 offset:1312
	ds_read_b128 v[140:143], v2 offset:1328
	ds_read_b128 v[136:139], v2 offset:1344
	v_cmp_lt_u32_e32 vcc, 16, v244
	s_waitcnt vmcnt(32) lgkmcnt(14)
	v_mul_f64 v[180:181], v[220:221], v[110:111]
	s_waitcnt vmcnt(31)
	v_mul_f64 v[182:183], v[224:225], v[118:119]
	v_fmac_f64_e32 v[180:181], v[222:223], v[108:109]
	s_waitcnt vmcnt(30) lgkmcnt(13)
	v_mul_f64 v[184:185], v[234:235], v[122:123]
	v_fmac_f64_e32 v[182:183], v[226:227], v[116:117]
	v_add_f64 v[180:181], v[180:181], 0
	s_waitcnt vmcnt(29) lgkmcnt(12)
	v_mul_f64 v[186:187], v[246:247], v[126:127]
	v_fmac_f64_e32 v[184:185], v[236:237], v[120:121]
	v_add_f64 v[180:181], v[180:181], v[182:183]
	;; [unrolled: 4-line block ×13, first 2 shown]
	v_fmac_f64_e32 v[208:209], v[142:143], v[40:41]
	v_add_f64 v[180:181], v[180:181], v[206:207]
	v_add_f64 v[184:185], v[180:181], v[208:209]
	ds_read_b128 v[180:183], v2 offset:1360
	s_waitcnt vmcnt(17) lgkmcnt(1)
	v_mul_f64 v[186:187], v[136:137], v[46:47]
	v_fmac_f64_e32 v[186:187], v[138:139], v[44:45]
	v_add_f64 v[188:189], v[184:185], v[186:187]
	ds_read_b128 v[184:187], v2 offset:1376
	s_waitcnt vmcnt(16) lgkmcnt(1)
	v_mul_f64 v[190:191], v[180:181], v[50:51]
	v_fmac_f64_e32 v[190:191], v[182:183], v[48:49]
	;; [unrolled: 5-line block ×10, first 2 shown]
	v_mul_f64 v[110:111], v[222:223], v[110:111]
	v_add_f64 v[228:229], v[228:229], v[230:231]
	v_fma_f64 v[230:231], v[220:221], v[108:109], -v[110:111]
	ds_read_b128 v[108:111], v2 offset:1520
	s_waitcnt vmcnt(7) lgkmcnt(1)
	v_mul_f64 v[220:221], v[216:217], v[86:87]
	v_mul_f64 v[118:119], v[226:227], v[118:119]
	v_fmac_f64_e32 v[220:221], v[218:219], v[84:85]
	v_fma_f64 v[232:233], v[224:225], v[116:117], -v[118:119]
	ds_read_b128 v[116:119], v2 offset:1536
	s_waitcnt vmcnt(6) lgkmcnt(1)
	v_mul_f64 v[222:223], v[108:109], v[90:91]
	v_add_f64 v[220:221], v[228:229], v[220:221]
	v_fmac_f64_e32 v[222:223], v[110:111], v[88:89]
	v_add_f64 v[224:225], v[220:221], v[222:223]
	ds_read_b128 v[220:223], v2 offset:1552
	v_mul_f64 v[122:123], v[236:237], v[122:123]
	v_fma_f64 v[234:235], v[234:235], v[120:121], -v[122:123]
	ds_read_b128 v[120:123], v2 offset:1568
	s_waitcnt vmcnt(5) lgkmcnt(2)
	v_mul_f64 v[226:227], v[116:117], v[94:95]
	v_fmac_f64_e32 v[226:227], v[118:119], v[92:93]
	v_mul_f64 v[126:127], v[248:249], v[126:127]
	v_add_f64 v[224:225], v[224:225], v[226:227]
	s_waitcnt vmcnt(4) lgkmcnt(1)
	v_mul_f64 v[226:227], v[220:221], v[98:99]
	v_fma_f64 v[236:237], v[246:247], v[124:125], -v[126:127]
	ds_read_b128 v[124:127], v2 offset:1584
	v_fmac_f64_e32 v[226:227], v[222:223], v[96:97]
	v_add_f64 v[228:229], v[224:225], v[226:227]
	s_waitcnt vmcnt(3) lgkmcnt(1)
	v_mul_f64 v[238:239], v[120:121], v[102:103]
	ds_read_b128 v[224:227], v2 offset:1600
	v_fmac_f64_e32 v[238:239], v[122:123], v[100:101]
	v_mul_f64 v[130:131], v[252:253], v[130:131]
	v_add_f64 v[228:229], v[228:229], v[238:239]
	v_fma_f64 v[238:239], v[250:251], v[128:129], -v[130:131]
	ds_read_b128 v[128:131], v2 offset:1616
	s_waitcnt vmcnt(2) lgkmcnt(2)
	v_mul_f64 v[246:247], v[124:125], v[106:107]
	v_fmac_f64_e32 v[246:247], v[126:127], v[104:105]
	v_add_f64 v[228:229], v[228:229], v[246:247]
	s_waitcnt vmcnt(1) lgkmcnt(1)
	v_mul_f64 v[246:247], v[224:225], v[114:115]
	v_fmac_f64_e32 v[246:247], v[226:227], v[112:113]
	v_add_f64 v[228:229], v[228:229], v[246:247]
	;; [unrolled: 4-line block ×3, first 2 shown]
	scratch_load_dwordx4 v[246:249], off, off offset:288
	v_add_f64 v[230:231], v[230:231], 0
	v_add_f64 v[230:231], v[230:231], v[232:233]
	;; [unrolled: 1-line block ×4, first 2 shown]
	v_mul_f64 v[6:7], v[178:179], v[6:7]
	v_add_f64 v[230:231], v[230:231], v[238:239]
	v_fma_f64 v[4:5], v[176:177], v[4:5], -v[6:7]
	v_mul_f64 v[6:7], v[174:175], v[10:11]
	v_add_f64 v[4:5], v[230:231], v[4:5]
	v_fma_f64 v[6:7], v[172:173], v[8:9], -v[6:7]
	v_add_f64 v[4:5], v[4:5], v[6:7]
	v_mul_f64 v[6:7], v[170:171], v[14:15]
	v_fma_f64 v[6:7], v[168:169], v[12:13], -v[6:7]
	v_add_f64 v[4:5], v[4:5], v[6:7]
	v_mul_f64 v[6:7], v[166:167], v[18:19]
	;; [unrolled: 3-line block ×26, first 2 shown]
	v_fma_f64 v[6:7], v[128:129], v[132:133], -v[6:7]
	v_add_f64 v[4:5], v[4:5], v[6:7]
	s_waitcnt vmcnt(0)
	v_add_f64 v[4:5], v[246:247], -v[4:5]
	v_add_f64 v[6:7], v[248:249], -v[228:229]
	scratch_store_dwordx4 off, v[4:7], off offset:288
	s_and_saveexec_b64 s[0:1], vcc
	s_cbranch_execz .LBB50_287
; %bb.286:
	scratch_load_dwordx4 v[6:9], off, s43
	v_mov_b32_e32 v3, v2
	v_mov_b32_e32 v4, v2
	;; [unrolled: 1-line block ×3, first 2 shown]
	v_accvgpr_read_b32 v0, a103
	scratch_store_dwordx4 off, v[2:5], off offset:272
	s_waitcnt vmcnt(1)
	ds_write_b128 v0, v[6:9]
.LBB50_287:
	s_or_b64 exec, exec, s[0:1]
	s_waitcnt lgkmcnt(0)
	; wave barrier
	scratch_load_dwordx4 v[144:147], off, off offset:288
	scratch_load_dwordx4 v[152:155], off, off offset:304
	scratch_load_dwordx4 v[156:159], off, off offset:320
	scratch_load_dwordx4 v[160:163], off, off offset:336
	scratch_load_dwordx4 v[168:171], off, off offset:352
	scratch_load_dwordx4 v[4:7], off, off offset:368
	scratch_load_dwordx4 v[8:11], off, off offset:384
	scratch_load_dwordx4 v[12:15], off, off offset:400
	scratch_load_dwordx4 v[16:19], off, off offset:416
	scratch_load_dwordx4 v[20:23], off, off offset:432
	scratch_load_dwordx4 v[24:27], off, off offset:448
	scratch_load_dwordx4 v[28:31], off, off offset:464
	scratch_load_dwordx4 v[32:35], off, off offset:480
	scratch_load_dwordx4 v[36:39], off, off offset:496
	scratch_load_dwordx4 v[40:43], off, off offset:512
	scratch_load_dwordx4 v[44:47], off, off offset:528
	ds_read_b128 v[196:199], v2 offset:1088
	ds_read_b128 v[188:191], v2 offset:1104
	ds_read_b128 v[180:183], v2 offset:1120
	scratch_load_dwordx4 v[48:51], off, off offset:544
	ds_read_b128 v[192:195], v2 offset:1136
	ds_read_b128 v[184:187], v2 offset:1152
	ds_read_b128 v[64:67], v2 offset:1168
	scratch_load_dwordx4 v[52:55], off, off offset:560
	;; [unrolled: 4-line block ×5, first 2 shown]
	ds_read_b128 v[116:119], v2 offset:1328
	ds_read_b128 v[112:115], v2 offset:1344
	scratch_load_dwordx4 v[108:111], off, off offset:624
	scratch_load_dwordx4 v[120:123], off, off offset:640
	scratch_load_dwordx4 v[124:127], off, off offset:656
	scratch_load_dwordx4 v[128:131], off, off offset:672
	scratch_load_dwordx4 v[132:135], off, off offset:688
	scratch_load_dwordx4 v[136:139], off, off offset:704
	scratch_load_dwordx4 v[140:143], off, off offset:720
	scratch_load_dwordx4 v[148:151], off, off offset:736
	scratch_load_dwordx4 v[164:167], off, off offset:752
	scratch_load_dwordx4 v[172:175], off, off offset:768
	scratch_load_dwordx4 v[176:179], off, off offset:784
	scratch_load_dwordx4 v[200:203], off, off offset:800
	v_cmp_lt_u32_e32 vcc, 15, v244
	s_waitcnt vmcnt(32) lgkmcnt(14)
	v_mul_f64 v[204:205], v[196:197], v[146:147]
	s_waitcnt vmcnt(31)
	v_mul_f64 v[206:207], v[188:189], v[154:155]
	v_fmac_f64_e32 v[204:205], v[198:199], v[144:145]
	s_waitcnt vmcnt(30)
	v_mul_f64 v[208:209], v[180:181], v[158:159]
	v_fmac_f64_e32 v[206:207], v[190:191], v[152:153]
	v_add_f64 v[204:205], v[204:205], 0
	s_waitcnt vmcnt(29) lgkmcnt(13)
	v_mul_f64 v[210:211], v[192:193], v[162:163]
	v_fmac_f64_e32 v[208:209], v[182:183], v[156:157]
	v_add_f64 v[204:205], v[204:205], v[206:207]
	s_waitcnt vmcnt(28) lgkmcnt(12)
	;; [unrolled: 4-line block ×12, first 2 shown]
	v_mul_f64 v[232:233], v[96:97], v[42:43]
	v_fmac_f64_e32 v[230:231], v[102:103], v[36:37]
	v_add_f64 v[204:205], v[204:205], v[228:229]
	v_fmac_f64_e32 v[232:233], v[98:99], v[40:41]
	v_add_f64 v[204:205], v[204:205], v[230:231]
	s_waitcnt vmcnt(17) lgkmcnt(1)
	v_mul_f64 v[206:207], v[116:117], v[46:47]
	v_add_f64 v[204:205], v[204:205], v[232:233]
	v_fmac_f64_e32 v[206:207], v[118:119], v[44:45]
	s_waitcnt vmcnt(16) lgkmcnt(0)
	v_mul_f64 v[210:211], v[112:113], v[50:51]
	v_add_f64 v[208:209], v[204:205], v[206:207]
	ds_read_b128 v[204:207], v2 offset:1360
	v_fmac_f64_e32 v[210:211], v[114:115], v[48:49]
	v_add_f64 v[212:213], v[208:209], v[210:211]
	ds_read_b128 v[208:211], v2 offset:1376
	v_mul_f64 v[146:147], v[198:199], v[146:147]
	s_waitcnt vmcnt(15) lgkmcnt(1)
	v_mul_f64 v[214:215], v[204:205], v[54:55]
	v_fmac_f64_e32 v[214:215], v[206:207], v[52:53]
	v_add_f64 v[216:217], v[212:213], v[214:215]
	s_waitcnt vmcnt(14) lgkmcnt(0)
	v_mul_f64 v[218:219], v[208:209], v[58:59]
	ds_read_b128 v[212:215], v2 offset:1392
	v_fmac_f64_e32 v[218:219], v[210:211], v[56:57]
	v_add_f64 v[220:221], v[216:217], v[218:219]
	ds_read_b128 v[216:219], v2 offset:1408
	v_mul_f64 v[154:155], v[190:191], v[154:155]
	s_waitcnt vmcnt(13) lgkmcnt(1)
	v_mul_f64 v[222:223], v[212:213], v[62:63]
	v_fmac_f64_e32 v[222:223], v[214:215], v[60:61]
	v_add_f64 v[224:225], v[220:221], v[222:223]
	s_waitcnt vmcnt(12) lgkmcnt(0)
	v_mul_f64 v[226:227], v[216:217], v[94:95]
	ds_read_b128 v[220:223], v2 offset:1424
	v_fmac_f64_e32 v[226:227], v[218:219], v[92:93]
	v_add_f64 v[228:229], v[224:225], v[226:227]
	ds_read_b128 v[224:227], v2 offset:1440
	v_fma_f64 v[250:251], v[188:189], v[152:153], -v[154:155]
	s_waitcnt vmcnt(11) lgkmcnt(1)
	v_mul_f64 v[230:231], v[220:221], v[110:111]
	v_fmac_f64_e32 v[230:231], v[222:223], v[108:109]
	v_add_f64 v[232:233], v[228:229], v[230:231]
	s_waitcnt vmcnt(10) lgkmcnt(0)
	v_mul_f64 v[234:235], v[224:225], v[122:123]
	ds_read_b128 v[228:231], v2 offset:1456
	v_fmac_f64_e32 v[234:235], v[226:227], v[120:121]
	v_add_f64 v[236:237], v[232:233], v[234:235]
	ds_read_b128 v[232:235], v2 offset:1472
	ds_read_b128 v[152:155], v2 offset:1520
	s_waitcnt vmcnt(9) lgkmcnt(2)
	v_mul_f64 v[238:239], v[228:229], v[126:127]
	v_fmac_f64_e32 v[238:239], v[230:231], v[124:125]
	v_add_f64 v[246:247], v[236:237], v[238:239]
	s_waitcnt vmcnt(8) lgkmcnt(1)
	v_mul_f64 v[248:249], v[232:233], v[130:131]
	ds_read_b128 v[236:239], v2 offset:1488
	v_fmac_f64_e32 v[248:249], v[234:235], v[128:129]
	v_add_f64 v[246:247], v[246:247], v[248:249]
	v_fma_f64 v[248:249], v[196:197], v[144:145], -v[146:147]
	ds_read_b128 v[144:147], v2 offset:1504
	s_waitcnt vmcnt(7) lgkmcnt(1)
	v_mul_f64 v[196:197], v[236:237], v[134:135]
	v_fmac_f64_e32 v[196:197], v[238:239], v[132:133]
	v_add_f64 v[188:189], v[246:247], v[196:197]
	v_mul_f64 v[158:159], v[182:183], v[158:159]
	s_waitcnt vmcnt(6) lgkmcnt(0)
	v_mul_f64 v[190:191], v[144:145], v[138:139]
	v_fmac_f64_e32 v[190:191], v[146:147], v[136:137]
	v_add_f64 v[196:197], v[188:189], v[190:191]
	ds_read_b128 v[188:191], v2 offset:1536
	v_fma_f64 v[246:247], v[180:181], v[156:157], -v[158:159]
	ds_read_b128 v[156:159], v2 offset:1552
	s_waitcnt vmcnt(5)
	v_mul_f64 v[198:199], v[152:153], v[142:143]
	v_fmac_f64_e32 v[198:199], v[154:155], v[140:141]
	s_waitcnt vmcnt(4) lgkmcnt(1)
	v_mul_f64 v[180:181], v[188:189], v[150:151]
	v_add_f64 v[196:197], v[196:197], v[198:199]
	v_fmac_f64_e32 v[180:181], v[190:191], v[148:149]
	v_mul_f64 v[162:163], v[194:195], v[162:163]
	v_add_f64 v[198:199], v[196:197], v[180:181]
	v_fma_f64 v[196:197], v[192:193], v[160:161], -v[162:163]
	ds_read_b128 v[160:163], v2 offset:1568
	s_waitcnt vmcnt(3) lgkmcnt(1)
	v_mul_f64 v[192:193], v[156:157], v[166:167]
	ds_read_b128 v[180:183], v2 offset:1584
	v_fmac_f64_e32 v[192:193], v[158:159], v[164:165]
	v_mul_f64 v[170:171], v[186:187], v[170:171]
	v_add_f64 v[192:193], v[198:199], v[192:193]
	v_fma_f64 v[198:199], v[184:185], v[168:169], -v[170:171]
	ds_read_b128 v[168:171], v2 offset:1600
	s_waitcnt vmcnt(2) lgkmcnt(2)
	v_mul_f64 v[184:185], v[160:161], v[174:175]
	v_fmac_f64_e32 v[184:185], v[162:163], v[172:173]
	s_waitcnt vmcnt(1) lgkmcnt(1)
	v_mul_f64 v[186:187], v[180:181], v[178:179]
	v_add_f64 v[184:185], v[192:193], v[184:185]
	v_fmac_f64_e32 v[186:187], v[182:183], v[176:177]
	v_add_f64 v[184:185], v[184:185], v[186:187]
	s_waitcnt vmcnt(0) lgkmcnt(0)
	v_mul_f64 v[186:187], v[168:169], v[202:203]
	v_fmac_f64_e32 v[186:187], v[170:171], v[200:201]
	v_add_f64 v[252:253], v[184:185], v[186:187]
	scratch_load_dwordx4 v[184:187], off, off offset:816
	v_add_f64 v[248:249], v[248:249], 0
	v_add_f64 v[248:249], v[248:249], v[250:251]
	;; [unrolled: 1-line block ×3, first 2 shown]
	scratch_load_dwordx4 v[248:251], off, off offset:272
	v_add_f64 v[196:197], v[246:247], v[196:197]
	v_mul_f64 v[6:7], v[66:67], v[6:7]
	v_add_f64 v[196:197], v[196:197], v[198:199]
	v_fma_f64 v[4:5], v[64:65], v[4:5], -v[6:7]
	v_mul_f64 v[6:7], v[78:79], v[10:11]
	v_add_f64 v[4:5], v[196:197], v[4:5]
	v_fma_f64 v[6:7], v[76:77], v[8:9], -v[6:7]
	v_add_f64 v[4:5], v[4:5], v[6:7]
	v_mul_f64 v[6:7], v[74:75], v[14:15]
	v_fma_f64 v[6:7], v[72:73], v[12:13], -v[6:7]
	v_add_f64 v[4:5], v[4:5], v[6:7]
	v_mul_f64 v[6:7], v[70:71], v[18:19]
	v_fma_f64 v[6:7], v[68:69], v[16:17], -v[6:7]
	v_add_f64 v[4:5], v[4:5], v[6:7]
	v_mul_f64 v[6:7], v[90:91], v[22:23]
	v_fma_f64 v[6:7], v[88:89], v[20:21], -v[6:7]
	v_add_f64 v[4:5], v[4:5], v[6:7]
	v_mul_f64 v[6:7], v[86:87], v[26:27]
	v_fma_f64 v[6:7], v[84:85], v[24:25], -v[6:7]
	v_add_f64 v[4:5], v[4:5], v[6:7]
	v_mul_f64 v[6:7], v[82:83], v[30:31]
	v_fma_f64 v[6:7], v[80:81], v[28:29], -v[6:7]
	v_add_f64 v[4:5], v[4:5], v[6:7]
	v_mul_f64 v[6:7], v[106:107], v[34:35]
	v_fma_f64 v[6:7], v[104:105], v[32:33], -v[6:7]
	v_add_f64 v[4:5], v[4:5], v[6:7]
	v_mul_f64 v[6:7], v[102:103], v[38:39]
	v_fma_f64 v[6:7], v[100:101], v[36:37], -v[6:7]
	v_add_f64 v[4:5], v[4:5], v[6:7]
	v_mul_f64 v[6:7], v[98:99], v[42:43]
	v_fma_f64 v[6:7], v[96:97], v[40:41], -v[6:7]
	v_add_f64 v[4:5], v[4:5], v[6:7]
	v_mul_f64 v[6:7], v[118:119], v[46:47]
	v_fma_f64 v[6:7], v[116:117], v[44:45], -v[6:7]
	v_add_f64 v[4:5], v[4:5], v[6:7]
	v_mul_f64 v[6:7], v[114:115], v[50:51]
	v_fma_f64 v[6:7], v[112:113], v[48:49], -v[6:7]
	v_add_f64 v[4:5], v[4:5], v[6:7]
	v_mul_f64 v[6:7], v[206:207], v[54:55]
	v_fma_f64 v[6:7], v[204:205], v[52:53], -v[6:7]
	v_add_f64 v[4:5], v[4:5], v[6:7]
	v_mul_f64 v[6:7], v[210:211], v[58:59]
	v_fma_f64 v[6:7], v[208:209], v[56:57], -v[6:7]
	v_add_f64 v[4:5], v[4:5], v[6:7]
	v_mul_f64 v[6:7], v[214:215], v[62:63]
	v_fma_f64 v[6:7], v[212:213], v[60:61], -v[6:7]
	v_add_f64 v[4:5], v[4:5], v[6:7]
	v_mul_f64 v[6:7], v[218:219], v[94:95]
	v_fma_f64 v[6:7], v[216:217], v[92:93], -v[6:7]
	v_add_f64 v[4:5], v[4:5], v[6:7]
	v_mul_f64 v[6:7], v[222:223], v[110:111]
	v_fma_f64 v[6:7], v[220:221], v[108:109], -v[6:7]
	v_add_f64 v[4:5], v[4:5], v[6:7]
	v_mul_f64 v[6:7], v[226:227], v[122:123]
	v_fma_f64 v[6:7], v[224:225], v[120:121], -v[6:7]
	v_add_f64 v[4:5], v[4:5], v[6:7]
	v_mul_f64 v[6:7], v[230:231], v[126:127]
	v_fma_f64 v[6:7], v[228:229], v[124:125], -v[6:7]
	v_add_f64 v[4:5], v[4:5], v[6:7]
	v_mul_f64 v[6:7], v[234:235], v[130:131]
	v_fma_f64 v[6:7], v[232:233], v[128:129], -v[6:7]
	v_add_f64 v[4:5], v[4:5], v[6:7]
	v_mul_f64 v[6:7], v[238:239], v[134:135]
	v_fma_f64 v[6:7], v[236:237], v[132:133], -v[6:7]
	v_add_f64 v[4:5], v[4:5], v[6:7]
	v_mul_f64 v[6:7], v[146:147], v[138:139]
	v_fma_f64 v[6:7], v[144:145], v[136:137], -v[6:7]
	v_add_f64 v[4:5], v[4:5], v[6:7]
	v_mul_f64 v[6:7], v[154:155], v[142:143]
	v_fma_f64 v[6:7], v[152:153], v[140:141], -v[6:7]
	v_add_f64 v[4:5], v[4:5], v[6:7]
	v_mul_f64 v[6:7], v[190:191], v[150:151]
	v_fma_f64 v[6:7], v[188:189], v[148:149], -v[6:7]
	v_add_f64 v[4:5], v[4:5], v[6:7]
	v_mul_f64 v[6:7], v[158:159], v[166:167]
	v_fma_f64 v[6:7], v[156:157], v[164:165], -v[6:7]
	v_add_f64 v[4:5], v[4:5], v[6:7]
	v_mul_f64 v[6:7], v[162:163], v[174:175]
	ds_read_b128 v[192:195], v2 offset:1616
	v_fma_f64 v[6:7], v[160:161], v[172:173], -v[6:7]
	v_add_f64 v[4:5], v[4:5], v[6:7]
	v_mul_f64 v[6:7], v[182:183], v[178:179]
	v_fma_f64 v[6:7], v[180:181], v[176:177], -v[6:7]
	v_add_f64 v[4:5], v[4:5], v[6:7]
	v_mul_f64 v[6:7], v[170:171], v[202:203]
	v_fma_f64 v[6:7], v[168:169], v[200:201], -v[6:7]
	s_waitcnt vmcnt(1) lgkmcnt(0)
	v_mul_f64 v[2:3], v[192:193], v[186:187]
	v_add_f64 v[4:5], v[4:5], v[6:7]
	v_mul_f64 v[6:7], v[194:195], v[186:187]
	v_fmac_f64_e32 v[2:3], v[194:195], v[184:185]
	v_fma_f64 v[6:7], v[192:193], v[184:185], -v[6:7]
	v_add_f64 v[2:3], v[252:253], v[2:3]
	v_add_f64 v[4:5], v[4:5], v[6:7]
	s_waitcnt vmcnt(0)
	v_add_f64 v[4:5], v[248:249], -v[4:5]
	v_add_f64 v[6:7], v[250:251], -v[2:3]
	scratch_store_dwordx4 off, v[4:7], off offset:272
	s_and_saveexec_b64 s[0:1], vcc
	s_cbranch_execz .LBB50_289
; %bb.288:
	scratch_load_dwordx4 v[2:5], off, s42
	v_mov_b32_e32 v6, 0
	v_mov_b32_e32 v7, v6
	;; [unrolled: 1-line block ×4, first 2 shown]
	v_accvgpr_read_b32 v0, a103
	scratch_store_dwordx4 off, v[6:9], off offset:256
	s_waitcnt vmcnt(1)
	ds_write_b128 v0, v[2:5]
.LBB50_289:
	s_or_b64 exec, exec, s[0:1]
	s_waitcnt lgkmcnt(0)
	; wave barrier
	scratch_load_dwordx4 v[184:187], off, off offset:272
	scratch_load_dwordx4 v[188:191], off, off offset:288
	;; [unrolled: 1-line block ×32, first 2 shown]
	v_mov_b32_e32 v2, 0
	ds_read_b128 v[192:195], v2 offset:1072
	ds_read_b128 v[204:207], v2 offset:1088
	ds_read_b128 v[216:219], v2 offset:1104
	ds_read_b128 v[224:227], v2 offset:1120
	ds_read_b128 v[228:231], v2 offset:1136
	ds_read_b128 v[246:249], v2 offset:1152
	ds_read_b128 v[250:253], v2 offset:1168
	ds_read_b128 v[148:151], v2 offset:1184
	ds_read_b128 v[144:147], v2 offset:1200
	ds_read_b128 v[140:143], v2 offset:1216
	ds_read_b128 v[136:139], v2 offset:1232
	ds_read_b128 v[132:135], v2 offset:1248
	ds_read_b128 v[124:127], v2 offset:1264
	ds_read_b128 v[120:123], v2 offset:1280
	ds_read_b128 v[116:119], v2 offset:1296
	ds_read_b128 v[108:111], v2 offset:1312
	v_cmp_lt_u32_e32 vcc, 14, v244
	s_waitcnt vmcnt(31) lgkmcnt(14)
	v_mul_f64 v[104:105], v[192:193], v[186:187]
	s_waitcnt vmcnt(30)
	v_mul_f64 v[106:107], v[204:205], v[190:191]
	v_fmac_f64_e32 v[104:105], v[194:195], v[184:185]
	s_waitcnt vmcnt(29) lgkmcnt(13)
	v_mul_f64 v[112:113], v[216:217], v[198:199]
	v_fmac_f64_e32 v[106:107], v[206:207], v[188:189]
	v_add_f64 v[104:105], v[104:105], 0
	s_waitcnt vmcnt(28) lgkmcnt(12)
	v_mul_f64 v[114:115], v[224:225], v[202:203]
	v_fmac_f64_e32 v[112:113], v[218:219], v[196:197]
	v_add_f64 v[104:105], v[104:105], v[106:107]
	;; [unrolled: 4-line block ×10, first 2 shown]
	ds_read_b128 v[152:155], v2 offset:1328
	ds_read_b128 v[156:159], v2 offset:1344
	s_waitcnt vmcnt(19) lgkmcnt(5)
	v_mul_f64 v[164:165], v[124:125], v[26:27]
	v_fmac_f64_e32 v[162:163], v[134:135], v[20:21]
	v_add_f64 v[104:105], v[104:105], v[160:161]
	s_waitcnt vmcnt(18) lgkmcnt(4)
	v_mul_f64 v[166:167], v[120:121], v[30:31]
	v_fmac_f64_e32 v[164:165], v[126:127], v[24:25]
	v_add_f64 v[104:105], v[104:105], v[162:163]
	;; [unrolled: 4-line block ×4, first 2 shown]
	v_add_f64 v[112:113], v[104:105], v[168:169]
	v_fmac_f64_e32 v[170:171], v[110:111], v[36:37]
	scratch_load_dwordx4 v[104:107], off, off offset:784
	s_waitcnt vmcnt(16) lgkmcnt(1)
	v_mul_f64 v[114:115], v[152:153], v[42:43]
	v_add_f64 v[112:113], v[112:113], v[170:171]
	v_fmac_f64_e32 v[114:115], v[154:155], v[40:41]
	v_add_f64 v[128:129], v[112:113], v[114:115]
	scratch_load_dwordx4 v[112:115], off, off offset:800
	s_waitcnt vmcnt(16) lgkmcnt(0)
	v_mul_f64 v[130:131], v[156:157], v[46:47]
	v_fmac_f64_e32 v[130:131], v[158:159], v[44:45]
	v_add_f64 v[168:169], v[128:129], v[130:131]
	scratch_load_dwordx4 v[128:131], off, off offset:816
	ds_read_b128 v[160:163], v2 offset:1360
	ds_read_b128 v[164:167], v2 offset:1376
	v_mul_f64 v[186:187], v[194:195], v[186:187]
	v_fma_f64 v[254:255], v[192:193], v[184:185], -v[186:187]
	ds_read_b128 v[184:187], v2 offset:1456
	s_waitcnt vmcnt(16) lgkmcnt(2)
	v_mul_f64 v[170:171], v[160:161], v[50:51]
	v_fmac_f64_e32 v[170:171], v[162:163], v[48:49]
	s_waitcnt vmcnt(15) lgkmcnt(1)
	v_mul_f64 v[174:175], v[164:165], v[54:55]
	v_add_f64 v[172:173], v[168:169], v[170:171]
	ds_read_b128 v[168:171], v2 offset:1392
	v_fmac_f64_e32 v[174:175], v[166:167], v[52:53]
	v_add_f64 v[176:177], v[172:173], v[174:175]
	ds_read_b128 v[172:175], v2 offset:1408
	v_mul_f64 v[190:191], v[206:207], v[190:191]
	s_waitcnt vmcnt(14) lgkmcnt(1)
	v_mul_f64 v[178:179], v[168:169], v[58:59]
	v_fmac_f64_e32 v[178:179], v[170:171], v[56:57]
	v_add_f64 v[180:181], v[176:177], v[178:179]
	s_waitcnt vmcnt(13) lgkmcnt(0)
	v_mul_f64 v[182:183], v[172:173], v[62:63]
	ds_read_b128 v[176:179], v2 offset:1424
	v_fmac_f64_e32 v[182:183], v[174:175], v[60:61]
	v_add_f64 v[232:233], v[180:181], v[182:183]
	ds_read_b128 v[180:183], v2 offset:1440
	v_fma_f64 v[240:241], v[204:205], v[188:189], -v[190:191]
	s_waitcnt vmcnt(12) lgkmcnt(1)
	v_mul_f64 v[234:235], v[176:177], v[66:67]
	v_fmac_f64_e32 v[234:235], v[178:179], v[64:65]
	v_add_f64 v[232:233], v[232:233], v[234:235]
	s_waitcnt vmcnt(11) lgkmcnt(0)
	v_mul_f64 v[192:193], v[180:181], v[70:71]
	v_fmac_f64_e32 v[192:193], v[182:183], v[68:69]
	ds_read_b128 v[188:191], v2 offset:1472
	s_waitcnt vmcnt(10)
	v_mul_f64 v[194:195], v[184:185], v[74:75]
	v_add_f64 v[192:193], v[232:233], v[192:193]
	v_fmac_f64_e32 v[194:195], v[186:187], v[72:73]
	v_add_f64 v[204:205], v[192:193], v[194:195]
	ds_read_b128 v[192:195], v2 offset:1488
	v_mul_f64 v[198:199], v[218:219], v[198:199]
	v_fma_f64 v[242:243], v[216:217], v[196:197], -v[198:199]
	ds_read_b128 v[196:199], v2 offset:1504
	s_waitcnt vmcnt(9) lgkmcnt(2)
	v_mul_f64 v[206:207], v[188:189], v[78:79]
	v_fmac_f64_e32 v[206:207], v[190:191], v[76:77]
	v_add_f64 v[204:205], v[204:205], v[206:207]
	s_waitcnt vmcnt(8) lgkmcnt(1)
	v_mul_f64 v[206:207], v[192:193], v[82:83]
	v_fmac_f64_e32 v[206:207], v[194:195], v[80:81]
	v_mul_f64 v[202:203], v[226:227], v[202:203]
	v_add_f64 v[204:205], v[204:205], v[206:207]
	v_fma_f64 v[234:235], v[224:225], v[200:201], -v[202:203]
	ds_read_b128 v[200:203], v2 offset:1520
	s_waitcnt vmcnt(7) lgkmcnt(1)
	v_mul_f64 v[206:207], v[196:197], v[86:87]
	v_fmac_f64_e32 v[206:207], v[198:199], v[84:85]
	v_add_f64 v[216:217], v[204:205], v[206:207]
	ds_read_b128 v[204:207], v2 offset:1536
	v_mul_f64 v[210:211], v[230:231], v[210:211]
	v_fma_f64 v[236:237], v[228:229], v[208:209], -v[210:211]
	ds_read_b128 v[208:211], v2 offset:1552
	s_waitcnt vmcnt(6) lgkmcnt(2)
	v_mul_f64 v[218:219], v[200:201], v[90:91]
	v_fmac_f64_e32 v[218:219], v[202:203], v[88:89]
	v_add_f64 v[216:217], v[216:217], v[218:219]
	s_waitcnt vmcnt(5) lgkmcnt(1)
	v_mul_f64 v[218:219], v[204:205], v[94:95]
	v_fmac_f64_e32 v[218:219], v[206:207], v[92:93]
	v_mul_f64 v[214:215], v[248:249], v[214:215]
	v_fma_f64 v[238:239], v[246:247], v[212:213], -v[214:215]
	ds_read_b128 v[212:215], v2 offset:1568
	v_add_f64 v[216:217], v[216:217], v[218:219]
	s_waitcnt vmcnt(4) lgkmcnt(1)
	v_mul_f64 v[218:219], v[208:209], v[102:103]
	v_fmac_f64_e32 v[218:219], v[210:211], v[100:101]
	v_add_f64 v[224:225], v[216:217], v[218:219]
	ds_read_b128 v[216:219], v2 offset:1584
	v_mul_f64 v[222:223], v[252:253], v[222:223]
	v_fma_f64 v[246:247], v[250:251], v[220:221], -v[222:223]
	ds_read_b128 v[220:223], v2 offset:1600
	s_waitcnt vmcnt(3) lgkmcnt(2)
	v_mul_f64 v[226:227], v[212:213], v[98:99]
	v_fmac_f64_e32 v[226:227], v[214:215], v[96:97]
	v_add_f64 v[224:225], v[224:225], v[226:227]
	s_waitcnt vmcnt(2) lgkmcnt(1)
	v_mul_f64 v[226:227], v[216:217], v[106:107]
	v_fmac_f64_e32 v[226:227], v[218:219], v[104:105]
	v_add_f64 v[224:225], v[224:225], v[226:227]
	;; [unrolled: 4-line block ×3, first 2 shown]
	ds_read_b128 v[224:227], v2 offset:1616
	v_mul_f64 v[6:7], v[150:151], v[6:7]
	v_fma_f64 v[4:5], v[148:149], v[4:5], -v[6:7]
	v_mul_f64 v[6:7], v[146:147], v[10:11]
	v_fma_f64 v[6:7], v[144:145], v[8:9], -v[6:7]
	s_waitcnt vmcnt(0) lgkmcnt(0)
	v_mul_f64 v[230:231], v[224:225], v[130:131]
	v_fmac_f64_e32 v[230:231], v[226:227], v[128:129]
	v_add_f64 v[232:233], v[228:229], v[230:231]
	v_add_f64 v[228:229], v[254:255], 0
	;; [unrolled: 1-line block ×4, first 2 shown]
	scratch_load_dwordx4 v[228:231], off, off offset:256
	v_add_f64 v[234:235], v[248:249], v[234:235]
	v_add_f64 v[234:235], v[234:235], v[236:237]
	;; [unrolled: 1-line block ×6, first 2 shown]
	v_mul_f64 v[6:7], v[142:143], v[14:15]
	v_fma_f64 v[6:7], v[140:141], v[12:13], -v[6:7]
	v_add_f64 v[4:5], v[4:5], v[6:7]
	v_mul_f64 v[6:7], v[138:139], v[18:19]
	v_fma_f64 v[6:7], v[136:137], v[16:17], -v[6:7]
	v_add_f64 v[4:5], v[4:5], v[6:7]
	;; [unrolled: 3-line block ×26, first 2 shown]
	s_waitcnt vmcnt(0)
	v_add_f64 v[4:5], v[228:229], -v[4:5]
	v_add_f64 v[6:7], v[230:231], -v[232:233]
	scratch_store_dwordx4 off, v[4:7], off offset:256
	s_and_saveexec_b64 s[0:1], vcc
	s_cbranch_execz .LBB50_291
; %bb.290:
	scratch_load_dwordx4 v[6:9], off, s41
	v_mov_b32_e32 v3, v2
	v_mov_b32_e32 v4, v2
	;; [unrolled: 1-line block ×3, first 2 shown]
	v_accvgpr_read_b32 v0, a103
	scratch_store_dwordx4 off, v[2:5], off offset:240
	s_waitcnt vmcnt(1)
	ds_write_b128 v0, v[6:9]
.LBB50_291:
	s_or_b64 exec, exec, s[0:1]
	s_waitcnt lgkmcnt(0)
	; wave barrier
	scratch_load_dwordx4 v[140:143], off, off offset:256
	scratch_load_dwordx4 v[144:147], off, off offset:272
	;; [unrolled: 1-line block ×16, first 2 shown]
	ds_read_b128 v[208:211], v2 offset:1056
	ds_read_b128 v[200:203], v2 offset:1072
	;; [unrolled: 1-line block ×3, first 2 shown]
	scratch_load_dwordx4 v[40:43], off, off offset:512
	ds_read_b128 v[204:207], v2 offset:1104
	ds_read_b128 v[192:195], v2 offset:1120
	;; [unrolled: 1-line block ×3, first 2 shown]
	scratch_load_dwordx4 v[44:47], off, off offset:528
	ds_read_b128 v[196:199], v2 offset:1152
	ds_read_b128 v[64:67], v2 offset:1168
	;; [unrolled: 1-line block ×4, first 2 shown]
	scratch_load_dwordx4 v[48:51], off, off offset:544
	ds_read_b128 v[72:75], v2 offset:1216
	ds_read_b128 v[68:71], v2 offset:1232
	scratch_load_dwordx4 v[56:59], off, off offset:560
	ds_read_b128 v[92:95], v2 offset:1248
	ds_read_b128 v[88:91], v2 offset:1264
	;; [unrolled: 1-line block ×4, first 2 shown]
	scratch_load_dwordx4 v[76:79], off, off offset:576
	scratch_load_dwordx4 v[96:99], off, off offset:592
	;; [unrolled: 1-line block ×12, first 2 shown]
	ds_read_b128 v[168:171], v2 offset:1312
	v_accvgpr_write_b32 a102, v244
	v_cmp_lt_u32_e32 vcc, 13, v244
	s_waitcnt vmcnt(31) lgkmcnt(14)
	v_mul_f64 v[172:173], v[208:209], v[142:143]
	s_waitcnt vmcnt(30)
	v_mul_f64 v[174:175], v[200:201], v[146:147]
	v_fmac_f64_e32 v[172:173], v[210:211], v[140:141]
	s_waitcnt vmcnt(29)
	v_mul_f64 v[176:177], v[188:189], v[150:151]
	v_fmac_f64_e32 v[174:175], v[202:203], v[144:145]
	v_add_f64 v[172:173], v[172:173], 0
	s_waitcnt vmcnt(28) lgkmcnt(13)
	v_mul_f64 v[178:179], v[204:205], v[154:155]
	v_fmac_f64_e32 v[176:177], v[190:191], v[148:149]
	v_add_f64 v[172:173], v[172:173], v[174:175]
	s_waitcnt vmcnt(27) lgkmcnt(12)
	;; [unrolled: 4-line block ×10, first 2 shown]
	v_mul_f64 v[224:225], v[92:93], v[26:27]
	v_fmac_f64_e32 v[222:223], v[70:71], v[20:21]
	v_add_f64 v[172:173], v[172:173], v[220:221]
	ds_read_b128 v[212:215], v2 offset:1328
	s_waitcnt vmcnt(18) lgkmcnt(4)
	v_mul_f64 v[226:227], v[88:89], v[30:31]
	v_fmac_f64_e32 v[224:225], v[94:95], v[24:25]
	v_add_f64 v[172:173], v[172:173], v[222:223]
	ds_read_b128 v[216:219], v2 offset:1344
	ds_read_b128 v[220:223], v2 offset:1360
	s_waitcnt vmcnt(17) lgkmcnt(5)
	v_mul_f64 v[228:229], v[84:85], v[34:35]
	v_fmac_f64_e32 v[226:227], v[90:91], v[28:29]
	v_add_f64 v[172:173], v[172:173], v[224:225]
	s_waitcnt vmcnt(16) lgkmcnt(4)
	v_mul_f64 v[230:231], v[80:81], v[38:39]
	v_fmac_f64_e32 v[228:229], v[86:87], v[32:33]
	v_add_f64 v[172:173], v[172:173], v[226:227]
	v_add_f64 v[176:177], v[172:173], v[228:229]
	v_fmac_f64_e32 v[230:231], v[82:83], v[36:37]
	s_waitcnt vmcnt(15) lgkmcnt(3)
	v_mul_f64 v[178:179], v[168:169], v[42:43]
	v_add_f64 v[176:177], v[176:177], v[230:231]
	v_fmac_f64_e32 v[178:179], v[170:171], v[40:41]
	s_waitcnt vmcnt(14) lgkmcnt(2)
	v_mul_f64 v[182:183], v[212:213], v[46:47]
	;; [unrolled: 4-line block ×3, first 2 shown]
	v_add_f64 v[224:225], v[180:181], v[182:183]
	v_fmac_f64_e32 v[226:227], v[218:219], v[48:49]
	v_add_f64 v[228:229], v[224:225], v[226:227]
	ds_read_b128 v[224:227], v2 offset:1376
	s_waitcnt vmcnt(12) lgkmcnt(1)
	v_mul_f64 v[230:231], v[220:221], v[58:59]
	v_fmac_f64_e32 v[230:231], v[222:223], v[56:57]
	v_add_f64 v[232:233], v[228:229], v[230:231]
	ds_read_b128 v[228:231], v2 offset:1392
	s_waitcnt vmcnt(11) lgkmcnt(1)
	v_mul_f64 v[234:235], v[224:225], v[78:79]
	;; [unrolled: 5-line block ×4, first 2 shown]
	v_fmac_f64_e32 v[242:243], v[234:235], v[100:101]
	v_mul_f64 v[142:143], v[210:211], v[142:143]
	v_add_f64 v[240:241], v[240:241], v[242:243]
	v_fma_f64 v[242:243], v[208:209], v[140:141], -v[142:143]
	ds_read_b128 v[140:143], v2 offset:1440
	s_waitcnt vmcnt(8) lgkmcnt(1)
	v_mul_f64 v[208:209], v[236:237], v[106:107]
	v_fmac_f64_e32 v[208:209], v[238:239], v[104:105]
	v_mul_f64 v[146:147], v[202:203], v[146:147]
	v_add_f64 v[208:209], v[240:241], v[208:209]
	v_fma_f64 v[240:241], v[200:201], v[144:145], -v[146:147]
	ds_read_b128 v[144:147], v2 offset:1456
	s_waitcnt vmcnt(7) lgkmcnt(1)
	v_mul_f64 v[200:201], v[140:141], v[110:111]
	scratch_load_dwordx4 v[172:175], off, off offset:768
	v_fmac_f64_e32 v[200:201], v[142:143], v[108:109]
	v_add_f64 v[208:209], v[208:209], v[200:201]
	ds_read_b128 v[200:203], v2 offset:1472
	v_mul_f64 v[150:151], v[190:191], v[150:151]
	scratch_load_dwordx4 v[176:179], off, off offset:784
	scratch_load_dwordx4 v[180:183], off, off offset:800
	v_fma_f64 v[246:247], v[188:189], v[148:149], -v[150:151]
	ds_read_b128 v[148:151], v2 offset:1488
	s_waitcnt vmcnt(9) lgkmcnt(2)
	v_mul_f64 v[210:211], v[144:145], v[114:115]
	v_fmac_f64_e32 v[210:211], v[146:147], v[112:113]
	s_waitcnt vmcnt(8) lgkmcnt(1)
	v_mul_f64 v[188:189], v[200:201], v[118:119]
	v_add_f64 v[208:209], v[208:209], v[210:211]
	v_fmac_f64_e32 v[188:189], v[202:203], v[116:117]
	v_mul_f64 v[154:155], v[206:207], v[154:155]
	s_waitcnt vmcnt(7) lgkmcnt(0)
	v_mul_f64 v[190:191], v[148:149], v[122:123]
	v_add_f64 v[188:189], v[208:209], v[188:189]
	v_fma_f64 v[248:249], v[204:205], v[152:153], -v[154:155]
	ds_read_b128 v[152:155], v2 offset:1504
	v_fmac_f64_e32 v[190:191], v[150:151], v[120:121]
	v_add_f64 v[204:205], v[188:189], v[190:191]
	ds_read_b128 v[188:191], v2 offset:1520
	v_mul_f64 v[158:159], v[194:195], v[158:159]
	s_waitcnt vmcnt(6) lgkmcnt(1)
	v_mul_f64 v[206:207], v[152:153], v[126:127]
	v_fmac_f64_e32 v[206:207], v[154:155], v[124:125]
	v_fma_f64 v[250:251], v[192:193], v[156:157], -v[158:159]
	s_waitcnt vmcnt(5) lgkmcnt(0)
	v_mul_f64 v[192:193], v[188:189], v[130:131]
	v_add_f64 v[204:205], v[204:205], v[206:207]
	v_fmac_f64_e32 v[192:193], v[190:191], v[128:129]
	v_mul_f64 v[162:163], v[186:187], v[162:163]
	v_add_f64 v[242:243], v[242:243], 0
	v_fma_f64 v[208:209], v[184:185], v[160:161], -v[162:163]
	v_add_f64 v[184:185], v[204:205], v[192:193]
	scratch_load_dwordx4 v[204:207], off, off offset:816
	v_add_f64 v[240:241], v[242:243], v[240:241]
	v_add_f64 v[240:241], v[240:241], v[246:247]
	;; [unrolled: 1-line block ×4, first 2 shown]
	scratch_load_dwordx4 v[248:251], off, off offset:240
	v_mul_f64 v[166:167], v[198:199], v[166:167]
	v_fma_f64 v[210:211], v[196:197], v[164:165], -v[166:167]
	v_add_f64 v[208:209], v[246:247], v[208:209]
	v_mul_f64 v[6:7], v[66:67], v[6:7]
	v_add_f64 v[208:209], v[208:209], v[210:211]
	v_fma_f64 v[4:5], v[64:65], v[4:5], -v[6:7]
	v_mul_f64 v[6:7], v[62:63], v[10:11]
	v_add_f64 v[4:5], v[208:209], v[4:5]
	v_fma_f64 v[6:7], v[60:61], v[8:9], -v[6:7]
	v_add_f64 v[4:5], v[4:5], v[6:7]
	v_mul_f64 v[6:7], v[54:55], v[14:15]
	v_fma_f64 v[6:7], v[52:53], v[12:13], -v[6:7]
	v_add_f64 v[4:5], v[4:5], v[6:7]
	v_mul_f64 v[6:7], v[74:75], v[18:19]
	;; [unrolled: 3-line block ×12, first 2 shown]
	v_fma_f64 v[6:7], v[224:225], v[76:77], -v[6:7]
	ds_read_b128 v[156:159], v2 offset:1536
	ds_read_b128 v[160:163], v2 offset:1552
	v_add_f64 v[4:5], v[4:5], v[6:7]
	v_mul_f64 v[6:7], v[230:231], v[98:99]
	v_fma_f64 v[6:7], v[228:229], v[96:97], -v[6:7]
	v_add_f64 v[4:5], v[4:5], v[6:7]
	v_mul_f64 v[6:7], v[234:235], v[102:103]
	v_fma_f64 v[6:7], v[232:233], v[100:101], -v[6:7]
	v_add_f64 v[4:5], v[4:5], v[6:7]
	v_mul_f64 v[6:7], v[238:239], v[106:107]
	s_waitcnt vmcnt(6) lgkmcnt(1)
	v_mul_f64 v[186:187], v[156:157], v[138:139]
	v_fma_f64 v[6:7], v[236:237], v[104:105], -v[6:7]
	v_fmac_f64_e32 v[186:187], v[158:159], v[136:137]
	v_add_f64 v[4:5], v[4:5], v[6:7]
	v_mul_f64 v[6:7], v[142:143], v[110:111]
	v_add_f64 v[192:193], v[184:185], v[186:187]
	ds_read_b128 v[184:187], v2 offset:1568
	ds_read_b128 v[164:167], v2 offset:1584
	v_fma_f64 v[6:7], v[140:141], v[108:109], -v[6:7]
	v_add_f64 v[4:5], v[4:5], v[6:7]
	v_mul_f64 v[6:7], v[146:147], v[114:115]
	v_fma_f64 v[6:7], v[144:145], v[112:113], -v[6:7]
	s_waitcnt vmcnt(5) lgkmcnt(2)
	v_mul_f64 v[194:195], v[160:161], v[134:135]
	v_add_f64 v[4:5], v[4:5], v[6:7]
	v_mul_f64 v[6:7], v[202:203], v[118:119]
	v_fmac_f64_e32 v[194:195], v[162:163], v[132:133]
	v_fma_f64 v[6:7], v[200:201], v[116:117], -v[6:7]
	v_add_f64 v[192:193], v[192:193], v[194:195]
	s_waitcnt vmcnt(4) lgkmcnt(1)
	v_mul_f64 v[194:195], v[184:185], v[174:175]
	v_add_f64 v[4:5], v[4:5], v[6:7]
	v_mul_f64 v[6:7], v[150:151], v[122:123]
	v_fmac_f64_e32 v[194:195], v[186:187], v[172:173]
	v_fma_f64 v[6:7], v[148:149], v[120:121], -v[6:7]
	v_add_f64 v[192:193], v[192:193], v[194:195]
	;; [unrolled: 7-line block ×3, first 2 shown]
	ds_read_b128 v[192:195], v2 offset:1600
	v_add_f64 v[4:5], v[4:5], v[6:7]
	v_mul_f64 v[6:7], v[190:191], v[130:131]
	v_fma_f64 v[6:7], v[188:189], v[128:129], -v[6:7]
	v_add_f64 v[4:5], v[4:5], v[6:7]
	v_mul_f64 v[6:7], v[158:159], v[138:139]
	v_fma_f64 v[6:7], v[156:157], v[136:137], -v[6:7]
	v_add_f64 v[4:5], v[4:5], v[6:7]
	v_mul_f64 v[6:7], v[162:163], v[134:135]
	s_waitcnt vmcnt(2) lgkmcnt(0)
	v_mul_f64 v[198:199], v[192:193], v[182:183]
	v_fma_f64 v[6:7], v[160:161], v[132:133], -v[6:7]
	v_fmac_f64_e32 v[198:199], v[194:195], v[180:181]
	v_add_f64 v[4:5], v[4:5], v[6:7]
	v_mul_f64 v[6:7], v[186:187], v[174:175]
	v_add_f64 v[252:253], v[196:197], v[198:199]
	ds_read_b128 v[196:199], v2 offset:1616
	v_fma_f64 v[6:7], v[184:185], v[172:173], -v[6:7]
	v_add_f64 v[4:5], v[4:5], v[6:7]
	v_mul_f64 v[6:7], v[166:167], v[178:179]
	v_fma_f64 v[6:7], v[164:165], v[176:177], -v[6:7]
	v_add_f64 v[4:5], v[4:5], v[6:7]
	v_mul_f64 v[6:7], v[194:195], v[182:183]
	v_fma_f64 v[6:7], v[192:193], v[180:181], -v[6:7]
	s_waitcnt vmcnt(1) lgkmcnt(0)
	v_mul_f64 v[2:3], v[196:197], v[206:207]
	v_add_f64 v[4:5], v[4:5], v[6:7]
	v_mul_f64 v[6:7], v[198:199], v[206:207]
	v_fmac_f64_e32 v[2:3], v[198:199], v[204:205]
	v_fma_f64 v[6:7], v[196:197], v[204:205], -v[6:7]
	v_add_f64 v[2:3], v[252:253], v[2:3]
	v_add_f64 v[4:5], v[4:5], v[6:7]
	s_waitcnt vmcnt(0)
	v_add_f64 v[4:5], v[248:249], -v[4:5]
	v_add_f64 v[6:7], v[250:251], -v[2:3]
	scratch_store_dwordx4 off, v[4:7], off offset:240
	s_and_saveexec_b64 s[0:1], vcc
	s_cbranch_execz .LBB50_293
; %bb.292:
	scratch_load_dwordx4 v[2:5], off, s40
	v_mov_b32_e32 v6, 0
	v_mov_b32_e32 v7, v6
	;; [unrolled: 1-line block ×4, first 2 shown]
	v_accvgpr_read_b32 v0, a103
	scratch_store_dwordx4 off, v[6:9], off offset:224
	s_waitcnt vmcnt(1)
	ds_write_b128 v0, v[2:5]
.LBB50_293:
	s_or_b64 exec, exec, s[0:1]
	s_waitcnt lgkmcnt(0)
	; wave barrier
	scratch_load_dwordx4 v[168:171], off, off offset:240
	scratch_load_dwordx4 v[172:175], off, off offset:256
	scratch_load_dwordx4 v[180:183], off, off offset:272
	scratch_load_dwordx4 v[184:187], off, off offset:288
	scratch_load_dwordx4 v[192:195], off, off offset:304
	scratch_load_dwordx4 v[196:199], off, off offset:320
	scratch_load_dwordx4 v[204:207], off, off offset:336
	scratch_load_dwordx4 v[208:211], off, off offset:352
	scratch_load_dwordx4 v[216:219], off, off offset:368
	scratch_load_dwordx4 v[4:7], off, off offset:384
	scratch_load_dwordx4 v[8:11], off, off offset:400
	scratch_load_dwordx4 v[12:15], off, off offset:416
	scratch_load_dwordx4 v[16:19], off, off offset:432
	scratch_load_dwordx4 v[20:23], off, off offset:448
	scratch_load_dwordx4 v[24:27], off, off offset:464
	scratch_load_dwordx4 v[28:31], off, off offset:480
	scratch_load_dwordx4 v[32:35], off, off offset:496
	scratch_load_dwordx4 v[36:39], off, off offset:512
	scratch_load_dwordx4 v[40:43], off, off offset:528
	scratch_load_dwordx4 v[44:47], off, off offset:544
	scratch_load_dwordx4 v[48:51], off, off offset:560
	scratch_load_dwordx4 v[52:55], off, off offset:576
	scratch_load_dwordx4 v[56:59], off, off offset:592
	scratch_load_dwordx4 v[60:63], off, off offset:608
	scratch_load_dwordx4 v[64:67], off, off offset:624
	scratch_load_dwordx4 v[68:71], off, off offset:640
	scratch_load_dwordx4 v[72:75], off, off offset:656
	scratch_load_dwordx4 v[76:79], off, off offset:672
	scratch_load_dwordx4 v[80:83], off, off offset:688
	scratch_load_dwordx4 v[84:87], off, off offset:704
	scratch_load_dwordx4 v[92:95], off, off offset:720
	scratch_load_dwordx4 v[88:91], off, off offset:736
	v_mov_b32_e32 v2, 0
	ds_read_b128 v[176:179], v2 offset:1040
	ds_read_b128 v[188:191], v2 offset:1056
	;; [unrolled: 1-line block ×17, first 2 shown]
	v_accvgpr_read_b32 v0, a102
	v_cmp_lt_u32_e32 vcc, 12, v0
	s_waitcnt vmcnt(31) lgkmcnt(14)
	v_mul_f64 v[104:105], v[176:177], v[170:171]
	s_waitcnt vmcnt(30)
	v_mul_f64 v[106:107], v[188:189], v[174:175]
	v_fmac_f64_e32 v[104:105], v[178:179], v[168:169]
	s_waitcnt vmcnt(29)
	v_mul_f64 v[108:109], v[200:201], v[182:183]
	v_fmac_f64_e32 v[106:107], v[190:191], v[172:173]
	v_add_f64 v[104:105], v[104:105], 0
	s_waitcnt vmcnt(28) lgkmcnt(13)
	v_mul_f64 v[110:111], v[212:213], v[186:187]
	v_fmac_f64_e32 v[108:109], v[202:203], v[180:181]
	v_add_f64 v[104:105], v[104:105], v[106:107]
	s_waitcnt vmcnt(27) lgkmcnt(12)
	;; [unrolled: 4-line block ×12, first 2 shown]
	v_mul_f64 v[156:157], v[112:113], v[26:27]
	v_fmac_f64_e32 v[154:155], v[118:119], v[20:21]
	v_add_f64 v[104:105], v[104:105], v[152:153]
	v_fmac_f64_e32 v[156:157], v[114:115], v[24:25]
	v_add_f64 v[104:105], v[104:105], v[154:155]
	s_waitcnt vmcnt(16) lgkmcnt(1)
	v_mul_f64 v[106:107], v[100:101], v[30:31]
	v_add_f64 v[104:105], v[104:105], v[156:157]
	v_fmac_f64_e32 v[106:107], v[102:103], v[28:29]
	v_add_f64 v[108:109], v[104:105], v[106:107]
	ds_read_b128 v[144:147], v2 offset:1312
	ds_read_b128 v[148:151], v2 offset:1328
	scratch_load_dwordx4 v[104:107], off, off offset:752
	s_waitcnt vmcnt(16) lgkmcnt(2)
	v_mul_f64 v[110:111], v[96:97], v[34:35]
	v_fmac_f64_e32 v[110:111], v[98:99], v[32:33]
	v_add_f64 v[120:121], v[108:109], v[110:111]
	scratch_load_dwordx4 v[108:111], off, off offset:768
	s_waitcnt vmcnt(16) lgkmcnt(1)
	v_mul_f64 v[122:123], v[144:145], v[38:39]
	v_fmac_f64_e32 v[122:123], v[146:147], v[36:37]
	v_add_f64 v[132:133], v[120:121], v[122:123]
	s_waitcnt vmcnt(15) lgkmcnt(0)
	v_mul_f64 v[134:135], v[148:149], v[42:43]
	scratch_load_dwordx4 v[120:123], off, off offset:784
	v_fmac_f64_e32 v[134:135], v[150:151], v[40:41]
	v_add_f64 v[160:161], v[132:133], v[134:135]
	scratch_load_dwordx4 v[132:135], off, off offset:800
	ds_read_b128 v[152:155], v2 offset:1344
	ds_read_b128 v[156:159], v2 offset:1360
	v_mul_f64 v[170:171], v[178:179], v[170:171]
	v_fma_f64 v[240:241], v[176:177], v[168:169], -v[170:171]
	ds_read_b128 v[168:171], v2 offset:1408
	s_waitcnt vmcnt(16) lgkmcnt(2)
	v_mul_f64 v[162:163], v[152:153], v[46:47]
	v_fmac_f64_e32 v[162:163], v[154:155], v[44:45]
	s_waitcnt vmcnt(15) lgkmcnt(1)
	v_mul_f64 v[166:167], v[156:157], v[50:51]
	v_add_f64 v[164:165], v[160:161], v[162:163]
	ds_read_b128 v[160:163], v2 offset:1376
	v_fmac_f64_e32 v[166:167], v[158:159], v[48:49]
	v_add_f64 v[232:233], v[164:165], v[166:167]
	ds_read_b128 v[164:167], v2 offset:1392
	v_mul_f64 v[174:175], v[190:191], v[174:175]
	s_waitcnt vmcnt(14) lgkmcnt(1)
	v_mul_f64 v[234:235], v[160:161], v[54:55]
	v_fmac_f64_e32 v[234:235], v[162:163], v[52:53]
	v_add_f64 v[232:233], v[232:233], v[234:235]
	s_waitcnt vmcnt(13) lgkmcnt(0)
	v_mul_f64 v[176:177], v[164:165], v[58:59]
	v_fmac_f64_e32 v[176:177], v[166:167], v[56:57]
	v_fma_f64 v[242:243], v[188:189], v[172:173], -v[174:175]
	ds_read_b128 v[172:175], v2 offset:1424
	s_waitcnt vmcnt(12)
	v_mul_f64 v[178:179], v[168:169], v[62:63]
	v_add_f64 v[176:177], v[232:233], v[176:177]
	v_fmac_f64_e32 v[178:179], v[170:171], v[60:61]
	v_add_f64 v[188:189], v[176:177], v[178:179]
	ds_read_b128 v[176:179], v2 offset:1440
	v_mul_f64 v[182:183], v[202:203], v[182:183]
	v_fma_f64 v[254:255], v[200:201], v[180:181], -v[182:183]
	ds_read_b128 v[180:183], v2 offset:1456
	s_waitcnt vmcnt(11) lgkmcnt(2)
	v_mul_f64 v[190:191], v[172:173], v[66:67]
	v_fmac_f64_e32 v[190:191], v[174:175], v[64:65]
	v_add_f64 v[188:189], v[188:189], v[190:191]
	s_waitcnt vmcnt(10) lgkmcnt(1)
	v_mul_f64 v[190:191], v[176:177], v[70:71]
	v_fmac_f64_e32 v[190:191], v[178:179], v[68:69]
	v_mul_f64 v[186:187], v[214:215], v[186:187]
	v_fma_f64 v[244:245], v[212:213], v[184:185], -v[186:187]
	ds_read_b128 v[184:187], v2 offset:1472
	v_add_f64 v[188:189], v[188:189], v[190:191]
	s_waitcnt vmcnt(9) lgkmcnt(1)
	v_mul_f64 v[190:191], v[180:181], v[74:75]
	v_fmac_f64_e32 v[190:191], v[182:183], v[72:73]
	v_add_f64 v[200:201], v[188:189], v[190:191]
	ds_read_b128 v[188:191], v2 offset:1488
	v_mul_f64 v[194:195], v[222:223], v[194:195]
	v_fma_f64 v[232:233], v[220:221], v[192:193], -v[194:195]
	ds_read_b128 v[192:195], v2 offset:1504
	s_waitcnt vmcnt(8) lgkmcnt(2)
	v_mul_f64 v[202:203], v[184:185], v[78:79]
	v_fmac_f64_e32 v[202:203], v[186:187], v[76:77]
	v_add_f64 v[200:201], v[200:201], v[202:203]
	s_waitcnt vmcnt(7) lgkmcnt(1)
	v_mul_f64 v[202:203], v[188:189], v[82:83]
	v_fmac_f64_e32 v[202:203], v[190:191], v[80:81]
	v_mul_f64 v[198:199], v[226:227], v[198:199]
	v_add_f64 v[200:201], v[200:201], v[202:203]
	v_fma_f64 v[234:235], v[224:225], v[196:197], -v[198:199]
	ds_read_b128 v[196:199], v2 offset:1520
	s_waitcnt vmcnt(6) lgkmcnt(1)
	v_mul_f64 v[202:203], v[192:193], v[86:87]
	v_fmac_f64_e32 v[202:203], v[194:195], v[84:85]
	v_add_f64 v[212:213], v[200:201], v[202:203]
	ds_read_b128 v[200:203], v2 offset:1536
	v_mul_f64 v[206:207], v[230:231], v[206:207]
	v_fma_f64 v[236:237], v[228:229], v[204:205], -v[206:207]
	ds_read_b128 v[204:207], v2 offset:1552
	s_waitcnt vmcnt(5) lgkmcnt(2)
	v_mul_f64 v[214:215], v[196:197], v[94:95]
	v_fmac_f64_e32 v[214:215], v[198:199], v[92:93]
	v_add_f64 v[212:213], v[212:213], v[214:215]
	s_waitcnt vmcnt(4) lgkmcnt(1)
	v_mul_f64 v[214:215], v[200:201], v[90:91]
	v_fmac_f64_e32 v[214:215], v[202:203], v[88:89]
	v_mul_f64 v[210:211], v[248:249], v[210:211]
	v_fma_f64 v[238:239], v[246:247], v[208:209], -v[210:211]
	ds_read_b128 v[208:211], v2 offset:1568
	v_add_f64 v[212:213], v[212:213], v[214:215]
	s_waitcnt vmcnt(3) lgkmcnt(1)
	v_mul_f64 v[214:215], v[204:205], v[106:107]
	v_fmac_f64_e32 v[214:215], v[206:207], v[104:105]
	v_add_f64 v[220:221], v[212:213], v[214:215]
	ds_read_b128 v[212:215], v2 offset:1584
	v_mul_f64 v[218:219], v[252:253], v[218:219]
	v_fma_f64 v[246:247], v[250:251], v[216:217], -v[218:219]
	ds_read_b128 v[216:219], v2 offset:1600
	ds_read_b128 v[224:227], v2 offset:1616
	s_waitcnt vmcnt(2) lgkmcnt(3)
	v_mul_f64 v[222:223], v[208:209], v[110:111]
	v_fmac_f64_e32 v[222:223], v[210:211], v[108:109]
	v_add_f64 v[220:221], v[220:221], v[222:223]
	s_waitcnt vmcnt(1) lgkmcnt(2)
	v_mul_f64 v[222:223], v[212:213], v[122:123]
	v_fmac_f64_e32 v[222:223], v[214:215], v[120:121]
	v_add_f64 v[220:221], v[220:221], v[222:223]
	;; [unrolled: 4-line block ×3, first 2 shown]
	scratch_load_dwordx4 v[220:223], off, off offset:816
	v_mul_f64 v[6:7], v[142:143], v[6:7]
	v_fma_f64 v[4:5], v[140:141], v[4:5], -v[6:7]
	v_mul_f64 v[6:7], v[138:139], v[10:11]
	v_fma_f64 v[6:7], v[136:137], v[8:9], -v[6:7]
	s_waitcnt vmcnt(0) lgkmcnt(0)
	v_mul_f64 v[230:231], v[224:225], v[222:223]
	v_fmac_f64_e32 v[230:231], v[226:227], v[220:221]
	v_add_f64 v[250:251], v[228:229], v[230:231]
	v_add_f64 v[228:229], v[240:241], 0
	;; [unrolled: 1-line block ×6, first 2 shown]
	scratch_load_dwordx4 v[228:231], off, off offset:224
	v_add_f64 v[232:233], v[248:249], v[234:235]
	v_add_f64 v[232:233], v[232:233], v[236:237]
	;; [unrolled: 1-line block ×6, first 2 shown]
	v_mul_f64 v[6:7], v[130:131], v[14:15]
	v_fma_f64 v[6:7], v[128:129], v[12:13], -v[6:7]
	v_add_f64 v[4:5], v[4:5], v[6:7]
	v_mul_f64 v[6:7], v[126:127], v[18:19]
	v_fma_f64 v[6:7], v[124:125], v[16:17], -v[6:7]
	v_add_f64 v[4:5], v[4:5], v[6:7]
	v_mul_f64 v[6:7], v[118:119], v[22:23]
	v_fma_f64 v[6:7], v[116:117], v[20:21], -v[6:7]
	v_add_f64 v[4:5], v[4:5], v[6:7]
	v_mul_f64 v[6:7], v[114:115], v[26:27]
	v_fma_f64 v[6:7], v[112:113], v[24:25], -v[6:7]
	v_add_f64 v[4:5], v[4:5], v[6:7]
	v_mul_f64 v[6:7], v[102:103], v[30:31]
	v_fma_f64 v[6:7], v[100:101], v[28:29], -v[6:7]
	v_add_f64 v[4:5], v[4:5], v[6:7]
	v_mul_f64 v[6:7], v[98:99], v[34:35]
	v_fma_f64 v[6:7], v[96:97], v[32:33], -v[6:7]
	v_add_f64 v[4:5], v[4:5], v[6:7]
	v_mul_f64 v[6:7], v[146:147], v[38:39]
	v_fma_f64 v[6:7], v[144:145], v[36:37], -v[6:7]
	v_add_f64 v[4:5], v[4:5], v[6:7]
	v_mul_f64 v[6:7], v[150:151], v[42:43]
	v_fma_f64 v[6:7], v[148:149], v[40:41], -v[6:7]
	v_add_f64 v[4:5], v[4:5], v[6:7]
	v_mul_f64 v[6:7], v[154:155], v[46:47]
	v_fma_f64 v[6:7], v[152:153], v[44:45], -v[6:7]
	v_add_f64 v[4:5], v[4:5], v[6:7]
	v_mul_f64 v[6:7], v[158:159], v[50:51]
	v_fma_f64 v[6:7], v[156:157], v[48:49], -v[6:7]
	v_add_f64 v[4:5], v[4:5], v[6:7]
	v_mul_f64 v[6:7], v[162:163], v[54:55]
	v_fma_f64 v[6:7], v[160:161], v[52:53], -v[6:7]
	v_add_f64 v[4:5], v[4:5], v[6:7]
	v_mul_f64 v[6:7], v[166:167], v[58:59]
	v_fma_f64 v[6:7], v[164:165], v[56:57], -v[6:7]
	v_add_f64 v[4:5], v[4:5], v[6:7]
	v_mul_f64 v[6:7], v[170:171], v[62:63]
	v_fma_f64 v[6:7], v[168:169], v[60:61], -v[6:7]
	v_add_f64 v[4:5], v[4:5], v[6:7]
	v_mul_f64 v[6:7], v[174:175], v[66:67]
	v_fma_f64 v[6:7], v[172:173], v[64:65], -v[6:7]
	v_add_f64 v[4:5], v[4:5], v[6:7]
	v_mul_f64 v[6:7], v[178:179], v[70:71]
	v_fma_f64 v[6:7], v[176:177], v[68:69], -v[6:7]
	v_add_f64 v[4:5], v[4:5], v[6:7]
	v_mul_f64 v[6:7], v[182:183], v[74:75]
	v_fma_f64 v[6:7], v[180:181], v[72:73], -v[6:7]
	v_add_f64 v[4:5], v[4:5], v[6:7]
	v_mul_f64 v[6:7], v[186:187], v[78:79]
	v_fma_f64 v[6:7], v[184:185], v[76:77], -v[6:7]
	v_add_f64 v[4:5], v[4:5], v[6:7]
	v_mul_f64 v[6:7], v[190:191], v[82:83]
	v_fma_f64 v[6:7], v[188:189], v[80:81], -v[6:7]
	v_add_f64 v[4:5], v[4:5], v[6:7]
	v_mul_f64 v[6:7], v[194:195], v[86:87]
	v_fma_f64 v[6:7], v[192:193], v[84:85], -v[6:7]
	v_add_f64 v[4:5], v[4:5], v[6:7]
	v_mul_f64 v[6:7], v[198:199], v[94:95]
	v_fma_f64 v[6:7], v[196:197], v[92:93], -v[6:7]
	v_add_f64 v[4:5], v[4:5], v[6:7]
	v_mul_f64 v[6:7], v[202:203], v[90:91]
	v_fma_f64 v[6:7], v[200:201], v[88:89], -v[6:7]
	v_add_f64 v[4:5], v[4:5], v[6:7]
	v_mul_f64 v[6:7], v[206:207], v[106:107]
	v_fma_f64 v[6:7], v[204:205], v[104:105], -v[6:7]
	v_add_f64 v[4:5], v[4:5], v[6:7]
	v_mul_f64 v[6:7], v[210:211], v[110:111]
	v_fma_f64 v[6:7], v[208:209], v[108:109], -v[6:7]
	v_add_f64 v[4:5], v[4:5], v[6:7]
	v_mul_f64 v[6:7], v[214:215], v[122:123]
	v_fma_f64 v[6:7], v[212:213], v[120:121], -v[6:7]
	v_add_f64 v[4:5], v[4:5], v[6:7]
	v_mul_f64 v[6:7], v[218:219], v[134:135]
	v_fma_f64 v[6:7], v[216:217], v[132:133], -v[6:7]
	v_add_f64 v[4:5], v[4:5], v[6:7]
	v_mul_f64 v[6:7], v[226:227], v[222:223]
	v_fma_f64 v[6:7], v[224:225], v[220:221], -v[6:7]
	v_add_f64 v[4:5], v[4:5], v[6:7]
	s_waitcnt vmcnt(0)
	v_add_f64 v[4:5], v[228:229], -v[4:5]
	v_add_f64 v[6:7], v[230:231], -v[250:251]
	scratch_store_dwordx4 off, v[4:7], off offset:224
	s_and_saveexec_b64 s[0:1], vcc
	s_cbranch_execz .LBB50_295
; %bb.294:
	scratch_load_dwordx4 v[6:9], off, s39
	v_mov_b32_e32 v3, v2
	v_mov_b32_e32 v4, v2
	;; [unrolled: 1-line block ×3, first 2 shown]
	v_accvgpr_read_b32 v0, a103
	scratch_store_dwordx4 off, v[2:5], off offset:208
	s_waitcnt vmcnt(1)
	ds_write_b128 v0, v[6:9]
.LBB50_295:
	s_or_b64 exec, exec, s[0:1]
	s_waitcnt lgkmcnt(0)
	; wave barrier
	scratch_load_dwordx4 v[168:171], off, off offset:224
	scratch_load_dwordx4 v[172:175], off, off offset:240
	;; [unrolled: 1-line block ×16, first 2 shown]
	ds_read_b128 v[232:235], v2 offset:1024
	ds_read_b128 v[176:179], v2 offset:1040
	scratch_load_dwordx4 v[32:35], off, off offset:480
	ds_read_b128 v[236:239], v2 offset:1056
	ds_read_b128 v[188:191], v2 offset:1072
	;; [unrolled: 1-line block ×5, first 2 shown]
	scratch_load_dwordx4 v[36:39], off, off offset:496
	ds_read_b128 v[224:227], v2 offset:1136
	ds_read_b128 v[220:223], v2 offset:1152
	ds_read_b128 v[44:47], v2 offset:1168
	scratch_load_dwordx4 v[40:43], off, off offset:512
	ds_read_b128 v[64:67], v2 offset:1184
	ds_read_b128 v[60:63], v2 offset:1200
	;; [unrolled: 1-line block ×4, first 2 shown]
	scratch_load_dwordx4 v[48:51], off, off offset:528
	ds_read_b128 v[80:83], v2 offset:1248
	ds_read_b128 v[72:75], v2 offset:1264
	;; [unrolled: 1-line block ×3, first 2 shown]
	scratch_load_dwordx4 v[76:79], off, off offset:544
	scratch_load_dwordx4 v[84:87], off, off offset:560
	;; [unrolled: 1-line block ×12, first 2 shown]
	v_accvgpr_read_b32 v0, a102
	v_cmp_lt_u32_e32 vcc, 11, v0
	s_waitcnt vmcnt(31) lgkmcnt(14)
	v_mul_f64 v[128:129], v[232:233], v[170:171]
	s_waitcnt vmcnt(30)
	v_mul_f64 v[130:131], v[176:177], v[174:175]
	v_fmac_f64_e32 v[128:129], v[234:235], v[168:169]
	s_waitcnt vmcnt(29)
	v_mul_f64 v[132:133], v[236:237], v[182:183]
	v_fmac_f64_e32 v[130:131], v[178:179], v[172:173]
	v_add_f64 v[128:129], v[128:129], 0
	s_waitcnt vmcnt(28) lgkmcnt(13)
	v_mul_f64 v[134:135], v[188:189], v[186:187]
	v_fmac_f64_e32 v[132:133], v[238:239], v[180:181]
	v_add_f64 v[128:129], v[128:129], v[130:131]
	s_waitcnt vmcnt(27) lgkmcnt(12)
	;; [unrolled: 4-line block ×13, first 2 shown]
	v_mul_f64 v[158:159], v[72:73], v[30:31]
	v_fmac_f64_e32 v[156:157], v[82:83], v[24:25]
	v_add_f64 v[128:129], v[128:129], v[154:155]
	v_add_f64 v[128:129], v[128:129], v[156:157]
	v_fmac_f64_e32 v[158:159], v[74:75], v[28:29]
	v_add_f64 v[132:133], v[128:129], v[158:159]
	ds_read_b128 v[144:147], v2 offset:1296
	ds_read_b128 v[148:151], v2 offset:1312
	scratch_load_dwordx4 v[128:131], off, off offset:736
	s_waitcnt vmcnt(16) lgkmcnt(2)
	v_mul_f64 v[134:135], v[68:69], v[34:35]
	v_fmac_f64_e32 v[134:135], v[70:71], v[32:33]
	s_waitcnt vmcnt(15) lgkmcnt(1)
	v_mul_f64 v[138:139], v[144:145], v[38:39]
	v_add_f64 v[136:137], v[132:133], v[134:135]
	scratch_load_dwordx4 v[132:135], off, off offset:752
	v_fmac_f64_e32 v[138:139], v[146:147], v[36:37]
	v_add_f64 v[140:141], v[136:137], v[138:139]
	s_waitcnt vmcnt(15) lgkmcnt(0)
	v_mul_f64 v[142:143], v[148:149], v[42:43]
	scratch_load_dwordx4 v[136:139], off, off offset:768
	v_fmac_f64_e32 v[142:143], v[150:151], v[40:41]
	v_add_f64 v[160:161], v[140:141], v[142:143]
	scratch_load_dwordx4 v[140:143], off, off offset:784
	ds_read_b128 v[152:155], v2 offset:1328
	ds_read_b128 v[156:159], v2 offset:1344
	v_mul_f64 v[170:171], v[234:235], v[170:171]
	v_mul_f64 v[174:175], v[178:179], v[174:175]
	v_mul_f64 v[182:183], v[238:239], v[182:183]
	s_waitcnt vmcnt(16) lgkmcnt(1)
	v_mul_f64 v[162:163], v[152:153], v[50:51]
	v_fmac_f64_e32 v[162:163], v[154:155], v[48:49]
	v_add_f64 v[164:165], v[160:161], v[162:163]
	ds_read_b128 v[160:163], v2 offset:1360
	s_waitcnt vmcnt(15) lgkmcnt(1)
	v_mul_f64 v[166:167], v[156:157], v[78:79]
	v_fmac_f64_e32 v[166:167], v[158:159], v[76:77]
	v_add_f64 v[240:241], v[164:165], v[166:167]
	ds_read_b128 v[164:167], v2 offset:1376
	s_waitcnt vmcnt(14) lgkmcnt(1)
	v_mul_f64 v[242:243], v[160:161], v[86:87]
	v_fmac_f64_e32 v[242:243], v[162:163], v[84:85]
	v_add_f64 v[240:241], v[240:241], v[242:243]
	v_fma_f64 v[242:243], v[232:233], v[168:169], -v[170:171]
	ds_read_b128 v[168:171], v2 offset:1392
	s_waitcnt vmcnt(13) lgkmcnt(1)
	v_mul_f64 v[232:233], v[164:165], v[90:91]
	v_fmac_f64_e32 v[232:233], v[166:167], v[88:89]
	v_add_f64 v[232:233], v[240:241], v[232:233]
	v_fma_f64 v[240:241], v[176:177], v[172:173], -v[174:175]
	ds_read_b128 v[172:175], v2 offset:1408
	s_waitcnt vmcnt(12) lgkmcnt(1)
	v_mul_f64 v[176:177], v[168:169], v[94:95]
	v_fmac_f64_e32 v[176:177], v[170:171], v[92:93]
	v_add_f64 v[232:233], v[232:233], v[176:177]
	ds_read_b128 v[176:179], v2 offset:1424
	v_fma_f64 v[236:237], v[236:237], v[180:181], -v[182:183]
	ds_read_b128 v[180:183], v2 offset:1440
	s_waitcnt vmcnt(11) lgkmcnt(2)
	v_mul_f64 v[234:235], v[172:173], v[98:99]
	v_fmac_f64_e32 v[234:235], v[174:175], v[96:97]
	v_add_f64 v[232:233], v[232:233], v[234:235]
	s_waitcnt vmcnt(10) lgkmcnt(1)
	v_mul_f64 v[234:235], v[176:177], v[102:103]
	v_fmac_f64_e32 v[234:235], v[178:179], v[100:101]
	v_mul_f64 v[186:187], v[190:191], v[186:187]
	s_waitcnt vmcnt(9) lgkmcnt(0)
	v_mul_f64 v[190:191], v[180:181], v[106:107]
	v_fma_f64 v[238:239], v[188:189], v[184:185], -v[186:187]
	ds_read_b128 v[184:187], v2 offset:1456
	v_add_f64 v[188:189], v[232:233], v[234:235]
	v_fmac_f64_e32 v[190:191], v[182:183], v[104:105]
	v_add_f64 v[232:233], v[188:189], v[190:191]
	ds_read_b128 v[188:191], v2 offset:1472
	v_mul_f64 v[194:195], v[230:231], v[194:195]
	v_fma_f64 v[244:245], v[228:229], v[192:193], -v[194:195]
	ds_read_b128 v[192:195], v2 offset:1488
	s_waitcnt vmcnt(8) lgkmcnt(2)
	v_mul_f64 v[234:235], v[184:185], v[110:111]
	v_fmac_f64_e32 v[234:235], v[186:187], v[108:109]
	s_waitcnt vmcnt(7) lgkmcnt(1)
	v_mul_f64 v[228:229], v[188:189], v[114:115]
	v_mul_f64 v[198:199], v[202:203], v[198:199]
	v_add_f64 v[232:233], v[232:233], v[234:235]
	v_fmac_f64_e32 v[228:229], v[190:191], v[112:113]
	v_fma_f64 v[250:251], v[200:201], v[196:197], -v[198:199]
	ds_read_b128 v[196:199], v2 offset:1504
	s_waitcnt vmcnt(6) lgkmcnt(1)
	v_mul_f64 v[200:201], v[192:193], v[118:119]
	v_add_f64 v[228:229], v[232:233], v[228:229]
	v_fmac_f64_e32 v[200:201], v[194:195], v[116:117]
	v_add_f64 v[228:229], v[228:229], v[200:201]
	ds_read_b128 v[200:203], v2 offset:1520
	v_mul_f64 v[206:207], v[214:215], v[206:207]
	v_add_f64 v[242:243], v[242:243], 0
	v_fma_f64 v[252:253], v[212:213], v[204:205], -v[206:207]
	ds_read_b128 v[204:207], v2 offset:1536
	v_add_f64 v[240:241], v[242:243], v[240:241]
	v_add_f64 v[236:237], v[240:241], v[236:237]
	;; [unrolled: 1-line block ×3, first 2 shown]
	s_waitcnt vmcnt(5) lgkmcnt(2)
	v_mul_f64 v[230:231], v[196:197], v[126:127]
	v_add_f64 v[236:237], v[236:237], v[244:245]
	v_fmac_f64_e32 v[230:231], v[198:199], v[124:125]
	s_waitcnt vmcnt(4) lgkmcnt(1)
	v_mul_f64 v[212:213], v[200:201], v[122:123]
	v_add_f64 v[236:237], v[236:237], v[250:251]
	v_add_f64 v[228:229], v[228:229], v[230:231]
	v_fmac_f64_e32 v[212:213], v[202:203], v[120:121]
	v_mul_f64 v[210:211], v[226:227], v[210:211]
	v_add_f64 v[250:251], v[236:237], v[252:253]
	scratch_load_dwordx4 v[236:239], off, off offset:208
	s_waitcnt vmcnt(4) lgkmcnt(0)
	v_mul_f64 v[214:215], v[204:205], v[130:131]
	v_fma_f64 v[246:247], v[224:225], v[208:209], -v[210:211]
	ds_read_b128 v[208:211], v2 offset:1552
	v_add_f64 v[212:213], v[228:229], v[212:213]
	v_fmac_f64_e32 v[214:215], v[206:207], v[128:129]
	v_add_f64 v[224:225], v[212:213], v[214:215]
	ds_read_b128 v[212:215], v2 offset:1568
	v_mul_f64 v[218:219], v[222:223], v[218:219]
	v_fma_f64 v[248:249], v[220:221], v[216:217], -v[218:219]
	ds_read_b128 v[216:219], v2 offset:1584
	s_waitcnt vmcnt(3) lgkmcnt(2)
	v_mul_f64 v[220:221], v[208:209], v[134:135]
	v_fmac_f64_e32 v[220:221], v[210:211], v[132:133]
	s_waitcnt vmcnt(2) lgkmcnt(1)
	v_mul_f64 v[222:223], v[212:213], v[138:139]
	v_add_f64 v[220:221], v[224:225], v[220:221]
	v_fmac_f64_e32 v[222:223], v[214:215], v[136:137]
	v_add_f64 v[220:221], v[220:221], v[222:223]
	ds_read_b128 v[224:227], v2 offset:1600
	scratch_load_dwordx4 v[232:235], off, off offset:816
	s_waitcnt vmcnt(2) lgkmcnt(1)
	v_mul_f64 v[222:223], v[216:217], v[142:143]
	v_fmac_f64_e32 v[222:223], v[218:219], v[140:141]
	v_add_f64 v[228:229], v[220:221], v[222:223]
	scratch_load_dwordx4 v[220:223], off, off offset:800
	v_add_f64 v[240:241], v[250:251], v[246:247]
	v_mul_f64 v[6:7], v[46:47], v[6:7]
	v_add_f64 v[240:241], v[240:241], v[248:249]
	v_fma_f64 v[4:5], v[44:45], v[4:5], -v[6:7]
	v_mul_f64 v[6:7], v[66:67], v[10:11]
	v_add_f64 v[4:5], v[240:241], v[4:5]
	v_fma_f64 v[6:7], v[64:65], v[8:9], -v[6:7]
	v_add_f64 v[4:5], v[4:5], v[6:7]
	v_mul_f64 v[6:7], v[62:63], v[14:15]
	v_fma_f64 v[6:7], v[60:61], v[12:13], -v[6:7]
	v_add_f64 v[4:5], v[4:5], v[6:7]
	v_mul_f64 v[6:7], v[58:59], v[18:19]
	;; [unrolled: 3-line block ×24, first 2 shown]
	v_fma_f64 v[6:7], v[212:213], v[136:137], -v[6:7]
	s_waitcnt vmcnt(0) lgkmcnt(0)
	v_mul_f64 v[230:231], v[224:225], v[222:223]
	v_fmac_f64_e32 v[230:231], v[226:227], v[220:221]
	v_add_f64 v[254:255], v[228:229], v[230:231]
	ds_read_b128 v[228:231], v2 offset:1616
	v_add_f64 v[4:5], v[4:5], v[6:7]
	v_mul_f64 v[6:7], v[218:219], v[142:143]
	v_fma_f64 v[6:7], v[216:217], v[140:141], -v[6:7]
	v_add_f64 v[4:5], v[4:5], v[6:7]
	v_mul_f64 v[6:7], v[226:227], v[222:223]
	v_fma_f64 v[6:7], v[224:225], v[220:221], -v[6:7]
	s_waitcnt lgkmcnt(0)
	v_mul_f64 v[2:3], v[228:229], v[234:235]
	v_add_f64 v[4:5], v[4:5], v[6:7]
	v_mul_f64 v[6:7], v[230:231], v[234:235]
	v_fmac_f64_e32 v[2:3], v[230:231], v[232:233]
	v_fma_f64 v[6:7], v[228:229], v[232:233], -v[6:7]
	v_add_f64 v[2:3], v[254:255], v[2:3]
	v_add_f64 v[4:5], v[4:5], v[6:7]
	v_add_f64 v[4:5], v[236:237], -v[4:5]
	v_add_f64 v[6:7], v[238:239], -v[2:3]
	scratch_store_dwordx4 off, v[4:7], off offset:208
	s_and_saveexec_b64 s[0:1], vcc
	s_cbranch_execz .LBB50_297
; %bb.296:
	scratch_load_dwordx4 v[2:5], off, s38
	v_mov_b32_e32 v6, 0
	v_mov_b32_e32 v7, v6
	;; [unrolled: 1-line block ×4, first 2 shown]
	v_accvgpr_read_b32 v0, a103
	scratch_store_dwordx4 off, v[6:9], off offset:192
	s_waitcnt vmcnt(1)
	ds_write_b128 v0, v[2:5]
.LBB50_297:
	s_or_b64 exec, exec, s[0:1]
	s_waitcnt lgkmcnt(0)
	; wave barrier
	scratch_load_dwordx4 v[80:83], off, off offset:208
	scratch_load_dwordx4 v[84:87], off, off offset:224
	;; [unrolled: 1-line block ×31, first 2 shown]
	v_mov_b32_e32 v2, 0
	ds_read_b128 v[196:199], v2 offset:1008
	ds_read_b128 v[200:203], v2 offset:1024
	;; [unrolled: 1-line block ×20, first 2 shown]
	s_waitcnt vmcnt(30) lgkmcnt(14)
	v_mul_f64 v[140:141], v[196:197], v[82:83]
	s_waitcnt vmcnt(29)
	v_mul_f64 v[142:143], v[200:201], v[86:87]
	v_fmac_f64_e32 v[140:141], v[198:199], v[80:81]
	s_waitcnt vmcnt(28)
	v_mul_f64 v[152:153], v[204:205], v[90:91]
	v_fmac_f64_e32 v[142:143], v[202:203], v[84:85]
	v_add_f64 v[140:141], v[140:141], 0
	s_waitcnt vmcnt(27)
	v_mul_f64 v[154:155], v[208:209], v[94:95]
	v_fmac_f64_e32 v[152:153], v[206:207], v[88:89]
	v_add_f64 v[140:141], v[140:141], v[142:143]
	s_waitcnt vmcnt(26)
	v_mul_f64 v[160:161], v[212:213], v[98:99]
	v_fmac_f64_e32 v[154:155], v[210:211], v[92:93]
	v_add_f64 v[140:141], v[140:141], v[152:153]
	s_waitcnt vmcnt(25)
	v_mul_f64 v[162:163], v[216:217], v[102:103]
	v_fmac_f64_e32 v[160:161], v[214:215], v[96:97]
	v_add_f64 v[140:141], v[140:141], v[154:155]
	s_waitcnt vmcnt(24) lgkmcnt(13)
	v_mul_f64 v[164:165], v[220:221], v[106:107]
	v_fmac_f64_e32 v[162:163], v[218:219], v[100:101]
	v_add_f64 v[140:141], v[140:141], v[160:161]
	s_waitcnt vmcnt(23) lgkmcnt(12)
	v_mul_f64 v[166:167], v[224:225], v[110:111]
	v_fmac_f64_e32 v[164:165], v[222:223], v[104:105]
	v_add_f64 v[140:141], v[140:141], v[162:163]
	;; [unrolled: 4-line block ×8, first 2 shown]
	v_fmac_f64_e32 v[178:179], v[146:147], v[12:13]
	v_add_f64 v[140:141], v[140:141], v[176:177]
	v_add_f64 v[140:141], v[140:141], v[178:179]
	ds_read_b128 v[176:179], v2 offset:1280
	s_waitcnt vmcnt(16) lgkmcnt(6)
	v_mul_f64 v[180:181], v[136:137], v[18:19]
	s_waitcnt vmcnt(15) lgkmcnt(5)
	v_mul_f64 v[182:183], v[132:133], v[22:23]
	v_fmac_f64_e32 v[180:181], v[138:139], v[16:17]
	v_add_f64 v[152:153], v[140:141], v[180:181]
	v_fmac_f64_e32 v[182:183], v[134:135], v[20:21]
	scratch_load_dwordx4 v[140:143], off, off offset:704
	s_waitcnt vmcnt(15) lgkmcnt(4)
	v_mul_f64 v[154:155], v[128:129], v[26:27]
	v_add_f64 v[152:153], v[152:153], v[182:183]
	v_fmac_f64_e32 v[154:155], v[130:131], v[24:25]
	v_add_f64 v[160:161], v[152:153], v[154:155]
	ds_read_b128 v[180:183], v2 offset:1296
	s_waitcnt vmcnt(14) lgkmcnt(1)
	v_mul_f64 v[162:163], v[176:177], v[30:31]
	scratch_load_dwordx4 v[152:155], off, off offset:720
	v_fmac_f64_e32 v[162:163], v[178:179], v[28:29]
	v_add_f64 v[164:165], v[160:161], v[162:163]
	scratch_load_dwordx4 v[160:163], off, off offset:736
	s_waitcnt vmcnt(15) lgkmcnt(0)
	v_mul_f64 v[166:167], v[180:181], v[34:35]
	v_fmac_f64_e32 v[166:167], v[182:183], v[32:33]
	v_add_f64 v[168:169], v[164:165], v[166:167]
	s_waitcnt vmcnt(14)
	v_mul_f64 v[170:171], v[184:185], v[38:39]
	scratch_load_dwordx4 v[164:167], off, off offset:752
	v_fmac_f64_e32 v[170:171], v[186:187], v[36:37]
	v_add_f64 v[168:169], v[168:169], v[170:171]
	s_waitcnt vmcnt(14)
	v_mul_f64 v[170:171], v[188:189], v[42:43]
	scratch_load_dwordx4 v[172:175], off, off offset:768
	v_fmac_f64_e32 v[170:171], v[190:191], v[40:41]
	v_add_f64 v[232:233], v[168:169], v[170:171]
	scratch_load_dwordx4 v[168:171], off, off offset:784
	v_mul_f64 v[82:83], v[198:199], v[82:83]
	v_fma_f64 v[240:241], v[196:197], v[80:81], -v[82:83]
	ds_read_b128 v[196:199], v2 offset:1360
	s_waitcnt vmcnt(15)
	v_mul_f64 v[80:81], v[192:193], v[46:47]
	v_fmac_f64_e32 v[80:81], v[194:195], v[44:45]
	v_add_f64 v[232:233], v[232:233], v[80:81]
	v_mul_f64 v[80:81], v[202:203], v[86:87]
	v_fma_f64 v[242:243], v[200:201], v[84:85], -v[80:81]
	scratch_load_dwordx4 v[80:83], off, off offset:800
	ds_read_b128 v[84:87], v2 offset:1376
	v_mul_f64 v[90:91], v[206:207], v[90:91]
	v_fma_f64 v[244:245], v[204:205], v[88:89], -v[90:91]
	ds_read_b128 v[88:91], v2 offset:1392
	s_waitcnt vmcnt(15) lgkmcnt(2)
	v_mul_f64 v[200:201], v[196:197], v[50:51]
	v_fmac_f64_e32 v[200:201], v[198:199], v[48:49]
	s_waitcnt vmcnt(14) lgkmcnt(1)
	v_mul_f64 v[202:203], v[84:85], v[54:55]
	v_add_f64 v[200:201], v[232:233], v[200:201]
	v_fmac_f64_e32 v[202:203], v[86:87], v[52:53]
	v_mul_f64 v[94:95], v[210:211], v[94:95]
	v_fma_f64 v[254:255], v[208:209], v[92:93], -v[94:95]
	ds_read_b128 v[92:95], v2 offset:1408
	v_add_f64 v[200:201], v[200:201], v[202:203]
	s_waitcnt vmcnt(13) lgkmcnt(1)
	v_mul_f64 v[202:203], v[88:89], v[58:59]
	v_fmac_f64_e32 v[202:203], v[90:91], v[56:57]
	v_add_f64 v[204:205], v[200:201], v[202:203]
	ds_read_b128 v[200:203], v2 offset:1424
	v_mul_f64 v[98:99], v[214:215], v[98:99]
	v_fma_f64 v[232:233], v[212:213], v[96:97], -v[98:99]
	ds_read_b128 v[96:99], v2 offset:1440
	s_waitcnt vmcnt(12) lgkmcnt(2)
	v_mul_f64 v[206:207], v[92:93], v[62:63]
	v_fmac_f64_e32 v[206:207], v[94:95], v[60:61]
	v_add_f64 v[204:205], v[204:205], v[206:207]
	s_waitcnt vmcnt(11) lgkmcnt(1)
	v_mul_f64 v[206:207], v[200:201], v[66:67]
	v_fmac_f64_e32 v[206:207], v[202:203], v[64:65]
	v_mul_f64 v[102:103], v[218:219], v[102:103]
	v_add_f64 v[204:205], v[204:205], v[206:207]
	v_fma_f64 v[4:5], v[216:217], v[100:101], -v[102:103]
	ds_read_b128 v[100:103], v2 offset:1456
	s_waitcnt vmcnt(10) lgkmcnt(1)
	v_mul_f64 v[206:207], v[96:97], v[70:71]
	v_fmac_f64_e32 v[206:207], v[98:99], v[68:69]
	v_add_f64 v[208:209], v[204:205], v[206:207]
	ds_read_b128 v[204:207], v2 offset:1472
	v_mul_f64 v[106:107], v[222:223], v[106:107]
	v_fma_f64 v[0:1], v[220:221], v[104:105], -v[106:107]
	ds_read_b128 v[104:107], v2 offset:1488
	s_waitcnt vmcnt(9) lgkmcnt(2)
	v_mul_f64 v[210:211], v[100:101], v[74:75]
	v_fmac_f64_e32 v[210:211], v[102:103], v[72:73]
	v_add_f64 v[208:209], v[208:209], v[210:211]
	s_waitcnt vmcnt(8) lgkmcnt(1)
	v_mul_f64 v[210:211], v[204:205], v[78:79]
	v_fmac_f64_e32 v[210:211], v[206:207], v[76:77]
	v_mul_f64 v[6:7], v[226:227], v[110:111]
	v_fma_f64 v[6:7], v[224:225], v[108:109], -v[6:7]
	ds_read_b128 v[108:111], v2 offset:1504
	v_add_f64 v[208:209], v[208:209], v[210:211]
	s_waitcnt vmcnt(7) lgkmcnt(1)
	v_mul_f64 v[210:211], v[104:105], v[126:127]
	v_fmac_f64_e32 v[210:211], v[106:107], v[124:125]
	v_mul_f64 v[114:115], v[230:231], v[114:115]
	v_add_f64 v[212:213], v[208:209], v[210:211]
	ds_read_b128 v[208:211], v2 offset:1520
	v_fma_f64 v[112:113], v[228:229], v[112:113], -v[114:115]
	v_accvgpr_write_b32 a104, v112
	v_accvgpr_write_b32 a105, v113
	ds_read_b128 v[112:115], v2 offset:1536
	s_waitcnt vmcnt(6) lgkmcnt(2)
	v_mul_f64 v[214:215], v[108:109], v[142:143]
	v_fmac_f64_e32 v[214:215], v[110:111], v[140:141]
	v_add_f64 v[212:213], v[212:213], v[214:215]
	s_waitcnt vmcnt(5) lgkmcnt(1)
	v_mul_f64 v[214:215], v[208:209], v[154:155]
	v_fmac_f64_e32 v[214:215], v[210:211], v[152:153]
	v_mul_f64 v[118:119], v[248:249], v[118:119]
	v_add_f64 v[212:213], v[212:213], v[214:215]
	v_fma_f64 v[238:239], v[246:247], v[116:117], -v[118:119]
	ds_read_b128 v[116:119], v2 offset:1552
	s_waitcnt vmcnt(4) lgkmcnt(1)
	v_mul_f64 v[214:215], v[112:113], v[162:163]
	v_fmac_f64_e32 v[214:215], v[114:115], v[160:161]
	v_add_f64 v[216:217], v[212:213], v[214:215]
	ds_read_b128 v[212:215], v2 offset:1568
	v_mul_f64 v[122:123], v[252:253], v[122:123]
	v_fma_f64 v[246:247], v[250:251], v[120:121], -v[122:123]
	ds_read_b128 v[120:123], v2 offset:1584
	s_waitcnt vmcnt(3) lgkmcnt(2)
	v_mul_f64 v[218:219], v[116:117], v[166:167]
	v_fmac_f64_e32 v[218:219], v[118:119], v[164:165]
	v_add_f64 v[216:217], v[216:217], v[218:219]
	s_waitcnt vmcnt(2) lgkmcnt(1)
	v_mul_f64 v[218:219], v[212:213], v[174:175]
	v_fmac_f64_e32 v[218:219], v[214:215], v[172:173]
	v_add_f64 v[216:217], v[216:217], v[218:219]
	;; [unrolled: 4-line block ×3, first 2 shown]
	ds_read_b128 v[216:219], v2 offset:1600
	ds_read_b128 v[224:227], v2 offset:1616
	s_waitcnt vmcnt(0) lgkmcnt(1)
	v_mul_f64 v[222:223], v[216:217], v[82:83]
	v_fmac_f64_e32 v[222:223], v[218:219], v[80:81]
	v_add_f64 v[228:229], v[220:221], v[222:223]
	scratch_load_dwordx4 v[220:223], off, off offset:816
	s_waitcnt vmcnt(0) lgkmcnt(0)
	v_mul_f64 v[230:231], v[224:225], v[222:223]
	v_fmac_f64_e32 v[230:231], v[226:227], v[220:221]
	v_add_f64 v[250:251], v[228:229], v[230:231]
	v_add_f64 v[228:229], v[240:241], 0
	;; [unrolled: 1-line block ×7, first 2 shown]
	scratch_load_dwordx4 v[228:231], off, off offset:192
	v_add_f64 v[248:249], v[4:5], v[0:1]
	v_accvgpr_read_b32 v4, a104
	v_add_f64 v[0:1], v[248:249], v[6:7]
	v_accvgpr_read_b32 v5, a105
	v_add_f64 v[0:1], v[0:1], v[4:5]
	v_add_f64 v[0:1], v[0:1], v[238:239]
	v_mul_f64 v[4:5], v[158:159], v[236:237]
	v_add_f64 v[0:1], v[0:1], v[246:247]
	v_fma_f64 v[4:5], v[156:157], v[234:235], -v[4:5]
	v_add_f64 v[0:1], v[0:1], v[4:5]
	v_mul_f64 v[4:5], v[150:151], v[10:11]
	v_fma_f64 v[4:5], v[148:149], v[8:9], -v[4:5]
	v_add_f64 v[0:1], v[0:1], v[4:5]
	v_mul_f64 v[4:5], v[146:147], v[14:15]
	;; [unrolled: 3-line block ×27, first 2 shown]
	v_fma_f64 v[4:5], v[224:225], v[220:221], -v[4:5]
	v_add_f64 v[0:1], v[0:1], v[4:5]
	s_waitcnt vmcnt(0)
	v_add_f64 v[4:5], v[228:229], -v[0:1]
	v_accvgpr_read_b32 v0, a102
	v_add_f64 v[6:7], v[230:231], -v[250:251]
	v_cmp_lt_u32_e32 vcc, 10, v0
	scratch_store_dwordx4 off, v[4:7], off offset:192
	s_and_saveexec_b64 s[0:1], vcc
	s_cbranch_execz .LBB50_299
; %bb.298:
	scratch_load_dwordx4 v[6:9], off, s37
	v_mov_b32_e32 v3, v2
	v_mov_b32_e32 v4, v2
	;; [unrolled: 1-line block ×3, first 2 shown]
	v_accvgpr_read_b32 v0, a103
	scratch_store_dwordx4 off, v[2:5], off offset:176
	s_waitcnt vmcnt(1)
	ds_write_b128 v0, v[6:9]
.LBB50_299:
	s_or_b64 exec, exec, s[0:1]
	s_waitcnt lgkmcnt(0)
	; wave barrier
	scratch_load_dwordx4 v[132:135], off, off offset:192
	scratch_load_dwordx4 v[160:163], off, off offset:208
	;; [unrolled: 1-line block ×16, first 2 shown]
	ds_read_b128 v[156:159], v2 offset:992
	ds_read_b128 v[172:175], v2 offset:1008
	scratch_load_dwordx4 v[24:27], off, off offset:448
	ds_read_b128 v[232:235], v2 offset:1024
	ds_read_b128 v[228:231], v2 offset:1040
	scratch_load_dwordx4 v[28:31], off, off offset:464
	ds_read_b128 v[236:239], v2 offset:1056
	ds_read_b128 v[184:187], v2 offset:1072
	;; [unrolled: 1-line block ×5, first 2 shown]
	scratch_load_dwordx4 v[32:35], off, off offset:480
	ds_read_b128 v[220:223], v2 offset:1136
	ds_read_b128 v[216:219], v2 offset:1152
	;; [unrolled: 1-line block ×3, first 2 shown]
	scratch_load_dwordx4 v[36:39], off, off offset:496
	ds_read_b128 v[64:67], v2 offset:1184
	ds_read_b128 v[60:63], v2 offset:1200
	;; [unrolled: 1-line block ×5, first 2 shown]
	scratch_load_dwordx4 v[52:55], off, off offset:512
	scratch_load_dwordx4 v[68:71], off, off offset:528
	;; [unrolled: 1-line block ×11, first 2 shown]
	ds_read_b128 v[144:147], v2 offset:1296
	ds_read_b128 v[148:151], v2 offset:1312
	;; [unrolled: 1-line block ×3, first 2 shown]
	s_waitcnt vmcnt(30) lgkmcnt(14)
	v_mul_f64 v[0:1], v[156:157], v[134:135]
	s_waitcnt vmcnt(29)
	v_mul_f64 v[108:109], v[172:173], v[162:163]
	v_fmac_f64_e32 v[0:1], v[158:159], v[132:133]
	s_waitcnt vmcnt(28)
	v_mul_f64 v[110:111], v[232:233], v[166:167]
	v_fmac_f64_e32 v[108:109], v[174:175], v[160:161]
	v_add_f64 v[0:1], v[0:1], 0
	s_waitcnt vmcnt(27)
	v_mul_f64 v[112:113], v[228:229], v[170:171]
	v_fmac_f64_e32 v[110:111], v[234:235], v[164:165]
	v_add_f64 v[0:1], v[0:1], v[108:109]
	;; [unrolled: 4-line block ×4, first 2 shown]
	s_waitcnt vmcnt(24) lgkmcnt(13)
	v_mul_f64 v[118:119], v[224:225], v[190:191]
	v_fmac_f64_e32 v[116:117], v[186:187], v[180:181]
	v_add_f64 v[0:1], v[0:1], v[114:115]
	s_waitcnt vmcnt(23) lgkmcnt(12)
	v_mul_f64 v[120:121], v[196:197], v[194:195]
	v_fmac_f64_e32 v[118:119], v[226:227], v[188:189]
	v_add_f64 v[0:1], v[0:1], v[116:117]
	;; [unrolled: 4-line block ×9, first 2 shown]
	v_fmac_f64_e32 v[138:139], v[58:59], v[16:17]
	v_add_f64 v[0:1], v[0:1], v[136:137]
	v_add_f64 v[0:1], v[0:1], v[138:139]
	ds_read_b128 v[136:139], v2 offset:1264
	s_waitcnt vmcnt(15) lgkmcnt(5)
	v_mul_f64 v[140:141], v[48:49], v[22:23]
	v_fmac_f64_e32 v[140:141], v[50:51], v[20:21]
	s_waitcnt vmcnt(14) lgkmcnt(4)
	v_mul_f64 v[112:113], v[44:45], v[26:27]
	scratch_load_dwordx4 v[108:111], off, off offset:688
	v_add_f64 v[0:1], v[0:1], v[140:141]
	v_fmac_f64_e32 v[112:113], v[46:47], v[24:25]
	v_add_f64 v[0:1], v[0:1], v[112:113]
	scratch_load_dwordx4 v[112:115], off, off offset:704
	ds_read_b128 v[140:143], v2 offset:1280
	s_waitcnt vmcnt(15) lgkmcnt(1)
	v_mul_f64 v[116:117], v[136:137], v[30:31]
	v_fmac_f64_e32 v[116:117], v[138:139], v[28:29]
	v_add_f64 v[0:1], v[0:1], v[116:117]
	scratch_load_dwordx4 v[116:119], off, off offset:720
	s_waitcnt vmcnt(15) lgkmcnt(0)
	v_mul_f64 v[120:121], v[140:141], v[34:35]
	v_fmac_f64_e32 v[120:121], v[142:143], v[32:33]
	s_waitcnt vmcnt(14)
	v_mul_f64 v[124:125], v[144:145], v[38:39]
	v_add_f64 v[0:1], v[0:1], v[120:121]
	scratch_load_dwordx4 v[120:123], off, off offset:736
	v_fmac_f64_e32 v[124:125], v[146:147], v[36:37]
	v_add_f64 v[0:1], v[0:1], v[124:125]
	s_waitcnt vmcnt(14)
	v_mul_f64 v[124:125], v[148:149], v[54:55]
	scratch_load_dwordx4 v[128:131], off, off offset:752
	v_fmac_f64_e32 v[124:125], v[150:151], v[52:53]
	v_add_f64 v[0:1], v[0:1], v[124:125]
	scratch_load_dwordx4 v[124:127], off, off offset:768
	v_mul_f64 v[134:135], v[158:159], v[134:135]
	v_fma_f64 v[240:241], v[156:157], v[132:133], -v[134:135]
	ds_read_b128 v[156:159], v2 offset:1344
	s_waitcnt vmcnt(15)
	v_mul_f64 v[132:133], v[152:153], v[70:71]
	v_fmac_f64_e32 v[132:133], v[154:155], v[68:69]
	v_add_f64 v[0:1], v[0:1], v[132:133]
	v_mul_f64 v[132:133], v[174:175], v[162:163]
	v_fma_f64 v[242:243], v[172:173], v[160:161], -v[132:133]
	scratch_load_dwordx4 v[132:135], off, off offset:784
	ds_read_b128 v[160:163], v2 offset:1360
	v_mul_f64 v[166:167], v[234:235], v[166:167]
	v_fma_f64 v[244:245], v[232:233], v[164:165], -v[166:167]
	ds_read_b128 v[164:167], v2 offset:1376
	s_waitcnt vmcnt(15) lgkmcnt(2)
	v_mul_f64 v[172:173], v[156:157], v[74:75]
	v_fmac_f64_e32 v[172:173], v[158:159], v[72:73]
	v_add_f64 v[0:1], v[0:1], v[172:173]
	s_waitcnt vmcnt(14) lgkmcnt(1)
	v_mul_f64 v[172:173], v[160:161], v[78:79]
	v_fmac_f64_e32 v[172:173], v[162:163], v[76:77]
	v_mul_f64 v[170:171], v[230:231], v[170:171]
	v_fma_f64 v[250:251], v[228:229], v[168:169], -v[170:171]
	ds_read_b128 v[168:171], v2 offset:1392
	v_add_f64 v[0:1], v[0:1], v[172:173]
	s_waitcnt vmcnt(13) lgkmcnt(1)
	v_mul_f64 v[172:173], v[164:165], v[82:83]
	v_fmac_f64_e32 v[172:173], v[166:167], v[80:81]
	v_add_f64 v[0:1], v[0:1], v[172:173]
	ds_read_b128 v[172:175], v2 offset:1408
	v_mul_f64 v[178:179], v[238:239], v[178:179]
	v_fma_f64 v[236:237], v[236:237], v[176:177], -v[178:179]
	ds_read_b128 v[176:179], v2 offset:1424
	s_waitcnt vmcnt(12) lgkmcnt(2)
	v_mul_f64 v[228:229], v[168:169], v[86:87]
	v_fmac_f64_e32 v[228:229], v[170:171], v[84:85]
	v_add_f64 v[0:1], v[0:1], v[228:229]
	s_waitcnt vmcnt(11) lgkmcnt(1)
	v_mul_f64 v[228:229], v[172:173], v[90:91]
	v_mul_f64 v[182:183], v[186:187], v[182:183]
	v_fmac_f64_e32 v[228:229], v[174:175], v[88:89]
	v_fma_f64 v[238:239], v[184:185], v[180:181], -v[182:183]
	ds_read_b128 v[180:183], v2 offset:1440
	s_waitcnt vmcnt(10) lgkmcnt(1)
	v_mul_f64 v[184:185], v[176:177], v[94:95]
	v_add_f64 v[0:1], v[0:1], v[228:229]
	v_fmac_f64_e32 v[184:185], v[178:179], v[92:93]
	v_add_f64 v[0:1], v[0:1], v[184:185]
	ds_read_b128 v[184:187], v2 offset:1456
	v_mul_f64 v[190:191], v[226:227], v[190:191]
	v_fma_f64 v[252:253], v[224:225], v[188:189], -v[190:191]
	ds_read_b128 v[188:191], v2 offset:1472
	s_waitcnt vmcnt(9) lgkmcnt(2)
	v_mul_f64 v[228:229], v[180:181], v[98:99]
	v_fmac_f64_e32 v[228:229], v[182:183], v[96:97]
	s_waitcnt vmcnt(8) lgkmcnt(1)
	v_mul_f64 v[224:225], v[184:185], v[102:103]
	v_mul_f64 v[194:195], v[198:199], v[194:195]
	v_add_f64 v[0:1], v[0:1], v[228:229]
	v_fmac_f64_e32 v[224:225], v[186:187], v[100:101]
	v_fma_f64 v[254:255], v[196:197], v[192:193], -v[194:195]
	s_waitcnt vmcnt(7) lgkmcnt(0)
	v_mul_f64 v[196:197], v[188:189], v[106:107]
	ds_read_b128 v[192:195], v2 offset:1488
	v_add_f64 v[0:1], v[0:1], v[224:225]
	v_fmac_f64_e32 v[196:197], v[190:191], v[104:105]
	v_add_f64 v[0:1], v[0:1], v[196:197]
	ds_read_b128 v[196:199], v2 offset:1504
	v_mul_f64 v[202:203], v[210:211], v[202:203]
	v_fma_f64 v[246:247], v[208:209], v[200:201], -v[202:203]
	ds_read_b128 v[200:203], v2 offset:1520
	s_waitcnt vmcnt(6) lgkmcnt(2)
	v_mul_f64 v[224:225], v[192:193], v[110:111]
	v_fmac_f64_e32 v[224:225], v[194:195], v[108:109]
	s_waitcnt vmcnt(5) lgkmcnt(1)
	v_mul_f64 v[208:209], v[196:197], v[114:115]
	v_add_f64 v[0:1], v[0:1], v[224:225]
	v_fmac_f64_e32 v[208:209], v[198:199], v[112:113]
	v_add_f64 v[208:209], v[0:1], v[208:209]
	v_mul_f64 v[0:1], v[222:223], v[206:207]
	v_fma_f64 v[0:1], v[220:221], v[204:205], -v[0:1]
	ds_read_b128 v[204:207], v2 offset:1536
	s_waitcnt vmcnt(4) lgkmcnt(1)
	v_mul_f64 v[210:211], v[200:201], v[118:119]
	v_fmac_f64_e32 v[210:211], v[202:203], v[116:117]
	v_add_f64 v[220:221], v[208:209], v[210:211]
	ds_read_b128 v[208:211], v2 offset:1552
	v_mul_f64 v[214:215], v[218:219], v[214:215]
	v_fma_f64 v[248:249], v[216:217], v[212:213], -v[214:215]
	ds_read_b128 v[212:215], v2 offset:1568
	s_waitcnt vmcnt(3) lgkmcnt(2)
	v_mul_f64 v[216:217], v[204:205], v[122:123]
	v_fmac_f64_e32 v[216:217], v[206:207], v[120:121]
	s_waitcnt vmcnt(2) lgkmcnt(1)
	v_mul_f64 v[218:219], v[208:209], v[130:131]
	v_add_f64 v[216:217], v[220:221], v[216:217]
	v_fmac_f64_e32 v[218:219], v[210:211], v[128:129]
	v_add_f64 v[216:217], v[216:217], v[218:219]
	s_waitcnt vmcnt(1) lgkmcnt(0)
	v_mul_f64 v[218:219], v[212:213], v[126:127]
	v_fmac_f64_e32 v[218:219], v[214:215], v[124:125]
	v_add_f64 v[220:221], v[216:217], v[218:219]
	ds_read_b128 v[216:219], v2 offset:1584
	ds_read_b128 v[224:227], v2 offset:1600
	scratch_load_dwordx4 v[232:235], off, off offset:816
	v_accvgpr_write_b32 a105, v1
	v_accvgpr_write_b32 a104, v0
	s_waitcnt vmcnt(1) lgkmcnt(1)
	v_mul_f64 v[222:223], v[216:217], v[134:135]
	v_fmac_f64_e32 v[222:223], v[218:219], v[132:133]
	v_add_f64 v[228:229], v[220:221], v[222:223]
	scratch_load_dwordx4 v[220:223], off, off offset:800
	v_mul_f64 v[6:7], v[42:43], v[6:7]
	v_fma_f64 v[4:5], v[40:41], v[4:5], -v[6:7]
	s_waitcnt vmcnt(0) lgkmcnt(0)
	v_mul_f64 v[230:231], v[224:225], v[222:223]
	v_fmac_f64_e32 v[230:231], v[226:227], v[220:221]
	v_add_f64 v[0:1], v[228:229], v[230:231]
	ds_read_b128 v[228:231], v2 offset:1616
	s_waitcnt lgkmcnt(0)
	v_mul_f64 v[2:3], v[228:229], v[234:235]
	v_fmac_f64_e32 v[2:3], v[230:231], v[232:233]
	v_add_f64 v[2:3], v[0:1], v[2:3]
	v_add_f64 v[0:1], v[240:241], 0
	;; [unrolled: 1-line block ×7, first 2 shown]
	scratch_load_dwordx4 v[236:239], off, off offset:176
	v_add_f64 v[0:1], v[0:1], v[252:253]
	v_add_f64 v[0:1], v[0:1], v[254:255]
	;; [unrolled: 1-line block ×3, first 2 shown]
	v_accvgpr_read_b32 v0, a104
	v_accvgpr_read_b32 v1, a105
	v_add_f64 v[0:1], v[250:251], v[0:1]
	v_add_f64 v[0:1], v[0:1], v[248:249]
	;; [unrolled: 1-line block ×3, first 2 shown]
	v_mul_f64 v[4:5], v[66:67], v[10:11]
	v_fma_f64 v[4:5], v[64:65], v[8:9], -v[4:5]
	v_add_f64 v[0:1], v[0:1], v[4:5]
	v_mul_f64 v[4:5], v[62:63], v[14:15]
	v_fma_f64 v[4:5], v[60:61], v[12:13], -v[4:5]
	v_add_f64 v[0:1], v[0:1], v[4:5]
	;; [unrolled: 3-line block ×28, first 2 shown]
	s_waitcnt vmcnt(0)
	v_add_f64 v[4:5], v[236:237], -v[0:1]
	v_accvgpr_read_b32 v0, a102
	v_add_f64 v[6:7], v[238:239], -v[2:3]
	v_cmp_lt_u32_e32 vcc, 9, v0
	scratch_store_dwordx4 off, v[4:7], off offset:176
	s_and_saveexec_b64 s[0:1], vcc
	s_cbranch_execz .LBB50_301
; %bb.300:
	scratch_load_dwordx4 v[2:5], off, s36
	v_mov_b32_e32 v6, 0
	v_mov_b32_e32 v7, v6
	;; [unrolled: 1-line block ×4, first 2 shown]
	v_accvgpr_read_b32 v0, a103
	scratch_store_dwordx4 off, v[6:9], off offset:160
	s_waitcnt vmcnt(1)
	ds_write_b128 v0, v[2:5]
.LBB50_301:
	s_or_b64 exec, exec, s[0:1]
	s_waitcnt lgkmcnt(0)
	; wave barrier
	scratch_load_dwordx4 v[112:115], off, off offset:176
	scratch_load_dwordx4 v[116:119], off, off offset:192
	;; [unrolled: 1-line block ×30, first 2 shown]
	v_mov_b32_e32 v2, 0
	ds_read_b128 v[144:147], v2 offset:976
	ds_read_b128 v[156:159], v2 offset:992
	;; [unrolled: 1-line block ×20, first 2 shown]
	s_waitcnt vmcnt(29) lgkmcnt(14)
	v_mul_f64 v[0:1], v[144:145], v[114:115]
	s_waitcnt vmcnt(28)
	v_mul_f64 v[88:89], v[156:157], v[118:119]
	v_fmac_f64_e32 v[0:1], v[146:147], v[112:113]
	s_waitcnt vmcnt(27)
	v_mul_f64 v[90:91], v[168:169], v[122:123]
	v_fmac_f64_e32 v[88:89], v[158:159], v[116:117]
	v_add_f64 v[0:1], v[0:1], 0
	s_waitcnt vmcnt(26)
	v_mul_f64 v[92:93], v[180:181], v[154:155]
	v_fmac_f64_e32 v[90:91], v[170:171], v[120:121]
	v_add_f64 v[0:1], v[0:1], v[88:89]
	;; [unrolled: 4-line block ×4, first 2 shown]
	s_waitcnt vmcnt(23) lgkmcnt(13)
	v_mul_f64 v[98:99], v[212:213], v[174:175]
	v_fmac_f64_e32 v[96:97], v[206:207], v[164:165]
	v_add_f64 v[0:1], v[0:1], v[94:95]
	s_waitcnt vmcnt(22) lgkmcnt(12)
	v_mul_f64 v[100:101], v[216:217], v[178:179]
	v_fmac_f64_e32 v[98:99], v[214:215], v[172:173]
	v_add_f64 v[0:1], v[0:1], v[96:97]
	;; [unrolled: 4-line block ×9, first 2 shown]
	v_fmac_f64_e32 v[126:127], v[82:83], v[8:9]
	v_add_f64 v[0:1], v[0:1], v[124:125]
	scratch_load_dwordx4 v[88:91], off, off offset:656
	s_waitcnt vmcnt(15) lgkmcnt(4)
	v_mul_f64 v[128:129], v[76:77], v[236:237]
	v_add_f64 v[0:1], v[0:1], v[126:127]
	ds_read_b128 v[124:127], v2 offset:1248
	v_fmac_f64_e32 v[128:129], v[78:79], v[234:235]
	v_add_f64 v[0:1], v[0:1], v[128:129]
	ds_read_b128 v[128:131], v2 offset:1264
	s_waitcnt vmcnt(14) lgkmcnt(5)
	v_mul_f64 v[92:93], v[72:73], v[18:19]
	v_fmac_f64_e32 v[92:93], v[74:75], v[16:17]
	v_add_f64 v[0:1], v[0:1], v[92:93]
	s_waitcnt vmcnt(13) lgkmcnt(1)
	v_mul_f64 v[96:97], v[124:125], v[22:23]
	scratch_load_dwordx4 v[92:95], off, off offset:672
	v_fmac_f64_e32 v[96:97], v[126:127], v[20:21]
	v_add_f64 v[0:1], v[0:1], v[96:97]
	s_waitcnt vmcnt(13) lgkmcnt(0)
	v_mul_f64 v[100:101], v[128:129], v[26:27]
	scratch_load_dwordx4 v[96:99], off, off offset:688
	v_fmac_f64_e32 v[100:101], v[130:131], v[24:25]
	v_add_f64 v[0:1], v[0:1], v[100:101]
	scratch_load_dwordx4 v[100:103], off, off offset:704
	s_waitcnt vmcnt(14)
	v_mul_f64 v[104:105], v[132:133], v[30:31]
	v_fmac_f64_e32 v[104:105], v[134:135], v[28:29]
	v_add_f64 v[0:1], v[0:1], v[104:105]
	s_waitcnt vmcnt(13)
	v_mul_f64 v[104:105], v[136:137], v[34:35]
	v_fmac_f64_e32 v[104:105], v[138:139], v[32:33]
	v_add_f64 v[0:1], v[0:1], v[104:105]
	scratch_load_dwordx4 v[104:107], off, off offset:720
	s_waitcnt vmcnt(13)
	v_mul_f64 v[108:109], v[140:141], v[38:39]
	v_fmac_f64_e32 v[108:109], v[142:143], v[36:37]
	v_add_f64 v[0:1], v[0:1], v[108:109]
	scratch_load_dwordx4 v[108:111], off, off offset:736
	v_mul_f64 v[114:115], v[146:147], v[114:115]
	v_fma_f64 v[240:241], v[144:145], v[112:113], -v[114:115]
	v_mul_f64 v[112:113], v[158:159], v[118:119]
	ds_read_b128 v[148:151], v2 offset:1328
	ds_read_b128 v[144:147], v2 offset:1344
	v_fma_f64 v[242:243], v[156:157], v[116:117], -v[112:113]
	scratch_load_dwordx4 v[116:119], off, off offset:752
	scratch_load_dwordx4 v[112:115], off, off offset:768
	v_mul_f64 v[122:123], v[170:171], v[122:123]
	v_fma_f64 v[244:245], v[168:169], v[120:121], -v[122:123]
	scratch_load_dwordx4 v[120:123], off, off offset:784
	s_waitcnt vmcnt(16) lgkmcnt(1)
	v_mul_f64 v[156:157], v[148:149], v[42:43]
	v_fmac_f64_e32 v[156:157], v[150:151], v[40:41]
	v_mul_f64 v[154:155], v[182:183], v[154:155]
	v_add_f64 v[0:1], v[0:1], v[156:157]
	v_fma_f64 v[254:255], v[180:181], v[152:153], -v[154:155]
	ds_read_b128 v[152:155], v2 offset:1360
	s_waitcnt vmcnt(15) lgkmcnt(1)
	v_mul_f64 v[156:157], v[144:145], v[46:47]
	v_fmac_f64_e32 v[156:157], v[146:147], v[44:45]
	v_add_f64 v[0:1], v[0:1], v[156:157]
	ds_read_b128 v[156:159], v2 offset:1376
	v_mul_f64 v[162:163], v[194:195], v[162:163]
	v_fma_f64 v[232:233], v[192:193], v[160:161], -v[162:163]
	ds_read_b128 v[160:163], v2 offset:1392
	s_waitcnt vmcnt(14) lgkmcnt(2)
	v_mul_f64 v[168:169], v[152:153], v[50:51]
	v_fmac_f64_e32 v[168:169], v[154:155], v[48:49]
	v_mul_f64 v[166:167], v[206:207], v[166:167]
	v_add_f64 v[0:1], v[0:1], v[168:169]
	s_waitcnt vmcnt(13) lgkmcnt(1)
	v_mul_f64 v[168:169], v[156:157], v[54:55]
	v_fma_f64 v[12:13], v[204:205], v[164:165], -v[166:167]
	ds_read_b128 v[164:167], v2 offset:1408
	v_accvgpr_write_b32 a107, v7
	v_fmac_f64_e32 v[168:169], v[158:159], v[52:53]
	v_accvgpr_write_b32 a106, v6
	v_accvgpr_write_b32 a105, v5
	;; [unrolled: 1-line block ×3, first 2 shown]
	v_add_f64 v[0:1], v[0:1], v[168:169]
	s_waitcnt vmcnt(12) lgkmcnt(1)
	v_mul_f64 v[6:7], v[160:161], v[58:59]
	ds_read_b128 v[168:171], v2 offset:1424
	v_fmac_f64_e32 v[6:7], v[162:163], v[56:57]
	v_accvgpr_write_b32 a111, v11
	v_add_f64 v[0:1], v[0:1], v[6:7]
	v_mul_f64 v[6:7], v[214:215], v[174:175]
	v_accvgpr_write_b32 a110, v10
	v_accvgpr_write_b32 a109, v9
	;; [unrolled: 1-line block ×3, first 2 shown]
	v_fma_f64 v[8:9], v[212:213], v[172:173], -v[6:7]
	s_waitcnt vmcnt(11) lgkmcnt(1)
	v_mul_f64 v[6:7], v[164:165], v[62:63]
	v_fmac_f64_e32 v[6:7], v[166:167], v[60:61]
	ds_read_b128 v[172:175], v2 offset:1440
	v_add_f64 v[0:1], v[0:1], v[6:7]
	s_waitcnt vmcnt(10) lgkmcnt(1)
	v_mul_f64 v[6:7], v[168:169], v[66:67]
	v_fmac_f64_e32 v[6:7], v[170:171], v[64:65]
	v_add_f64 v[0:1], v[0:1], v[6:7]
	v_mul_f64 v[6:7], v[218:219], v[178:179]
	v_fma_f64 v[10:11], v[216:217], v[176:177], -v[6:7]
	ds_read_b128 v[176:179], v2 offset:1456
	ds_read_b128 v[180:183], v2 offset:1472
	s_waitcnt vmcnt(9) lgkmcnt(2)
	v_mul_f64 v[6:7], v[172:173], v[70:71]
	v_fmac_f64_e32 v[6:7], v[174:175], v[68:69]
	v_add_f64 v[0:1], v[0:1], v[6:7]
	s_waitcnt vmcnt(8) lgkmcnt(1)
	v_mul_f64 v[6:7], v[176:177], v[90:91]
	v_fmac_f64_e32 v[6:7], v[178:179], v[88:89]
	v_add_f64 v[0:1], v[0:1], v[6:7]
	v_mul_f64 v[6:7], v[222:223], v[186:187]
	v_fma_f64 v[4:5], v[220:221], v[184:185], -v[6:7]
	ds_read_b128 v[184:187], v2 offset:1488
	v_mul_f64 v[6:7], v[226:227], v[190:191]
	v_fma_f64 v[6:7], v[224:225], v[188:189], -v[6:7]
	ds_read_b128 v[188:191], v2 offset:1504
	s_waitcnt vmcnt(7) lgkmcnt(2)
	v_mul_f64 v[14:15], v[180:181], v[94:95]
	v_fmac_f64_e32 v[14:15], v[182:183], v[92:93]
	v_add_f64 v[0:1], v[0:1], v[14:15]
	s_waitcnt vmcnt(6) lgkmcnt(1)
	v_mul_f64 v[14:15], v[184:185], v[98:99]
	v_fmac_f64_e32 v[14:15], v[186:187], v[96:97]
	v_add_f64 v[0:1], v[0:1], v[14:15]
	s_waitcnt vmcnt(5) lgkmcnt(0)
	v_mul_f64 v[14:15], v[188:189], v[102:103]
	ds_read_b128 v[192:195], v2 offset:1520
	v_fmac_f64_e32 v[14:15], v[190:191], v[100:101]
	v_add_f64 v[14:15], v[0:1], v[14:15]
	v_mul_f64 v[0:1], v[230:231], v[198:199]
	v_fma_f64 v[0:1], v[228:229], v[196:197], -v[0:1]
	ds_read_b128 v[196:199], v2 offset:1536
	v_mul_f64 v[202:203], v[248:249], v[202:203]
	s_waitcnt vmcnt(4) lgkmcnt(1)
	v_mul_f64 v[204:205], v[192:193], v[106:107]
	v_fma_f64 v[238:239], v[246:247], v[200:201], -v[202:203]
	ds_read_b128 v[200:203], v2 offset:1552
	v_fmac_f64_e32 v[204:205], v[194:195], v[104:105]
	v_add_f64 v[14:15], v[14:15], v[204:205]
	ds_read_b128 v[204:207], v2 offset:1568
	s_waitcnt vmcnt(3) lgkmcnt(2)
	v_mul_f64 v[212:213], v[196:197], v[110:111]
	v_mul_f64 v[210:211], v[252:253], v[210:211]
	v_fmac_f64_e32 v[212:213], v[198:199], v[108:109]
	v_fma_f64 v[246:247], v[250:251], v[208:209], -v[210:211]
	ds_read_b128 v[208:211], v2 offset:1584
	ds_read_b128 v[216:219], v2 offset:1600
	v_add_f64 v[14:15], v[14:15], v[212:213]
	s_waitcnt vmcnt(2) lgkmcnt(3)
	v_mul_f64 v[212:213], v[200:201], v[118:119]
	v_fmac_f64_e32 v[212:213], v[202:203], v[116:117]
	v_add_f64 v[14:15], v[14:15], v[212:213]
	s_waitcnt vmcnt(1) lgkmcnt(2)
	v_mul_f64 v[212:213], v[204:205], v[114:115]
	v_fmac_f64_e32 v[212:213], v[206:207], v[112:113]
	;; [unrolled: 4-line block ×3, first 2 shown]
	v_add_f64 v[14:15], v[14:15], v[212:213]
	scratch_load_dwordx4 v[212:215], off, off offset:800
	ds_read_b128 v[224:227], v2 offset:1616
	s_waitcnt vmcnt(0) lgkmcnt(1)
	v_mul_f64 v[220:221], v[216:217], v[214:215]
	v_fmac_f64_e32 v[220:221], v[218:219], v[212:213]
	v_add_f64 v[14:15], v[14:15], v[220:221]
	scratch_load_dwordx4 v[220:223], off, off offset:816
	s_waitcnt vmcnt(0) lgkmcnt(0)
	v_mul_f64 v[228:229], v[224:225], v[222:223]
	v_fmac_f64_e32 v[228:229], v[226:227], v[220:221]
	v_add_f64 v[250:251], v[14:15], v[228:229]
	scratch_load_dwordx4 v[228:231], off, off offset:160
	v_add_f64 v[14:15], v[240:241], 0
	v_add_f64 v[14:15], v[14:15], v[242:243]
	;; [unrolled: 1-line block ×10, first 2 shown]
	v_accvgpr_read_b32 v6, a104
	v_accvgpr_read_b32 v8, a106
	;; [unrolled: 1-line block ×3, first 2 shown]
	v_add_f64 v[0:1], v[4:5], v[0:1]
	v_accvgpr_read_b32 v7, a105
	v_mul_f64 v[4:5], v[86:87], v[8:9]
	v_add_f64 v[0:1], v[0:1], v[238:239]
	v_fma_f64 v[4:5], v[84:85], v[6:7], -v[4:5]
	v_accvgpr_read_b32 v6, a108
	v_add_f64 v[0:1], v[0:1], v[246:247]
	v_accvgpr_read_b32 v8, a110
	v_accvgpr_read_b32 v9, a111
	v_add_f64 v[0:1], v[0:1], v[4:5]
	v_accvgpr_read_b32 v7, a109
	v_mul_f64 v[4:5], v[82:83], v[8:9]
	v_fma_f64 v[4:5], v[80:81], v[6:7], -v[4:5]
	v_add_f64 v[0:1], v[0:1], v[4:5]
	v_mul_f64 v[4:5], v[78:79], v[236:237]
	v_fma_f64 v[4:5], v[76:77], v[234:235], -v[4:5]
	v_add_f64 v[0:1], v[0:1], v[4:5]
	;; [unrolled: 3-line block ×27, first 2 shown]
	s_waitcnt vmcnt(0)
	v_add_f64 v[4:5], v[228:229], -v[0:1]
	v_accvgpr_read_b32 v0, a102
	v_add_f64 v[6:7], v[230:231], -v[250:251]
	v_cmp_lt_u32_e32 vcc, 8, v0
	scratch_store_dwordx4 off, v[4:7], off offset:160
	s_and_saveexec_b64 s[0:1], vcc
	s_cbranch_execz .LBB50_303
; %bb.302:
	scratch_load_dwordx4 v[6:9], off, s35
	v_mov_b32_e32 v3, v2
	v_mov_b32_e32 v4, v2
	;; [unrolled: 1-line block ×3, first 2 shown]
	v_accvgpr_read_b32 v0, a103
	scratch_store_dwordx4 off, v[2:5], off offset:144
	s_waitcnt vmcnt(1)
	ds_write_b128 v0, v[6:9]
.LBB50_303:
	s_or_b64 exec, exec, s[0:1]
	s_waitcnt lgkmcnt(0)
	; wave barrier
	scratch_load_dwordx4 v[88:91], off, off offset:160
	scratch_load_dwordx4 v[92:95], off, off offset:176
	;; [unrolled: 1-line block ×17, first 2 shown]
	ds_read_b128 v[212:215], v2 offset:960
	ds_read_b128 v[204:207], v2 offset:976
	;; [unrolled: 1-line block ×3, first 2 shown]
	scratch_load_dwordx4 v[20:23], off, off offset:432
	ds_read_b128 v[216:219], v2 offset:1008
	ds_read_b128 v[208:211], v2 offset:1024
	;; [unrolled: 1-line block ×5, first 2 shown]
	scratch_load_dwordx4 v[24:27], off, off offset:448
	ds_read_b128 v[180:183], v2 offset:1088
	ds_read_b128 v[160:163], v2 offset:1104
	;; [unrolled: 1-line block ×3, first 2 shown]
	scratch_load_dwordx4 v[28:31], off, off offset:464
	ds_read_b128 v[172:175], v2 offset:1136
	ds_read_b128 v[148:151], v2 offset:1152
	;; [unrolled: 1-line block ×5, first 2 shown]
	scratch_load_dwordx4 v[36:39], off, off offset:480
	ds_read_b128 v[48:51], v2 offset:1216
	scratch_load_dwordx4 v[52:55], off, off offset:496
	scratch_load_dwordx4 v[56:59], off, off offset:512
	;; [unrolled: 1-line block ×9, first 2 shown]
	ds_read_b128 v[140:143], v2 offset:1232
	ds_read_b128 v[232:235], v2 offset:1296
	;; [unrolled: 1-line block ×3, first 2 shown]
	s_waitcnt vmcnt(29) lgkmcnt(14)
	v_mul_f64 v[0:1], v[212:213], v[90:91]
	s_waitcnt vmcnt(28)
	v_mul_f64 v[152:153], v[204:205], v[94:95]
	v_fmac_f64_e32 v[0:1], v[214:215], v[88:89]
	s_waitcnt vmcnt(27)
	v_mul_f64 v[154:155], v[196:197], v[98:99]
	v_fmac_f64_e32 v[152:153], v[206:207], v[92:93]
	v_add_f64 v[0:1], v[0:1], 0
	s_waitcnt vmcnt(26)
	v_mul_f64 v[164:165], v[216:217], v[102:103]
	v_fmac_f64_e32 v[154:155], v[198:199], v[96:97]
	v_add_f64 v[0:1], v[0:1], v[152:153]
	;; [unrolled: 4-line block ×4, first 2 shown]
	s_waitcnt vmcnt(23) lgkmcnt(13)
	v_mul_f64 v[170:171], v[184:185], v[114:115]
	v_fmac_f64_e32 v[168:169], v[202:203], v[108:109]
	v_add_f64 v[0:1], v[0:1], v[166:167]
	s_waitcnt vmcnt(22) lgkmcnt(12)
	v_mul_f64 v[176:177], v[156:157], v[118:119]
	v_fmac_f64_e32 v[170:171], v[186:187], v[112:113]
	v_add_f64 v[0:1], v[0:1], v[168:169]
	;; [unrolled: 4-line block ×10, first 2 shown]
	v_fmac_f64_e32 v[224:225], v[34:35], v[12:13]
	v_add_f64 v[0:1], v[0:1], v[222:223]
	ds_read_b128 v[220:223], v2 offset:1248
	v_add_f64 v[0:1], v[0:1], v[224:225]
	ds_read_b128 v[224:227], v2 offset:1264
	s_waitcnt vmcnt(13) lgkmcnt(5)
	v_mul_f64 v[164:165], v[48:49], v[18:19]
	scratch_load_dwordx4 v[152:155], off, off offset:640
	v_fmac_f64_e32 v[164:165], v[50:51], v[16:17]
	s_waitcnt vmcnt(13) lgkmcnt(4)
	v_mul_f64 v[168:169], v[140:141], v[22:23]
	v_add_f64 v[0:1], v[0:1], v[164:165]
	v_fmac_f64_e32 v[168:169], v[142:143], v[20:21]
	scratch_load_dwordx4 v[164:167], off, off offset:656
	v_add_f64 v[0:1], v[0:1], v[168:169]
	s_waitcnt vmcnt(13) lgkmcnt(1)
	v_mul_f64 v[176:177], v[220:221], v[26:27]
	scratch_load_dwordx4 v[168:171], off, off offset:672
	v_fmac_f64_e32 v[176:177], v[222:223], v[24:25]
	s_waitcnt vmcnt(13) lgkmcnt(0)
	v_mul_f64 v[188:189], v[224:225], v[30:31]
	v_add_f64 v[0:1], v[0:1], v[176:177]
	scratch_load_dwordx4 v[176:179], off, off offset:688
	v_fmac_f64_e32 v[188:189], v[226:227], v[28:29]
	v_add_f64 v[0:1], v[0:1], v[188:189]
	s_waitcnt vmcnt(13)
	v_mul_f64 v[188:189], v[228:229], v[38:39]
	v_fmac_f64_e32 v[188:189], v[230:231], v[36:37]
	v_add_f64 v[0:1], v[0:1], v[188:189]
	scratch_load_dwordx4 v[188:191], off, off offset:704
	s_waitcnt vmcnt(13)
	v_mul_f64 v[192:193], v[232:233], v[54:55]
	v_fmac_f64_e32 v[192:193], v[234:235], v[52:53]
	v_mul_f64 v[90:91], v[214:215], v[90:91]
	v_add_f64 v[0:1], v[0:1], v[192:193]
	scratch_load_dwordx4 v[192:195], off, off offset:720
	v_fma_f64 v[240:241], v[212:213], v[88:89], -v[90:91]
	v_mul_f64 v[88:89], v[206:207], v[94:95]
	ds_read_b128 v[236:239], v2 offset:1312
	ds_read_b128 v[212:215], v2 offset:1328
	v_fma_f64 v[242:243], v[204:205], v[92:93], -v[88:89]
	scratch_load_dwordx4 v[92:95], off, off offset:736
	scratch_load_dwordx4 v[88:91], off, off offset:752
	v_mul_f64 v[98:99], v[198:199], v[98:99]
	v_fma_f64 v[244:245], v[196:197], v[96:97], -v[98:99]
	scratch_load_dwordx4 v[96:99], off, off offset:768
	s_waitcnt vmcnt(16) lgkmcnt(1)
	v_mul_f64 v[204:205], v[236:237], v[58:59]
	v_mul_f64 v[102:103], v[218:219], v[102:103]
	v_fmac_f64_e32 v[204:205], v[238:239], v[56:57]
	v_fma_f64 v[216:217], v[216:217], v[100:101], -v[102:103]
	ds_read_b128 v[100:103], v2 offset:1344
	s_waitcnt vmcnt(15) lgkmcnt(1)
	v_mul_f64 v[196:197], v[212:213], v[62:63]
	v_add_f64 v[0:1], v[0:1], v[204:205]
	v_fmac_f64_e32 v[196:197], v[214:215], v[60:61]
	v_add_f64 v[0:1], v[0:1], v[196:197]
	ds_read_b128 v[196:199], v2 offset:1360
	v_mul_f64 v[106:107], v[210:211], v[106:107]
	v_fma_f64 v[218:219], v[208:209], v[104:105], -v[106:107]
	ds_read_b128 v[104:107], v2 offset:1376
	s_waitcnt vmcnt(14) lgkmcnt(2)
	v_mul_f64 v[204:205], v[100:101], v[66:67]
	v_fmac_f64_e32 v[204:205], v[102:103], v[64:65]
	v_add_f64 v[0:1], v[0:1], v[204:205]
	s_waitcnt vmcnt(13) lgkmcnt(1)
	v_mul_f64 v[204:205], v[196:197], v[70:71]
	v_mul_f64 v[110:111], v[202:203], v[110:111]
	v_fmac_f64_e32 v[204:205], v[198:199], v[68:69]
	v_fma_f64 v[250:251], v[200:201], v[108:109], -v[110:111]
	ds_read_b128 v[108:111], v2 offset:1392
	s_waitcnt vmcnt(12) lgkmcnt(1)
	v_mul_f64 v[200:201], v[104:105], v[74:75]
	v_add_f64 v[0:1], v[0:1], v[204:205]
	v_fmac_f64_e32 v[200:201], v[106:107], v[72:73]
	v_add_f64 v[0:1], v[0:1], v[200:201]
	ds_read_b128 v[200:203], v2 offset:1408
	v_mul_f64 v[114:115], v[186:187], v[114:115]
	v_fma_f64 v[252:253], v[184:185], v[112:113], -v[114:115]
	ds_read_b128 v[112:115], v2 offset:1424
	s_waitcnt vmcnt(11) lgkmcnt(2)
	v_mul_f64 v[184:185], v[108:109], v[78:79]
	v_fmac_f64_e32 v[184:185], v[110:111], v[76:77]
	v_add_f64 v[0:1], v[0:1], v[184:185]
	s_waitcnt vmcnt(10) lgkmcnt(1)
	v_mul_f64 v[184:185], v[200:201], v[82:83]
	v_mul_f64 v[118:119], v[158:159], v[118:119]
	v_fmac_f64_e32 v[184:185], v[202:203], v[80:81]
	v_fma_f64 v[254:255], v[156:157], v[116:117], -v[118:119]
	s_waitcnt vmcnt(9) lgkmcnt(0)
	v_mul_f64 v[156:157], v[112:113], v[86:87]
	v_add_f64 v[0:1], v[0:1], v[184:185]
	ds_read_b128 v[116:119], v2 offset:1440
	v_fmac_f64_e32 v[156:157], v[114:115], v[84:85]
	v_add_f64 v[0:1], v[0:1], v[156:157]
	ds_read_b128 v[156:159], v2 offset:1456
	v_mul_f64 v[122:123], v[182:183], v[122:123]
	v_fma_f64 v[246:247], v[180:181], v[120:121], -v[122:123]
	ds_read_b128 v[120:123], v2 offset:1472
	v_accvgpr_write_b32 a107, v7
	v_mul_f64 v[126:127], v[162:163], v[126:127]
	v_accvgpr_write_b32 a106, v6
	v_accvgpr_write_b32 a105, v5
	;; [unrolled: 1-line block ×3, first 2 shown]
	v_fma_f64 v[4:5], v[160:161], v[124:125], -v[126:127]
	ds_read_b128 v[124:127], v2 offset:1488
	s_waitcnt vmcnt(8) lgkmcnt(3)
	v_mul_f64 v[184:185], v[116:117], v[154:155]
	v_fmac_f64_e32 v[184:185], v[118:119], v[152:153]
	s_waitcnt vmcnt(7) lgkmcnt(2)
	v_mul_f64 v[180:181], v[156:157], v[166:167]
	v_add_f64 v[0:1], v[0:1], v[184:185]
	v_fmac_f64_e32 v[180:181], v[158:159], v[164:165]
	s_waitcnt vmcnt(6) lgkmcnt(1)
	v_mul_f64 v[6:7], v[120:121], v[170:171]
	ds_read_b128 v[160:163], v2 offset:1504
	v_add_f64 v[0:1], v[0:1], v[180:181]
	v_fmac_f64_e32 v[6:7], v[122:123], v[168:169]
	v_add_f64 v[0:1], v[0:1], v[6:7]
	s_waitcnt vmcnt(5) lgkmcnt(1)
	v_mul_f64 v[6:7], v[124:125], v[178:179]
	v_fmac_f64_e32 v[6:7], v[126:127], v[176:177]
	v_add_f64 v[0:1], v[0:1], v[6:7]
	v_mul_f64 v[6:7], v[146:147], v[130:131]
	v_fma_f64 v[6:7], v[144:145], v[128:129], -v[6:7]
	ds_read_b128 v[128:131], v2 offset:1520
	s_waitcnt vmcnt(4) lgkmcnt(1)
	v_mul_f64 v[144:145], v[160:161], v[190:191]
	v_fmac_f64_e32 v[144:145], v[162:163], v[188:189]
	v_add_f64 v[180:181], v[0:1], v[144:145]
	v_mul_f64 v[0:1], v[174:175], v[134:135]
	v_fma_f64 v[0:1], v[172:173], v[132:133], -v[0:1]
	ds_read_b128 v[132:135], v2 offset:1536
	ds_read_b128 v[144:147], v2 offset:1552
	v_mul_f64 v[138:139], v[150:151], v[138:139]
	v_fma_f64 v[248:249], v[148:149], v[136:137], -v[138:139]
	ds_read_b128 v[136:139], v2 offset:1568
	s_waitcnt vmcnt(3) lgkmcnt(3)
	v_mul_f64 v[172:173], v[128:129], v[194:195]
	v_fmac_f64_e32 v[172:173], v[130:131], v[192:193]
	s_waitcnt vmcnt(2) lgkmcnt(2)
	v_mul_f64 v[148:149], v[132:133], v[94:95]
	v_add_f64 v[172:173], v[180:181], v[172:173]
	v_fmac_f64_e32 v[148:149], v[134:135], v[92:93]
	s_waitcnt vmcnt(1) lgkmcnt(1)
	v_mul_f64 v[150:151], v[144:145], v[90:91]
	v_add_f64 v[148:149], v[172:173], v[148:149]
	v_fmac_f64_e32 v[150:151], v[146:147], v[88:89]
	v_add_f64 v[148:149], v[148:149], v[150:151]
	ds_read_b128 v[172:175], v2 offset:1584
	scratch_load_dwordx4 v[208:211], off, off offset:816
	s_waitcnt vmcnt(1) lgkmcnt(1)
	v_mul_f64 v[150:151], v[136:137], v[98:99]
	v_fmac_f64_e32 v[150:151], v[138:139], v[96:97]
	v_add_f64 v[180:181], v[148:149], v[150:151]
	scratch_load_dwordx4 v[148:151], off, off offset:784
	ds_read_b128 v[184:187], v2 offset:1600
	v_accvgpr_write_b32 a109, v1
	v_accvgpr_write_b32 a108, v0
	s_waitcnt vmcnt(0) lgkmcnt(1)
	v_mul_f64 v[182:183], v[172:173], v[150:151]
	v_fmac_f64_e32 v[182:183], v[174:175], v[148:149]
	v_add_f64 v[204:205], v[180:181], v[182:183]
	scratch_load_dwordx4 v[180:183], off, off offset:800
	s_waitcnt vmcnt(0) lgkmcnt(0)
	v_mul_f64 v[206:207], v[184:185], v[182:183]
	v_fmac_f64_e32 v[206:207], v[186:187], v[180:181]
	v_add_f64 v[0:1], v[204:205], v[206:207]
	ds_read_b128 v[204:207], v2 offset:1616
	s_waitcnt lgkmcnt(0)
	v_mul_f64 v[2:3], v[204:205], v[210:211]
	v_fmac_f64_e32 v[2:3], v[206:207], v[208:209]
	v_add_f64 v[2:3], v[0:1], v[2:3]
	v_add_f64 v[0:1], v[240:241], 0
	;; [unrolled: 1-line block ×6, first 2 shown]
	scratch_load_dwordx4 v[216:219], off, off offset:144
	v_add_f64 v[0:1], v[0:1], v[250:251]
	v_add_f64 v[0:1], v[0:1], v[252:253]
	v_add_f64 v[0:1], v[0:1], v[254:255]
	v_add_f64 v[0:1], v[0:1], v[246:247]
	v_add_f64 v[0:1], v[0:1], v[4:5]
	v_add_f64 v[250:251], v[0:1], v[6:7]
	v_accvgpr_read_b32 v0, a108
	v_accvgpr_read_b32 v243, a107
	;; [unrolled: 1-line block ×4, first 2 shown]
	v_add_f64 v[0:1], v[250:251], v[0:1]
	v_accvgpr_read_b32 v241, a105
	v_accvgpr_read_b32 v240, a104
	v_mul_f64 v[4:5], v[46:47], v[242:243]
	v_add_f64 v[0:1], v[0:1], v[248:249]
	v_fma_f64 v[4:5], v[44:45], v[240:241], -v[4:5]
	v_add_f64 v[0:1], v[0:1], v[4:5]
	v_mul_f64 v[4:5], v[42:43], v[10:11]
	v_fma_f64 v[4:5], v[40:41], v[8:9], -v[4:5]
	v_add_f64 v[0:1], v[0:1], v[4:5]
	v_mul_f64 v[4:5], v[34:35], v[14:15]
	;; [unrolled: 3-line block ×28, first 2 shown]
	v_fma_f64 v[4:5], v[204:205], v[208:209], -v[4:5]
	v_add_f64 v[0:1], v[0:1], v[4:5]
	s_waitcnt vmcnt(0)
	v_add_f64 v[4:5], v[216:217], -v[0:1]
	v_accvgpr_read_b32 v0, a102
	v_add_f64 v[6:7], v[218:219], -v[2:3]
	v_cmp_lt_u32_e32 vcc, 7, v0
	scratch_store_dwordx4 off, v[4:7], off offset:144
	s_and_saveexec_b64 s[0:1], vcc
	s_cbranch_execz .LBB50_305
; %bb.304:
	scratch_load_dwordx4 v[2:5], off, s34
	v_mov_b32_e32 v6, 0
	v_mov_b32_e32 v7, v6
	v_mov_b32_e32 v8, v6
	v_mov_b32_e32 v9, v6
	v_accvgpr_read_b32 v0, a103
	scratch_store_dwordx4 off, v[6:9], off offset:128
	s_waitcnt vmcnt(1)
	ds_write_b128 v0, v[2:5]
.LBB50_305:
	s_or_b64 exec, exec, s[0:1]
	s_waitcnt lgkmcnt(0)
	; wave barrier
	scratch_load_dwordx4 v[96:99], off, off offset:144
	scratch_load_dwordx4 v[100:103], off, off offset:160
	;; [unrolled: 1-line block ×30, first 2 shown]
	v_mov_b32_e32 v2, 0
	ds_read_b128 v[136:139], v2 offset:944
	ds_read_b128 v[144:147], v2 offset:960
	;; [unrolled: 1-line block ×20, first 2 shown]
	s_waitcnt vmcnt(29) lgkmcnt(14)
	v_mul_f64 v[0:1], v[136:137], v[98:99]
	s_waitcnt vmcnt(28)
	v_mul_f64 v[72:73], v[144:145], v[102:103]
	v_fmac_f64_e32 v[0:1], v[138:139], v[96:97]
	s_waitcnt vmcnt(27)
	v_mul_f64 v[74:75], v[148:149], v[106:107]
	v_fmac_f64_e32 v[72:73], v[146:147], v[100:101]
	v_add_f64 v[0:1], v[0:1], 0
	s_waitcnt vmcnt(26)
	v_mul_f64 v[76:77], v[164:165], v[110:111]
	v_fmac_f64_e32 v[74:75], v[150:151], v[104:105]
	v_add_f64 v[0:1], v[0:1], v[72:73]
	;; [unrolled: 4-line block ×4, first 2 shown]
	s_waitcnt vmcnt(23) lgkmcnt(13)
	v_mul_f64 v[82:83], v[200:201], v[158:159]
	v_fmac_f64_e32 v[80:81], v[190:191], v[152:153]
	v_add_f64 v[0:1], v[0:1], v[78:79]
	s_waitcnt vmcnt(22) lgkmcnt(12)
	v_mul_f64 v[84:85], v[208:209], v[162:163]
	v_fmac_f64_e32 v[82:83], v[202:203], v[156:157]
	v_add_f64 v[0:1], v[0:1], v[80:81]
	;; [unrolled: 4-line block ×9, first 2 shown]
	s_waitcnt vmcnt(14) lgkmcnt(4)
	v_mul_f64 v[120:121], v[68:69], v[6:7]
	v_fmac_f64_e32 v[118:119], v[252:253], v[204:205]
	v_accvgpr_write_b32 a107, v7
	v_add_f64 v[0:1], v[0:1], v[116:117]
	v_fmac_f64_e32 v[120:121], v[70:71], v[4:5]
	v_accvgpr_write_b32 a106, v6
	v_accvgpr_write_b32 a105, v5
	;; [unrolled: 1-line block ×3, first 2 shown]
	v_add_f64 v[0:1], v[0:1], v[118:119]
	ds_read_b128 v[116:119], v2 offset:1216
	s_waitcnt vmcnt(13)
	v_mov_b64_e32 v[4:5], v[8:9]
	v_mov_b64_e32 v[6:7], v[10:11]
	s_waitcnt lgkmcnt(4)
	v_mul_f64 v[76:77], v[64:65], v[6:7]
	scratch_load_dwordx4 v[72:75], off, off offset:624
	v_add_f64 v[0:1], v[0:1], v[120:121]
	v_fmac_f64_e32 v[76:77], v[66:67], v[4:5]
	s_waitcnt vmcnt(13)
	v_mov_b64_e32 v[4:5], v[12:13]
	v_add_f64 v[0:1], v[0:1], v[76:77]
	v_mov_b64_e32 v[6:7], v[14:15]
	scratch_load_dwordx4 v[76:79], off, off offset:640
	ds_read_b128 v[120:123], v2 offset:1232
	s_waitcnt lgkmcnt(1)
	v_mul_f64 v[80:81], v[116:117], v[6:7]
	v_fmac_f64_e32 v[80:81], v[118:119], v[4:5]
	v_add_f64 v[0:1], v[0:1], v[80:81]
	scratch_load_dwordx4 v[80:83], off, off offset:656
	s_waitcnt vmcnt(14) lgkmcnt(0)
	v_mul_f64 v[84:85], v[120:121], v[236:237]
	v_fmac_f64_e32 v[84:85], v[122:123], v[234:235]
	s_waitcnt vmcnt(13)
	v_mul_f64 v[88:89], v[124:125], v[22:23]
	v_add_f64 v[0:1], v[0:1], v[84:85]
	v_fmac_f64_e32 v[88:89], v[126:127], v[20:21]
	scratch_load_dwordx4 v[84:87], off, off offset:672
	v_add_f64 v[0:1], v[0:1], v[88:89]
	s_waitcnt vmcnt(13)
	v_mul_f64 v[88:89], v[128:129], v[26:27]
	v_fmac_f64_e32 v[88:89], v[130:131], v[24:25]
	v_add_f64 v[0:1], v[0:1], v[88:89]
	scratch_load_dwordx4 v[88:91], off, off offset:688
	s_waitcnt vmcnt(13)
	v_mul_f64 v[92:93], v[132:133], v[30:31]
	v_fmac_f64_e32 v[92:93], v[134:135], v[28:29]
	v_add_f64 v[0:1], v[0:1], v[92:93]
	scratch_load_dwordx4 v[92:95], off, off offset:704
	v_mul_f64 v[98:99], v[138:139], v[98:99]
	v_fma_f64 v[240:241], v[136:137], v[96:97], -v[98:99]
	v_mul_f64 v[96:97], v[146:147], v[102:103]
	ds_read_b128 v[140:143], v2 offset:1296
	ds_read_b128 v[136:139], v2 offset:1312
	v_fma_f64 v[242:243], v[144:145], v[100:101], -v[96:97]
	scratch_load_dwordx4 v[100:103], off, off offset:720
	scratch_load_dwordx4 v[96:99], off, off offset:736
	s_waitcnt vmcnt(15) lgkmcnt(1)
	v_mul_f64 v[144:145], v[140:141], v[34:35]
	v_fmac_f64_e32 v[144:145], v[142:143], v[32:33]
	v_mul_f64 v[106:107], v[150:151], v[106:107]
	v_add_f64 v[0:1], v[0:1], v[144:145]
	s_waitcnt vmcnt(14) lgkmcnt(0)
	v_mul_f64 v[144:145], v[136:137], v[38:39]
	v_fma_f64 v[244:245], v[148:149], v[104:105], -v[106:107]
	v_mul_f64 v[104:105], v[166:167], v[110:111]
	v_fmac_f64_e32 v[144:145], v[138:139], v[36:37]
	v_fma_f64 v[254:255], v[164:165], v[108:109], -v[104:105]
	scratch_load_dwordx4 v[104:107], off, off offset:752
	v_add_f64 v[0:1], v[0:1], v[144:145]
	ds_read_b128 v[144:147], v2 offset:1328
	ds_read_b128 v[148:151], v2 offset:1344
	v_mul_f64 v[108:109], v[178:179], v[114:115]
	v_fma_f64 v[232:233], v[176:177], v[112:113], -v[108:109]
	scratch_load_dwordx4 v[108:111], off, off offset:768
	s_waitcnt vmcnt(15) lgkmcnt(1)
	v_mul_f64 v[112:113], v[144:145], v[42:43]
	v_fmac_f64_e32 v[112:113], v[146:147], v[40:41]
	v_add_f64 v[0:1], v[0:1], v[112:113]
	v_mul_f64 v[112:113], v[190:191], v[154:155]
	v_fma_f64 v[16:17], v[188:189], v[152:153], -v[112:113]
	scratch_load_dwordx4 v[112:115], off, off offset:784
	ds_read_b128 v[152:155], v2 offset:1360
	s_waitcnt vmcnt(15) lgkmcnt(1)
	v_mul_f64 v[6:7], v[148:149], v[46:47]
	v_fmac_f64_e32 v[6:7], v[150:151], v[44:45]
	v_accvgpr_write_b32 a115, v15
	v_add_f64 v[0:1], v[0:1], v[6:7]
	v_mul_f64 v[6:7], v[202:203], v[158:159]
	v_accvgpr_write_b32 a114, v14
	v_accvgpr_write_b32 a113, v13
	;; [unrolled: 1-line block ×3, first 2 shown]
	v_fma_f64 v[12:13], v[200:201], v[156:157], -v[6:7]
	ds_read_b128 v[156:159], v2 offset:1376
	s_waitcnt vmcnt(14) lgkmcnt(1)
	v_mul_f64 v[6:7], v[152:153], v[50:51]
	v_fmac_f64_e32 v[6:7], v[154:155], v[48:49]
	v_accvgpr_write_b32 a111, v11
	v_add_f64 v[0:1], v[0:1], v[6:7]
	v_mul_f64 v[6:7], v[210:211], v[162:163]
	v_accvgpr_write_b32 a110, v10
	v_accvgpr_write_b32 a109, v9
	;; [unrolled: 1-line block ×3, first 2 shown]
	v_fma_f64 v[10:11], v[208:209], v[160:161], -v[6:7]
	ds_read_b128 v[160:163], v2 offset:1392
	ds_read_b128 v[164:167], v2 offset:1408
	s_waitcnt vmcnt(13) lgkmcnt(2)
	v_mul_f64 v[6:7], v[156:157], v[54:55]
	v_fmac_f64_e32 v[6:7], v[158:159], v[52:53]
	v_add_f64 v[0:1], v[0:1], v[6:7]
	s_waitcnt vmcnt(12) lgkmcnt(1)
	v_mul_f64 v[6:7], v[160:161], v[62:63]
	v_fmac_f64_e32 v[6:7], v[162:163], v[60:61]
	v_add_f64 v[0:1], v[0:1], v[6:7]
	v_mul_f64 v[6:7], v[214:215], v[170:171]
	v_fma_f64 v[8:9], v[212:213], v[168:169], -v[6:7]
	s_waitcnt vmcnt(11) lgkmcnt(0)
	v_mul_f64 v[6:7], v[164:165], v[58:59]
	v_fmac_f64_e32 v[6:7], v[166:167], v[56:57]
	ds_read_b128 v[168:171], v2 offset:1424
	v_add_f64 v[0:1], v[0:1], v[6:7]
	v_mul_f64 v[6:7], v[218:219], v[174:175]
	v_fma_f64 v[14:15], v[216:217], v[172:173], -v[6:7]
	ds_read_b128 v[172:175], v2 offset:1440
	s_waitcnt vmcnt(10) lgkmcnt(1)
	v_mul_f64 v[6:7], v[168:169], v[74:75]
	ds_read_b128 v[176:179], v2 offset:1456
	v_fmac_f64_e32 v[6:7], v[170:171], v[72:73]
	v_add_f64 v[0:1], v[0:1], v[6:7]
	s_waitcnt vmcnt(9) lgkmcnt(1)
	v_mul_f64 v[6:7], v[172:173], v[78:79]
	v_fmac_f64_e32 v[6:7], v[174:175], v[76:77]
	v_add_f64 v[0:1], v[0:1], v[6:7]
	v_mul_f64 v[6:7], v[222:223], v[182:183]
	v_fma_f64 v[4:5], v[220:221], v[180:181], -v[6:7]
	ds_read_b128 v[180:183], v2 offset:1472
	s_waitcnt vmcnt(8) lgkmcnt(1)
	v_mul_f64 v[6:7], v[176:177], v[82:83]
	v_fmac_f64_e32 v[6:7], v[178:179], v[80:81]
	v_add_f64 v[0:1], v[0:1], v[6:7]
	v_mul_f64 v[6:7], v[226:227], v[186:187]
	v_fma_f64 v[6:7], v[224:225], v[184:185], -v[6:7]
	ds_read_b128 v[184:187], v2 offset:1488
	ds_read_b128 v[188:191], v2 offset:1504
	s_waitcnt vmcnt(7) lgkmcnt(2)
	v_mul_f64 v[18:19], v[180:181], v[86:87]
	v_fmac_f64_e32 v[18:19], v[182:183], v[84:85]
	v_add_f64 v[0:1], v[0:1], v[18:19]
	s_waitcnt vmcnt(6) lgkmcnt(1)
	v_mul_f64 v[18:19], v[184:185], v[90:91]
	v_fmac_f64_e32 v[18:19], v[186:187], v[88:89]
	v_add_f64 v[18:19], v[0:1], v[18:19]
	v_mul_f64 v[0:1], v[230:231], v[194:195]
	v_fma_f64 v[0:1], v[228:229], v[192:193], -v[0:1]
	ds_read_b128 v[192:195], v2 offset:1520
	s_waitcnt vmcnt(5) lgkmcnt(1)
	v_mul_f64 v[200:201], v[188:189], v[94:95]
	v_fmac_f64_e32 v[200:201], v[190:191], v[92:93]
	v_mul_f64 v[198:199], v[248:249], v[198:199]
	v_fma_f64 v[238:239], v[246:247], v[196:197], -v[198:199]
	ds_read_b128 v[196:199], v2 offset:1536
	v_add_f64 v[18:19], v[18:19], v[200:201]
	s_waitcnt vmcnt(4) lgkmcnt(1)
	v_mul_f64 v[200:201], v[192:193], v[102:103]
	v_fmac_f64_e32 v[200:201], v[194:195], v[100:101]
	v_add_f64 v[18:19], v[18:19], v[200:201]
	ds_read_b128 v[200:203], v2 offset:1552
	v_mul_f64 v[206:207], v[252:253], v[206:207]
	v_fma_f64 v[246:247], v[250:251], v[204:205], -v[206:207]
	ds_read_b128 v[204:207], v2 offset:1568
	s_waitcnt vmcnt(3) lgkmcnt(2)
	v_mul_f64 v[208:209], v[196:197], v[98:99]
	v_fmac_f64_e32 v[208:209], v[198:199], v[96:97]
	v_add_f64 v[18:19], v[18:19], v[208:209]
	s_waitcnt vmcnt(2) lgkmcnt(1)
	v_mul_f64 v[208:209], v[200:201], v[106:107]
	v_fmac_f64_e32 v[208:209], v[202:203], v[104:105]
	v_add_f64 v[18:19], v[18:19], v[208:209]
	;; [unrolled: 4-line block ×3, first 2 shown]
	ds_read_b128 v[208:211], v2 offset:1584
	ds_read_b128 v[216:219], v2 offset:1600
	;; [unrolled: 1-line block ×3, first 2 shown]
	s_waitcnt vmcnt(0) lgkmcnt(2)
	v_mul_f64 v[212:213], v[208:209], v[114:115]
	v_fmac_f64_e32 v[212:213], v[210:211], v[112:113]
	v_add_f64 v[18:19], v[18:19], v[212:213]
	scratch_load_dwordx4 v[212:215], off, off offset:800
	s_waitcnt vmcnt(0) lgkmcnt(1)
	v_mul_f64 v[220:221], v[216:217], v[214:215]
	v_fmac_f64_e32 v[220:221], v[218:219], v[212:213]
	v_add_f64 v[18:19], v[18:19], v[220:221]
	scratch_load_dwordx4 v[220:223], off, off offset:816
	;; [unrolled: 5-line block ×3, first 2 shown]
	v_add_f64 v[18:19], v[240:241], 0
	v_add_f64 v[18:19], v[18:19], v[242:243]
	;; [unrolled: 1-line block ×12, first 2 shown]
	v_accvgpr_read_b32 v6, a104
	v_accvgpr_read_b32 v8, a106
	;; [unrolled: 1-line block ×3, first 2 shown]
	v_add_f64 v[0:1], v[4:5], v[0:1]
	v_accvgpr_read_b32 v7, a105
	v_mul_f64 v[4:5], v[70:71], v[8:9]
	v_add_f64 v[0:1], v[0:1], v[238:239]
	v_fma_f64 v[4:5], v[68:69], v[6:7], -v[4:5]
	v_accvgpr_read_b32 v6, a108
	v_add_f64 v[0:1], v[0:1], v[246:247]
	v_accvgpr_read_b32 v8, a110
	v_accvgpr_read_b32 v9, a111
	v_add_f64 v[0:1], v[0:1], v[4:5]
	v_accvgpr_read_b32 v7, a109
	v_mul_f64 v[4:5], v[66:67], v[8:9]
	v_fma_f64 v[4:5], v[64:65], v[6:7], -v[4:5]
	v_accvgpr_read_b32 v6, a112
	v_accvgpr_read_b32 v8, a114
	;; [unrolled: 1-line block ×3, first 2 shown]
	v_add_f64 v[0:1], v[0:1], v[4:5]
	v_accvgpr_read_b32 v7, a113
	v_mul_f64 v[4:5], v[118:119], v[8:9]
	v_fma_f64 v[4:5], v[116:117], v[6:7], -v[4:5]
	v_add_f64 v[0:1], v[0:1], v[4:5]
	v_mul_f64 v[4:5], v[122:123], v[236:237]
	v_fma_f64 v[4:5], v[120:121], v[234:235], -v[4:5]
	v_add_f64 v[0:1], v[0:1], v[4:5]
	;; [unrolled: 3-line block ×26, first 2 shown]
	s_waitcnt vmcnt(0)
	v_add_f64 v[4:5], v[228:229], -v[0:1]
	v_accvgpr_read_b32 v0, a102
	v_add_f64 v[6:7], v[230:231], -v[250:251]
	v_cmp_lt_u32_e32 vcc, 6, v0
	scratch_store_dwordx4 off, v[4:7], off offset:128
	s_and_saveexec_b64 s[0:1], vcc
	s_cbranch_execz .LBB50_307
; %bb.306:
	scratch_load_dwordx4 v[6:9], off, s33
	v_mov_b32_e32 v3, v2
	v_mov_b32_e32 v4, v2
	;; [unrolled: 1-line block ×3, first 2 shown]
	v_accvgpr_read_b32 v0, a103
	scratch_store_dwordx4 off, v[2:5], off offset:112
	s_waitcnt vmcnt(1)
	ds_write_b128 v0, v[6:9]
.LBB50_307:
	s_or_b64 exec, exec, s[0:1]
	s_waitcnt lgkmcnt(0)
	; wave barrier
	scratch_load_dwordx4 v[72:75], off, off offset:128
	scratch_load_dwordx4 v[76:79], off, off offset:144
	;; [unrolled: 1-line block ×17, first 2 shown]
	ds_read_b128 v[176:179], v2 offset:928
	ds_read_b128 v[192:195], v2 offset:944
	;; [unrolled: 1-line block ×3, first 2 shown]
	scratch_load_dwordx4 v[20:23], off, off offset:400
	ds_read_b128 v[236:239], v2 offset:976
	ds_read_b128 v[232:235], v2 offset:992
	;; [unrolled: 1-line block ×5, first 2 shown]
	scratch_load_dwordx4 v[168:171], off, off offset:416
	ds_read_b128 v[224:227], v2 offset:1056
	ds_read_b128 v[212:215], v2 offset:1072
	;; [unrolled: 1-line block ×3, first 2 shown]
	scratch_load_dwordx4 v[12:15], off, off offset:432
	ds_read_b128 v[216:219], v2 offset:1104
	ds_read_b128 v[204:207], v2 offset:1120
	;; [unrolled: 1-line block ×5, first 2 shown]
	scratch_load_dwordx4 v[28:31], off, off offset:448
	ds_read_b128 v[32:35], v2 offset:1184
	scratch_load_dwordx4 v[36:39], off, off offset:464
	scratch_load_dwordx4 v[40:43], off, off offset:480
	;; [unrolled: 1-line block ×9, first 2 shown]
	ds_read_b128 v[132:135], v2 offset:1200
	s_waitcnt lgkmcnt(2)
	v_accvgpr_write_b32 a111, v19
	v_accvgpr_write_b32 a110, v18
	;; [unrolled: 1-line block ×4, first 2 shown]
	ds_read_b128 v[172:175], v2 offset:1264
	s_waitcnt vmcnt(29)
	v_mul_f64 v[0:1], v[176:177], v[74:75]
	s_waitcnt vmcnt(28)
	v_mul_f64 v[136:137], v[192:193], v[78:79]
	v_fmac_f64_e32 v[0:1], v[178:179], v[72:73]
	s_waitcnt vmcnt(27)
	v_mul_f64 v[138:139], v[188:189], v[82:83]
	v_fmac_f64_e32 v[136:137], v[194:195], v[76:77]
	v_add_f64 v[0:1], v[0:1], 0
	s_waitcnt vmcnt(26)
	v_mul_f64 v[140:141], v[236:237], v[86:87]
	v_fmac_f64_e32 v[138:139], v[190:191], v[80:81]
	v_add_f64 v[0:1], v[0:1], v[136:137]
	;; [unrolled: 4-line block ×14, first 2 shown]
	v_fmac_f64_e32 v[164:165], v[18:19], v[4:5]
	v_add_f64 v[0:1], v[0:1], v[162:163]
	s_waitcnt vmcnt(13) lgkmcnt(2)
	v_mul_f64 v[140:141], v[32:33], v[26:27]
	scratch_load_dwordx4 v[136:139], off, off offset:608
	v_add_f64 v[0:1], v[0:1], v[164:165]
	v_fmac_f64_e32 v[140:141], v[34:35], v[24:25]
	v_add_f64 v[0:1], v[0:1], v[140:141]
	ds_read_b128 v[160:163], v2 offset:1216
	scratch_load_dwordx4 v[140:143], off, off offset:624
	ds_read_b128 v[164:167], v2 offset:1232
	s_waitcnt vmcnt(13)
	v_mov_b64_e32 v[16:17], v[168:169]
	v_mov_b64_e32 v[18:19], v[170:171]
	ds_read_b128 v[168:171], v2 offset:1248
	s_waitcnt lgkmcnt(4)
	v_mul_f64 v[144:145], v[132:133], v[22:23]
	v_fmac_f64_e32 v[144:145], v[134:135], v[20:21]
	s_waitcnt lgkmcnt(2)
	v_mul_f64 v[148:149], v[160:161], v[18:19]
	v_add_f64 v[0:1], v[0:1], v[144:145]
	v_fmac_f64_e32 v[148:149], v[162:163], v[16:17]
	s_waitcnt vmcnt(12) lgkmcnt(1)
	v_mul_f64 v[152:153], v[164:165], v[14:15]
	scratch_load_dwordx4 v[144:147], off, off offset:640
	v_add_f64 v[0:1], v[0:1], v[148:149]
	v_fmac_f64_e32 v[152:153], v[166:167], v[12:13]
	scratch_load_dwordx4 v[148:151], off, off offset:656
	v_add_f64 v[0:1], v[0:1], v[152:153]
	s_waitcnt vmcnt(13) lgkmcnt(0)
	v_mul_f64 v[152:153], v[168:169], v[30:31]
	v_fmac_f64_e32 v[152:153], v[170:171], v[28:29]
	v_add_f64 v[0:1], v[0:1], v[152:153]
	scratch_load_dwordx4 v[152:155], off, off offset:672
	s_waitcnt vmcnt(13)
	v_mul_f64 v[156:157], v[172:173], v[38:39]
	v_fmac_f64_e32 v[156:157], v[174:175], v[36:37]
	v_mul_f64 v[74:75], v[178:179], v[74:75]
	v_add_f64 v[0:1], v[0:1], v[156:157]
	scratch_load_dwordx4 v[156:159], off, off offset:688
	v_fma_f64 v[240:241], v[176:177], v[72:73], -v[74:75]
	v_mul_f64 v[72:73], v[194:195], v[78:79]
	ds_read_b128 v[180:183], v2 offset:1280
	ds_read_b128 v[176:179], v2 offset:1296
	v_fma_f64 v[242:243], v[192:193], v[76:77], -v[72:73]
	scratch_load_dwordx4 v[76:79], off, off offset:704
	scratch_load_dwordx4 v[72:75], off, off offset:720
	v_mul_f64 v[82:83], v[190:191], v[82:83]
	v_fma_f64 v[244:245], v[188:189], v[80:81], -v[82:83]
	v_mul_f64 v[80:81], v[238:239], v[86:87]
	v_fma_f64 v[236:237], v[236:237], v[84:85], -v[80:81]
	scratch_load_dwordx4 v[80:83], off, off offset:736
	ds_read_b128 v[188:191], v2 offset:1312
	v_mul_f64 v[84:85], v[234:235], v[90:91]
	s_waitcnt vmcnt(16) lgkmcnt(2)
	v_mul_f64 v[192:193], v[180:181], v[42:43]
	v_fma_f64 v[238:239], v[232:233], v[88:89], -v[84:85]
	scratch_load_dwordx4 v[84:87], off, off offset:752
	v_fmac_f64_e32 v[192:193], v[182:183], v[40:41]
	v_add_f64 v[0:1], v[0:1], v[192:193]
	s_waitcnt vmcnt(16) lgkmcnt(1)
	v_mul_f64 v[192:193], v[176:177], v[46:47]
	v_fmac_f64_e32 v[192:193], v[178:179], v[44:45]
	v_add_f64 v[0:1], v[0:1], v[192:193]
	ds_read_b128 v[192:195], v2 offset:1328
	s_waitcnt vmcnt(15) lgkmcnt(1)
	v_mul_f64 v[88:89], v[188:189], v[50:51]
	v_fmac_f64_e32 v[88:89], v[190:191], v[48:49]
	v_add_f64 v[0:1], v[0:1], v[88:89]
	v_mul_f64 v[88:89], v[230:231], v[94:95]
	v_fma_f64 v[250:251], v[228:229], v[92:93], -v[88:89]
	scratch_load_dwordx4 v[88:91], off, off offset:768
	scratch_load_dwordx4 v[232:235], off, off offset:816
	ds_read_b128 v[92:95], v2 offset:1344
	v_mul_f64 v[98:99], v[222:223], v[98:99]
	v_fma_f64 v[252:253], v[220:221], v[96:97], -v[98:99]
	ds_read_b128 v[96:99], v2 offset:1360
	v_mul_f64 v[102:103], v[210:211], v[102:103]
	s_waitcnt vmcnt(16) lgkmcnt(2)
	v_mul_f64 v[228:229], v[192:193], v[54:55]
	v_fma_f64 v[254:255], v[208:209], v[100:101], -v[102:103]
	ds_read_b128 v[100:103], v2 offset:1376
	ds_read_b128 v[208:211], v2 offset:1392
	v_fmac_f64_e32 v[228:229], v[194:195], v[52:53]
	s_waitcnt vmcnt(15) lgkmcnt(3)
	v_mul_f64 v[220:221], v[92:93], v[58:59]
	v_add_f64 v[0:1], v[0:1], v[228:229]
	v_fmac_f64_e32 v[220:221], v[94:95], v[56:57]
	v_mul_f64 v[106:107], v[226:227], v[106:107]
	v_add_f64 v[0:1], v[0:1], v[220:221]
	s_waitcnt vmcnt(14) lgkmcnt(2)
	v_mul_f64 v[220:221], v[96:97], v[62:63]
	v_fma_f64 v[246:247], v[224:225], v[104:105], -v[106:107]
	ds_read_b128 v[104:107], v2 offset:1408
	v_fmac_f64_e32 v[220:221], v[98:99], v[60:61]
	v_mul_f64 v[110:111], v[214:215], v[110:111]
	v_add_f64 v[0:1], v[0:1], v[220:221]
	s_waitcnt vmcnt(13) lgkmcnt(2)
	v_mul_f64 v[220:221], v[100:101], v[70:71]
	v_fma_f64 v[8:9], v[212:213], v[108:109], -v[110:111]
	ds_read_b128 v[108:111], v2 offset:1424
	v_fmac_f64_e32 v[220:221], v[102:103], v[68:69]
	v_accvgpr_write_b32 a107, v7
	v_add_f64 v[0:1], v[0:1], v[220:221]
	s_waitcnt vmcnt(12) lgkmcnt(2)
	v_mul_f64 v[220:221], v[208:209], v[66:67]
	v_accvgpr_write_b32 a106, v6
	v_accvgpr_write_b32 a105, v5
	v_accvgpr_write_b32 a104, v4
	v_fmac_f64_e32 v[220:221], v[210:211], v[64:65]
	s_waitcnt vmcnt(11) lgkmcnt(1)
	v_mul_f64 v[6:7], v[104:105], v[138:139]
	v_add_f64 v[0:1], v[0:1], v[220:221]
	v_fmac_f64_e32 v[6:7], v[106:107], v[136:137]
	v_add_f64 v[0:1], v[0:1], v[6:7]
	s_waitcnt vmcnt(10) lgkmcnt(0)
	v_mul_f64 v[6:7], v[108:109], v[142:143]
	v_fmac_f64_e32 v[6:7], v[110:111], v[140:141]
	ds_read_b128 v[212:215], v2 offset:1440
	v_add_f64 v[0:1], v[0:1], v[6:7]
	v_mul_f64 v[6:7], v[202:203], v[114:115]
	v_fma_f64 v[6:7], v[200:201], v[112:113], -v[6:7]
	ds_read_b128 v[112:115], v2 offset:1456
	v_mul_f64 v[118:119], v[218:219], v[118:119]
	v_fma_f64 v[4:5], v[216:217], v[116:117], -v[118:119]
	ds_read_b128 v[116:119], v2 offset:1472
	s_waitcnt vmcnt(9) lgkmcnt(2)
	v_mul_f64 v[200:201], v[212:213], v[146:147]
	v_fmac_f64_e32 v[200:201], v[214:215], v[144:145]
	s_waitcnt vmcnt(8) lgkmcnt(1)
	v_mul_f64 v[10:11], v[112:113], v[150:151]
	v_add_f64 v[0:1], v[0:1], v[200:201]
	v_fmac_f64_e32 v[10:11], v[114:115], v[148:149]
	v_add_f64 v[0:1], v[0:1], v[10:11]
	ds_read_b128 v[200:203], v2 offset:1488
	s_waitcnt vmcnt(7) lgkmcnt(1)
	v_mul_f64 v[10:11], v[116:117], v[154:155]
	v_fmac_f64_e32 v[10:11], v[118:119], v[152:153]
	v_add_f64 v[10:11], v[0:1], v[10:11]
	v_mul_f64 v[0:1], v[206:207], v[122:123]
	v_fma_f64 v[0:1], v[204:205], v[120:121], -v[0:1]
	ds_read_b128 v[120:123], v2 offset:1504
	v_mul_f64 v[126:127], v[198:199], v[126:127]
	v_fma_f64 v[124:125], v[196:197], v[124:125], -v[126:127]
	s_waitcnt vmcnt(6) lgkmcnt(1)
	v_mul_f64 v[204:205], v[200:201], v[158:159]
	v_accvgpr_write_b32 a112, v124
	v_fmac_f64_e32 v[204:205], v[202:203], v[156:157]
	v_accvgpr_write_b32 a113, v125
	ds_read_b128 v[124:127], v2 offset:1520
	s_waitcnt vmcnt(5) lgkmcnt(1)
	v_mul_f64 v[196:197], v[120:121], v[78:79]
	v_add_f64 v[10:11], v[10:11], v[204:205]
	v_fmac_f64_e32 v[196:197], v[122:123], v[76:77]
	v_add_f64 v[10:11], v[10:11], v[196:197]
	ds_read_b128 v[196:199], v2 offset:1536
	v_mul_f64 v[130:131], v[186:187], v[130:131]
	v_fma_f64 v[248:249], v[184:185], v[128:129], -v[130:131]
	ds_read_b128 v[128:131], v2 offset:1552
	s_waitcnt vmcnt(4) lgkmcnt(2)
	v_mul_f64 v[184:185], v[124:125], v[74:75]
	v_fmac_f64_e32 v[184:185], v[126:127], v[72:73]
	v_add_f64 v[10:11], v[10:11], v[184:185]
	s_waitcnt vmcnt(3) lgkmcnt(1)
	v_mul_f64 v[184:185], v[196:197], v[82:83]
	v_fmac_f64_e32 v[184:185], v[198:199], v[80:81]
	v_add_f64 v[10:11], v[10:11], v[184:185]
	;; [unrolled: 4-line block ×3, first 2 shown]
	ds_read_b128 v[184:187], v2 offset:1568
	ds_read_b128 v[216:219], v2 offset:1584
	;; [unrolled: 1-line block ×3, first 2 shown]
	s_waitcnt vmcnt(1) lgkmcnt(2)
	v_mul_f64 v[204:205], v[184:185], v[90:91]
	v_fmac_f64_e32 v[204:205], v[186:187], v[88:89]
	v_add_f64 v[10:11], v[10:11], v[204:205]
	scratch_load_dwordx4 v[204:207], off, off offset:784
	s_waitcnt vmcnt(0) lgkmcnt(1)
	v_mul_f64 v[220:221], v[216:217], v[206:207]
	v_fmac_f64_e32 v[220:221], v[218:219], v[204:205]
	v_add_f64 v[10:11], v[10:11], v[220:221]
	scratch_load_dwordx4 v[220:223], off, off offset:800
	s_waitcnt vmcnt(0) lgkmcnt(0)
	v_mul_f64 v[228:229], v[224:225], v[222:223]
	v_fmac_f64_e32 v[228:229], v[226:227], v[220:221]
	v_add_f64 v[10:11], v[10:11], v[228:229]
	ds_read_b128 v[228:231], v2 offset:1616
	s_waitcnt lgkmcnt(0)
	v_mul_f64 v[2:3], v[228:229], v[234:235]
	v_fmac_f64_e32 v[2:3], v[230:231], v[232:233]
	v_add_f64 v[2:3], v[10:11], v[2:3]
	v_add_f64 v[10:11], v[240:241], 0
	;; [unrolled: 1-line block ×6, first 2 shown]
	scratch_load_dwordx4 v[236:239], off, off offset:112
	v_add_f64 v[10:11], v[10:11], v[250:251]
	v_add_f64 v[10:11], v[10:11], v[252:253]
	;; [unrolled: 1-line block ×8, first 2 shown]
	v_accvgpr_read_b32 v0, a112
	v_accvgpr_read_b32 v6, a104
	;; [unrolled: 1-line block ×7, first 2 shown]
	v_add_f64 v[0:1], v[250:251], v[0:1]
	v_accvgpr_read_b32 v7, a105
	v_accvgpr_read_b32 v241, a109
	;; [unrolled: 1-line block ×3, first 2 shown]
	v_mul_f64 v[4:5], v[242:243], v[8:9]
	v_add_f64 v[0:1], v[0:1], v[248:249]
	v_fma_f64 v[4:5], v[240:241], v[6:7], -v[4:5]
	v_add_f64 v[0:1], v[0:1], v[4:5]
	v_mul_f64 v[4:5], v[34:35], v[26:27]
	v_fma_f64 v[4:5], v[32:33], v[24:25], -v[4:5]
	v_add_f64 v[0:1], v[0:1], v[4:5]
	v_mul_f64 v[4:5], v[134:135], v[22:23]
	;; [unrolled: 3-line block ×28, first 2 shown]
	v_fma_f64 v[4:5], v[228:229], v[232:233], -v[4:5]
	v_add_f64 v[0:1], v[0:1], v[4:5]
	s_waitcnt vmcnt(0)
	v_add_f64 v[4:5], v[236:237], -v[0:1]
	v_accvgpr_read_b32 v0, a102
	v_add_f64 v[6:7], v[238:239], -v[2:3]
	v_cmp_lt_u32_e32 vcc, 5, v0
	scratch_store_dwordx4 off, v[4:7], off offset:112
	s_and_saveexec_b64 s[0:1], vcc
	s_cbranch_execz .LBB50_309
; %bb.308:
	scratch_load_dwordx4 v[2:5], off, s64
	v_mov_b32_e32 v6, 0
	v_mov_b32_e32 v7, v6
	v_mov_b32_e32 v8, v6
	v_mov_b32_e32 v9, v6
	v_accvgpr_read_b32 v0, a103
	scratch_store_dwordx4 off, v[6:9], off offset:96
	s_waitcnt vmcnt(1)
	ds_write_b128 v0, v[2:5]
.LBB50_309:
	s_or_b64 exec, exec, s[0:1]
	s_waitcnt lgkmcnt(0)
	; wave barrier
	scratch_load_dwordx4 v[80:83], off, off offset:112
	scratch_load_dwordx4 v[84:87], off, off offset:128
	;; [unrolled: 1-line block ×29, first 2 shown]
	v_mov_b32_e32 v2, 0
	ds_read_b128 v[132:135], v2 offset:912
	ds_read_b128 v[136:139], v2 offset:928
	;; [unrolled: 1-line block ×22, first 2 shown]
	s_waitcnt vmcnt(28) lgkmcnt(14)
	v_mul_f64 v[0:1], v[132:133], v[82:83]
	s_waitcnt vmcnt(27)
	v_mul_f64 v[56:57], v[136:137], v[86:87]
	v_fmac_f64_e32 v[0:1], v[134:135], v[80:81]
	s_waitcnt vmcnt(26)
	v_mul_f64 v[58:59], v[140:141], v[90:91]
	v_fmac_f64_e32 v[56:57], v[138:139], v[84:85]
	v_add_f64 v[0:1], v[0:1], 0
	s_waitcnt vmcnt(25)
	v_mul_f64 v[60:61], v[148:149], v[94:95]
	v_fmac_f64_e32 v[58:59], v[142:143], v[88:89]
	v_add_f64 v[0:1], v[0:1], v[56:57]
	;; [unrolled: 4-line block ×6, first 2 shown]
	s_waitcnt vmcnt(20) lgkmcnt(13)
	v_mul_f64 v[70:71], v[204:205], v[154:155]
	v_fmac_f64_e32 v[68:69], v[198:199], v[144:145]
	v_add_f64 v[0:1], v[0:1], v[66:67]
	s_waitcnt vmcnt(19) lgkmcnt(12)
	v_mul_f64 v[72:73], v[208:209], v[158:159]
	v_fmac_f64_e32 v[70:71], v[206:207], v[152:153]
	v_add_f64 v[0:1], v[0:1], v[68:69]
	;; [unrolled: 4-line block ×8, first 2 shown]
	v_fmac_f64_e32 v[112:113], v[248:249], v[192:193]
	v_add_f64 v[0:1], v[0:1], v[110:111]
	s_waitcnt vmcnt(12) lgkmcnt(5)
	v_mul_f64 v[60:61], v[250:251], v[202:203]
	scratch_load_dwordx4 v[56:59], off, off offset:576
	ds_read_b128 v[108:111], v2 offset:1200
	v_add_f64 v[0:1], v[0:1], v[112:113]
	v_fmac_f64_e32 v[60:61], v[252:253], v[200:201]
	v_add_f64 v[0:1], v[0:1], v[60:61]
	s_waitcnt vmcnt(12) lgkmcnt(5)
	v_mul_f64 v[64:65], v[52:53], v[6:7]
	scratch_load_dwordx4 v[60:63], off, off offset:592
	v_accvgpr_write_b32 a107, v7
	v_fmac_f64_e32 v[64:65], v[54:55], v[4:5]
	v_accvgpr_write_b32 a106, v6
	v_accvgpr_write_b32 a105, v5
	;; [unrolled: 1-line block ×3, first 2 shown]
	ds_read_b128 v[112:115], v2 offset:1216
	s_waitcnt vmcnt(12)
	v_mov_b64_e32 v[4:5], v[8:9]
	v_mov_b64_e32 v[6:7], v[10:11]
	s_waitcnt lgkmcnt(1)
	v_mul_f64 v[68:69], v[108:109], v[6:7]
	v_fmac_f64_e32 v[68:69], v[110:111], v[4:5]
	s_waitcnt vmcnt(11)
	v_mov_b64_e32 v[4:5], v[12:13]
	v_add_f64 v[0:1], v[0:1], v[64:65]
	v_mov_b64_e32 v[6:7], v[14:15]
	scratch_load_dwordx4 v[64:67], off, off offset:608
	v_add_f64 v[0:1], v[0:1], v[68:69]
	s_waitcnt lgkmcnt(0)
	v_mul_f64 v[68:69], v[112:113], v[6:7]
	v_fmac_f64_e32 v[68:69], v[114:115], v[4:5]
	s_waitcnt vmcnt(11)
	v_mov_b64_e32 v[4:5], v[16:17]
	v_add_f64 v[0:1], v[0:1], v[68:69]
	scratch_load_dwordx4 v[68:71], off, off offset:624
	v_mov_b64_e32 v[6:7], v[18:19]
	v_mul_f64 v[76:77], v[116:117], v[6:7]
	scratch_load_dwordx4 v[72:75], off, off offset:640
	v_fmac_f64_e32 v[76:77], v[118:119], v[4:5]
	v_add_f64 v[0:1], v[0:1], v[76:77]
	s_waitcnt vmcnt(12)
	v_mul_f64 v[76:77], v[120:121], v[236:237]
	v_fmac_f64_e32 v[76:77], v[122:123], v[234:235]
	v_add_f64 v[0:1], v[0:1], v[76:77]
	scratch_load_dwordx4 v[76:79], off, off offset:656
	v_mul_f64 v[82:83], v[134:135], v[82:83]
	v_fma_f64 v[240:241], v[132:133], v[80:81], -v[82:83]
	scratch_load_dwordx4 v[80:83], off, off offset:672
	v_mul_f64 v[86:87], v[138:139], v[86:87]
	v_fma_f64 v[242:243], v[136:137], v[84:85], -v[86:87]
	scratch_load_dwordx4 v[84:87], off, off offset:688
	v_mul_f64 v[90:91], v[142:143], v[90:91]
	s_waitcnt vmcnt(14)
	v_mul_f64 v[132:133], v[124:125], v[26:27]
	v_fma_f64 v[244:245], v[140:141], v[88:89], -v[90:91]
	scratch_load_dwordx4 v[88:91], off, off offset:704
	v_fmac_f64_e32 v[132:133], v[126:127], v[24:25]
	s_waitcnt vmcnt(14)
	v_mul_f64 v[136:137], v[128:129], v[30:31]
	v_mul_f64 v[94:95], v[150:151], v[94:95]
	v_add_f64 v[0:1], v[0:1], v[132:133]
	v_fmac_f64_e32 v[136:137], v[130:131], v[28:29]
	v_fma_f64 v[254:255], v[148:149], v[92:93], -v[94:95]
	v_mul_f64 v[92:93], v[162:163], v[98:99]
	ds_read_b128 v[132:135], v2 offset:1296
	v_add_f64 v[0:1], v[0:1], v[136:137]
	ds_read_b128 v[136:139], v2 offset:1312
	v_fma_f64 v[232:233], v[160:161], v[96:97], -v[92:93]
	scratch_load_dwordx4 v[96:99], off, off offset:720
	scratch_load_dwordx4 v[92:95], off, off offset:736
	v_mul_f64 v[102:103], v[174:175], v[102:103]
	v_fma_f64 v[20:21], v[172:173], v[100:101], -v[102:103]
	scratch_load_dwordx4 v[100:103], off, off offset:752
	v_accvgpr_write_b32 a119, v19
	v_mul_f64 v[6:7], v[186:187], v[106:107]
	v_accvgpr_write_b32 a118, v18
	v_accvgpr_write_b32 a117, v17
	;; [unrolled: 1-line block ×3, first 2 shown]
	v_fma_f64 v[16:17], v[184:185], v[104:105], -v[6:7]
	scratch_load_dwordx4 v[104:107], off, off offset:768
	s_waitcnt vmcnt(17) lgkmcnt(1)
	v_mul_f64 v[140:141], v[132:133], v[34:35]
	v_fmac_f64_e32 v[140:141], v[134:135], v[32:33]
	v_add_f64 v[0:1], v[0:1], v[140:141]
	ds_read_b128 v[140:143], v2 offset:1328
	v_accvgpr_write_b32 a115, v15
	v_mul_f64 v[6:7], v[198:199], v[146:147]
	v_accvgpr_write_b32 a114, v14
	v_accvgpr_write_b32 a113, v13
	;; [unrolled: 1-line block ×3, first 2 shown]
	v_fma_f64 v[12:13], v[196:197], v[144:145], -v[6:7]
	ds_read_b128 v[144:147], v2 offset:1344
	s_waitcnt vmcnt(16) lgkmcnt(2)
	v_mul_f64 v[148:149], v[136:137], v[38:39]
	v_fmac_f64_e32 v[148:149], v[138:139], v[36:37]
	v_add_f64 v[0:1], v[0:1], v[148:149]
	s_waitcnt vmcnt(15) lgkmcnt(1)
	v_mul_f64 v[6:7], v[140:141], v[42:43]
	ds_read_b128 v[148:151], v2 offset:1360
	v_fmac_f64_e32 v[6:7], v[142:143], v[40:41]
	v_add_f64 v[0:1], v[0:1], v[6:7]
	s_waitcnt vmcnt(14) lgkmcnt(1)
	v_mul_f64 v[6:7], v[144:145], v[46:47]
	v_fmac_f64_e32 v[6:7], v[146:147], v[44:45]
	v_accvgpr_write_b32 a111, v11
	v_add_f64 v[0:1], v[0:1], v[6:7]
	v_mul_f64 v[6:7], v[206:207], v[154:155]
	v_accvgpr_write_b32 a110, v10
	v_accvgpr_write_b32 a109, v9
	;; [unrolled: 1-line block ×3, first 2 shown]
	v_fma_f64 v[10:11], v[204:205], v[152:153], -v[6:7]
	ds_read_b128 v[152:155], v2 offset:1376
	s_waitcnt vmcnt(13) lgkmcnt(1)
	v_mul_f64 v[6:7], v[148:149], v[50:51]
	v_fmac_f64_e32 v[6:7], v[150:151], v[48:49]
	v_add_f64 v[0:1], v[0:1], v[6:7]
	v_mul_f64 v[6:7], v[210:211], v[158:159]
	v_fma_f64 v[14:15], v[208:209], v[156:157], -v[6:7]
	ds_read_b128 v[156:159], v2 offset:1392
	ds_read_b128 v[160:163], v2 offset:1408
	s_waitcnt vmcnt(12) lgkmcnt(2)
	v_mul_f64 v[6:7], v[152:153], v[58:59]
	v_fmac_f64_e32 v[6:7], v[154:155], v[56:57]
	v_add_f64 v[0:1], v[0:1], v[6:7]
	s_waitcnt vmcnt(11) lgkmcnt(1)
	v_mul_f64 v[6:7], v[156:157], v[62:63]
	v_fmac_f64_e32 v[6:7], v[158:159], v[60:61]
	v_add_f64 v[0:1], v[0:1], v[6:7]
	v_mul_f64 v[6:7], v[214:215], v[166:167]
	v_fma_f64 v[8:9], v[212:213], v[164:165], -v[6:7]
	ds_read_b128 v[164:167], v2 offset:1424
	v_mul_f64 v[18:19], v[218:219], v[170:171]
	v_fma_f64 v[18:19], v[216:217], v[168:169], -v[18:19]
	ds_read_b128 v[168:171], v2 offset:1440
	s_waitcnt vmcnt(10) lgkmcnt(2)
	v_mul_f64 v[6:7], v[160:161], v[66:67]
	v_fmac_f64_e32 v[6:7], v[162:163], v[64:65]
	v_add_f64 v[0:1], v[0:1], v[6:7]
	s_waitcnt vmcnt(9) lgkmcnt(1)
	v_mul_f64 v[6:7], v[164:165], v[70:71]
	ds_read_b128 v[172:175], v2 offset:1456
	v_fmac_f64_e32 v[6:7], v[166:167], v[68:69]
	v_add_f64 v[0:1], v[0:1], v[6:7]
	s_waitcnt vmcnt(8) lgkmcnt(1)
	v_mul_f64 v[6:7], v[168:169], v[74:75]
	v_fmac_f64_e32 v[6:7], v[170:171], v[72:73]
	v_add_f64 v[0:1], v[0:1], v[6:7]
	v_mul_f64 v[6:7], v[222:223], v[178:179]
	v_fma_f64 v[4:5], v[220:221], v[176:177], -v[6:7]
	ds_read_b128 v[176:179], v2 offset:1472
	s_waitcnt vmcnt(7) lgkmcnt(1)
	v_mul_f64 v[6:7], v[172:173], v[78:79]
	v_fmac_f64_e32 v[6:7], v[174:175], v[76:77]
	v_add_f64 v[0:1], v[0:1], v[6:7]
	v_mul_f64 v[6:7], v[226:227], v[182:183]
	v_fma_f64 v[6:7], v[224:225], v[180:181], -v[6:7]
	ds_read_b128 v[180:183], v2 offset:1488
	ds_read_b128 v[184:187], v2 offset:1504
	s_waitcnt vmcnt(6) lgkmcnt(2)
	v_mul_f64 v[22:23], v[176:177], v[82:83]
	v_fmac_f64_e32 v[22:23], v[178:179], v[80:81]
	v_add_f64 v[0:1], v[0:1], v[22:23]
	s_waitcnt vmcnt(5) lgkmcnt(1)
	v_mul_f64 v[22:23], v[180:181], v[86:87]
	v_fmac_f64_e32 v[22:23], v[182:183], v[84:85]
	v_add_f64 v[22:23], v[0:1], v[22:23]
	v_mul_f64 v[0:1], v[230:231], v[190:191]
	v_fma_f64 v[0:1], v[228:229], v[188:189], -v[0:1]
	ds_read_b128 v[188:191], v2 offset:1520
	s_waitcnt vmcnt(4) lgkmcnt(1)
	v_mul_f64 v[196:197], v[184:185], v[90:91]
	v_fmac_f64_e32 v[196:197], v[186:187], v[88:89]
	v_mul_f64 v[194:195], v[248:249], v[194:195]
	v_fma_f64 v[238:239], v[246:247], v[192:193], -v[194:195]
	ds_read_b128 v[192:195], v2 offset:1536
	v_add_f64 v[22:23], v[22:23], v[196:197]
	s_waitcnt vmcnt(3) lgkmcnt(1)
	v_mul_f64 v[196:197], v[188:189], v[98:99]
	v_fmac_f64_e32 v[196:197], v[190:191], v[96:97]
	v_add_f64 v[22:23], v[22:23], v[196:197]
	ds_read_b128 v[196:199], v2 offset:1552
	v_mul_f64 v[202:203], v[252:253], v[202:203]
	v_fma_f64 v[246:247], v[250:251], v[200:201], -v[202:203]
	ds_read_b128 v[200:203], v2 offset:1568
	s_waitcnt vmcnt(2) lgkmcnt(2)
	v_mul_f64 v[204:205], v[192:193], v[94:95]
	v_fmac_f64_e32 v[204:205], v[194:195], v[92:93]
	v_add_f64 v[22:23], v[22:23], v[204:205]
	s_waitcnt vmcnt(1) lgkmcnt(1)
	v_mul_f64 v[204:205], v[196:197], v[102:103]
	v_fmac_f64_e32 v[204:205], v[198:199], v[100:101]
	v_add_f64 v[22:23], v[22:23], v[204:205]
	;; [unrolled: 4-line block ×3, first 2 shown]
	scratch_load_dwordx4 v[204:207], off, off offset:784
	ds_read_b128 v[208:211], v2 offset:1584
	ds_read_b128 v[216:219], v2 offset:1600
	;; [unrolled: 1-line block ×3, first 2 shown]
	s_waitcnt vmcnt(0) lgkmcnt(2)
	v_mul_f64 v[212:213], v[208:209], v[206:207]
	v_fmac_f64_e32 v[212:213], v[210:211], v[204:205]
	v_add_f64 v[22:23], v[22:23], v[212:213]
	scratch_load_dwordx4 v[212:215], off, off offset:800
	s_waitcnt vmcnt(0) lgkmcnt(1)
	v_mul_f64 v[220:221], v[216:217], v[214:215]
	v_fmac_f64_e32 v[220:221], v[218:219], v[212:213]
	v_add_f64 v[22:23], v[22:23], v[220:221]
	scratch_load_dwordx4 v[220:223], off, off offset:816
	;; [unrolled: 5-line block ×3, first 2 shown]
	v_add_f64 v[22:23], v[240:241], 0
	v_add_f64 v[22:23], v[22:23], v[242:243]
	;; [unrolled: 1-line block ×14, first 2 shown]
	v_accvgpr_read_b32 v6, a104
	v_accvgpr_read_b32 v8, a106
	;; [unrolled: 1-line block ×3, first 2 shown]
	v_add_f64 v[0:1], v[4:5], v[0:1]
	v_accvgpr_read_b32 v7, a105
	v_mul_f64 v[4:5], v[54:55], v[8:9]
	v_add_f64 v[0:1], v[0:1], v[238:239]
	v_fma_f64 v[4:5], v[52:53], v[6:7], -v[4:5]
	v_accvgpr_read_b32 v6, a108
	v_add_f64 v[0:1], v[0:1], v[246:247]
	v_accvgpr_read_b32 v8, a110
	v_accvgpr_read_b32 v9, a111
	v_add_f64 v[0:1], v[0:1], v[4:5]
	v_accvgpr_read_b32 v7, a109
	v_mul_f64 v[4:5], v[110:111], v[8:9]
	v_fma_f64 v[4:5], v[108:109], v[6:7], -v[4:5]
	v_accvgpr_read_b32 v6, a112
	v_accvgpr_read_b32 v8, a114
	;; [unrolled: 1-line block ×3, first 2 shown]
	v_add_f64 v[0:1], v[0:1], v[4:5]
	v_accvgpr_read_b32 v7, a113
	v_mul_f64 v[4:5], v[114:115], v[8:9]
	v_fma_f64 v[4:5], v[112:113], v[6:7], -v[4:5]
	v_accvgpr_read_b32 v6, a116
	v_accvgpr_read_b32 v8, a118
	;; [unrolled: 1-line block ×3, first 2 shown]
	v_add_f64 v[0:1], v[0:1], v[4:5]
	v_accvgpr_read_b32 v7, a117
	v_mul_f64 v[4:5], v[118:119], v[8:9]
	v_fma_f64 v[4:5], v[116:117], v[6:7], -v[4:5]
	v_add_f64 v[0:1], v[0:1], v[4:5]
	v_mul_f64 v[4:5], v[122:123], v[236:237]
	v_fma_f64 v[4:5], v[120:121], v[234:235], -v[4:5]
	v_add_f64 v[0:1], v[0:1], v[4:5]
	;; [unrolled: 3-line block ×25, first 2 shown]
	s_waitcnt vmcnt(0)
	v_add_f64 v[4:5], v[228:229], -v[0:1]
	v_accvgpr_read_b32 v0, a102
	v_add_f64 v[6:7], v[230:231], -v[250:251]
	v_cmp_lt_u32_e32 vcc, 4, v0
	scratch_store_dwordx4 off, v[4:7], off offset:96
	s_and_saveexec_b64 s[0:1], vcc
	s_cbranch_execz .LBB50_311
; %bb.310:
	scratch_load_dwordx4 v[6:9], off, s29
	v_mov_b32_e32 v3, v2
	v_mov_b32_e32 v4, v2
	;; [unrolled: 1-line block ×3, first 2 shown]
	v_accvgpr_read_b32 v0, a103
	scratch_store_dwordx4 off, v[2:5], off offset:80
	s_waitcnt vmcnt(1)
	ds_write_b128 v0, v[6:9]
.LBB50_311:
	s_or_b64 exec, exec, s[0:1]
	s_waitcnt lgkmcnt(0)
	; wave barrier
	scratch_load_dwordx4 v[80:83], off, off offset:96
	scratch_load_dwordx4 v[84:87], off, off offset:112
	;; [unrolled: 1-line block ×17, first 2 shown]
	ds_read_b128 v[136:139], v2 offset:896
	ds_read_b128 v[132:135], v2 offset:912
	scratch_load_dwordx4 v[4:7], off, off offset:368
	ds_read_b128 v[236:239], v2 offset:928
	ds_read_b128 v[228:231], v2 offset:944
	;; [unrolled: 1-line block ×5, first 2 shown]
	scratch_load_dwordx4 v[8:11], off, off offset:384
	ds_read_b128 v[232:235], v2 offset:1008
	ds_read_b128 v[216:219], v2 offset:1024
	;; [unrolled: 1-line block ×3, first 2 shown]
	scratch_load_dwordx4 v[12:15], off, off offset:400
	ds_read_b128 v[220:223], v2 offset:1056
	ds_read_b128 v[172:175], v2 offset:1072
	;; [unrolled: 1-line block ×5, first 2 shown]
	scratch_load_dwordx4 v[16:19], off, off offset:416
	ds_read_b128 v[208:211], v2 offset:1136
	ds_read_b128 v[204:207], v2 offset:1152
	;; [unrolled: 1-line block ×3, first 2 shown]
	scratch_load_dwordx4 v[24:27], off, off offset:432
	scratch_load_dwordx4 v[28:31], off, off offset:448
	;; [unrolled: 1-line block ×8, first 2 shown]
	ds_read_b128 v[116:119], v2 offset:1216
	ds_read_b128 v[120:123], v2 offset:1232
	;; [unrolled: 1-line block ×4, first 2 shown]
	s_waitcnt vmcnt(28) lgkmcnt(14)
	v_mul_f64 v[0:1], v[136:137], v[82:83]
	s_waitcnt vmcnt(27)
	v_mul_f64 v[56:57], v[132:133], v[86:87]
	v_fmac_f64_e32 v[0:1], v[138:139], v[80:81]
	s_waitcnt vmcnt(26)
	v_mul_f64 v[58:59], v[236:237], v[90:91]
	v_fmac_f64_e32 v[56:57], v[134:135], v[84:85]
	v_add_f64 v[0:1], v[0:1], 0
	s_waitcnt vmcnt(25)
	v_mul_f64 v[60:61], v[228:229], v[94:95]
	v_fmac_f64_e32 v[58:59], v[238:239], v[88:89]
	v_add_f64 v[0:1], v[0:1], v[56:57]
	;; [unrolled: 4-line block ×6, first 2 shown]
	s_waitcnt vmcnt(20) lgkmcnt(13)
	v_mul_f64 v[70:71], v[216:217], v[154:155]
	v_fmac_f64_e32 v[68:69], v[234:235], v[144:145]
	v_add_f64 v[0:1], v[0:1], v[66:67]
	s_waitcnt vmcnt(19) lgkmcnt(12)
	v_mul_f64 v[72:73], v[160:161], v[158:159]
	v_fmac_f64_e32 v[70:71], v[218:219], v[152:153]
	v_add_f64 v[0:1], v[0:1], v[68:69]
	;; [unrolled: 4-line block ×7, first 2 shown]
	v_fmac_f64_e32 v[110:111], v[198:199], v[188:189]
	v_add_f64 v[0:1], v[0:1], v[108:109]
	s_waitcnt vmcnt(13) lgkmcnt(6)
	v_mul_f64 v[112:113], v[208:209], v[194:195]
	v_add_f64 v[0:1], v[0:1], v[110:111]
	scratch_load_dwordx4 v[56:59], off, off offset:560
	scratch_load_dwordx4 v[60:63], off, off offset:576
	ds_read_b128 v[108:111], v2 offset:1184
	s_waitcnt vmcnt(14) lgkmcnt(6)
	v_mul_f64 v[114:115], v[204:205], v[202:203]
	v_fmac_f64_e32 v[112:113], v[210:211], v[192:193]
	v_add_f64 v[0:1], v[0:1], v[112:113]
	v_fmac_f64_e32 v[114:115], v[206:207], v[200:201]
	s_waitcnt vmcnt(13) lgkmcnt(5)
	v_mul_f64 v[64:65], v[20:21], v[6:7]
	v_accvgpr_write_b32 a107, v7
	v_add_f64 v[0:1], v[0:1], v[114:115]
	v_fmac_f64_e32 v[64:65], v[22:23], v[4:5]
	v_accvgpr_write_b32 a106, v6
	v_accvgpr_write_b32 a105, v5
	;; [unrolled: 1-line block ×3, first 2 shown]
	ds_read_b128 v[112:115], v2 offset:1200
	s_waitcnt vmcnt(12)
	v_mov_b64_e32 v[4:5], v[8:9]
	v_mov_b64_e32 v[6:7], v[10:11]
	s_waitcnt lgkmcnt(1)
	v_mul_f64 v[68:69], v[108:109], v[6:7]
	v_fmac_f64_e32 v[68:69], v[110:111], v[4:5]
	s_waitcnt vmcnt(11)
	v_mov_b64_e32 v[4:5], v[12:13]
	v_add_f64 v[0:1], v[0:1], v[64:65]
	v_mov_b64_e32 v[6:7], v[14:15]
	v_add_f64 v[0:1], v[0:1], v[68:69]
	s_waitcnt lgkmcnt(0)
	v_mul_f64 v[68:69], v[112:113], v[6:7]
	scratch_load_dwordx4 v[64:67], off, off offset:592
	v_fmac_f64_e32 v[68:69], v[114:115], v[4:5]
	v_add_f64 v[0:1], v[0:1], v[68:69]
	scratch_load_dwordx4 v[68:71], off, off offset:608
	scratch_load_dwordx4 v[72:75], off, off offset:624
	s_waitcnt vmcnt(13)
	v_mul_f64 v[76:77], v[116:117], v[18:19]
	v_fmac_f64_e32 v[76:77], v[118:119], v[16:17]
	v_add_f64 v[0:1], v[0:1], v[76:77]
	s_waitcnt vmcnt(12)
	v_mul_f64 v[76:77], v[120:121], v[26:27]
	v_fmac_f64_e32 v[76:77], v[122:123], v[24:25]
	v_add_f64 v[0:1], v[0:1], v[76:77]
	scratch_load_dwordx4 v[76:79], off, off offset:640
	v_mul_f64 v[82:83], v[138:139], v[82:83]
	v_fma_f64 v[240:241], v[136:137], v[80:81], -v[82:83]
	scratch_load_dwordx4 v[80:83], off, off offset:656
	v_mul_f64 v[86:87], v[134:135], v[86:87]
	v_fma_f64 v[242:243], v[132:133], v[84:85], -v[86:87]
	scratch_load_dwordx4 v[84:87], off, off offset:672
	s_waitcnt vmcnt(14)
	v_mul_f64 v[136:137], v[124:125], v[30:31]
	v_mul_f64 v[90:91], v[238:239], v[90:91]
	v_fmac_f64_e32 v[136:137], v[126:127], v[28:29]
	v_fma_f64 v[236:237], v[236:237], v[88:89], -v[90:91]
	scratch_load_dwordx4 v[88:91], off, off offset:688
	v_add_f64 v[0:1], v[0:1], v[136:137]
	s_waitcnt vmcnt(14)
	v_mul_f64 v[136:137], v[128:129], v[34:35]
	v_mul_f64 v[94:95], v[230:231], v[94:95]
	v_fmac_f64_e32 v[136:137], v[130:131], v[32:33]
	v_fma_f64 v[238:239], v[228:229], v[92:93], -v[94:95]
	v_mul_f64 v[92:93], v[226:227], v[98:99]
	ds_read_b128 v[132:135], v2 offset:1280
	v_add_f64 v[0:1], v[0:1], v[136:137]
	ds_read_b128 v[136:139], v2 offset:1296
	v_fma_f64 v[244:245], v[224:225], v[96:97], -v[92:93]
	scratch_load_dwordx4 v[96:99], off, off offset:704
	scratch_load_dwordx4 v[92:95], off, off offset:720
	v_mul_f64 v[102:103], v[150:151], v[102:103]
	v_fma_f64 v[250:251], v[148:149], v[100:101], -v[102:103]
	scratch_load_dwordx4 v[100:103], off, off offset:736
	v_mul_f64 v[106:107], v[142:143], v[106:107]
	v_fma_f64 v[252:253], v[140:141], v[104:105], -v[106:107]
	v_mul_f64 v[104:105], v[234:235], v[146:147]
	v_fma_f64 v[254:255], v[232:233], v[144:145], -v[104:105]
	scratch_load_dwordx4 v[104:107], off, off offset:752
	ds_read_b128 v[140:143], v2 offset:1312
	ds_read_b128 v[144:147], v2 offset:1328
	s_waitcnt vmcnt(17) lgkmcnt(3)
	v_mul_f64 v[228:229], v[132:133], v[38:39]
	v_fmac_f64_e32 v[228:229], v[134:135], v[36:37]
	s_waitcnt vmcnt(16) lgkmcnt(2)
	v_mul_f64 v[224:225], v[136:137], v[42:43]
	v_add_f64 v[0:1], v[0:1], v[228:229]
	v_fmac_f64_e32 v[224:225], v[138:139], v[40:41]
	s_waitcnt vmcnt(15) lgkmcnt(1)
	v_mul_f64 v[148:149], v[140:141], v[46:47]
	v_add_f64 v[0:1], v[0:1], v[224:225]
	v_fmac_f64_e32 v[148:149], v[142:143], v[44:45]
	v_add_f64 v[0:1], v[0:1], v[148:149]
	ds_read_b128 v[148:151], v2 offset:1344
	v_mul_f64 v[154:155], v[218:219], v[154:155]
	v_fma_f64 v[246:247], v[216:217], v[152:153], -v[154:155]
	ds_read_b128 v[152:155], v2 offset:1360
	v_accvgpr_write_b32 a115, v15
	v_mul_f64 v[158:159], v[162:163], v[158:159]
	v_accvgpr_write_b32 a114, v14
	v_accvgpr_write_b32 a113, v13
	;; [unrolled: 1-line block ×3, first 2 shown]
	v_fma_f64 v[12:13], v[160:161], v[156:157], -v[158:159]
	ds_read_b128 v[156:159], v2 offset:1376
	ds_read_b128 v[160:163], v2 offset:1392
	s_waitcnt vmcnt(14) lgkmcnt(4)
	v_mul_f64 v[224:225], v[144:145], v[50:51]
	v_fmac_f64_e32 v[224:225], v[146:147], v[48:49]
	s_waitcnt vmcnt(13) lgkmcnt(3)
	v_mul_f64 v[216:217], v[148:149], v[54:55]
	v_add_f64 v[0:1], v[0:1], v[224:225]
	v_fmac_f64_e32 v[216:217], v[150:151], v[52:53]
	s_waitcnt vmcnt(12) lgkmcnt(2)
	v_mul_f64 v[6:7], v[152:153], v[58:59]
	v_add_f64 v[0:1], v[0:1], v[216:217]
	v_fmac_f64_e32 v[6:7], v[154:155], v[56:57]
	v_add_f64 v[0:1], v[0:1], v[6:7]
	s_waitcnt vmcnt(11) lgkmcnt(1)
	v_mul_f64 v[6:7], v[156:157], v[62:63]
	v_fmac_f64_e32 v[6:7], v[158:159], v[60:61]
	v_accvgpr_write_b32 a111, v11
	v_add_f64 v[0:1], v[0:1], v[6:7]
	v_mul_f64 v[6:7], v[222:223], v[166:167]
	v_accvgpr_write_b32 a110, v10
	v_accvgpr_write_b32 a109, v9
	;; [unrolled: 1-line block ×3, first 2 shown]
	v_fma_f64 v[8:9], v[220:221], v[164:165], -v[6:7]
	ds_read_b128 v[164:167], v2 offset:1408
	v_mul_f64 v[170:171], v[174:175], v[170:171]
	v_fma_f64 v[6:7], v[172:173], v[168:169], -v[170:171]
	ds_read_b128 v[168:171], v2 offset:1424
	s_waitcnt vmcnt(10) lgkmcnt(2)
	v_mul_f64 v[216:217], v[160:161], v[66:67]
	v_fmac_f64_e32 v[216:217], v[162:163], v[64:65]
	s_waitcnt vmcnt(9) lgkmcnt(1)
	v_mul_f64 v[10:11], v[164:165], v[70:71]
	v_add_f64 v[0:1], v[0:1], v[216:217]
	v_fmac_f64_e32 v[10:11], v[166:167], v[68:69]
	v_add_f64 v[0:1], v[0:1], v[10:11]
	s_waitcnt vmcnt(8) lgkmcnt(0)
	v_mul_f64 v[10:11], v[168:169], v[74:75]
	v_fmac_f64_e32 v[10:11], v[170:171], v[72:73]
	ds_read_b128 v[172:175], v2 offset:1440
	v_add_f64 v[0:1], v[0:1], v[10:11]
	v_mul_f64 v[10:11], v[214:215], v[178:179]
	v_fma_f64 v[10:11], v[212:213], v[176:177], -v[10:11]
	ds_read_b128 v[176:179], v2 offset:1456
	v_mul_f64 v[182:183], v[186:187], v[182:183]
	v_fma_f64 v[4:5], v[184:185], v[180:181], -v[182:183]
	ds_read_b128 v[180:183], v2 offset:1472
	ds_read_b128 v[184:187], v2 offset:1488
	s_waitcnt vmcnt(7) lgkmcnt(3)
	v_mul_f64 v[212:213], v[172:173], v[78:79]
	v_fmac_f64_e32 v[212:213], v[174:175], v[76:77]
	s_waitcnt vmcnt(6) lgkmcnt(2)
	v_mul_f64 v[14:15], v[176:177], v[82:83]
	v_add_f64 v[0:1], v[0:1], v[212:213]
	v_fmac_f64_e32 v[14:15], v[178:179], v[80:81]
	v_add_f64 v[0:1], v[0:1], v[14:15]
	s_waitcnt vmcnt(5) lgkmcnt(1)
	v_mul_f64 v[14:15], v[180:181], v[86:87]
	v_fmac_f64_e32 v[14:15], v[182:183], v[84:85]
	v_add_f64 v[14:15], v[0:1], v[14:15]
	v_mul_f64 v[0:1], v[198:199], v[190:191]
	v_fma_f64 v[0:1], v[196:197], v[188:189], -v[0:1]
	ds_read_b128 v[188:191], v2 offset:1504
	v_mul_f64 v[194:195], v[210:211], v[194:195]
	s_waitcnt vmcnt(4) lgkmcnt(1)
	v_mul_f64 v[196:197], v[184:185], v[90:91]
	v_fma_f64 v[192:193], v[208:209], v[192:193], -v[194:195]
	v_fmac_f64_e32 v[196:197], v[186:187], v[88:89]
	v_accvgpr_write_b32 a116, v192
	v_accvgpr_write_b32 a117, v193
	ds_read_b128 v[192:195], v2 offset:1520
	v_add_f64 v[14:15], v[14:15], v[196:197]
	s_waitcnt vmcnt(3) lgkmcnt(1)
	v_mul_f64 v[196:197], v[188:189], v[98:99]
	v_fmac_f64_e32 v[196:197], v[190:191], v[96:97]
	v_add_f64 v[14:15], v[14:15], v[196:197]
	ds_read_b128 v[196:199], v2 offset:1536
	v_mul_f64 v[202:203], v[206:207], v[202:203]
	v_fma_f64 v[248:249], v[204:205], v[200:201], -v[202:203]
	ds_read_b128 v[200:203], v2 offset:1552
	s_waitcnt vmcnt(2) lgkmcnt(2)
	v_mul_f64 v[204:205], v[192:193], v[94:95]
	v_fmac_f64_e32 v[204:205], v[194:195], v[92:93]
	v_add_f64 v[14:15], v[14:15], v[204:205]
	s_waitcnt vmcnt(1) lgkmcnt(1)
	v_mul_f64 v[204:205], v[196:197], v[102:103]
	v_fmac_f64_e32 v[204:205], v[198:199], v[100:101]
	v_add_f64 v[14:15], v[14:15], v[204:205]
	s_waitcnt vmcnt(0) lgkmcnt(0)
	v_mul_f64 v[204:205], v[200:201], v[106:107]
	v_fmac_f64_e32 v[204:205], v[202:203], v[104:105]
	v_add_f64 v[14:15], v[14:15], v[204:205]
	scratch_load_dwordx4 v[204:207], off, off offset:768
	scratch_load_dwordx4 v[232:235], off, off offset:816
	ds_read_b128 v[208:211], v2 offset:1568
	ds_read_b128 v[216:219], v2 offset:1584
	;; [unrolled: 1-line block ×3, first 2 shown]
	s_waitcnt vmcnt(1) lgkmcnt(2)
	v_mul_f64 v[212:213], v[208:209], v[206:207]
	v_fmac_f64_e32 v[212:213], v[210:211], v[204:205]
	v_add_f64 v[14:15], v[14:15], v[212:213]
	scratch_load_dwordx4 v[212:215], off, off offset:784
	s_waitcnt vmcnt(0) lgkmcnt(1)
	v_mul_f64 v[220:221], v[216:217], v[214:215]
	v_fmac_f64_e32 v[220:221], v[218:219], v[212:213]
	v_add_f64 v[14:15], v[14:15], v[220:221]
	scratch_load_dwordx4 v[220:223], off, off offset:800
	s_waitcnt vmcnt(0) lgkmcnt(0)
	v_mul_f64 v[228:229], v[224:225], v[222:223]
	v_fmac_f64_e32 v[228:229], v[226:227], v[220:221]
	v_add_f64 v[14:15], v[14:15], v[228:229]
	ds_read_b128 v[228:231], v2 offset:1616
	s_waitcnt lgkmcnt(0)
	v_mul_f64 v[2:3], v[228:229], v[234:235]
	v_fmac_f64_e32 v[2:3], v[230:231], v[232:233]
	v_add_f64 v[2:3], v[14:15], v[2:3]
	v_add_f64 v[14:15], v[240:241], 0
	;; [unrolled: 1-line block ×5, first 2 shown]
	scratch_load_dwordx4 v[236:239], off, off offset:80
	v_add_f64 v[14:15], v[14:15], v[244:245]
	v_add_f64 v[14:15], v[14:15], v[250:251]
	;; [unrolled: 1-line block ×10, first 2 shown]
	v_accvgpr_read_b32 v6, a104
	v_add_f64 v[250:251], v[4:5], v[0:1]
	v_accvgpr_read_b32 v0, a116
	v_accvgpr_read_b32 v8, a106
	;; [unrolled: 1-line block ×5, first 2 shown]
	v_mul_f64 v[4:5], v[22:23], v[8:9]
	v_add_f64 v[0:1], v[250:251], v[0:1]
	v_fma_f64 v[4:5], v[20:21], v[6:7], -v[4:5]
	v_accvgpr_read_b32 v6, a108
	v_add_f64 v[0:1], v[0:1], v[248:249]
	v_accvgpr_read_b32 v8, a110
	v_accvgpr_read_b32 v9, a111
	v_add_f64 v[0:1], v[0:1], v[4:5]
	v_accvgpr_read_b32 v7, a109
	v_mul_f64 v[4:5], v[110:111], v[8:9]
	v_fma_f64 v[4:5], v[108:109], v[6:7], -v[4:5]
	v_accvgpr_read_b32 v6, a112
	v_accvgpr_read_b32 v8, a114
	v_accvgpr_read_b32 v9, a115
	v_add_f64 v[0:1], v[0:1], v[4:5]
	v_accvgpr_read_b32 v7, a113
	v_mul_f64 v[4:5], v[114:115], v[8:9]
	v_fma_f64 v[4:5], v[112:113], v[6:7], -v[4:5]
	v_add_f64 v[0:1], v[0:1], v[4:5]
	v_mul_f64 v[4:5], v[118:119], v[18:19]
	v_fma_f64 v[4:5], v[116:117], v[16:17], -v[4:5]
	v_add_f64 v[0:1], v[0:1], v[4:5]
	;; [unrolled: 3-line block ×27, first 2 shown]
	s_waitcnt vmcnt(0)
	v_add_f64 v[4:5], v[236:237], -v[0:1]
	v_accvgpr_read_b32 v0, a102
	v_add_f64 v[6:7], v[238:239], -v[2:3]
	v_cmp_lt_u32_e32 vcc, 3, v0
	scratch_store_dwordx4 off, v[4:7], off offset:80
	s_and_saveexec_b64 s[0:1], vcc
	s_cbranch_execz .LBB50_313
; %bb.312:
	scratch_load_dwordx4 v[2:5], off, s26
	v_mov_b32_e32 v6, 0
	v_mov_b32_e32 v7, v6
	;; [unrolled: 1-line block ×4, first 2 shown]
	v_accvgpr_read_b32 v0, a103
	scratch_store_dwordx4 off, v[6:9], off offset:64
	s_waitcnt vmcnt(1)
	ds_write_b128 v0, v[2:5]
.LBB50_313:
	s_or_b64 exec, exec, s[0:1]
	s_waitcnt lgkmcnt(0)
	; wave barrier
	scratch_load_dwordx4 v[68:71], off, off offset:80
	scratch_load_dwordx4 v[72:75], off, off offset:96
	;; [unrolled: 1-line block ×28, first 2 shown]
	v_mov_b32_e32 v2, 0
	ds_read_b128 v[124:127], v2 offset:880
	ds_read_b128 v[128:131], v2 offset:896
	;; [unrolled: 1-line block ×23, first 2 shown]
	s_waitcnt vmcnt(27) lgkmcnt(14)
	v_mul_f64 v[0:1], v[124:125], v[70:71]
	s_waitcnt vmcnt(26)
	v_mul_f64 v[40:41], v[128:129], v[74:75]
	v_fmac_f64_e32 v[0:1], v[126:127], v[68:69]
	s_waitcnt vmcnt(25)
	v_mul_f64 v[42:43], v[132:133], v[78:79]
	v_fmac_f64_e32 v[40:41], v[130:131], v[72:73]
	v_add_f64 v[0:1], v[0:1], 0
	s_waitcnt vmcnt(24)
	v_mul_f64 v[44:45], v[136:137], v[82:83]
	v_fmac_f64_e32 v[42:43], v[134:135], v[76:77]
	v_add_f64 v[0:1], v[0:1], v[40:41]
	;; [unrolled: 4-line block ×7, first 2 shown]
	s_waitcnt vmcnt(18) lgkmcnt(13)
	v_mul_f64 v[56:57], v[200:201], v[146:147]
	v_fmac_f64_e32 v[54:55], v[194:195], v[112:113]
	v_add_f64 v[0:1], v[0:1], v[52:53]
	s_waitcnt vmcnt(17) lgkmcnt(12)
	v_mul_f64 v[58:59], v[204:205], v[150:151]
	v_fmac_f64_e32 v[56:57], v[202:203], v[144:145]
	v_add_f64 v[0:1], v[0:1], v[54:55]
	;; [unrolled: 4-line block ×7, first 2 shown]
	scratch_load_dwordx4 v[40:43], off, off offset:528
	scratch_load_dwordx4 v[44:47], off, off offset:544
	s_waitcnt vmcnt(13) lgkmcnt(6)
	v_mul_f64 v[102:103], v[228:229], v[186:187]
	v_fmac_f64_e32 v[100:101], v[226:227], v[176:177]
	v_add_f64 v[0:1], v[0:1], v[66:67]
	v_add_f64 v[0:1], v[0:1], v[100:101]
	v_fmac_f64_e32 v[102:103], v[230:231], v[184:185]
	v_add_f64 v[0:1], v[0:1], v[102:103]
	ds_read_b128 v[100:103], v2 offset:1184
	s_waitcnt vmcnt(12) lgkmcnt(6)
	v_mul_f64 v[48:49], v[246:247], v[190:191]
	v_fmac_f64_e32 v[48:49], v[248:249], v[188:189]
	v_add_f64 v[0:1], v[0:1], v[48:49]
	s_waitcnt vmcnt(11) lgkmcnt(5)
	v_mul_f64 v[48:49], v[250:251], v[198:199]
	v_fmac_f64_e32 v[48:49], v[252:253], v[196:197]
	v_add_f64 v[0:1], v[0:1], v[48:49]
	scratch_load_dwordx4 v[48:51], off, off offset:560
	scratch_load_dwordx4 v[52:55], off, off offset:576
	s_waitcnt vmcnt(12) lgkmcnt(0)
	v_mul_f64 v[56:57], v[100:101], v[6:7]
	v_accvgpr_write_b32 a107, v7
	v_fmac_f64_e32 v[56:57], v[102:103], v[4:5]
	v_accvgpr_write_b32 a106, v6
	v_accvgpr_write_b32 a105, v5
	;; [unrolled: 1-line block ×3, first 2 shown]
	s_waitcnt vmcnt(11)
	v_mov_b64_e32 v[4:5], v[8:9]
	v_mov_b64_e32 v[6:7], v[10:11]
	v_add_f64 v[0:1], v[0:1], v[56:57]
	v_mul_f64 v[56:57], v[104:105], v[6:7]
	v_fmac_f64_e32 v[56:57], v[106:107], v[4:5]
	v_add_f64 v[0:1], v[0:1], v[56:57]
	scratch_load_dwordx4 v[56:59], off, off offset:592
	s_waitcnt vmcnt(11)
	v_mov_b64_e32 v[4:5], v[12:13]
	v_mov_b64_e32 v[6:7], v[14:15]
	v_mul_f64 v[60:61], v[108:109], v[6:7]
	v_fmac_f64_e32 v[60:61], v[110:111], v[4:5]
	s_waitcnt vmcnt(10)
	v_mov_b64_e32 v[4:5], v[16:17]
	v_mov_b64_e32 v[6:7], v[18:19]
	v_add_f64 v[0:1], v[0:1], v[60:61]
	scratch_load_dwordx4 v[60:63], off, off offset:608
	v_mul_f64 v[64:65], v[116:117], v[6:7]
	v_fmac_f64_e32 v[64:65], v[118:119], v[4:5]
	v_add_f64 v[0:1], v[0:1], v[64:65]
	scratch_load_dwordx4 v[64:67], off, off offset:624
	v_mul_f64 v[70:71], v[126:127], v[70:71]
	s_waitcnt vmcnt(11)
	v_mov_b64_e32 v[4:5], v[20:21]
	v_fma_f64 v[240:241], v[124:125], v[68:69], -v[70:71]
	v_mov_b64_e32 v[6:7], v[22:23]
	scratch_load_dwordx4 v[68:71], off, off offset:640
	v_mul_f64 v[124:125], v[120:121], v[6:7]
	v_mul_f64 v[74:75], v[130:131], v[74:75]
	v_fmac_f64_e32 v[124:125], v[122:123], v[4:5]
	v_fma_f64 v[242:243], v[128:129], v[72:73], -v[74:75]
	scratch_load_dwordx4 v[72:75], off, off offset:656
	v_mul_f64 v[78:79], v[134:135], v[78:79]
	v_add_f64 v[0:1], v[0:1], v[124:125]
	ds_read_b128 v[124:127], v2 offset:1264
	ds_read_b128 v[128:131], v2 offset:1280
	v_fma_f64 v[244:245], v[132:133], v[76:77], -v[78:79]
	v_mul_f64 v[76:77], v[138:139], v[82:83]
	v_fma_f64 v[254:255], v[136:137], v[80:81], -v[76:77]
	scratch_load_dwordx4 v[76:79], off, off offset:672
	s_waitcnt vmcnt(13) lgkmcnt(1)
	v_mul_f64 v[132:133], v[124:125], v[236:237]
	v_fmac_f64_e32 v[132:133], v[126:127], v[234:235]
	v_add_f64 v[0:1], v[0:1], v[132:133]
	s_waitcnt vmcnt(12) lgkmcnt(0)
	v_mul_f64 v[132:133], v[128:129], v[30:31]
	scratch_load_dwordx4 v[80:83], off, off offset:688
	v_fmac_f64_e32 v[132:133], v[130:131], v[28:29]
	v_mul_f64 v[86:87], v[142:143], v[86:87]
	v_add_f64 v[0:1], v[0:1], v[132:133]
	v_fma_f64 v[232:233], v[140:141], v[84:85], -v[86:87]
	ds_read_b128 v[132:135], v2 offset:1296
	v_mul_f64 v[84:85], v[158:159], v[90:91]
	v_fma_f64 v[24:25], v[156:157], v[88:89], -v[84:85]
	scratch_load_dwordx4 v[88:91], off, off offset:704
	scratch_load_dwordx4 v[84:87], off, off offset:720
	v_accvgpr_write_b32 a123, v23
	v_mul_f64 v[6:7], v[170:171], v[94:95]
	v_accvgpr_write_b32 a122, v22
	v_accvgpr_write_b32 a121, v21
	;; [unrolled: 1-line block ×3, first 2 shown]
	v_fma_f64 v[20:21], v[168:169], v[92:93], -v[6:7]
	s_waitcnt vmcnt(14) lgkmcnt(0)
	v_mul_f64 v[6:7], v[132:133], v[34:35]
	v_fmac_f64_e32 v[6:7], v[134:135], v[32:33]
	v_accvgpr_write_b32 a119, v19
	v_add_f64 v[0:1], v[0:1], v[6:7]
	v_mul_f64 v[6:7], v[182:183], v[98:99]
	v_accvgpr_write_b32 a118, v18
	v_accvgpr_write_b32 a117, v17
	;; [unrolled: 1-line block ×3, first 2 shown]
	ds_read_b128 v[136:139], v2 offset:1312
	v_fma_f64 v[16:17], v[180:181], v[96:97], -v[6:7]
	scratch_load_dwordx4 v[96:99], off, off offset:736
	scratch_load_dwordx4 v[92:95], off, off offset:752
	v_accvgpr_write_b32 a115, v15
	v_mul_f64 v[6:7], v[194:195], v[114:115]
	v_accvgpr_write_b32 a114, v14
	v_accvgpr_write_b32 a113, v13
	;; [unrolled: 1-line block ×3, first 2 shown]
	v_fma_f64 v[12:13], v[192:193], v[112:113], -v[6:7]
	scratch_load_dwordx4 v[112:115], off, off offset:768
	ds_read_b128 v[140:143], v2 offset:1328
	s_waitcnt vmcnt(16) lgkmcnt(1)
	v_mul_f64 v[6:7], v[136:137], v[38:39]
	v_fmac_f64_e32 v[6:7], v[138:139], v[36:37]
	v_add_f64 v[0:1], v[0:1], v[6:7]
	v_mul_f64 v[6:7], v[202:203], v[146:147]
	v_fma_f64 v[14:15], v[200:201], v[144:145], -v[6:7]
	ds_read_b128 v[144:147], v2 offset:1344
	s_waitcnt vmcnt(15) lgkmcnt(1)
	v_mul_f64 v[6:7], v[140:141], v[42:43]
	v_fmac_f64_e32 v[6:7], v[142:143], v[40:41]
	v_accvgpr_write_b32 a111, v11
	v_add_f64 v[0:1], v[0:1], v[6:7]
	v_mul_f64 v[6:7], v[206:207], v[150:151]
	v_accvgpr_write_b32 a110, v10
	v_accvgpr_write_b32 a109, v9
	;; [unrolled: 1-line block ×3, first 2 shown]
	v_fma_f64 v[10:11], v[204:205], v[148:149], -v[6:7]
	ds_read_b128 v[148:151], v2 offset:1360
	v_mul_f64 v[18:19], v[210:211], v[154:155]
	v_fma_f64 v[18:19], v[208:209], v[152:153], -v[18:19]
	ds_read_b128 v[152:155], v2 offset:1376
	s_waitcnt vmcnt(14) lgkmcnt(2)
	v_mul_f64 v[6:7], v[144:145], v[46:47]
	v_fmac_f64_e32 v[6:7], v[146:147], v[44:45]
	v_add_f64 v[0:1], v[0:1], v[6:7]
	s_waitcnt vmcnt(13) lgkmcnt(1)
	v_mul_f64 v[6:7], v[148:149], v[50:51]
	ds_read_b128 v[156:159], v2 offset:1392
	v_fmac_f64_e32 v[6:7], v[150:151], v[48:49]
	v_add_f64 v[0:1], v[0:1], v[6:7]
	s_waitcnt vmcnt(12) lgkmcnt(1)
	v_mul_f64 v[6:7], v[152:153], v[54:55]
	v_fmac_f64_e32 v[6:7], v[154:155], v[52:53]
	v_add_f64 v[0:1], v[0:1], v[6:7]
	v_mul_f64 v[6:7], v[214:215], v[162:163]
	v_fma_f64 v[8:9], v[212:213], v[160:161], -v[6:7]
	ds_read_b128 v[160:163], v2 offset:1408
	s_waitcnt vmcnt(11) lgkmcnt(1)
	v_mul_f64 v[6:7], v[156:157], v[58:59]
	v_fmac_f64_e32 v[6:7], v[158:159], v[56:57]
	v_add_f64 v[0:1], v[0:1], v[6:7]
	v_mul_f64 v[6:7], v[218:219], v[166:167]
	v_fma_f64 v[22:23], v[216:217], v[164:165], -v[6:7]
	ds_read_b128 v[164:167], v2 offset:1424
	ds_read_b128 v[168:171], v2 offset:1440
	s_waitcnt vmcnt(10) lgkmcnt(2)
	v_mul_f64 v[6:7], v[160:161], v[62:63]
	v_fmac_f64_e32 v[6:7], v[162:163], v[60:61]
	v_add_f64 v[0:1], v[0:1], v[6:7]
	s_waitcnt vmcnt(9) lgkmcnt(1)
	v_mul_f64 v[6:7], v[164:165], v[66:67]
	v_fmac_f64_e32 v[6:7], v[166:167], v[64:65]
	v_add_f64 v[0:1], v[0:1], v[6:7]
	v_mul_f64 v[6:7], v[222:223], v[174:175]
	v_fma_f64 v[4:5], v[220:221], v[172:173], -v[6:7]
	ds_read_b128 v[172:175], v2 offset:1456
	v_mul_f64 v[6:7], v[226:227], v[178:179]
	v_fma_f64 v[6:7], v[224:225], v[176:177], -v[6:7]
	ds_read_b128 v[176:179], v2 offset:1472
	s_waitcnt vmcnt(8) lgkmcnt(2)
	v_mul_f64 v[26:27], v[168:169], v[70:71]
	v_fmac_f64_e32 v[26:27], v[170:171], v[68:69]
	v_add_f64 v[0:1], v[0:1], v[26:27]
	s_waitcnt vmcnt(7) lgkmcnt(1)
	v_mul_f64 v[26:27], v[172:173], v[74:75]
	v_fmac_f64_e32 v[26:27], v[174:175], v[72:73]
	v_add_f64 v[0:1], v[0:1], v[26:27]
	s_waitcnt vmcnt(6) lgkmcnt(0)
	v_mul_f64 v[26:27], v[176:177], v[78:79]
	v_fmac_f64_e32 v[26:27], v[178:179], v[76:77]
	ds_read_b128 v[180:183], v2 offset:1488
	v_add_f64 v[26:27], v[0:1], v[26:27]
	v_mul_f64 v[0:1], v[230:231], v[186:187]
	v_fma_f64 v[0:1], v[228:229], v[184:185], -v[0:1]
	ds_read_b128 v[184:187], v2 offset:1504
	s_waitcnt vmcnt(5) lgkmcnt(1)
	v_mul_f64 v[192:193], v[180:181], v[82:83]
	v_fmac_f64_e32 v[192:193], v[182:183], v[80:81]
	v_mul_f64 v[190:191], v[248:249], v[190:191]
	v_add_f64 v[26:27], v[26:27], v[192:193]
	v_fma_f64 v[238:239], v[246:247], v[188:189], -v[190:191]
	ds_read_b128 v[188:191], v2 offset:1520
	s_waitcnt vmcnt(4) lgkmcnt(1)
	v_mul_f64 v[192:193], v[184:185], v[90:91]
	v_fmac_f64_e32 v[192:193], v[186:187], v[88:89]
	v_add_f64 v[26:27], v[26:27], v[192:193]
	ds_read_b128 v[192:195], v2 offset:1536
	v_mul_f64 v[198:199], v[252:253], v[198:199]
	v_fma_f64 v[246:247], v[250:251], v[196:197], -v[198:199]
	ds_read_b128 v[196:199], v2 offset:1552
	ds_read_b128 v[208:211], v2 offset:1584
	s_waitcnt vmcnt(3) lgkmcnt(3)
	v_mul_f64 v[200:201], v[188:189], v[86:87]
	v_fmac_f64_e32 v[200:201], v[190:191], v[84:85]
	v_add_f64 v[26:27], v[26:27], v[200:201]
	s_waitcnt vmcnt(2) lgkmcnt(2)
	v_mul_f64 v[200:201], v[192:193], v[98:99]
	v_fmac_f64_e32 v[200:201], v[194:195], v[96:97]
	v_add_f64 v[26:27], v[26:27], v[200:201]
	;; [unrolled: 4-line block ×3, first 2 shown]
	ds_read_b128 v[200:203], v2 offset:1568
	ds_read_b128 v[216:219], v2 offset:1600
	;; [unrolled: 1-line block ×3, first 2 shown]
	s_waitcnt vmcnt(0) lgkmcnt(2)
	v_mul_f64 v[204:205], v[200:201], v[114:115]
	v_fmac_f64_e32 v[204:205], v[202:203], v[112:113]
	v_add_f64 v[26:27], v[26:27], v[204:205]
	scratch_load_dwordx4 v[204:207], off, off offset:784
	s_waitcnt vmcnt(0)
	v_mul_f64 v[212:213], v[208:209], v[206:207]
	v_fmac_f64_e32 v[212:213], v[210:211], v[204:205]
	v_add_f64 v[26:27], v[26:27], v[212:213]
	scratch_load_dwordx4 v[212:215], off, off offset:800
	s_waitcnt vmcnt(0) lgkmcnt(1)
	v_mul_f64 v[220:221], v[216:217], v[214:215]
	v_fmac_f64_e32 v[220:221], v[218:219], v[212:213]
	v_add_f64 v[26:27], v[26:27], v[220:221]
	scratch_load_dwordx4 v[220:223], off, off offset:816
	s_waitcnt vmcnt(0) lgkmcnt(0)
	v_mul_f64 v[228:229], v[224:225], v[222:223]
	v_fmac_f64_e32 v[228:229], v[226:227], v[220:221]
	v_add_f64 v[250:251], v[26:27], v[228:229]
	scratch_load_dwordx4 v[228:231], off, off offset:64
	v_add_f64 v[26:27], v[240:241], 0
	v_add_f64 v[26:27], v[26:27], v[242:243]
	;; [unrolled: 1-line block ×16, first 2 shown]
	v_accvgpr_read_b32 v6, a104
	v_accvgpr_read_b32 v8, a106
	;; [unrolled: 1-line block ×3, first 2 shown]
	v_add_f64 v[0:1], v[4:5], v[0:1]
	v_accvgpr_read_b32 v7, a105
	v_mul_f64 v[4:5], v[102:103], v[8:9]
	v_add_f64 v[0:1], v[0:1], v[238:239]
	v_fma_f64 v[4:5], v[100:101], v[6:7], -v[4:5]
	v_accvgpr_read_b32 v6, a108
	v_add_f64 v[0:1], v[0:1], v[246:247]
	v_accvgpr_read_b32 v8, a110
	v_accvgpr_read_b32 v9, a111
	v_add_f64 v[0:1], v[0:1], v[4:5]
	v_accvgpr_read_b32 v7, a109
	v_mul_f64 v[4:5], v[106:107], v[8:9]
	v_fma_f64 v[4:5], v[104:105], v[6:7], -v[4:5]
	v_accvgpr_read_b32 v6, a112
	v_accvgpr_read_b32 v8, a114
	v_accvgpr_read_b32 v9, a115
	v_add_f64 v[0:1], v[0:1], v[4:5]
	v_accvgpr_read_b32 v7, a113
	v_mul_f64 v[4:5], v[110:111], v[8:9]
	v_fma_f64 v[4:5], v[108:109], v[6:7], -v[4:5]
	v_accvgpr_read_b32 v6, a116
	;; [unrolled: 7-line block ×3, first 2 shown]
	v_accvgpr_read_b32 v8, a122
	v_accvgpr_read_b32 v9, a123
	v_add_f64 v[0:1], v[0:1], v[4:5]
	v_accvgpr_read_b32 v7, a121
	v_mul_f64 v[4:5], v[122:123], v[8:9]
	v_fma_f64 v[4:5], v[120:121], v[6:7], -v[4:5]
	v_add_f64 v[0:1], v[0:1], v[4:5]
	v_mul_f64 v[4:5], v[126:127], v[236:237]
	v_fma_f64 v[4:5], v[124:125], v[234:235], -v[4:5]
	v_add_f64 v[0:1], v[0:1], v[4:5]
	v_mul_f64 v[4:5], v[130:131], v[30:31]
	v_fma_f64 v[4:5], v[128:129], v[28:29], -v[4:5]
	v_add_f64 v[0:1], v[0:1], v[4:5]
	v_mul_f64 v[4:5], v[134:135], v[34:35]
	v_fma_f64 v[4:5], v[132:133], v[32:33], -v[4:5]
	v_add_f64 v[0:1], v[0:1], v[4:5]
	v_mul_f64 v[4:5], v[138:139], v[38:39]
	v_fma_f64 v[4:5], v[136:137], v[36:37], -v[4:5]
	v_add_f64 v[0:1], v[0:1], v[4:5]
	v_mul_f64 v[4:5], v[142:143], v[42:43]
	v_fma_f64 v[4:5], v[140:141], v[40:41], -v[4:5]
	v_add_f64 v[0:1], v[0:1], v[4:5]
	v_mul_f64 v[4:5], v[146:147], v[46:47]
	v_fma_f64 v[4:5], v[144:145], v[44:45], -v[4:5]
	v_add_f64 v[0:1], v[0:1], v[4:5]
	v_mul_f64 v[4:5], v[150:151], v[50:51]
	v_fma_f64 v[4:5], v[148:149], v[48:49], -v[4:5]
	v_add_f64 v[0:1], v[0:1], v[4:5]
	v_mul_f64 v[4:5], v[154:155], v[54:55]
	v_fma_f64 v[4:5], v[152:153], v[52:53], -v[4:5]
	v_add_f64 v[0:1], v[0:1], v[4:5]
	v_mul_f64 v[4:5], v[158:159], v[58:59]
	v_fma_f64 v[4:5], v[156:157], v[56:57], -v[4:5]
	v_add_f64 v[0:1], v[0:1], v[4:5]
	v_mul_f64 v[4:5], v[162:163], v[62:63]
	v_fma_f64 v[4:5], v[160:161], v[60:61], -v[4:5]
	v_add_f64 v[0:1], v[0:1], v[4:5]
	v_mul_f64 v[4:5], v[166:167], v[66:67]
	v_fma_f64 v[4:5], v[164:165], v[64:65], -v[4:5]
	v_add_f64 v[0:1], v[0:1], v[4:5]
	v_mul_f64 v[4:5], v[170:171], v[70:71]
	v_fma_f64 v[4:5], v[168:169], v[68:69], -v[4:5]
	v_add_f64 v[0:1], v[0:1], v[4:5]
	v_mul_f64 v[4:5], v[174:175], v[74:75]
	v_fma_f64 v[4:5], v[172:173], v[72:73], -v[4:5]
	v_add_f64 v[0:1], v[0:1], v[4:5]
	v_mul_f64 v[4:5], v[178:179], v[78:79]
	v_fma_f64 v[4:5], v[176:177], v[76:77], -v[4:5]
	v_add_f64 v[0:1], v[0:1], v[4:5]
	v_mul_f64 v[4:5], v[182:183], v[82:83]
	v_fma_f64 v[4:5], v[180:181], v[80:81], -v[4:5]
	v_add_f64 v[0:1], v[0:1], v[4:5]
	v_mul_f64 v[4:5], v[186:187], v[90:91]
	v_fma_f64 v[4:5], v[184:185], v[88:89], -v[4:5]
	v_add_f64 v[0:1], v[0:1], v[4:5]
	v_mul_f64 v[4:5], v[190:191], v[86:87]
	v_fma_f64 v[4:5], v[188:189], v[84:85], -v[4:5]
	v_add_f64 v[0:1], v[0:1], v[4:5]
	v_mul_f64 v[4:5], v[194:195], v[98:99]
	v_fma_f64 v[4:5], v[192:193], v[96:97], -v[4:5]
	v_add_f64 v[0:1], v[0:1], v[4:5]
	v_mul_f64 v[4:5], v[198:199], v[94:95]
	v_fma_f64 v[4:5], v[196:197], v[92:93], -v[4:5]
	v_add_f64 v[0:1], v[0:1], v[4:5]
	v_mul_f64 v[4:5], v[202:203], v[114:115]
	v_fma_f64 v[4:5], v[200:201], v[112:113], -v[4:5]
	v_add_f64 v[0:1], v[0:1], v[4:5]
	v_mul_f64 v[4:5], v[210:211], v[206:207]
	v_fma_f64 v[4:5], v[208:209], v[204:205], -v[4:5]
	v_add_f64 v[0:1], v[0:1], v[4:5]
	v_mul_f64 v[4:5], v[218:219], v[214:215]
	v_fma_f64 v[4:5], v[216:217], v[212:213], -v[4:5]
	v_add_f64 v[0:1], v[0:1], v[4:5]
	v_mul_f64 v[4:5], v[226:227], v[222:223]
	v_fma_f64 v[4:5], v[224:225], v[220:221], -v[4:5]
	v_add_f64 v[0:1], v[0:1], v[4:5]
	s_waitcnt vmcnt(0)
	v_add_f64 v[4:5], v[228:229], -v[0:1]
	v_accvgpr_read_b32 v0, a102
	v_add_f64 v[6:7], v[230:231], -v[250:251]
	v_cmp_lt_u32_e32 vcc, 2, v0
	scratch_store_dwordx4 off, v[4:7], off offset:64
	s_and_saveexec_b64 s[0:1], vcc
	s_cbranch_execz .LBB50_315
; %bb.314:
	scratch_load_dwordx4 v[6:9], off, s65
	v_mov_b32_e32 v3, v2
	v_mov_b32_e32 v4, v2
	;; [unrolled: 1-line block ×3, first 2 shown]
	v_accvgpr_read_b32 v0, a103
	scratch_store_dwordx4 off, v[2:5], off offset:48
	s_waitcnt vmcnt(1)
	ds_write_b128 v0, v[6:9]
.LBB50_315:
	s_or_b64 exec, exec, s[0:1]
	s_waitcnt lgkmcnt(0)
	; wave barrier
	scratch_load_dwordx4 v[40:43], off, off offset:64
	scratch_load_dwordx4 v[44:47], off, off offset:80
	;; [unrolled: 1-line block ×18, first 2 shown]
	ds_read_b128 v[164:167], v2 offset:864
	ds_read_b128 v[232:235], v2 offset:880
	;; [unrolled: 1-line block ×6, first 2 shown]
	scratch_load_dwordx4 v[140:143], off, off offset:352
	ds_read_b128 v[224:227], v2 offset:960
	ds_read_b128 v[212:215], v2 offset:976
	;; [unrolled: 1-line block ×3, first 2 shown]
	scratch_load_dwordx4 v[4:7], off, off offset:368
	ds_read_b128 v[228:231], v2 offset:1008
	ds_read_b128 v[216:219], v2 offset:1024
	;; [unrolled: 1-line block ×5, first 2 shown]
	scratch_load_dwordx4 v[8:11], off, off offset:384
	ds_read_b128 v[208:211], v2 offset:1088
	ds_read_b128 v[196:199], v2 offset:1104
	;; [unrolled: 1-line block ×3, first 2 shown]
	scratch_load_dwordx4 v[12:15], off, off offset:400
	ds_read_b128 v[200:203], v2 offset:1136
	scratch_load_dwordx4 v[16:19], off, off offset:416
	scratch_load_dwordx4 v[20:23], off, off offset:432
	;; [unrolled: 1-line block ×7, first 2 shown]
	ds_read_b128 v[236:239], v2 offset:1152
	ds_read_b128 v[156:159], v2 offset:1216
	;; [unrolled: 1-line block ×4, first 2 shown]
	s_waitcnt vmcnt(28) lgkmcnt(14)
	v_mul_f64 v[0:1], v[164:165], v[42:43]
	s_waitcnt vmcnt(27)
	v_mul_f64 v[108:109], v[232:233], v[46:47]
	v_fmac_f64_e32 v[0:1], v[166:167], v[40:41]
	s_waitcnt vmcnt(26)
	v_mul_f64 v[110:111], v[168:169], v[50:51]
	v_fmac_f64_e32 v[108:109], v[234:235], v[44:45]
	v_add_f64 v[0:1], v[0:1], 0
	s_waitcnt vmcnt(25)
	v_mul_f64 v[116:117], v[220:221], v[54:55]
	v_fmac_f64_e32 v[110:111], v[170:171], v[48:49]
	v_add_f64 v[0:1], v[0:1], v[108:109]
	s_waitcnt vmcnt(24)
	v_mul_f64 v[118:119], v[172:173], v[58:59]
	v_fmac_f64_e32 v[116:117], v[222:223], v[52:53]
	v_add_f64 v[0:1], v[0:1], v[110:111]
	s_waitcnt vmcnt(23)
	v_mul_f64 v[120:121], v[176:177], v[62:63]
	v_fmac_f64_e32 v[118:119], v[174:175], v[56:57]
	v_add_f64 v[0:1], v[0:1], v[116:117]
	s_waitcnt vmcnt(22)
	v_mul_f64 v[122:123], v[224:225], v[66:67]
	v_fmac_f64_e32 v[120:121], v[178:179], v[60:61]
	v_add_f64 v[0:1], v[0:1], v[118:119]
	s_waitcnt vmcnt(21)
	v_mul_f64 v[124:125], v[212:213], v[70:71]
	v_fmac_f64_e32 v[122:123], v[226:227], v[64:65]
	v_add_f64 v[0:1], v[0:1], v[120:121]
	s_waitcnt vmcnt(20) lgkmcnt(13)
	v_mul_f64 v[126:127], v[180:181], v[78:79]
	v_fmac_f64_e32 v[124:125], v[214:215], v[68:69]
	v_add_f64 v[0:1], v[0:1], v[122:123]
	s_waitcnt vmcnt(19) lgkmcnt(12)
	v_mul_f64 v[128:129], v[228:229], v[82:83]
	v_fmac_f64_e32 v[126:127], v[182:183], v[76:77]
	v_add_f64 v[0:1], v[0:1], v[124:125]
	;; [unrolled: 4-line block ×9, first 2 shown]
	v_add_f64 v[0:1], v[0:1], v[148:149]
	v_fmac_f64_e32 v[150:151], v[186:187], v[112:113]
	s_waitcnt vmcnt(11) lgkmcnt(4)
	v_mul_f64 v[116:117], v[200:201], v[138:139]
	v_add_f64 v[0:1], v[0:1], v[150:151]
	v_fmac_f64_e32 v[116:117], v[202:203], v[136:137]
	v_add_f64 v[0:1], v[0:1], v[116:117]
	ds_read_b128 v[144:147], v2 offset:1168
	s_waitcnt vmcnt(10) lgkmcnt(4)
	v_mul_f64 v[116:117], v[236:237], v[142:143]
	scratch_load_dwordx4 v[108:111], off, off offset:528
	v_fmac_f64_e32 v[116:117], v[238:239], v[140:141]
	v_add_f64 v[0:1], v[0:1], v[116:117]
	scratch_load_dwordx4 v[116:119], off, off offset:544
	ds_read_b128 v[148:151], v2 offset:1184
	scratch_load_dwordx4 v[120:123], off, off offset:560
	s_waitcnt vmcnt(12) lgkmcnt(1)
	v_mul_f64 v[124:125], v[144:145], v[6:7]
	v_fmac_f64_e32 v[124:125], v[146:147], v[4:5]
	v_add_f64 v[0:1], v[0:1], v[124:125]
	s_waitcnt vmcnt(11) lgkmcnt(0)
	v_mul_f64 v[124:125], v[148:149], v[10:11]
	v_fmac_f64_e32 v[124:125], v[150:151], v[8:9]
	s_waitcnt vmcnt(10)
	v_mul_f64 v[128:129], v[152:153], v[14:15]
	v_add_f64 v[0:1], v[0:1], v[124:125]
	scratch_load_dwordx4 v[124:127], off, off offset:576
	v_fmac_f64_e32 v[128:129], v[154:155], v[12:13]
	v_add_f64 v[0:1], v[0:1], v[128:129]
	scratch_load_dwordx4 v[128:131], off, off offset:592
	s_waitcnt vmcnt(11)
	v_mul_f64 v[132:133], v[156:157], v[18:19]
	v_fmac_f64_e32 v[132:133], v[158:159], v[16:17]
	v_add_f64 v[0:1], v[0:1], v[132:133]
	scratch_load_dwordx4 v[132:135], off, off offset:608
	v_mul_f64 v[42:43], v[166:167], v[42:43]
	v_fma_f64 v[240:241], v[164:165], v[40:41], -v[42:43]
	scratch_load_dwordx4 v[40:43], off, off offset:624
	v_mul_f64 v[46:47], v[234:235], v[46:47]
	v_fma_f64 v[242:243], v[232:233], v[44:45], -v[46:47]
	;; [unrolled: 3-line block ×3, first 2 shown]
	v_mul_f64 v[48:49], v[222:223], v[54:55]
	v_fma_f64 v[250:251], v[220:221], v[52:53], -v[48:49]
	scratch_load_dwordx4 v[48:51], off, off offset:656
	scratch_load_dwordx4 v[52:55], off, off offset:672
	s_waitcnt vmcnt(15)
	v_mul_f64 v[164:165], v[160:161], v[22:23]
	v_fmac_f64_e32 v[164:165], v[162:163], v[20:21]
	v_add_f64 v[0:1], v[0:1], v[164:165]
	ds_read_b128 v[164:167], v2 offset:1248
	ds_read_b128 v[168:171], v2 offset:1264
	v_mul_f64 v[58:59], v[174:175], v[58:59]
	v_fma_f64 v[252:253], v[172:173], v[56:57], -v[58:59]
	ds_read_b128 v[172:175], v2 offset:1280
	v_mul_f64 v[56:57], v[178:179], v[62:63]
	v_fma_f64 v[254:255], v[176:177], v[60:61], -v[56:57]
	scratch_load_dwordx4 v[60:63], off, off offset:688
	scratch_load_dwordx4 v[56:59], off, off offset:704
	s_waitcnt vmcnt(16) lgkmcnt(2)
	v_mul_f64 v[232:233], v[164:165], v[34:35]
	v_fmac_f64_e32 v[232:233], v[166:167], v[32:33]
	s_waitcnt vmcnt(15) lgkmcnt(1)
	v_mul_f64 v[220:221], v[168:169], v[38:39]
	v_mul_f64 v[66:67], v[226:227], v[66:67]
	v_add_f64 v[0:1], v[0:1], v[232:233]
	v_fmac_f64_e32 v[220:221], v[170:171], v[36:37]
	v_fma_f64 v[246:247], v[224:225], v[64:65], -v[66:67]
	s_waitcnt vmcnt(14) lgkmcnt(0)
	v_mul_f64 v[64:65], v[172:173], v[30:31]
	v_add_f64 v[0:1], v[0:1], v[220:221]
	v_fmac_f64_e32 v[64:65], v[174:175], v[28:29]
	v_accvgpr_write_b32 a131, v23
	v_add_f64 v[0:1], v[0:1], v[64:65]
	v_mul_f64 v[64:65], v[214:215], v[70:71]
	v_accvgpr_write_b32 a130, v22
	v_accvgpr_write_b32 a129, v21
	;; [unrolled: 1-line block ×3, first 2 shown]
	ds_read_b128 v[176:179], v2 offset:1296
	v_fma_f64 v[20:21], v[212:213], v[68:69], -v[64:65]
	scratch_load_dwordx4 v[68:71], off, off offset:720
	scratch_load_dwordx4 v[64:67], off, off offset:736
	v_accvgpr_write_b32 a115, v7
	v_accvgpr_write_b32 a114, v6
	;; [unrolled: 1-line block ×5, first 2 shown]
	v_mul_f64 v[6:7], v[182:183], v[78:79]
	v_accvgpr_write_b32 a126, v18
	v_accvgpr_write_b32 a125, v17
	;; [unrolled: 1-line block ×3, first 2 shown]
	v_fma_f64 v[16:17], v[180:181], v[76:77], -v[6:7]
	s_waitcnt vmcnt(15) lgkmcnt(0)
	v_mul_f64 v[76:77], v[176:177], v[26:27]
	v_fmac_f64_e32 v[76:77], v[178:179], v[24:25]
	v_accvgpr_write_b32 a123, v15
	v_add_f64 v[0:1], v[0:1], v[76:77]
	v_mul_f64 v[76:77], v[230:231], v[82:83]
	v_accvgpr_write_b32 a122, v14
	v_accvgpr_write_b32 a121, v13
	;; [unrolled: 1-line block ×3, first 2 shown]
	v_fma_f64 v[12:13], v[228:229], v[80:81], -v[76:77]
	scratch_load_dwordx4 v[76:79], off, off offset:752
	scratch_load_dwordx4 v[232:235], off, off offset:816
	ds_read_b128 v[180:183], v2 offset:1312
	ds_read_b128 v[80:83], v2 offset:1328
	v_accvgpr_write_b32 a119, v11
	v_accvgpr_write_b32 a118, v10
	;; [unrolled: 1-line block ×4, first 2 shown]
	s_waitcnt vmcnt(16) lgkmcnt(1)
	v_mul_f64 v[10:11], v[180:181], v[74:75]
	v_fmac_f64_e32 v[10:11], v[182:183], v[72:73]
	v_add_f64 v[0:1], v[0:1], v[10:11]
	v_mul_f64 v[10:11], v[218:219], v[86:87]
	v_fma_f64 v[10:11], v[216:217], v[84:85], -v[10:11]
	ds_read_b128 v[84:87], v2 offset:1344
	v_mul_f64 v[90:91], v[190:191], v[90:91]
	v_fma_f64 v[8:9], v[188:189], v[88:89], -v[90:91]
	ds_read_b128 v[88:91], v2 offset:1360
	s_waitcnt vmcnt(15) lgkmcnt(2)
	v_mul_f64 v[212:213], v[80:81], v[110:111]
	v_fmac_f64_e32 v[212:213], v[82:83], v[108:109]
	s_waitcnt vmcnt(14) lgkmcnt(1)
	v_mul_f64 v[14:15], v[84:85], v[118:119]
	v_add_f64 v[0:1], v[0:1], v[212:213]
	v_fmac_f64_e32 v[14:15], v[86:87], v[116:117]
	v_add_f64 v[0:1], v[0:1], v[14:15]
	s_waitcnt vmcnt(13) lgkmcnt(0)
	v_mul_f64 v[14:15], v[88:89], v[122:123]
	v_fmac_f64_e32 v[14:15], v[90:91], v[120:121]
	ds_read_b128 v[188:191], v2 offset:1376
	v_add_f64 v[0:1], v[0:1], v[14:15]
	v_mul_f64 v[14:15], v[206:207], v[94:95]
	v_fma_f64 v[14:15], v[204:205], v[92:93], -v[14:15]
	ds_read_b128 v[92:95], v2 offset:1392
	v_mul_f64 v[98:99], v[194:195], v[98:99]
	v_fma_f64 v[6:7], v[192:193], v[96:97], -v[98:99]
	ds_read_b128 v[96:99], v2 offset:1408
	ds_read_b128 v[192:195], v2 offset:1424
	s_waitcnt vmcnt(12) lgkmcnt(3)
	v_mul_f64 v[204:205], v[188:189], v[126:127]
	v_fmac_f64_e32 v[204:205], v[190:191], v[124:125]
	s_waitcnt vmcnt(11) lgkmcnt(2)
	v_mul_f64 v[18:19], v[92:93], v[130:131]
	v_add_f64 v[0:1], v[0:1], v[204:205]
	v_fmac_f64_e32 v[18:19], v[94:95], v[128:129]
	v_add_f64 v[0:1], v[0:1], v[18:19]
	s_waitcnt vmcnt(10) lgkmcnt(1)
	v_mul_f64 v[18:19], v[96:97], v[134:135]
	v_fmac_f64_e32 v[18:19], v[98:99], v[132:133]
	v_add_f64 v[0:1], v[0:1], v[18:19]
	v_mul_f64 v[18:19], v[210:211], v[102:103]
	v_fma_f64 v[18:19], v[208:209], v[100:101], -v[18:19]
	ds_read_b128 v[100:103], v2 offset:1440
	v_mul_f64 v[106:107], v[198:199], v[106:107]
	v_fma_f64 v[4:5], v[196:197], v[104:105], -v[106:107]
	ds_read_b128 v[104:107], v2 offset:1456
	s_waitcnt vmcnt(9) lgkmcnt(2)
	v_mul_f64 v[204:205], v[192:193], v[42:43]
	v_fmac_f64_e32 v[204:205], v[194:195], v[40:41]
	s_waitcnt vmcnt(8) lgkmcnt(1)
	v_mul_f64 v[22:23], v[100:101], v[46:47]
	v_add_f64 v[0:1], v[0:1], v[204:205]
	v_fmac_f64_e32 v[22:23], v[102:103], v[44:45]
	v_add_f64 v[0:1], v[0:1], v[22:23]
	s_waitcnt vmcnt(7) lgkmcnt(0)
	v_mul_f64 v[22:23], v[104:105], v[50:51]
	ds_read_b128 v[196:199], v2 offset:1472
	v_fmac_f64_e32 v[22:23], v[106:107], v[48:49]
	v_add_f64 v[0:1], v[0:1], v[22:23]
	v_mul_f64 v[22:23], v[186:187], v[114:115]
	v_fma_f64 v[22:23], v[184:185], v[112:113], -v[22:23]
	ds_read_b128 v[112:115], v2 offset:1488
	s_waitcnt vmcnt(6) lgkmcnt(1)
	v_mul_f64 v[184:185], v[196:197], v[54:55]
	v_fmac_f64_e32 v[184:185], v[198:199], v[52:53]
	v_add_f64 v[184:185], v[0:1], v[184:185]
	v_mul_f64 v[0:1], v[202:203], v[138:139]
	v_fma_f64 v[0:1], v[200:201], v[136:137], -v[0:1]
	ds_read_b128 v[136:139], v2 offset:1504
	s_waitcnt vmcnt(5) lgkmcnt(1)
	v_mul_f64 v[186:187], v[112:113], v[62:63]
	v_fmac_f64_e32 v[186:187], v[114:115], v[60:61]
	v_add_f64 v[200:201], v[184:185], v[186:187]
	ds_read_b128 v[184:187], v2 offset:1520
	v_mul_f64 v[142:143], v[238:239], v[142:143]
	v_fma_f64 v[248:249], v[236:237], v[140:141], -v[142:143]
	ds_read_b128 v[140:143], v2 offset:1536
	ds_read_b128 v[208:211], v2 offset:1568
	s_waitcnt vmcnt(4) lgkmcnt(3)
	v_mul_f64 v[202:203], v[136:137], v[58:59]
	v_fmac_f64_e32 v[202:203], v[138:139], v[56:57]
	v_add_f64 v[200:201], v[200:201], v[202:203]
	s_waitcnt vmcnt(3) lgkmcnt(2)
	v_mul_f64 v[202:203], v[184:185], v[70:71]
	v_fmac_f64_e32 v[202:203], v[186:187], v[68:69]
	v_add_f64 v[200:201], v[200:201], v[202:203]
	;; [unrolled: 4-line block ×3, first 2 shown]
	ds_read_b128 v[200:203], v2 offset:1552
	ds_read_b128 v[216:219], v2 offset:1584
	;; [unrolled: 1-line block ×3, first 2 shown]
	s_waitcnt vmcnt(1) lgkmcnt(2)
	v_mul_f64 v[206:207], v[200:201], v[78:79]
	v_fmac_f64_e32 v[206:207], v[202:203], v[76:77]
	v_add_f64 v[212:213], v[204:205], v[206:207]
	scratch_load_dwordx4 v[204:207], off, off offset:768
	s_waitcnt vmcnt(0)
	v_mul_f64 v[214:215], v[208:209], v[206:207]
	v_fmac_f64_e32 v[214:215], v[210:211], v[204:205]
	v_add_f64 v[220:221], v[212:213], v[214:215]
	scratch_load_dwordx4 v[212:215], off, off offset:784
	s_waitcnt vmcnt(0) lgkmcnt(1)
	v_mul_f64 v[222:223], v[216:217], v[214:215]
	v_fmac_f64_e32 v[222:223], v[218:219], v[212:213]
	v_add_f64 v[228:229], v[220:221], v[222:223]
	scratch_load_dwordx4 v[220:223], off, off offset:800
	s_waitcnt vmcnt(0) lgkmcnt(0)
	v_mul_f64 v[230:231], v[224:225], v[222:223]
	v_fmac_f64_e32 v[230:231], v[226:227], v[220:221]
	v_add_f64 v[236:237], v[228:229], v[230:231]
	ds_read_b128 v[228:231], v2 offset:1616
	s_waitcnt lgkmcnt(0)
	v_mul_f64 v[2:3], v[228:229], v[234:235]
	v_fmac_f64_e32 v[2:3], v[230:231], v[232:233]
	v_add_f64 v[2:3], v[236:237], v[2:3]
	v_add_f64 v[236:237], v[240:241], 0
	;; [unrolled: 1-line block ×9, first 2 shown]
	scratch_load_dwordx4 v[236:239], off, off offset:48
	v_add_f64 v[16:17], v[20:21], v[16:17]
	v_add_f64 v[12:13], v[16:17], v[12:13]
	;; [unrolled: 1-line block ×8, first 2 shown]
	v_accvgpr_read_b32 v6, a112
	v_accvgpr_read_b32 v8, a114
	;; [unrolled: 1-line block ×3, first 2 shown]
	v_add_f64 v[250:251], v[4:5], v[22:23]
	v_accvgpr_read_b32 v7, a113
	v_mul_f64 v[4:5], v[146:147], v[8:9]
	v_add_f64 v[0:1], v[250:251], v[0:1]
	v_fma_f64 v[4:5], v[144:145], v[6:7], -v[4:5]
	v_accvgpr_read_b32 v6, a116
	v_add_f64 v[0:1], v[0:1], v[248:249]
	v_accvgpr_read_b32 v8, a118
	v_accvgpr_read_b32 v9, a119
	v_add_f64 v[0:1], v[0:1], v[4:5]
	v_accvgpr_read_b32 v7, a117
	v_mul_f64 v[4:5], v[150:151], v[8:9]
	v_fma_f64 v[4:5], v[148:149], v[6:7], -v[4:5]
	v_accvgpr_read_b32 v6, a120
	v_accvgpr_read_b32 v8, a122
	v_accvgpr_read_b32 v9, a123
	v_add_f64 v[0:1], v[0:1], v[4:5]
	v_accvgpr_read_b32 v7, a121
	v_mul_f64 v[4:5], v[154:155], v[8:9]
	v_fma_f64 v[4:5], v[152:153], v[6:7], -v[4:5]
	v_accvgpr_read_b32 v6, a124
	;; [unrolled: 7-line block ×3, first 2 shown]
	v_accvgpr_read_b32 v8, a130
	v_accvgpr_read_b32 v9, a131
	v_add_f64 v[0:1], v[0:1], v[4:5]
	v_accvgpr_read_b32 v7, a129
	v_mul_f64 v[4:5], v[162:163], v[8:9]
	v_fma_f64 v[4:5], v[160:161], v[6:7], -v[4:5]
	v_add_f64 v[0:1], v[0:1], v[4:5]
	v_mul_f64 v[4:5], v[166:167], v[34:35]
	v_fma_f64 v[4:5], v[164:165], v[32:33], -v[4:5]
	v_add_f64 v[0:1], v[0:1], v[4:5]
	v_mul_f64 v[4:5], v[170:171], v[38:39]
	v_fma_f64 v[4:5], v[168:169], v[36:37], -v[4:5]
	v_add_f64 v[0:1], v[0:1], v[4:5]
	v_mul_f64 v[4:5], v[174:175], v[30:31]
	v_fma_f64 v[4:5], v[172:173], v[28:29], -v[4:5]
	v_add_f64 v[0:1], v[0:1], v[4:5]
	v_mul_f64 v[4:5], v[178:179], v[26:27]
	v_fma_f64 v[4:5], v[176:177], v[24:25], -v[4:5]
	v_add_f64 v[0:1], v[0:1], v[4:5]
	v_mul_f64 v[4:5], v[182:183], v[74:75]
	v_fma_f64 v[4:5], v[180:181], v[72:73], -v[4:5]
	v_add_f64 v[0:1], v[0:1], v[4:5]
	v_mul_f64 v[4:5], v[82:83], v[110:111]
	v_fma_f64 v[4:5], v[80:81], v[108:109], -v[4:5]
	v_add_f64 v[0:1], v[0:1], v[4:5]
	v_mul_f64 v[4:5], v[86:87], v[118:119]
	v_fma_f64 v[4:5], v[84:85], v[116:117], -v[4:5]
	v_add_f64 v[0:1], v[0:1], v[4:5]
	v_mul_f64 v[4:5], v[90:91], v[122:123]
	v_fma_f64 v[4:5], v[88:89], v[120:121], -v[4:5]
	v_add_f64 v[0:1], v[0:1], v[4:5]
	v_mul_f64 v[4:5], v[190:191], v[126:127]
	v_fma_f64 v[4:5], v[188:189], v[124:125], -v[4:5]
	v_add_f64 v[0:1], v[0:1], v[4:5]
	v_mul_f64 v[4:5], v[94:95], v[130:131]
	v_fma_f64 v[4:5], v[92:93], v[128:129], -v[4:5]
	v_add_f64 v[0:1], v[0:1], v[4:5]
	v_mul_f64 v[4:5], v[98:99], v[134:135]
	v_fma_f64 v[4:5], v[96:97], v[132:133], -v[4:5]
	v_add_f64 v[0:1], v[0:1], v[4:5]
	v_mul_f64 v[4:5], v[194:195], v[42:43]
	v_fma_f64 v[4:5], v[192:193], v[40:41], -v[4:5]
	v_add_f64 v[0:1], v[0:1], v[4:5]
	v_mul_f64 v[4:5], v[102:103], v[46:47]
	v_fma_f64 v[4:5], v[100:101], v[44:45], -v[4:5]
	v_add_f64 v[0:1], v[0:1], v[4:5]
	v_mul_f64 v[4:5], v[106:107], v[50:51]
	v_fma_f64 v[4:5], v[104:105], v[48:49], -v[4:5]
	v_add_f64 v[0:1], v[0:1], v[4:5]
	v_mul_f64 v[4:5], v[198:199], v[54:55]
	v_fma_f64 v[4:5], v[196:197], v[52:53], -v[4:5]
	v_add_f64 v[0:1], v[0:1], v[4:5]
	v_mul_f64 v[4:5], v[114:115], v[62:63]
	v_fma_f64 v[4:5], v[112:113], v[60:61], -v[4:5]
	v_add_f64 v[0:1], v[0:1], v[4:5]
	v_mul_f64 v[4:5], v[138:139], v[58:59]
	v_fma_f64 v[4:5], v[136:137], v[56:57], -v[4:5]
	v_add_f64 v[0:1], v[0:1], v[4:5]
	v_mul_f64 v[4:5], v[186:187], v[70:71]
	v_fma_f64 v[4:5], v[184:185], v[68:69], -v[4:5]
	v_add_f64 v[0:1], v[0:1], v[4:5]
	v_mul_f64 v[4:5], v[142:143], v[66:67]
	v_fma_f64 v[4:5], v[140:141], v[64:65], -v[4:5]
	v_add_f64 v[0:1], v[0:1], v[4:5]
	v_mul_f64 v[4:5], v[202:203], v[78:79]
	v_fma_f64 v[4:5], v[200:201], v[76:77], -v[4:5]
	v_add_f64 v[0:1], v[0:1], v[4:5]
	v_mul_f64 v[4:5], v[210:211], v[206:207]
	v_fma_f64 v[4:5], v[208:209], v[204:205], -v[4:5]
	v_add_f64 v[0:1], v[0:1], v[4:5]
	v_mul_f64 v[4:5], v[218:219], v[214:215]
	v_fma_f64 v[4:5], v[216:217], v[212:213], -v[4:5]
	v_add_f64 v[0:1], v[0:1], v[4:5]
	v_mul_f64 v[4:5], v[226:227], v[222:223]
	v_fma_f64 v[4:5], v[224:225], v[220:221], -v[4:5]
	v_add_f64 v[0:1], v[0:1], v[4:5]
	v_mul_f64 v[4:5], v[230:231], v[234:235]
	v_fma_f64 v[4:5], v[228:229], v[232:233], -v[4:5]
	v_add_f64 v[0:1], v[0:1], v[4:5]
	s_waitcnt vmcnt(0)
	v_add_f64 v[4:5], v[236:237], -v[0:1]
	v_accvgpr_read_b32 v0, a102
	v_add_f64 v[6:7], v[238:239], -v[2:3]
	v_cmp_lt_u32_e32 vcc, 1, v0
	scratch_store_dwordx4 off, v[4:7], off offset:48
	s_and_saveexec_b64 s[0:1], vcc
	s_cbranch_execz .LBB50_317
; %bb.316:
	scratch_load_dwordx4 v[2:5], off, s66
	v_mov_b32_e32 v6, 0
	v_mov_b32_e32 v7, v6
	;; [unrolled: 1-line block ×4, first 2 shown]
	v_accvgpr_read_b32 v0, a103
	scratch_store_dwordx4 off, v[6:9], off offset:32
	s_waitcnt vmcnt(1)
	ds_write_b128 v0, v[2:5]
.LBB50_317:
	s_or_b64 exec, exec, s[0:1]
	s_waitcnt lgkmcnt(0)
	; wave barrier
	scratch_load_dwordx4 v[56:59], off, off offset:48
	scratch_load_dwordx4 v[60:63], off, off offset:64
	;; [unrolled: 1-line block ×28, first 2 shown]
	v_mov_b32_e32 v2, 0
	ds_read_b128 v[116:119], v2 offset:848
	ds_read_b128 v[120:123], v2 offset:864
	;; [unrolled: 1-line block ×22, first 2 shown]
	s_waitcnt vmcnt(27) lgkmcnt(14)
	v_mul_f64 v[0:1], v[116:117], v[58:59]
	s_waitcnt vmcnt(26)
	v_mul_f64 v[32:33], v[120:121], v[62:63]
	v_fmac_f64_e32 v[0:1], v[118:119], v[56:57]
	s_waitcnt vmcnt(25)
	v_mul_f64 v[34:35], v[124:125], v[66:67]
	v_fmac_f64_e32 v[32:33], v[122:123], v[60:61]
	v_add_f64 v[0:1], v[0:1], 0
	v_fmac_f64_e32 v[34:35], v[126:127], v[64:65]
	v_add_f64 v[0:1], v[0:1], v[32:33]
	v_add_f64 v[0:1], v[0:1], v[34:35]
	scratch_load_dwordx4 v[32:35], off, off offset:496
	s_waitcnt vmcnt(25)
	v_mul_f64 v[36:37], v[128:129], v[70:71]
	s_waitcnt vmcnt(24)
	v_mul_f64 v[38:39], v[132:133], v[74:75]
	v_fmac_f64_e32 v[36:37], v[130:131], v[68:69]
	s_waitcnt vmcnt(23)
	v_mul_f64 v[40:41], v[140:141], v[78:79]
	v_fmac_f64_e32 v[38:39], v[134:135], v[72:73]
	v_add_f64 v[0:1], v[0:1], v[36:37]
	s_waitcnt vmcnt(22)
	v_mul_f64 v[42:43], v[152:153], v[82:83]
	v_fmac_f64_e32 v[40:41], v[142:143], v[76:77]
	v_add_f64 v[0:1], v[0:1], v[38:39]
	;; [unrolled: 4-line block ×3, first 2 shown]
	s_waitcnt vmcnt(20) lgkmcnt(13)
	v_mul_f64 v[46:47], v[176:177], v[94:95]
	v_fmac_f64_e32 v[44:45], v[166:167], v[84:85]
	v_add_f64 v[0:1], v[0:1], v[42:43]
	s_waitcnt vmcnt(19) lgkmcnt(12)
	v_mul_f64 v[48:49], v[188:189], v[98:99]
	v_fmac_f64_e32 v[46:47], v[178:179], v[92:93]
	v_add_f64 v[0:1], v[0:1], v[44:45]
	;; [unrolled: 4-line block ×9, first 2 shown]
	v_add_f64 v[0:1], v[0:1], v[104:105]
	v_fmac_f64_e32 v[106:107], v[222:223], v[168:169]
	s_waitcnt vmcnt(11) lgkmcnt(4)
	v_mul_f64 v[40:41], v[224:225], v[174:175]
	v_add_f64 v[0:1], v[0:1], v[106:107]
	v_fmac_f64_e32 v[40:41], v[226:227], v[172:173]
	scratch_load_dwordx4 v[36:39], off, off offset:512
	v_add_f64 v[0:1], v[0:1], v[40:41]
	s_waitcnt vmcnt(11) lgkmcnt(3)
	v_mul_f64 v[40:41], v[228:229], v[182:183]
	v_fmac_f64_e32 v[40:41], v[230:231], v[180:181]
	s_waitcnt vmcnt(10) lgkmcnt(2)
	v_mul_f64 v[44:45], v[246:247], v[186:187]
	v_add_f64 v[0:1], v[0:1], v[40:41]
	v_fmac_f64_e32 v[44:45], v[248:249], v[184:185]
	scratch_load_dwordx4 v[40:43], off, off offset:528
	ds_read_b128 v[88:91], v2 offset:1184
	v_add_f64 v[0:1], v[0:1], v[44:45]
	s_waitcnt vmcnt(10) lgkmcnt(2)
	v_mul_f64 v[44:45], v[250:251], v[194:195]
	v_fmac_f64_e32 v[44:45], v[252:253], v[192:193]
	v_add_f64 v[0:1], v[0:1], v[44:45]
	scratch_load_dwordx4 v[44:47], off, off offset:544
	ds_read_b128 v[104:107], v2 offset:1200
	s_waitcnt vmcnt(10) lgkmcnt(1)
	v_mul_f64 v[48:49], v[88:89], v[6:7]
	v_accvgpr_write_b32 a107, v7
	v_fmac_f64_e32 v[48:49], v[90:91], v[4:5]
	v_accvgpr_write_b32 a106, v6
	v_accvgpr_write_b32 a105, v5
	v_accvgpr_write_b32 a104, v4
	s_waitcnt vmcnt(9)
	v_mov_b64_e32 v[4:5], v[8:9]
	v_add_f64 v[0:1], v[0:1], v[48:49]
	scratch_load_dwordx4 v[48:51], off, off offset:560
	v_mov_b64_e32 v[6:7], v[10:11]
	s_waitcnt lgkmcnt(0)
	v_mul_f64 v[52:53], v[104:105], v[6:7]
	v_fmac_f64_e32 v[52:53], v[106:107], v[4:5]
	v_add_f64 v[0:1], v[0:1], v[52:53]
	scratch_load_dwordx4 v[52:55], off, off offset:576
	v_mul_f64 v[58:59], v[118:119], v[58:59]
	s_waitcnt vmcnt(10)
	v_mov_b64_e32 v[4:5], v[12:13]
	v_fma_f64 v[240:241], v[116:117], v[56:57], -v[58:59]
	scratch_load_dwordx4 v[56:59], off, off offset:592
	v_mov_b64_e32 v[6:7], v[14:15]
	v_mul_f64 v[112:113], v[108:109], v[6:7]
	v_fmac_f64_e32 v[112:113], v[110:111], v[4:5]
	v_add_f64 v[0:1], v[0:1], v[112:113]
	ds_read_b128 v[112:115], v2 offset:1232
	ds_read_b128 v[116:119], v2 offset:1248
	v_mul_f64 v[62:63], v[122:123], v[62:63]
	v_fma_f64 v[242:243], v[120:121], v[60:61], -v[62:63]
	scratch_load_dwordx4 v[60:63], off, off offset:608
	s_waitcnt vmcnt(11)
	v_mov_b64_e32 v[4:5], v[16:17]
	v_mul_f64 v[66:67], v[126:127], v[66:67]
	v_mov_b64_e32 v[6:7], v[18:19]
	v_fma_f64 v[244:245], v[124:125], v[64:65], -v[66:67]
	scratch_load_dwordx4 v[64:67], off, off offset:624
	s_waitcnt lgkmcnt(1)
	v_mul_f64 v[120:121], v[112:113], v[6:7]
	v_fmac_f64_e32 v[120:121], v[114:115], v[4:5]
	s_waitcnt vmcnt(11)
	v_mov_b64_e32 v[4:5], v[20:21]
	v_mov_b64_e32 v[6:7], v[22:23]
	v_add_f64 v[0:1], v[0:1], v[120:121]
	s_waitcnt lgkmcnt(0)
	v_mul_f64 v[120:121], v[116:117], v[6:7]
	v_fmac_f64_e32 v[120:121], v[118:119], v[4:5]
	v_mul_f64 v[70:71], v[130:131], v[70:71]
	v_add_f64 v[0:1], v[0:1], v[120:121]
	v_fma_f64 v[254:255], v[128:129], v[68:69], -v[70:71]
	scratch_load_dwordx4 v[68:71], off, off offset:640
	ds_read_b128 v[120:123], v2 offset:1264
	ds_read_b128 v[124:127], v2 offset:1280
	v_mul_f64 v[74:75], v[134:135], v[74:75]
	v_accvgpr_write_b32 a111, v11
	v_fma_f64 v[232:233], v[132:133], v[72:73], -v[74:75]
	scratch_load_dwordx4 v[72:75], off, off offset:656
	v_accvgpr_write_b32 a110, v10
	v_accvgpr_write_b32 a109, v9
	;; [unrolled: 1-line block ×3, first 2 shown]
	v_mul_f64 v[78:79], v[142:143], v[78:79]
	s_waitcnt vmcnt(12)
	v_mov_b64_e32 v[8:9], v[24:25]
	v_fma_f64 v[28:29], v[140:141], v[76:77], -v[78:79]
	v_mov_b64_e32 v[10:11], v[26:27]
	scratch_load_dwordx4 v[76:79], off, off offset:672
	s_waitcnt lgkmcnt(1)
	v_mul_f64 v[6:7], v[120:121], v[10:11]
	v_fmac_f64_e32 v[6:7], v[122:123], v[8:9]
	v_accvgpr_write_b32 a127, v27
	v_add_f64 v[0:1], v[0:1], v[6:7]
	v_mul_f64 v[6:7], v[154:155], v[82:83]
	v_accvgpr_write_b32 a126, v26
	v_accvgpr_write_b32 a125, v25
	v_accvgpr_write_b32 a124, v24
	v_fma_f64 v[24:25], v[152:153], v[80:81], -v[6:7]
	s_waitcnt vmcnt(12) lgkmcnt(0)
	v_mul_f64 v[6:7], v[124:125], v[236:237]
	v_fmac_f64_e32 v[6:7], v[126:127], v[234:235]
	scratch_load_dwordx4 v[80:83], off, off offset:688
	v_accvgpr_write_b32 a123, v23
	v_add_f64 v[0:1], v[0:1], v[6:7]
	v_mul_f64 v[6:7], v[166:167], v[86:87]
	v_accvgpr_write_b32 a122, v22
	v_accvgpr_write_b32 a121, v21
	v_accvgpr_write_b32 a120, v20
	v_fma_f64 v[20:21], v[164:165], v[84:85], -v[6:7]
	scratch_load_dwordx4 v[84:87], off, off offset:704
	ds_read_b128 v[132:135], v2 offset:1296
	ds_read_b128 v[128:131], v2 offset:1312
	v_accvgpr_write_b32 a119, v19
	v_mul_f64 v[6:7], v[178:179], v[94:95]
	v_accvgpr_write_b32 a115, v15
	v_accvgpr_write_b32 a118, v18
	;; [unrolled: 1-line block ×4, first 2 shown]
	v_fma_f64 v[16:17], v[176:177], v[92:93], -v[6:7]
	v_mul_f64 v[6:7], v[190:191], v[98:99]
	v_accvgpr_write_b32 a114, v14
	v_accvgpr_write_b32 a113, v13
	;; [unrolled: 1-line block ×3, first 2 shown]
	v_fma_f64 v[14:15], v[188:189], v[96:97], -v[6:7]
	scratch_load_dwordx4 v[96:99], off, off offset:720
	scratch_load_dwordx4 v[92:95], off, off offset:736
	s_waitcnt vmcnt(15) lgkmcnt(1)
	v_mul_f64 v[6:7], v[132:133], v[34:35]
	v_fmac_f64_e32 v[6:7], v[134:135], v[32:33]
	v_add_f64 v[0:1], v[0:1], v[6:7]
	v_mul_f64 v[6:7], v[198:199], v[102:103]
	v_fma_f64 v[12:13], v[196:197], v[100:101], -v[6:7]
	scratch_load_dwordx4 v[100:103], off, off offset:752
	v_mul_f64 v[6:7], v[202:203], v[138:139]
	v_fma_f64 v[18:19], v[200:201], v[136:137], -v[6:7]
	ds_read_b128 v[136:139], v2 offset:1328
	ds_read_b128 v[140:143], v2 offset:1344
	s_waitcnt vmcnt(15) lgkmcnt(2)
	v_mul_f64 v[6:7], v[128:129], v[38:39]
	v_fmac_f64_e32 v[6:7], v[130:131], v[36:37]
	v_add_f64 v[0:1], v[0:1], v[6:7]
	s_waitcnt vmcnt(14) lgkmcnt(1)
	v_mul_f64 v[6:7], v[136:137], v[42:43]
	v_fmac_f64_e32 v[6:7], v[138:139], v[40:41]
	v_add_f64 v[0:1], v[0:1], v[6:7]
	v_mul_f64 v[6:7], v[206:207], v[146:147]
	v_fma_f64 v[10:11], v[204:205], v[144:145], -v[6:7]
	ds_read_b128 v[144:147], v2 offset:1360
	s_waitcnt vmcnt(13) lgkmcnt(1)
	v_mul_f64 v[6:7], v[140:141], v[46:47]
	v_fmac_f64_e32 v[6:7], v[142:143], v[44:45]
	v_add_f64 v[0:1], v[0:1], v[6:7]
	v_mul_f64 v[6:7], v[210:211], v[150:151]
	v_fma_f64 v[22:23], v[208:209], v[148:149], -v[6:7]
	ds_read_b128 v[148:151], v2 offset:1376
	s_waitcnt vmcnt(12) lgkmcnt(1)
	v_mul_f64 v[6:7], v[144:145], v[50:51]
	ds_read_b128 v[152:155], v2 offset:1392
	v_fmac_f64_e32 v[6:7], v[146:147], v[48:49]
	v_add_f64 v[0:1], v[0:1], v[6:7]
	v_mul_f64 v[6:7], v[214:215], v[158:159]
	v_fma_f64 v[8:9], v[212:213], v[156:157], -v[6:7]
	s_waitcnt vmcnt(11) lgkmcnt(1)
	v_mul_f64 v[6:7], v[148:149], v[54:55]
	v_fmac_f64_e32 v[6:7], v[150:151], v[52:53]
	ds_read_b128 v[156:159], v2 offset:1408
	v_add_f64 v[0:1], v[0:1], v[6:7]
	s_waitcnt vmcnt(10) lgkmcnt(1)
	v_mul_f64 v[6:7], v[152:153], v[58:59]
	v_fmac_f64_e32 v[6:7], v[154:155], v[56:57]
	v_add_f64 v[0:1], v[0:1], v[6:7]
	v_mul_f64 v[6:7], v[218:219], v[162:163]
	v_fma_f64 v[26:27], v[216:217], v[160:161], -v[6:7]
	ds_read_b128 v[160:163], v2 offset:1424
	ds_read_b128 v[164:167], v2 offset:1440
	s_waitcnt vmcnt(9) lgkmcnt(2)
	v_mul_f64 v[6:7], v[156:157], v[62:63]
	v_fmac_f64_e32 v[6:7], v[158:159], v[60:61]
	v_add_f64 v[0:1], v[0:1], v[6:7]
	s_waitcnt vmcnt(8) lgkmcnt(1)
	v_mul_f64 v[6:7], v[160:161], v[66:67]
	v_fmac_f64_e32 v[6:7], v[162:163], v[64:65]
	v_add_f64 v[0:1], v[0:1], v[6:7]
	v_mul_f64 v[6:7], v[222:223], v[170:171]
	v_fma_f64 v[4:5], v[220:221], v[168:169], -v[6:7]
	ds_read_b128 v[168:171], v2 offset:1456
	v_mul_f64 v[6:7], v[226:227], v[174:175]
	v_fma_f64 v[6:7], v[224:225], v[172:173], -v[6:7]
	ds_read_b128 v[172:175], v2 offset:1472
	s_waitcnt vmcnt(7) lgkmcnt(2)
	v_mul_f64 v[30:31], v[164:165], v[70:71]
	v_fmac_f64_e32 v[30:31], v[166:167], v[68:69]
	v_add_f64 v[0:1], v[0:1], v[30:31]
	s_waitcnt vmcnt(6) lgkmcnt(1)
	v_mul_f64 v[30:31], v[168:169], v[74:75]
	v_fmac_f64_e32 v[30:31], v[170:171], v[72:73]
	v_add_f64 v[0:1], v[0:1], v[30:31]
	s_waitcnt vmcnt(5) lgkmcnt(0)
	v_mul_f64 v[30:31], v[172:173], v[78:79]
	ds_read_b128 v[176:179], v2 offset:1488
	v_fmac_f64_e32 v[30:31], v[174:175], v[76:77]
	v_add_f64 v[30:31], v[0:1], v[30:31]
	v_mul_f64 v[0:1], v[230:231], v[182:183]
	v_fma_f64 v[0:1], v[228:229], v[180:181], -v[0:1]
	ds_read_b128 v[180:183], v2 offset:1504
	v_mul_f64 v[186:187], v[248:249], v[186:187]
	s_waitcnt vmcnt(4) lgkmcnt(1)
	v_mul_f64 v[188:189], v[176:177], v[82:83]
	v_fma_f64 v[238:239], v[246:247], v[184:185], -v[186:187]
	ds_read_b128 v[184:187], v2 offset:1520
	v_fmac_f64_e32 v[188:189], v[178:179], v[80:81]
	v_add_f64 v[30:31], v[30:31], v[188:189]
	ds_read_b128 v[188:191], v2 offset:1536
	s_waitcnt vmcnt(3) lgkmcnt(2)
	v_mul_f64 v[196:197], v[180:181], v[86:87]
	v_mul_f64 v[194:195], v[252:253], v[194:195]
	v_fmac_f64_e32 v[196:197], v[182:183], v[84:85]
	v_fma_f64 v[246:247], v[250:251], v[192:193], -v[194:195]
	ds_read_b128 v[192:195], v2 offset:1552
	ds_read_b128 v[200:203], v2 offset:1568
	v_add_f64 v[30:31], v[30:31], v[196:197]
	s_waitcnt vmcnt(2) lgkmcnt(3)
	v_mul_f64 v[196:197], v[184:185], v[98:99]
	v_fmac_f64_e32 v[196:197], v[186:187], v[96:97]
	v_add_f64 v[30:31], v[30:31], v[196:197]
	s_waitcnt vmcnt(1) lgkmcnt(2)
	v_mul_f64 v[196:197], v[188:189], v[94:95]
	v_fmac_f64_e32 v[196:197], v[190:191], v[92:93]
	;; [unrolled: 4-line block ×3, first 2 shown]
	v_add_f64 v[30:31], v[30:31], v[196:197]
	scratch_load_dwordx4 v[196:199], off, off offset:768
	ds_read_b128 v[208:211], v2 offset:1584
	ds_read_b128 v[216:219], v2 offset:1600
	;; [unrolled: 1-line block ×3, first 2 shown]
	s_waitcnt vmcnt(0) lgkmcnt(3)
	v_mul_f64 v[204:205], v[200:201], v[198:199]
	v_fmac_f64_e32 v[204:205], v[202:203], v[196:197]
	v_add_f64 v[30:31], v[30:31], v[204:205]
	scratch_load_dwordx4 v[204:207], off, off offset:784
	s_waitcnt vmcnt(0) lgkmcnt(2)
	v_mul_f64 v[212:213], v[208:209], v[206:207]
	v_fmac_f64_e32 v[212:213], v[210:211], v[204:205]
	v_add_f64 v[30:31], v[30:31], v[212:213]
	scratch_load_dwordx4 v[212:215], off, off offset:800
	;; [unrolled: 5-line block ×3, first 2 shown]
	s_waitcnt vmcnt(0) lgkmcnt(0)
	v_mul_f64 v[228:229], v[224:225], v[222:223]
	v_fmac_f64_e32 v[228:229], v[226:227], v[220:221]
	v_add_f64 v[250:251], v[30:31], v[228:229]
	v_add_f64 v[30:31], v[240:241], 0
	;; [unrolled: 1-line block ×3, first 2 shown]
	scratch_load_dwordx4 v[228:231], off, off offset:32
	v_add_f64 v[30:31], v[30:31], v[244:245]
	v_add_f64 v[30:31], v[30:31], v[254:255]
	v_add_f64 v[30:31], v[30:31], v[232:233]
	v_add_f64 v[28:29], v[30:31], v[28:29]
	v_add_f64 v[24:25], v[28:29], v[24:25]
	v_add_f64 v[20:21], v[24:25], v[20:21]
	v_add_f64 v[16:17], v[20:21], v[16:17]
	v_add_f64 v[14:15], v[16:17], v[14:15]
	v_add_f64 v[12:13], v[14:15], v[12:13]
	v_add_f64 v[12:13], v[12:13], v[18:19]
	v_add_f64 v[10:11], v[12:13], v[10:11]
	v_add_f64 v[10:11], v[10:11], v[22:23]
	v_add_f64 v[8:9], v[10:11], v[8:9]
	v_add_f64 v[8:9], v[8:9], v[26:27]
	v_add_f64 v[248:249], v[8:9], v[4:5]
	v_add_f64 v[4:5], v[248:249], v[6:7]
	v_accvgpr_read_b32 v6, a104
	v_accvgpr_read_b32 v8, a106
	;; [unrolled: 1-line block ×3, first 2 shown]
	v_add_f64 v[0:1], v[4:5], v[0:1]
	v_accvgpr_read_b32 v7, a105
	v_mul_f64 v[4:5], v[90:91], v[8:9]
	v_add_f64 v[0:1], v[0:1], v[238:239]
	v_fma_f64 v[4:5], v[88:89], v[6:7], -v[4:5]
	v_accvgpr_read_b32 v6, a108
	v_add_f64 v[0:1], v[0:1], v[246:247]
	v_accvgpr_read_b32 v8, a110
	v_accvgpr_read_b32 v9, a111
	v_add_f64 v[0:1], v[0:1], v[4:5]
	v_accvgpr_read_b32 v7, a109
	v_mul_f64 v[4:5], v[106:107], v[8:9]
	v_fma_f64 v[4:5], v[104:105], v[6:7], -v[4:5]
	v_accvgpr_read_b32 v6, a112
	v_accvgpr_read_b32 v8, a114
	v_accvgpr_read_b32 v9, a115
	v_add_f64 v[0:1], v[0:1], v[4:5]
	v_accvgpr_read_b32 v7, a113
	v_mul_f64 v[4:5], v[110:111], v[8:9]
	v_fma_f64 v[4:5], v[108:109], v[6:7], -v[4:5]
	v_accvgpr_read_b32 v6, a116
	;; [unrolled: 7-line block ×4, first 2 shown]
	v_accvgpr_read_b32 v8, a126
	v_accvgpr_read_b32 v9, a127
	v_add_f64 v[0:1], v[0:1], v[4:5]
	v_accvgpr_read_b32 v7, a125
	v_mul_f64 v[4:5], v[122:123], v[8:9]
	v_fma_f64 v[4:5], v[120:121], v[6:7], -v[4:5]
	v_add_f64 v[0:1], v[0:1], v[4:5]
	v_mul_f64 v[4:5], v[126:127], v[236:237]
	v_fma_f64 v[4:5], v[124:125], v[234:235], -v[4:5]
	v_add_f64 v[0:1], v[0:1], v[4:5]
	;; [unrolled: 3-line block ×23, first 2 shown]
	s_waitcnt vmcnt(0)
	v_add_f64 v[4:5], v[228:229], -v[0:1]
	v_accvgpr_read_b32 v0, a102
	v_add_f64 v[6:7], v[230:231], -v[250:251]
	v_cmp_ne_u32_e32 vcc, 0, v0
	scratch_store_dwordx4 off, v[4:7], off offset:32
	s_and_saveexec_b64 s[0:1], vcc
	s_cbranch_execz .LBB50_319
; %bb.318:
	scratch_load_dwordx4 v[6:9], off, off offset:16
	v_mov_b32_e32 v3, v2
	v_mov_b32_e32 v4, v2
	;; [unrolled: 1-line block ×3, first 2 shown]
	v_accvgpr_read_b32 v0, a103
	scratch_store_dwordx4 off, v[2:5], off offset:16
	s_waitcnt vmcnt(1)
	ds_write_b128 v0, v[6:9]
.LBB50_319:
	s_or_b64 exec, exec, s[0:1]
	s_waitcnt lgkmcnt(0)
	; wave barrier
	scratch_load_dwordx4 v[56:59], off, off offset:32
	scratch_load_dwordx4 v[60:63], off, off offset:48
	;; [unrolled: 1-line block ×17, first 2 shown]
	ds_read_b128 v[120:123], v2 offset:832
	ds_read_b128 v[116:119], v2 offset:848
	scratch_load_dwordx4 v[172:175], off, off offset:304
	ds_read_b128 v[204:207], v2 offset:864
	ds_read_b128 v[128:131], v2 offset:880
	ds_read_b128 v[124:127], v2 offset:896
	scratch_load_dwordx4 v[180:183], off, off offset:320
	ds_read_b128 v[220:223], v2 offset:912
	;; [unrolled: 4-line block ×3, first 2 shown]
	ds_read_b128 v[216:219], v2 offset:976
	ds_read_b128 v[200:203], v2 offset:992
	ds_read_b128 v[140:143], v2 offset:1008
	ds_read_b128 v[152:155], v2 offset:1024
	scratch_load_dwordx4 v[192:195], off, off offset:352
	ds_read_b128 v[208:211], v2 offset:1040
	ds_read_b128 v[188:191], v2 offset:1056
	ds_read_b128 v[164:167], v2 offset:1072
	scratch_load_dwordx4 v[4:7], off, off offset:368
	ds_read_b128 v[196:199], v2 offset:1088
	ds_read_b128 v[176:179], v2 offset:1104
	scratch_load_dwordx4 v[8:11], off, off offset:384
	scratch_load_dwordx4 v[12:15], off, off offset:400
	;; [unrolled: 1-line block ×7, first 2 shown]
	ds_read_b128 v[228:231], v2 offset:1120
	ds_read_b128 v[232:235], v2 offset:1136
	;; [unrolled: 1-line block ×3, first 2 shown]
	s_and_b64 vcc, exec, s[18:19]
	s_waitcnt vmcnt(28) lgkmcnt(14)
	v_mul_f64 v[0:1], v[120:121], v[58:59]
	s_waitcnt vmcnt(27)
	v_mul_f64 v[36:37], v[116:117], v[62:63]
	v_fmac_f64_e32 v[0:1], v[122:123], v[56:57]
	s_waitcnt vmcnt(26)
	v_mul_f64 v[38:39], v[204:205], v[66:67]
	v_fmac_f64_e32 v[36:37], v[118:119], v[60:61]
	v_add_f64 v[0:1], v[0:1], 0
	s_waitcnt vmcnt(25)
	v_mul_f64 v[40:41], v[128:129], v[70:71]
	v_fmac_f64_e32 v[38:39], v[206:207], v[64:65]
	v_add_f64 v[0:1], v[0:1], v[36:37]
	;; [unrolled: 4-line block ×5, first 2 shown]
	s_waitcnt vmcnt(21) lgkmcnt(13)
	v_mul_f64 v[48:49], v[132:133], v[86:87]
	v_fmac_f64_e32 v[46:47], v[214:215], v[80:81]
	v_add_f64 v[0:1], v[0:1], v[44:45]
	s_waitcnt vmcnt(20) lgkmcnt(12)
	v_mul_f64 v[50:51], v[224:225], v[94:95]
	v_fmac_f64_e32 v[48:49], v[134:135], v[84:85]
	v_add_f64 v[0:1], v[0:1], v[46:47]
	s_waitcnt vmcnt(19) lgkmcnt(11)
	v_mul_f64 v[52:53], v[216:217], v[102:103]
	v_fmac_f64_e32 v[50:51], v[226:227], v[92:93]
	v_add_f64 v[0:1], v[0:1], v[48:49]
	s_waitcnt vmcnt(18) lgkmcnt(10)
	v_mul_f64 v[54:55], v[200:201], v[106:107]
	v_fmac_f64_e32 v[52:53], v[218:219], v[100:101]
	v_add_f64 v[0:1], v[0:1], v[50:51]
	s_waitcnt vmcnt(17) lgkmcnt(9)
	v_mul_f64 v[88:89], v[140:141], v[138:139]
	v_fmac_f64_e32 v[54:55], v[202:203], v[104:105]
	v_add_f64 v[0:1], v[0:1], v[52:53]
	s_waitcnt vmcnt(16) lgkmcnt(8)
	v_mul_f64 v[90:91], v[152:153], v[146:147]
	v_fmac_f64_e32 v[88:89], v[142:143], v[136:137]
	v_add_f64 v[0:1], v[0:1], v[54:55]
	s_waitcnt vmcnt(15) lgkmcnt(7)
	v_mul_f64 v[96:97], v[208:209], v[150:151]
	v_fmac_f64_e32 v[90:91], v[154:155], v[144:145]
	v_add_f64 v[0:1], v[0:1], v[88:89]
	s_waitcnt vmcnt(14) lgkmcnt(6)
	v_mul_f64 v[98:99], v[188:189], v[158:159]
	v_fmac_f64_e32 v[96:97], v[210:211], v[148:149]
	v_add_f64 v[0:1], v[0:1], v[90:91]
	s_waitcnt vmcnt(13) lgkmcnt(5)
	v_mul_f64 v[108:109], v[164:165], v[162:163]
	v_fmac_f64_e32 v[98:99], v[190:191], v[156:157]
	v_add_f64 v[0:1], v[0:1], v[96:97]
	s_waitcnt vmcnt(12) lgkmcnt(4)
	v_mul_f64 v[110:111], v[196:197], v[170:171]
	v_fmac_f64_e32 v[108:109], v[166:167], v[160:161]
	v_add_f64 v[0:1], v[0:1], v[98:99]
	v_add_f64 v[0:1], v[0:1], v[108:109]
	v_fmac_f64_e32 v[110:111], v[198:199], v[168:169]
	s_waitcnt vmcnt(11) lgkmcnt(3)
	v_mul_f64 v[36:37], v[176:177], v[174:175]
	v_add_f64 v[0:1], v[0:1], v[110:111]
	v_fmac_f64_e32 v[36:37], v[178:179], v[172:173]
	s_waitcnt vmcnt(10) lgkmcnt(2)
	v_mul_f64 v[40:41], v[228:229], v[182:183]
	v_add_f64 v[0:1], v[0:1], v[36:37]
	v_fmac_f64_e32 v[40:41], v[230:231], v[180:181]
	scratch_load_dwordx4 v[36:39], off, off offset:496
	v_add_f64 v[0:1], v[0:1], v[40:41]
	s_waitcnt vmcnt(10) lgkmcnt(1)
	v_mul_f64 v[40:41], v[232:233], v[186:187]
	v_fmac_f64_e32 v[40:41], v[234:235], v[184:185]
	v_add_f64 v[0:1], v[0:1], v[40:41]
	scratch_load_dwordx4 v[40:43], off, off offset:512
	ds_read_b128 v[88:91], v2 offset:1168
	scratch_load_dwordx4 v[44:47], off, off offset:528
	ds_read_b128 v[108:111], v2 offset:1184
	ds_read_b128 v[96:99], v2 offset:1200
	s_waitcnt vmcnt(11) lgkmcnt(3)
	v_mul_f64 v[48:49], v[246:247], v[194:195]
	s_waitcnt vmcnt(10) lgkmcnt(2)
	v_mul_f64 v[52:53], v[88:89], v[6:7]
	v_accvgpr_write_b32 a105, v7
	v_fmac_f64_e32 v[48:49], v[248:249], v[192:193]
	v_fmac_f64_e32 v[52:53], v[90:91], v[4:5]
	v_accvgpr_write_b32 a104, v6
	v_accvgpr_write_b32 a103, v5
	;; [unrolled: 1-line block ×3, first 2 shown]
	s_waitcnt vmcnt(9)
	v_mov_b64_e32 v[4:5], v[8:9]
	v_add_f64 v[0:1], v[0:1], v[48:49]
	v_mov_b64_e32 v[6:7], v[10:11]
	scratch_load_dwordx4 v[48:51], off, off offset:544
	v_add_f64 v[0:1], v[0:1], v[52:53]
	s_waitcnt lgkmcnt(1)
	v_mul_f64 v[52:53], v[108:109], v[6:7]
	v_fmac_f64_e32 v[52:53], v[110:111], v[4:5]
	v_add_f64 v[0:1], v[0:1], v[52:53]
	scratch_load_dwordx4 v[52:55], off, off offset:560
	v_mul_f64 v[58:59], v[122:123], v[58:59]
	v_fma_f64 v[240:241], v[120:121], v[56:57], -v[58:59]
	scratch_load_dwordx4 v[56:59], off, off offset:576
	v_mul_f64 v[62:63], v[118:119], v[62:63]
	v_fma_f64 v[242:243], v[116:117], v[60:61], -v[62:63]
	;; [unrolled: 3-line block ×5, first 2 shown]
	scratch_load_dwordx4 v[72:75], off, off offset:640
	s_waitcnt vmcnt(15)
	v_mov_b64_e32 v[4:5], v[12:13]
	v_mov_b64_e32 v[6:7], v[14:15]
	s_waitcnt lgkmcnt(0)
	v_mul_f64 v[112:113], v[96:97], v[6:7]
	v_fmac_f64_e32 v[112:113], v[98:99], v[4:5]
	v_add_f64 v[0:1], v[0:1], v[112:113]
	ds_read_b128 v[112:115], v2 offset:1216
	ds_read_b128 v[116:119], v2 offset:1232
	s_waitcnt vmcnt(14)
	v_mov_b64_e32 v[4:5], v[16:17]
	v_mov_b64_e32 v[6:7], v[18:19]
	ds_read_b128 v[124:127], v2 offset:1264
	s_waitcnt lgkmcnt(2)
	v_mul_f64 v[120:121], v[112:113], v[6:7]
	v_fmac_f64_e32 v[120:121], v[114:115], v[4:5]
	s_waitcnt vmcnt(13)
	v_mov_b64_e32 v[4:5], v[20:21]
	v_mov_b64_e32 v[6:7], v[22:23]
	v_add_f64 v[0:1], v[0:1], v[120:121]
	s_waitcnt lgkmcnt(1)
	v_mul_f64 v[120:121], v[116:117], v[6:7]
	v_fmac_f64_e32 v[120:121], v[118:119], v[4:5]
	v_add_f64 v[0:1], v[0:1], v[120:121]
	ds_read_b128 v[120:123], v2 offset:1248
	s_waitcnt vmcnt(12)
	v_mov_b64_e32 v[4:5], v[24:25]
	v_mov_b64_e32 v[6:7], v[26:27]
	v_accvgpr_write_b32 a121, v23
	v_accvgpr_write_b32 a125, v27
	s_waitcnt lgkmcnt(0)
	v_mul_f64 v[128:129], v[120:121], v[6:7]
	v_fmac_f64_e32 v[128:129], v[122:123], v[4:5]
	v_add_f64 v[0:1], v[0:1], v[128:129]
	ds_read_b128 v[128:131], v2 offset:1280
	s_waitcnt vmcnt(11)
	v_mul_f64 v[6:7], v[124:125], v[238:239]
	v_fmac_f64_e32 v[6:7], v[126:127], v[236:237]
	v_mul_f64 v[86:87], v[134:135], v[86:87]
	v_add_f64 v[0:1], v[0:1], v[6:7]
	v_mul_f64 v[6:7], v[226:227], v[94:95]
	v_accvgpr_write_b32 a120, v22
	v_accvgpr_write_b32 a119, v21
	;; [unrolled: 1-line block ×6, first 2 shown]
	v_fma_f64 v[24:25], v[132:133], v[84:85], -v[86:87]
	v_fma_f64 v[20:21], v[224:225], v[92:93], -v[6:7]
	ds_read_b128 v[132:135], v2 offset:1296
	s_waitcnt vmcnt(10) lgkmcnt(1)
	v_mul_f64 v[6:7], v[128:129], v[34:35]
	v_fmac_f64_e32 v[6:7], v[130:131], v[32:33]
	v_accvgpr_write_b32 a113, v15
	v_add_f64 v[0:1], v[0:1], v[6:7]
	v_mul_f64 v[6:7], v[202:203], v[106:107]
	v_accvgpr_write_b32 a112, v14
	v_accvgpr_write_b32 a111, v13
	v_accvgpr_write_b32 a110, v12
	v_fma_f64 v[14:15], v[200:201], v[104:105], -v[6:7]
	v_mul_f64 v[6:7], v[142:143], v[138:139]
	v_fma_f64 v[12:13], v[140:141], v[136:137], -v[6:7]
	ds_read_b128 v[136:139], v2 offset:1312
	ds_read_b128 v[140:143], v2 offset:1328
	s_waitcnt vmcnt(9) lgkmcnt(2)
	v_mul_f64 v[6:7], v[132:133], v[38:39]
	v_fmac_f64_e32 v[6:7], v[134:135], v[36:37]
	v_add_f64 v[0:1], v[0:1], v[6:7]
	s_waitcnt vmcnt(8) lgkmcnt(1)
	v_mul_f64 v[6:7], v[136:137], v[42:43]
	v_fmac_f64_e32 v[6:7], v[138:139], v[40:41]
	v_accvgpr_write_b32 a117, v19
	v_add_f64 v[0:1], v[0:1], v[6:7]
	v_mul_f64 v[6:7], v[154:155], v[146:147]
	v_accvgpr_write_b32 a116, v18
	v_accvgpr_write_b32 a115, v17
	;; [unrolled: 1-line block ×3, first 2 shown]
	v_fma_f64 v[18:19], v[152:153], v[144:145], -v[6:7]
	s_waitcnt vmcnt(7) lgkmcnt(0)
	v_mul_f64 v[6:7], v[140:141], v[46:47]
	v_fmac_f64_e32 v[6:7], v[142:143], v[44:45]
	ds_read_b128 v[144:147], v2 offset:1344
	v_accvgpr_write_b32 a109, v11
	v_add_f64 v[0:1], v[0:1], v[6:7]
	v_mul_f64 v[6:7], v[210:211], v[150:151]
	v_accvgpr_write_b32 a108, v10
	v_accvgpr_write_b32 a107, v9
	;; [unrolled: 1-line block ×3, first 2 shown]
	v_fma_f64 v[10:11], v[208:209], v[148:149], -v[6:7]
	ds_read_b128 v[148:151], v2 offset:1360
	s_waitcnt vmcnt(6) lgkmcnt(1)
	v_mul_f64 v[6:7], v[144:145], v[50:51]
	ds_read_b128 v[152:155], v2 offset:1376
	v_mul_f64 v[78:79], v[222:223], v[78:79]
	v_fmac_f64_e32 v[6:7], v[146:147], v[48:49]
	v_fma_f64 v[254:255], v[220:221], v[76:77], -v[78:79]
	scratch_load_dwordx4 v[76:79], off, off offset:656
	v_add_f64 v[0:1], v[0:1], v[6:7]
	s_waitcnt vmcnt(6) lgkmcnt(1)
	v_mul_f64 v[6:7], v[148:149], v[54:55]
	v_mul_f64 v[82:83], v[214:215], v[82:83]
	v_fmac_f64_e32 v[6:7], v[150:151], v[52:53]
	v_fma_f64 v[28:29], v[212:213], v[80:81], -v[82:83]
	scratch_load_dwordx4 v[80:83], off, off offset:672
	v_add_f64 v[0:1], v[0:1], v[6:7]
	v_mul_f64 v[6:7], v[190:191], v[158:159]
	v_fma_f64 v[22:23], v[188:189], v[156:157], -v[6:7]
	ds_read_b128 v[156:159], v2 offset:1392
	s_waitcnt vmcnt(6) lgkmcnt(1)
	v_mul_f64 v[6:7], v[152:153], v[58:59]
	scratch_load_dwordx4 v[84:87], off, off offset:688
	v_fmac_f64_e32 v[6:7], v[154:155], v[56:57]
	v_add_f64 v[0:1], v[0:1], v[6:7]
	v_mul_f64 v[6:7], v[166:167], v[162:163]
	v_fma_f64 v[8:9], v[164:165], v[160:161], -v[6:7]
	ds_read_b128 v[160:163], v2 offset:1408
	ds_read_b128 v[164:167], v2 offset:1424
	v_mul_f64 v[92:93], v[218:219], v[102:103]
	v_fma_f64 v[16:17], v[216:217], v[100:101], -v[92:93]
	scratch_load_dwordx4 v[100:103], off, off offset:704
	s_waitcnt vmcnt(7) lgkmcnt(2)
	v_mul_f64 v[6:7], v[156:157], v[62:63]
	scratch_load_dwordx4 v[92:95], off, off offset:720
	scratch_load_dwordx4 v[104:107], off, off offset:736
	v_fmac_f64_e32 v[6:7], v[158:159], v[60:61]
	v_add_f64 v[0:1], v[0:1], v[6:7]
	s_waitcnt vmcnt(8) lgkmcnt(1)
	v_mul_f64 v[6:7], v[160:161], v[66:67]
	v_fmac_f64_e32 v[6:7], v[162:163], v[64:65]
	v_add_f64 v[0:1], v[0:1], v[6:7]
	v_mul_f64 v[6:7], v[198:199], v[170:171]
	v_fma_f64 v[26:27], v[196:197], v[168:169], -v[6:7]
	scratch_load_dwordx4 v[196:199], off, off offset:752
	scratch_load_dwordx4 v[204:207], off, off offset:768
	;; [unrolled: 1-line block ×4, first 2 shown]
	ds_read_b128 v[168:171], v2 offset:1440
	s_waitcnt vmcnt(11) lgkmcnt(1)
	v_mul_f64 v[6:7], v[164:165], v[70:71]
	v_fmac_f64_e32 v[6:7], v[166:167], v[68:69]
	v_add_f64 v[0:1], v[0:1], v[6:7]
	v_mul_f64 v[6:7], v[178:179], v[174:175]
	v_fma_f64 v[4:5], v[176:177], v[172:173], -v[6:7]
	ds_read_b128 v[172:175], v2 offset:1456
	s_waitcnt vmcnt(10) lgkmcnt(1)
	v_mul_f64 v[6:7], v[168:169], v[74:75]
	v_fmac_f64_e32 v[6:7], v[170:171], v[72:73]
	v_add_f64 v[0:1], v[0:1], v[6:7]
	v_mul_f64 v[6:7], v[230:231], v[182:183]
	v_fma_f64 v[30:31], v[228:229], v[180:181], -v[6:7]
	scratch_load_dwordx4 v[228:231], off, off offset:816
	ds_read_b128 v[176:179], v2 offset:1472
	ds_read_b128 v[180:183], v2 offset:1488
	v_mul_f64 v[186:187], v[234:235], v[186:187]
	v_fma_f64 v[184:185], v[232:233], v[184:185], -v[186:187]
	ds_read_b128 v[188:191], v2 offset:1504
	v_accvgpr_write_b32 a126, v184
	v_accvgpr_write_b32 a127, v185
	ds_read_b128 v[184:187], v2 offset:1520
	ds_read_b128 v[200:203], v2 offset:1552
	;; [unrolled: 1-line block ×5, first 2 shown]
	s_waitcnt vmcnt(10) lgkmcnt(8)
	v_mul_f64 v[6:7], v[172:173], v[78:79]
	v_fmac_f64_e32 v[6:7], v[174:175], v[76:77]
	v_add_f64 v[0:1], v[0:1], v[6:7]
	s_waitcnt vmcnt(9) lgkmcnt(7)
	v_mul_f64 v[6:7], v[176:177], v[82:83]
	v_fmac_f64_e32 v[6:7], v[178:179], v[80:81]
	v_add_f64 v[0:1], v[0:1], v[6:7]
	;; [unrolled: 4-line block ×3, first 2 shown]
	v_mul_f64 v[6:7], v[248:249], v[194:195]
	v_fma_f64 v[246:247], v[246:247], v[192:193], -v[6:7]
	ds_read_b128 v[192:195], v2 offset:1536
	s_waitcnt vmcnt(7) lgkmcnt(6)
	v_mul_f64 v[6:7], v[188:189], v[102:103]
	v_fmac_f64_e32 v[6:7], v[190:191], v[100:101]
	v_add_f64 v[0:1], v[0:1], v[6:7]
	s_waitcnt vmcnt(6) lgkmcnt(5)
	v_mul_f64 v[6:7], v[184:185], v[94:95]
	v_fmac_f64_e32 v[6:7], v[186:187], v[92:93]
	v_add_f64 v[0:1], v[0:1], v[6:7]
	;; [unrolled: 4-line block ×3, first 2 shown]
	s_waitcnt vmcnt(4)
	v_mul_f64 v[6:7], v[200:201], v[198:199]
	v_fmac_f64_e32 v[6:7], v[202:203], v[196:197]
	v_add_f64 v[0:1], v[0:1], v[6:7]
	s_waitcnt vmcnt(3)
	v_mul_f64 v[6:7], v[208:209], v[206:207]
	v_fmac_f64_e32 v[6:7], v[210:211], v[204:205]
	v_add_f64 v[0:1], v[0:1], v[6:7]
	;; [unrolled: 4-line block ×4, first 2 shown]
	ds_read_b128 v[0:3], v2 offset:1616
	s_waitcnt vmcnt(0) lgkmcnt(0)
	v_mul_f64 v[232:233], v[0:1], v[230:231]
	v_fmac_f64_e32 v[232:233], v[2:3], v[228:229]
	v_add_f64 v[6:7], v[6:7], v[232:233]
	v_add_f64 v[232:233], v[240:241], 0
	;; [unrolled: 1-line block ×8, first 2 shown]
	scratch_load_dwordx4 v[232:235], off, off offset:16
	v_add_f64 v[24:25], v[28:29], v[24:25]
	v_add_f64 v[20:21], v[24:25], v[20:21]
	;; [unrolled: 1-line block ×11, first 2 shown]
	v_accvgpr_read_b32 v10, a102
	v_add_f64 v[248:249], v[4:5], v[30:31]
	v_accvgpr_read_b32 v4, a126
	v_accvgpr_read_b32 v12, a104
	;; [unrolled: 1-line block ×5, first 2 shown]
	v_mul_f64 v[8:9], v[90:91], v[12:13]
	v_add_f64 v[4:5], v[248:249], v[4:5]
	v_fma_f64 v[8:9], v[88:89], v[10:11], -v[8:9]
	v_accvgpr_read_b32 v10, a106
	v_add_f64 v[4:5], v[4:5], v[246:247]
	v_accvgpr_read_b32 v12, a108
	v_accvgpr_read_b32 v13, a109
	v_add_f64 v[4:5], v[4:5], v[8:9]
	v_accvgpr_read_b32 v11, a107
	v_mul_f64 v[8:9], v[110:111], v[12:13]
	v_fma_f64 v[8:9], v[108:109], v[10:11], -v[8:9]
	v_accvgpr_read_b32 v10, a110
	v_accvgpr_read_b32 v12, a112
	v_accvgpr_read_b32 v13, a113
	v_add_f64 v[4:5], v[4:5], v[8:9]
	v_accvgpr_read_b32 v11, a111
	v_mul_f64 v[8:9], v[98:99], v[12:13]
	v_fma_f64 v[8:9], v[96:97], v[10:11], -v[8:9]
	v_accvgpr_read_b32 v10, a114
	;; [unrolled: 7-line block ×4, first 2 shown]
	v_accvgpr_read_b32 v12, a124
	v_accvgpr_read_b32 v13, a125
	v_add_f64 v[4:5], v[4:5], v[8:9]
	v_accvgpr_read_b32 v11, a123
	v_mul_f64 v[8:9], v[122:123], v[12:13]
	v_fma_f64 v[8:9], v[120:121], v[10:11], -v[8:9]
	v_add_f64 v[4:5], v[4:5], v[8:9]
	v_mul_f64 v[8:9], v[126:127], v[238:239]
	v_fma_f64 v[8:9], v[124:125], v[236:237], -v[8:9]
	v_add_f64 v[4:5], v[4:5], v[8:9]
	;; [unrolled: 3-line block ×22, first 2 shown]
	v_mul_f64 v[8:9], v[226:227], v[222:223]
	v_fma_f64 v[8:9], v[224:225], v[220:221], -v[8:9]
	v_mul_f64 v[2:3], v[2:3], v[230:231]
	v_add_f64 v[4:5], v[4:5], v[8:9]
	v_fma_f64 v[0:1], v[0:1], v[228:229], -v[2:3]
	v_add_f64 v[0:1], v[4:5], v[0:1]
	s_waitcnt vmcnt(0)
	v_add_f64 v[0:1], v[232:233], -v[0:1]
	v_add_f64 v[2:3], v[234:235], -v[6:7]
	scratch_store_dwordx4 off, v[0:3], off offset:16
	s_cbranch_vccz .LBB50_420
; %bb.320:
	s_nop 0
	v_mov_b32_e32 v0, 0
	global_load_dword v1, v0, s[16:17] offset:196
	s_waitcnt vmcnt(0)
	v_readfirstlane_b32 s0, v1
	s_add_i32 s0, s0, -1
	s_cmp_lg_u32 s0, 49
	s_cbranch_scc0 .LBB50_322
; %bb.321:
	s_lshl_b32 s0, s0, 4
	s_add_i32 s0, s0, 16
	scratch_load_dwordx4 v[2:5], off, s0
	scratch_load_dwordx4 v[6:9], off, s12
	s_waitcnt vmcnt(1)
	scratch_store_dwordx4 off, v[2:5], s12
	s_waitcnt vmcnt(1)
	scratch_store_dwordx4 off, v[6:9], s0
.LBB50_322:
	global_load_dword v0, v0, s[16:17] offset:192
	s_waitcnt vmcnt(0)
	v_readfirstlane_b32 s0, v0
	s_add_i32 s0, s0, -1
	s_cmp_eq_u32 s0, 48
	s_cbranch_scc1 .LBB50_324
; %bb.323:
	s_lshl_b32 s0, s0, 4
	s_add_i32 s0, s0, 16
	scratch_load_dwordx4 v[0:3], off, s0
	scratch_load_dwordx4 v[4:7], off, s15
	s_waitcnt vmcnt(1)
	scratch_store_dwordx4 off, v[0:3], s15
	s_waitcnt vmcnt(1)
	scratch_store_dwordx4 off, v[4:7], s0
.LBB50_324:
	v_mov_b32_e32 v0, 0
	global_load_dword v1, v0, s[16:17] offset:188
	s_waitcnt vmcnt(0)
	v_readfirstlane_b32 s0, v1
	s_add_i32 s0, s0, -1
	s_cmp_eq_u32 s0, 47
	s_cbranch_scc1 .LBB50_326
; %bb.325:
	s_lshl_b32 s0, s0, 4
	s_add_i32 s0, s0, 16
	scratch_load_dwordx4 v[2:5], off, s0
	scratch_load_dwordx4 v[6:9], off, s14
	s_waitcnt vmcnt(1)
	scratch_store_dwordx4 off, v[2:5], s14
	s_waitcnt vmcnt(1)
	scratch_store_dwordx4 off, v[6:9], s0
.LBB50_326:
	global_load_dword v0, v0, s[16:17] offset:184
	s_waitcnt vmcnt(0)
	v_readfirstlane_b32 s0, v0
	s_add_i32 s0, s0, -1
	s_cmp_eq_u32 s0, 46
	s_cbranch_scc1 .LBB50_328
; %bb.327:
	s_lshl_b32 s0, s0, 4
	s_add_i32 s0, s0, 16
	scratch_load_dwordx4 v[0:3], off, s0
	scratch_load_dwordx4 v[4:7], off, s21
	s_waitcnt vmcnt(1)
	scratch_store_dwordx4 off, v[0:3], s21
	s_waitcnt vmcnt(1)
	scratch_store_dwordx4 off, v[4:7], s0
.LBB50_328:
	v_mov_b32_e32 v0, 0
	global_load_dword v1, v0, s[16:17] offset:180
	s_waitcnt vmcnt(0)
	v_readfirstlane_b32 s0, v1
	s_add_i32 s0, s0, -1
	s_cmp_eq_u32 s0, 45
	s_cbranch_scc1 .LBB50_330
; %bb.329:
	s_lshl_b32 s0, s0, 4
	s_add_i32 s0, s0, 16
	scratch_load_dwordx4 v[2:5], off, s0
	scratch_load_dwordx4 v[6:9], off, s20
	s_waitcnt vmcnt(1)
	scratch_store_dwordx4 off, v[2:5], s20
	s_waitcnt vmcnt(1)
	scratch_store_dwordx4 off, v[6:9], s0
.LBB50_330:
	;; [unrolled: 33-line block ×24, first 2 shown]
	global_load_dword v0, v0, s[16:17]
	s_waitcnt vmcnt(0)
	v_readfirstlane_b32 s0, v0
	s_add_i32 s0, s0, -1
	s_cmp_eq_u32 s0, 0
	s_cbranch_scc1 .LBB50_420
; %bb.419:
	s_lshl_b32 s0, s0, 4
	s_add_i32 s0, s0, 16
	scratch_load_dwordx4 v[0:3], off, s0
	scratch_load_dwordx4 v[4:7], off, off offset:16
	s_waitcnt vmcnt(1)
	scratch_store_dwordx4 off, v[0:3], off offset:16
	s_waitcnt vmcnt(1)
	scratch_store_dwordx4 off, v[4:7], s0
.LBB50_420:
	scratch_load_dwordx4 v[0:3], off, off offset:16
	s_nop 0
	scratch_load_dwordx4 v[4:7], off, s66
	scratch_load_dwordx4 v[8:11], off, s65
	;; [unrolled: 1-line block ×5, first 2 shown]
                                        ; kill: killed $sgpr64
                                        ; kill: killed $sgpr29
                                        ; kill: killed $sgpr26
	scratch_load_dwordx4 v[24:27], off, s33
	scratch_load_dwordx4 v[28:31], off, s34
	;; [unrolled: 1-line block ×31, first 2 shown]
	v_accvgpr_read_b32 v149, a1
	v_accvgpr_read_b32 v148, a0
	;; [unrolled: 1-line block ×12, first 2 shown]
	s_waitcnt vmcnt(36)
	global_store_dwordx4 v[148:149], v[0:3], off
	scratch_load_dwordx4 v[0:3], off, s30
	s_nop 0
	scratch_load_dwordx4 v[148:151], off, s31
	s_waitcnt vmcnt(38)
	global_store_dwordx4 v[152:153], v[4:7], off
	v_accvgpr_read_b32 v153, a7
	v_accvgpr_read_b32 v152, a6
	;; [unrolled: 1-line block ×4, first 2 shown]
	s_waitcnt vmcnt(38)
	global_store_dwordx4 v[4:5], v[8:11], off
	scratch_load_dwordx4 v[4:7], off, s27
	s_nop 0
	scratch_load_dwordx4 v[8:11], off, s28
	s_waitcnt vmcnt(40)
	global_store_dwordx4 v[152:153], v[12:15], off
	scratch_load_dwordx4 v[12:15], off, s24
	s_nop 0
	scratch_load_dwordx4 v[152:155], off, s25
	;; [unrolled: 5-line block ×3, first 2 shown]
	s_waitcnt vmcnt(44)
	global_store_dwordx4 v[160:161], v[20:23], off
	v_accvgpr_read_b32 v161, a15
	v_accvgpr_read_b32 v160, a14
	;; [unrolled: 1-line block ×4, first 2 shown]
	s_waitcnt vmcnt(44)
	global_store_dwordx4 v[20:21], v[24:27], off
	scratch_load_dwordx4 v[20:23], off, s20
	s_nop 0
	scratch_load_dwordx4 v[24:27], off, s21
	s_waitcnt vmcnt(46)
	global_store_dwordx4 v[160:161], v[28:31], off
	scratch_load_dwordx4 v[28:31], off, s14
	s_nop 0
	scratch_load_dwordx4 v[160:163], off, s15
	;; [unrolled: 5-line block ×3, first 2 shown]
	s_waitcnt vmcnt(50)
	global_store_dwordx4 v[168:169], v[36:39], off
	s_nop 1
	v_accvgpr_read_b32 v37, a21
	v_accvgpr_read_b32 v36, a20
	s_waitcnt vmcnt(50)
	global_store_dwordx4 v[36:37], v[40:43], off
	v_accvgpr_read_b32 v37, a23
	v_accvgpr_read_b32 v36, a22
	s_waitcnt vmcnt(50)
	global_store_dwordx4 v[36:37], v[44:47], off
	;; [unrolled: 4-line block ×28, first 2 shown]
	s_nop 1
	v_accvgpr_read_b32 v0, a76
	v_accvgpr_read_b32 v1, a77
	s_waitcnt vmcnt(49)
	global_store_dwordx4 v[0:1], v[148:151], off
	v_accvgpr_read_b32 v0, a78
	v_accvgpr_read_b32 v1, a79
	s_waitcnt vmcnt(47)
	global_store_dwordx4 v[0:1], v[4:7], off
	;; [unrolled: 4-line block ×13, first 2 shown]
	s_endpgm
	.section	.rodata,"a",@progbits
	.p2align	6, 0x0
	.amdhsa_kernel _ZN9rocsolver6v33100L18getri_kernel_smallILi51E19rocblas_complex_numIdEPS3_EEvT1_iilPiilS6_bb
		.amdhsa_group_segment_fixed_size 1640
		.amdhsa_private_segment_fixed_size 848
		.amdhsa_kernarg_size 60
		.amdhsa_user_sgpr_count 2
		.amdhsa_user_sgpr_dispatch_ptr 0
		.amdhsa_user_sgpr_queue_ptr 0
		.amdhsa_user_sgpr_kernarg_segment_ptr 1
		.amdhsa_user_sgpr_dispatch_id 0
		.amdhsa_user_sgpr_kernarg_preload_length 0
		.amdhsa_user_sgpr_kernarg_preload_offset 0
		.amdhsa_user_sgpr_private_segment_size 0
		.amdhsa_uses_dynamic_stack 0
		.amdhsa_enable_private_segment 1
		.amdhsa_system_sgpr_workgroup_id_x 1
		.amdhsa_system_sgpr_workgroup_id_y 0
		.amdhsa_system_sgpr_workgroup_id_z 0
		.amdhsa_system_sgpr_workgroup_info 0
		.amdhsa_system_vgpr_workitem_id 0
		.amdhsa_next_free_vgpr 388
		.amdhsa_next_free_sgpr 67
		.amdhsa_accum_offset 256
		.amdhsa_reserve_vcc 1
		.amdhsa_float_round_mode_32 0
		.amdhsa_float_round_mode_16_64 0
		.amdhsa_float_denorm_mode_32 3
		.amdhsa_float_denorm_mode_16_64 3
		.amdhsa_dx10_clamp 1
		.amdhsa_ieee_mode 1
		.amdhsa_fp16_overflow 0
		.amdhsa_tg_split 0
		.amdhsa_exception_fp_ieee_invalid_op 0
		.amdhsa_exception_fp_denorm_src 0
		.amdhsa_exception_fp_ieee_div_zero 0
		.amdhsa_exception_fp_ieee_overflow 0
		.amdhsa_exception_fp_ieee_underflow 0
		.amdhsa_exception_fp_ieee_inexact 0
		.amdhsa_exception_int_div_zero 0
	.end_amdhsa_kernel
	.section	.text._ZN9rocsolver6v33100L18getri_kernel_smallILi51E19rocblas_complex_numIdEPS3_EEvT1_iilPiilS6_bb,"axG",@progbits,_ZN9rocsolver6v33100L18getri_kernel_smallILi51E19rocblas_complex_numIdEPS3_EEvT1_iilPiilS6_bb,comdat
.Lfunc_end50:
	.size	_ZN9rocsolver6v33100L18getri_kernel_smallILi51E19rocblas_complex_numIdEPS3_EEvT1_iilPiilS6_bb, .Lfunc_end50-_ZN9rocsolver6v33100L18getri_kernel_smallILi51E19rocblas_complex_numIdEPS3_EEvT1_iilPiilS6_bb
                                        ; -- End function
	.set _ZN9rocsolver6v33100L18getri_kernel_smallILi51E19rocblas_complex_numIdEPS3_EEvT1_iilPiilS6_bb.num_vgpr, 256
	.set _ZN9rocsolver6v33100L18getri_kernel_smallILi51E19rocblas_complex_numIdEPS3_EEvT1_iilPiilS6_bb.num_agpr, 132
	.set _ZN9rocsolver6v33100L18getri_kernel_smallILi51E19rocblas_complex_numIdEPS3_EEvT1_iilPiilS6_bb.numbered_sgpr, 67
	.set _ZN9rocsolver6v33100L18getri_kernel_smallILi51E19rocblas_complex_numIdEPS3_EEvT1_iilPiilS6_bb.num_named_barrier, 0
	.set _ZN9rocsolver6v33100L18getri_kernel_smallILi51E19rocblas_complex_numIdEPS3_EEvT1_iilPiilS6_bb.private_seg_size, 848
	.set _ZN9rocsolver6v33100L18getri_kernel_smallILi51E19rocblas_complex_numIdEPS3_EEvT1_iilPiilS6_bb.uses_vcc, 1
	.set _ZN9rocsolver6v33100L18getri_kernel_smallILi51E19rocblas_complex_numIdEPS3_EEvT1_iilPiilS6_bb.uses_flat_scratch, 0
	.set _ZN9rocsolver6v33100L18getri_kernel_smallILi51E19rocblas_complex_numIdEPS3_EEvT1_iilPiilS6_bb.has_dyn_sized_stack, 0
	.set _ZN9rocsolver6v33100L18getri_kernel_smallILi51E19rocblas_complex_numIdEPS3_EEvT1_iilPiilS6_bb.has_recursion, 0
	.set _ZN9rocsolver6v33100L18getri_kernel_smallILi51E19rocblas_complex_numIdEPS3_EEvT1_iilPiilS6_bb.has_indirect_call, 0
	.section	.AMDGPU.csdata,"",@progbits
; Kernel info:
; codeLenInByte = 110440
; TotalNumSgprs: 73
; NumVgprs: 256
; NumAgprs: 132
; TotalNumVgprs: 388
; ScratchSize: 848
; MemoryBound: 0
; FloatMode: 240
; IeeeMode: 1
; LDSByteSize: 1640 bytes/workgroup (compile time only)
; SGPRBlocks: 9
; VGPRBlocks: 48
; NumSGPRsForWavesPerEU: 73
; NumVGPRsForWavesPerEU: 388
; AccumOffset: 256
; Occupancy: 1
; WaveLimiterHint : 1
; COMPUTE_PGM_RSRC2:SCRATCH_EN: 1
; COMPUTE_PGM_RSRC2:USER_SGPR: 2
; COMPUTE_PGM_RSRC2:TRAP_HANDLER: 0
; COMPUTE_PGM_RSRC2:TGID_X_EN: 1
; COMPUTE_PGM_RSRC2:TGID_Y_EN: 0
; COMPUTE_PGM_RSRC2:TGID_Z_EN: 0
; COMPUTE_PGM_RSRC2:TIDIG_COMP_CNT: 0
; COMPUTE_PGM_RSRC3_GFX90A:ACCUM_OFFSET: 63
; COMPUTE_PGM_RSRC3_GFX90A:TG_SPLIT: 0
	.section	.text._ZN9rocsolver6v33100L18getri_kernel_smallILi52E19rocblas_complex_numIdEPS3_EEvT1_iilPiilS6_bb,"axG",@progbits,_ZN9rocsolver6v33100L18getri_kernel_smallILi52E19rocblas_complex_numIdEPS3_EEvT1_iilPiilS6_bb,comdat
	.globl	_ZN9rocsolver6v33100L18getri_kernel_smallILi52E19rocblas_complex_numIdEPS3_EEvT1_iilPiilS6_bb ; -- Begin function _ZN9rocsolver6v33100L18getri_kernel_smallILi52E19rocblas_complex_numIdEPS3_EEvT1_iilPiilS6_bb
	.p2align	8
	.type	_ZN9rocsolver6v33100L18getri_kernel_smallILi52E19rocblas_complex_numIdEPS3_EEvT1_iilPiilS6_bb,@function
_ZN9rocsolver6v33100L18getri_kernel_smallILi52E19rocblas_complex_numIdEPS3_EEvT1_iilPiilS6_bb: ; @_ZN9rocsolver6v33100L18getri_kernel_smallILi52E19rocblas_complex_numIdEPS3_EEvT1_iilPiilS6_bb
; %bb.0:
	v_mov_b32_e32 v246, v0
	v_cmp_gt_u32_e32 vcc, 52, v246
	s_and_saveexec_b64 s[4:5], vcc
	s_cbranch_execz .LBB51_222
; %bb.1:
	s_load_dword s8, s[0:1], 0x38
	s_load_dwordx4 s[12:15], s[0:1], 0x10
	s_load_dwordx4 s[4:7], s[0:1], 0x28
                                        ; implicit-def: $sgpr16_sgpr17
	s_waitcnt lgkmcnt(0)
	s_bitcmp1_b32 s8, 8
	s_cselect_b64 s[18:19], -1, 0
	s_ashr_i32 s3, s2, 31
	s_bfe_u32 s8, s8, 0x10008
	s_cmp_eq_u32 s8, 0
	s_cbranch_scc1 .LBB51_3
; %bb.2:
	s_load_dword s8, s[0:1], 0x20
	s_mul_i32 s9, s4, s3
	s_mul_hi_u32 s10, s4, s2
	s_mul_i32 s5, s5, s2
	s_add_i32 s10, s10, s9
	s_add_i32 s5, s10, s5
	s_mul_i32 s4, s4, s2
	s_waitcnt lgkmcnt(0)
	s_ashr_i32 s9, s8, 31
	s_lshl_b64 s[4:5], s[4:5], 2
	s_add_u32 s10, s14, s4
	s_addc_u32 s11, s15, s5
	s_lshl_b64 s[4:5], s[8:9], 2
	s_add_u32 s16, s10, s4
	s_addc_u32 s17, s11, s5
.LBB51_3:
	s_load_dwordx4 s[8:11], s[0:1], 0x0
	s_load_dword s4, s[0:1], 0x38
	s_mul_i32 s5, s12, s3
	s_mul_hi_u32 s14, s12, s2
	s_add_i32 s5, s14, s5
	s_waitcnt lgkmcnt(0)
	s_ashr_i32 s1, s10, 31
	s_mov_b32 s0, s10
	s_mul_i32 s10, s13, s2
	s_add_i32 s13, s5, s10
	s_mul_i32 s12, s12, s2
	s_lshl_b64 s[12:13], s[12:13], 4
	s_add_u32 s5, s8, s12
	s_addc_u32 s8, s9, s13
	s_lshl_b64 s[0:1], s[0:1], 4
	s_add_u32 s0, s5, s0
	s_addc_u32 s1, s8, s1
	v_lshlrev_b32_e32 v46, 4, v246
	v_mov_b32_e32 v47, 0
	s_add_i32 s5, s11, s11
	v_lshl_add_u64 v[0:1], s[0:1], 0, v[46:47]
	v_add_u32_e32 v2, s5, v246
	s_ashr_i32 s9, s11, 31
	s_mov_b32 s8, s11
	v_accvgpr_write_b32 a0, v0
	v_ashrrev_i32_e32 v3, 31, v2
	v_accvgpr_write_b32 a1, v1
	v_lshl_add_u64 v[0:1], s[8:9], 4, v[0:1]
	v_lshl_add_u64 v[4:5], v[2:3], 4, s[0:1]
	v_add_u32_e32 v2, s11, v2
	v_accvgpr_write_b32 a3, v1
	v_ashrrev_i32_e32 v3, 31, v2
	global_load_dwordx4 v[6:9], v46, s[0:1]
	global_load_dwordx4 v[10:13], v[0:1], off
	v_accvgpr_write_b32 a2, v0
	v_lshl_add_u64 v[0:1], v[2:3], 4, s[0:1]
	v_add_u32_e32 v2, s11, v2
	v_accvgpr_write_b32 a4, v4
	v_ashrrev_i32_e32 v3, 31, v2
	v_accvgpr_write_b32 a5, v5
	global_load_dwordx4 v[14:17], v[4:5], off
	global_load_dwordx4 v[18:21], v[0:1], off
	v_lshl_add_u64 v[4:5], v[2:3], 4, s[0:1]
	v_add_u32_e32 v2, s11, v2
	v_accvgpr_write_b32 a7, v1
	v_ashrrev_i32_e32 v3, 31, v2
	v_accvgpr_write_b32 a6, v0
	v_lshl_add_u64 v[0:1], v[2:3], 4, s[0:1]
	v_add_u32_e32 v2, s11, v2
	v_accvgpr_write_b32 a9, v5
	v_ashrrev_i32_e32 v3, 31, v2
	v_accvgpr_write_b32 a8, v4
	global_load_dwordx4 v[22:25], v[4:5], off
	global_load_dwordx4 v[26:29], v[0:1], off
	v_lshl_add_u64 v[4:5], v[2:3], 4, s[0:1]
	v_add_u32_e32 v2, s11, v2
	v_accvgpr_write_b32 a11, v1
	v_ashrrev_i32_e32 v3, 31, v2
	v_accvgpr_write_b32 a10, v0
	v_accvgpr_write_b32 a13, v5
	v_lshl_add_u64 v[0:1], v[2:3], 4, s[0:1]
	v_add_u32_e32 v2, s11, v2
	v_accvgpr_write_b32 a12, v4
	global_load_dwordx4 v[30:33], v[4:5], off
	global_load_dwordx4 v[34:37], v[0:1], off
	v_ashrrev_i32_e32 v3, 31, v2
	v_add_u32_e32 v4, s11, v2
	v_lshl_add_u64 v[38:39], v[2:3], 4, s[0:1]
	v_ashrrev_i32_e32 v5, 31, v4
	v_add_u32_e32 v2, s11, v4
	v_accvgpr_write_b32 a15, v1
	v_accvgpr_write_b32 a14, v0
	v_lshl_add_u64 v[0:1], v[4:5], 4, s[0:1]
	v_ashrrev_i32_e32 v3, 31, v2
	v_add_u32_e32 v4, s11, v2
	v_accvgpr_write_b32 a16, v38
	v_lshl_add_u64 v[48:49], v[2:3], 4, s[0:1]
	v_add_u32_e32 v2, s11, v4
	v_accvgpr_write_b32 a17, v39
	global_load_dwordx4 v[38:41], v[38:39], off
	v_ashrrev_i32_e32 v5, 31, v4
	v_accvgpr_write_b32 a19, v1
	v_ashrrev_i32_e32 v3, 31, v2
	v_accvgpr_write_b32 a18, v0
	global_load_dwordx4 v[42:45], v[0:1], off
	v_accvgpr_write_b32 a20, v48
	v_lshl_add_u64 v[0:1], v[4:5], 4, s[0:1]
	v_add_u32_e32 v4, s11, v2
	v_lshl_add_u64 v[2:3], v[2:3], 4, s[0:1]
	v_accvgpr_write_b32 a21, v49
	global_load_dwordx4 v[48:51], v[48:49], off
	v_accvgpr_write_b32 a25, v3
	v_ashrrev_i32_e32 v5, 31, v4
	v_accvgpr_write_b32 a23, v1
	global_load_dwordx4 v[52:55], v[0:1], off
	global_load_dwordx4 v[56:59], v[2:3], off
	v_accvgpr_write_b32 a24, v2
	v_add_u32_e32 v2, s11, v4
	v_accvgpr_write_b32 a22, v0
	v_lshl_add_u64 v[0:1], v[4:5], 4, s[0:1]
	v_ashrrev_i32_e32 v3, 31, v2
	v_add_u32_e32 v4, s11, v2
	v_lshl_add_u64 v[2:3], v[2:3], 4, s[0:1]
	v_ashrrev_i32_e32 v5, 31, v4
	v_accvgpr_write_b32 a27, v1
	global_load_dwordx4 v[60:63], v[0:1], off
	global_load_dwordx4 v[64:67], v[2:3], off
	v_accvgpr_write_b32 a26, v0
	v_lshl_add_u64 v[0:1], v[4:5], 4, s[0:1]
	global_load_dwordx4 v[68:71], v[0:1], off
	v_accvgpr_write_b32 a29, v3
	v_accvgpr_write_b32 a28, v2
	v_add_u32_e32 v2, s11, v4
	v_accvgpr_write_b32 a31, v1
	v_ashrrev_i32_e32 v3, 31, v2
	v_add_u32_e32 v72, s11, v2
	v_accvgpr_write_b32 a30, v0
	v_lshl_add_u64 v[0:1], v[2:3], 4, s[0:1]
	v_add_u32_e32 v74, s11, v72
	global_load_dwordx4 v[2:5], v[0:1], off
	s_waitcnt vmcnt(16)
	scratch_store_dwordx4 off, v[6:9], off offset:16
	s_waitcnt vmcnt(16)
	scratch_store_dwordx4 off, v[10:13], off offset:32
	;; [unrolled: 2-line block ×16, first 2 shown]
	v_add_u32_e32 v14, s11, v74
	v_add_u32_e32 v22, s11, v14
	v_ashrrev_i32_e32 v23, 31, v22
	v_lshl_add_u64 v[18:19], v[22:23], 4, s[0:1]
	v_add_u32_e32 v22, s11, v22
	v_add_u32_e32 v30, s11, v22
	v_ashrrev_i32_e32 v31, 31, v30
	v_lshl_add_u64 v[26:27], v[30:31], 4, s[0:1]
	;; [unrolled: 4-line block ×5, first 2 shown]
	v_add_u32_e32 v56, s11, v56
	v_ashrrev_i32_e32 v73, 31, v72
	v_accvgpr_write_b32 a33, v1
	v_ashrrev_i32_e32 v75, 31, v74
	v_add_u32_e32 v64, s11, v56
	v_accvgpr_write_b32 a32, v0
	v_lshl_add_u64 v[0:1], v[72:73], 4, s[0:1]
	v_lshl_add_u64 v[72:73], v[74:75], 4, s[0:1]
	v_ashrrev_i32_e32 v65, 31, v64
	v_accvgpr_write_b32 a36, v72
	v_lshl_add_u64 v[60:61], v[64:65], 4, s[0:1]
	v_add_u32_e32 v64, s11, v64
	v_accvgpr_write_b32 a35, v1
	v_accvgpr_write_b32 a37, v73
	global_load_dwordx4 v[10:13], v[72:73], off
	v_ashrrev_i32_e32 v15, 31, v14
	v_accvgpr_write_b32 a41, v19
	v_add_u32_e32 v72, s11, v64
	v_accvgpr_write_b32 a34, v0
	global_load_dwordx4 v[6:9], v[0:1], off
	v_accvgpr_write_b32 a40, v18
	global_load_dwordx4 v[18:21], v[18:19], off
	v_lshl_add_u64 v[0:1], v[14:15], 4, s[0:1]
	v_ashrrev_i32_e32 v73, 31, v72
	v_accvgpr_write_b32 a39, v1
	v_ashrrev_i32_e32 v23, 31, v22
	v_accvgpr_write_b32 a45, v27
	v_lshl_add_u64 v[68:69], v[72:73], 4, s[0:1]
	v_add_u32_e32 v72, s11, v72
	v_accvgpr_write_b32 a38, v0
	global_load_dwordx4 v[14:17], v[0:1], off
	v_accvgpr_write_b32 a44, v26
	global_load_dwordx4 v[26:29], v[26:27], off
	v_lshl_add_u64 v[0:1], v[22:23], 4, s[0:1]
	v_add_u32_e32 v80, s11, v72
	v_accvgpr_write_b32 a43, v1
	v_ashrrev_i32_e32 v31, 31, v30
	v_accvgpr_write_b32 a49, v35
	v_ashrrev_i32_e32 v81, 31, v80
	v_accvgpr_write_b32 a42, v0
	global_load_dwordx4 v[22:25], v[0:1], off
	v_accvgpr_write_b32 a48, v34
	global_load_dwordx4 v[34:37], v[34:35], off
	v_lshl_add_u64 v[0:1], v[30:31], 4, s[0:1]
	v_lshl_add_u64 v[76:77], v[80:81], 4, s[0:1]
	v_add_u32_e32 v80, s11, v80
	v_accvgpr_write_b32 a47, v1
	v_ashrrev_i32_e32 v39, 31, v38
	v_accvgpr_write_b32 a53, v43
	v_add_u32_e32 v88, s11, v80
	v_accvgpr_write_b32 a46, v0
	global_load_dwordx4 v[30:33], v[0:1], off
	v_accvgpr_write_b32 a52, v42
	global_load_dwordx4 v[42:45], v[42:43], off
	v_lshl_add_u64 v[0:1], v[38:39], 4, s[0:1]
	v_ashrrev_i32_e32 v89, 31, v88
	v_accvgpr_write_b32 a51, v1
	v_ashrrev_i32_e32 v49, 31, v48
	v_accvgpr_write_b32 a57, v53
	v_lshl_add_u64 v[84:85], v[88:89], 4, s[0:1]
	v_add_u32_e32 v88, s11, v88
	v_accvgpr_write_b32 a50, v0
	global_load_dwordx4 v[38:41], v[0:1], off
	v_accvgpr_write_b32 a56, v52
	global_load_dwordx4 v[52:55], v[52:53], off
	v_lshl_add_u64 v[0:1], v[48:49], 4, s[0:1]
	v_add_u32_e32 v96, s11, v88
	v_accvgpr_write_b32 a55, v1
	v_ashrrev_i32_e32 v57, 31, v56
	v_accvgpr_write_b32 a60, v60
	v_ashrrev_i32_e32 v97, 31, v96
	v_accvgpr_write_b32 a54, v0
	global_load_dwordx4 v[48:51], v[0:1], off
	v_accvgpr_write_b32 a61, v61
	global_load_dwordx4 v[60:63], v[60:61], off
	v_lshl_add_u64 v[0:1], v[56:57], 4, s[0:1]
	v_lshl_add_u64 v[92:93], v[96:97], 4, s[0:1]
	v_add_u32_e32 v96, s11, v96
	v_accvgpr_write_b32 a59, v1
	;; [unrolled: 32-line block ×4, first 2 shown]
	v_ashrrev_i32_e32 v113, 31, v112
	v_accvgpr_write_b32 a88, v116
	v_add_u32_e32 v136, s11, v128
	v_accvgpr_write_b32 a82, v0
	global_load_dwordx4 v[104:107], v[0:1], off
	v_accvgpr_write_b32 a89, v117
	global_load_dwordx4 v[116:119], v[116:117], off
	v_lshl_add_u64 v[0:1], v[112:113], 4, s[0:1]
	v_ashrrev_i32_e32 v137, 31, v136
	v_accvgpr_write_b32 a87, v1
	v_ashrrev_i32_e32 v121, 31, v120
	v_accvgpr_write_b32 a92, v124
	v_lshl_add_u64 v[132:133], v[136:137], 4, s[0:1]
	v_add_u32_e32 v136, s11, v136
	v_accvgpr_write_b32 a86, v0
	global_load_dwordx4 v[112:115], v[0:1], off
	v_accvgpr_write_b32 a93, v125
	global_load_dwordx4 v[124:127], v[124:125], off
	v_lshl_add_u64 v[0:1], v[120:121], 4, s[0:1]
	v_add_u32_e32 v144, s11, v136
	v_accvgpr_write_b32 a91, v1
	v_ashrrev_i32_e32 v129, 31, v128
	v_accvgpr_write_b32 a96, v132
	v_ashrrev_i32_e32 v145, 31, v144
	v_accvgpr_write_b32 a90, v0
	global_load_dwordx4 v[120:123], v[0:1], off
	v_accvgpr_write_b32 a97, v133
	global_load_dwordx4 v[132:135], v[132:133], off
	v_lshl_add_u64 v[0:1], v[128:129], 4, s[0:1]
	v_lshl_add_u64 v[140:141], v[144:145], 4, s[0:1]
	v_accvgpr_write_b32 a95, v1
	v_ashrrev_i32_e32 v137, 31, v136
	v_accvgpr_write_b32 a100, v140
	v_accvgpr_write_b32 a94, v0
	global_load_dwordx4 v[128:131], v[0:1], off
	v_accvgpr_write_b32 a101, v141
	global_load_dwordx4 v[140:143], v[140:141], off
	v_lshl_add_u64 v[0:1], v[136:137], 4, s[0:1]
	v_add_u32_e32 v144, s11, v144
	v_accvgpr_write_b32 a99, v1
	v_ashrrev_i32_e32 v145, 31, v144
	v_accvgpr_write_b32 a98, v0
	global_load_dwordx4 v[136:139], v[0:1], off
	v_lshl_add_u64 v[0:1], v[144:145], 4, s[0:1]
	s_movk_i32 s0, 0x50
	s_add_i32 s64, s0, 16
	s_movk_i32 s0, 0x60
	s_add_i32 s34, s0, 16
	;; [unrolled: 2-line block ×3, first 2 shown]
	s_movk_i32 s0, 0x80
	global_load_dwordx4 v[144:147], v[0:1], off
	s_add_i32 s36, s0, 16
	s_movk_i32 s0, 0x90
	s_add_i32 s37, s0, 16
	s_movk_i32 s0, 0xa0
	;; [unrolled: 2-line block ×43, first 2 shown]
	v_accvgpr_write_b32 a103, v1
	s_add_i32 s63, s0, 16
	v_accvgpr_write_b32 a102, v0
	s_mov_b32 s67, 32
	s_mov_b32 s66, 48
	;; [unrolled: 1-line block ×3, first 2 shown]
	s_movk_i32 s33, 0x50
	s_bitcmp0_b32 s4, 0
	s_mov_b64 s[4:5], -1
	s_waitcnt vmcnt(51)
	scratch_store_dwordx4 off, v[2:5], off offset:272
	s_waitcnt vmcnt(34)
	scratch_store_dwordx4 off, v[6:9], off offset:288
	scratch_store_dwordx4 off, v[10:13], off offset:304
	s_waitcnt vmcnt(34)
	scratch_store_dwordx4 off, v[14:17], off offset:320
	;; [unrolled: 3-line block ×18, first 2 shown]
	s_cbranch_scc1 .LBB51_220
; %bb.4:
	v_cmp_eq_u32_e64 s[0:1], 0, v246
	s_and_saveexec_b64 s[4:5], s[0:1]
; %bb.5:
	v_mov_b32_e32 v0, 0
	ds_write_b32 v0, v0 offset:1664
; %bb.6:
	s_or_b64 exec, exec, s[4:5]
	s_waitcnt lgkmcnt(0)
	; wave barrier
	scratch_load_dwordx4 v[2:5], v46, off offset:16
	s_waitcnt vmcnt(0)
	v_cmp_eq_f64_e32 vcc, 0, v[2:3]
	v_cmp_eq_f64_e64 s[4:5], 0, v[4:5]
	s_and_b64 s[4:5], vcc, s[4:5]
	s_and_saveexec_b64 s[8:9], s[4:5]
	s_cbranch_execz .LBB51_10
; %bb.7:
	v_mov_b32_e32 v1, 0
	ds_read_b32 v0, v1 offset:1664
	v_add_u32_e32 v2, 1, v246
	s_waitcnt lgkmcnt(0)
	v_readfirstlane_b32 s4, v0
	s_cmp_eq_u32 s4, 0
	s_cselect_b64 s[10:11], -1, 0
	v_cmp_gt_i32_e32 vcc, s4, v2
	s_or_b64 s[10:11], s[10:11], vcc
	s_and_b64 exec, exec, s[10:11]
	s_cbranch_execz .LBB51_10
; %bb.8:
	s_mov_b64 s[10:11], 0
	v_mov_b32_e32 v3, s4
.LBB51_9:                               ; =>This Inner Loop Header: Depth=1
	ds_cmpst_rtn_b32 v3, v1, v3, v2 offset:1664
	s_waitcnt lgkmcnt(0)
	v_cmp_ne_u32_e32 vcc, 0, v3
	v_cmp_le_i32_e64 s[4:5], v3, v2
	s_and_b64 s[4:5], vcc, s[4:5]
	s_and_b64 s[4:5], exec, s[4:5]
	s_or_b64 s[10:11], s[4:5], s[10:11]
	s_andn2_b64 exec, exec, s[10:11]
	s_cbranch_execnz .LBB51_9
.LBB51_10:
	s_or_b64 exec, exec, s[8:9]
	v_mov_b32_e32 v2, 0
	; wave barrier
	ds_read_b32 v1, v2 offset:1664
	s_and_saveexec_b64 s[4:5], s[0:1]
	s_cbranch_execz .LBB51_12
; %bb.11:
	s_lshl_b64 s[8:9], s[2:3], 2
	s_add_u32 s8, s6, s8
	s_addc_u32 s9, s7, s9
	s_waitcnt lgkmcnt(0)
	global_store_dword v2, v1, s[8:9]
.LBB51_12:
	s_or_b64 exec, exec, s[4:5]
	s_waitcnt lgkmcnt(0)
	v_cmp_ne_u32_e32 vcc, 0, v1
	s_mov_b64 s[4:5], 0
	s_cbranch_vccnz .LBB51_220
; %bb.13:
	v_add_u32_e32 v14, 16, v46
	scratch_load_dwordx4 v[2:5], v14, off
                                        ; implicit-def: $vgpr6_vgpr7
                                        ; implicit-def: $vgpr10_vgpr11
	s_waitcnt vmcnt(0)
	v_cmp_ngt_f64_e64 s[4:5], |v[2:3]|, |v[4:5]|
	s_and_saveexec_b64 s[8:9], s[4:5]
	s_xor_b64 s[4:5], exec, s[8:9]
	s_cbranch_execz .LBB51_15
; %bb.14:
	v_div_scale_f64 v[6:7], s[8:9], v[4:5], v[4:5], v[2:3]
	v_rcp_f64_e32 v[8:9], v[6:7]
	v_div_scale_f64 v[10:11], vcc, v[2:3], v[4:5], v[2:3]
	v_fma_f64 v[12:13], -v[6:7], v[8:9], 1.0
	v_fmac_f64_e32 v[8:9], v[8:9], v[12:13]
	v_fma_f64 v[12:13], -v[6:7], v[8:9], 1.0
	v_fmac_f64_e32 v[8:9], v[8:9], v[12:13]
	v_mul_f64 v[12:13], v[10:11], v[8:9]
	v_fma_f64 v[6:7], -v[6:7], v[12:13], v[10:11]
	v_div_fmas_f64 v[6:7], v[6:7], v[8:9], v[12:13]
	v_div_fixup_f64 v[6:7], v[6:7], v[4:5], v[2:3]
	v_fmac_f64_e32 v[4:5], v[2:3], v[6:7]
	v_div_scale_f64 v[2:3], s[8:9], v[4:5], v[4:5], 1.0
	v_rcp_f64_e32 v[8:9], v[2:3]
	s_nop 0
	v_fma_f64 v[10:11], -v[2:3], v[8:9], 1.0
	v_fmac_f64_e32 v[8:9], v[8:9], v[10:11]
	v_fma_f64 v[10:11], -v[2:3], v[8:9], 1.0
	v_fmac_f64_e32 v[8:9], v[8:9], v[10:11]
	v_div_scale_f64 v[10:11], vcc, 1.0, v[4:5], 1.0
	v_mul_f64 v[12:13], v[10:11], v[8:9]
	v_fma_f64 v[2:3], -v[2:3], v[12:13], v[10:11]
	s_nop 1
	v_div_fmas_f64 v[2:3], v[2:3], v[8:9], v[12:13]
	v_div_fixup_f64 v[8:9], v[2:3], v[4:5], 1.0
	v_mul_f64 v[6:7], v[6:7], v[8:9]
	v_xor_b32_e32 v9, 0x80000000, v9
	v_xor_b32_e32 v11, 0x80000000, v7
	v_mov_b32_e32 v10, v6
                                        ; implicit-def: $vgpr2_vgpr3
.LBB51_15:
	s_andn2_saveexec_b64 s[4:5], s[4:5]
	s_cbranch_execz .LBB51_17
; %bb.16:
	v_div_scale_f64 v[6:7], s[8:9], v[2:3], v[2:3], v[4:5]
	v_rcp_f64_e32 v[8:9], v[6:7]
	v_div_scale_f64 v[10:11], vcc, v[4:5], v[2:3], v[4:5]
	v_fma_f64 v[12:13], -v[6:7], v[8:9], 1.0
	v_fmac_f64_e32 v[8:9], v[8:9], v[12:13]
	v_fma_f64 v[12:13], -v[6:7], v[8:9], 1.0
	v_fmac_f64_e32 v[8:9], v[8:9], v[12:13]
	v_mul_f64 v[12:13], v[10:11], v[8:9]
	v_fma_f64 v[6:7], -v[6:7], v[12:13], v[10:11]
	v_div_fmas_f64 v[6:7], v[6:7], v[8:9], v[12:13]
	v_div_fixup_f64 v[8:9], v[6:7], v[2:3], v[4:5]
	v_fmac_f64_e32 v[2:3], v[4:5], v[8:9]
	v_div_scale_f64 v[4:5], s[8:9], v[2:3], v[2:3], 1.0
	v_rcp_f64_e32 v[6:7], v[4:5]
	s_nop 0
	v_fma_f64 v[10:11], -v[4:5], v[6:7], 1.0
	v_fmac_f64_e32 v[6:7], v[6:7], v[10:11]
	v_fma_f64 v[10:11], -v[4:5], v[6:7], 1.0
	v_fmac_f64_e32 v[6:7], v[6:7], v[10:11]
	v_div_scale_f64 v[10:11], vcc, 1.0, v[2:3], 1.0
	v_mul_f64 v[12:13], v[10:11], v[6:7]
	v_fma_f64 v[4:5], -v[4:5], v[12:13], v[10:11]
	s_nop 1
	v_div_fmas_f64 v[4:5], v[4:5], v[6:7], v[12:13]
	v_div_fixup_f64 v[6:7], v[4:5], v[2:3], 1.0
	v_xor_b32_e32 v11, 0x80000000, v7
	v_mov_b32_e32 v10, v6
	v_mul_f64 v[8:9], v[8:9], -v[6:7]
.LBB51_17:
	s_or_b64 exec, exec, s[4:5]
	scratch_store_dwordx4 v14, v[6:9], off
	scratch_load_dwordx4 v[2:5], off, s67
	v_xor_b32_e32 v13, 0x80000000, v9
	v_mov_b32_e32 v12, v8
	v_add_u32_e32 v1, 0x340, v46
	ds_write_b128 v46, v[10:13]
	s_waitcnt vmcnt(0)
	ds_write_b128 v46, v[2:5] offset:832
	s_waitcnt lgkmcnt(0)
	; wave barrier
	s_and_saveexec_b64 s[4:5], s[0:1]
	s_cbranch_execz .LBB51_19
; %bb.18:
	scratch_load_dwordx4 v[2:5], v14, off
	ds_read_b128 v[6:9], v1
	v_mov_b32_e32 v0, 0
	ds_read_b128 v[10:13], v0 offset:16
	s_waitcnt vmcnt(0) lgkmcnt(1)
	v_mul_f64 v[16:17], v[8:9], v[4:5]
	v_mul_f64 v[4:5], v[6:7], v[4:5]
	v_fma_f64 v[6:7], v[6:7], v[2:3], -v[16:17]
	v_fmac_f64_e32 v[4:5], v[8:9], v[2:3]
	v_add_f64 v[2:3], v[6:7], 0
	v_add_f64 v[6:7], v[4:5], 0
	s_waitcnt lgkmcnt(0)
	v_mul_f64 v[8:9], v[6:7], v[12:13]
	v_mul_f64 v[4:5], v[2:3], v[12:13]
	v_fma_f64 v[2:3], v[2:3], v[10:11], -v[8:9]
	v_fmac_f64_e32 v[4:5], v[6:7], v[10:11]
	scratch_store_dwordx4 off, v[2:5], off offset:32
.LBB51_19:
	s_or_b64 exec, exec, s[4:5]
	; wave barrier
	scratch_load_dwordx4 v[2:5], off, s66
	v_cmp_gt_u32_e32 vcc, 2, v246
	s_waitcnt vmcnt(0)
	ds_write_b128 v1, v[2:5]
	s_waitcnt lgkmcnt(0)
	; wave barrier
	s_and_saveexec_b64 s[4:5], vcc
	s_cbranch_execz .LBB51_23
; %bb.20:
	scratch_load_dwordx4 v[2:5], v14, off
	ds_read_b128 v[6:9], v1
	s_waitcnt vmcnt(0) lgkmcnt(0)
	v_mul_f64 v[10:11], v[8:9], v[4:5]
	v_mul_f64 v[12:13], v[6:7], v[4:5]
	v_fma_f64 v[4:5], v[6:7], v[2:3], -v[10:11]
	v_fmac_f64_e32 v[12:13], v[8:9], v[2:3]
	v_add_f64 v[4:5], v[4:5], 0
	v_add_f64 v[2:3], v[12:13], 0
	s_and_saveexec_b64 s[8:9], s[0:1]
	s_cbranch_execz .LBB51_22
; %bb.21:
	scratch_load_dwordx4 v[6:9], off, off offset:32
	v_mov_b32_e32 v0, 0
	ds_read_b128 v[10:13], v0 offset:848
	s_waitcnt vmcnt(0) lgkmcnt(0)
	v_mul_f64 v[14:15], v[10:11], v[8:9]
	v_mul_f64 v[8:9], v[12:13], v[8:9]
	v_fmac_f64_e32 v[14:15], v[12:13], v[6:7]
	v_fma_f64 v[6:7], v[10:11], v[6:7], -v[8:9]
	v_add_f64 v[2:3], v[2:3], v[14:15]
	v_add_f64 v[4:5], v[4:5], v[6:7]
.LBB51_22:
	s_or_b64 exec, exec, s[8:9]
	v_mov_b32_e32 v0, 0
	ds_read_b128 v[6:9], v0 offset:32
	s_waitcnt lgkmcnt(0)
	v_mul_f64 v[12:13], v[2:3], v[8:9]
	v_mul_f64 v[10:11], v[4:5], v[8:9]
	v_fma_f64 v[8:9], v[4:5], v[6:7], -v[12:13]
	v_fmac_f64_e32 v[10:11], v[2:3], v[6:7]
	scratch_store_dwordx4 off, v[8:11], off offset:48
.LBB51_23:
	s_or_b64 exec, exec, s[4:5]
	; wave barrier
	scratch_load_dwordx4 v[2:5], off, s65
	v_cmp_gt_u32_e32 vcc, 3, v246
	v_add_u32_e32 v6, -1, v246
	s_waitcnt vmcnt(0)
	ds_write_b128 v1, v[2:5]
	s_waitcnt lgkmcnt(0)
	; wave barrier
	s_and_saveexec_b64 s[0:1], vcc
	s_cbranch_execz .LBB51_27
; %bb.24:
	v_add_u32_e32 v7, -1, v246
	v_add_u32_e32 v8, 0x340, v46
	v_add_u32_e32 v9, 16, v46
	v_mov_b64_e32 v[2:3], 0
	s_mov_b64 s[4:5], 0
	v_mov_b64_e32 v[4:5], 0
.LBB51_25:                              ; =>This Inner Loop Header: Depth=1
	scratch_load_dwordx4 v[10:13], v9, off
	ds_read_b128 v[14:17], v8
	v_add_u32_e32 v7, 1, v7
	v_cmp_lt_u32_e32 vcc, 1, v7
	v_add_u32_e32 v8, 16, v8
	v_add_u32_e32 v9, 16, v9
	s_or_b64 s[4:5], vcc, s[4:5]
	s_waitcnt vmcnt(0) lgkmcnt(0)
	v_mul_f64 v[18:19], v[16:17], v[12:13]
	v_mul_f64 v[12:13], v[14:15], v[12:13]
	v_fma_f64 v[14:15], v[14:15], v[10:11], -v[18:19]
	v_fmac_f64_e32 v[12:13], v[16:17], v[10:11]
	v_add_f64 v[4:5], v[4:5], v[14:15]
	v_add_f64 v[2:3], v[2:3], v[12:13]
	s_andn2_b64 exec, exec, s[4:5]
	s_cbranch_execnz .LBB51_25
; %bb.26:
	s_or_b64 exec, exec, s[4:5]
	v_mov_b32_e32 v0, 0
	ds_read_b128 v[8:11], v0 offset:48
	s_waitcnt lgkmcnt(0)
	v_mul_f64 v[14:15], v[2:3], v[10:11]
	v_mul_f64 v[12:13], v[4:5], v[10:11]
	v_fma_f64 v[10:11], v[4:5], v[8:9], -v[14:15]
	v_fmac_f64_e32 v[12:13], v[2:3], v[8:9]
	scratch_store_dwordx4 off, v[10:13], off offset:64
.LBB51_27:
	s_or_b64 exec, exec, s[0:1]
	; wave barrier
	scratch_load_dwordx4 v[2:5], off, s33
	v_cmp_gt_u32_e32 vcc, 4, v246
	s_waitcnt vmcnt(0)
	ds_write_b128 v1, v[2:5]
	s_waitcnt lgkmcnt(0)
	; wave barrier
	s_and_saveexec_b64 s[0:1], vcc
	s_cbranch_execz .LBB51_31
; %bb.28:
	v_add_u32_e32 v7, -1, v246
	v_add_u32_e32 v8, 0x340, v46
	v_add_u32_e32 v9, 16, v46
	v_mov_b64_e32 v[2:3], 0
	s_mov_b64 s[4:5], 0
	v_mov_b64_e32 v[4:5], 0
.LBB51_29:                              ; =>This Inner Loop Header: Depth=1
	scratch_load_dwordx4 v[10:13], v9, off
	ds_read_b128 v[14:17], v8
	v_add_u32_e32 v7, 1, v7
	v_cmp_lt_u32_e32 vcc, 2, v7
	v_add_u32_e32 v8, 16, v8
	v_add_u32_e32 v9, 16, v9
	s_or_b64 s[4:5], vcc, s[4:5]
	s_waitcnt vmcnt(0) lgkmcnt(0)
	v_mul_f64 v[18:19], v[16:17], v[12:13]
	v_mul_f64 v[12:13], v[14:15], v[12:13]
	v_fma_f64 v[14:15], v[14:15], v[10:11], -v[18:19]
	v_fmac_f64_e32 v[12:13], v[16:17], v[10:11]
	v_add_f64 v[4:5], v[4:5], v[14:15]
	v_add_f64 v[2:3], v[2:3], v[12:13]
	s_andn2_b64 exec, exec, s[4:5]
	s_cbranch_execnz .LBB51_29
; %bb.30:
	s_or_b64 exec, exec, s[4:5]
	v_mov_b32_e32 v0, 0
	ds_read_b128 v[8:11], v0 offset:64
	s_waitcnt lgkmcnt(0)
	v_mul_f64 v[14:15], v[2:3], v[10:11]
	v_mul_f64 v[12:13], v[4:5], v[10:11]
	v_fma_f64 v[10:11], v[4:5], v[8:9], -v[14:15]
	v_fmac_f64_e32 v[12:13], v[2:3], v[8:9]
	scratch_store_dwordx4 off, v[10:13], off offset:80
.LBB51_31:
	s_or_b64 exec, exec, s[0:1]
	; wave barrier
	scratch_load_dwordx4 v[2:5], off, s64
	v_cmp_gt_u32_e32 vcc, 5, v246
	;; [unrolled: 45-line block ×19, first 2 shown]
	s_waitcnt vmcnt(0)
	ds_write_b128 v1, v[2:5]
	s_waitcnt lgkmcnt(0)
	; wave barrier
	s_and_saveexec_b64 s[0:1], vcc
	s_cbranch_execz .LBB51_103
; %bb.100:
	v_add_u32_e32 v7, -1, v246
	v_add_u32_e32 v8, 0x340, v46
	v_add_u32_e32 v9, 16, v46
	v_mov_b64_e32 v[2:3], 0
	s_mov_b64 s[4:5], 0
	v_mov_b64_e32 v[4:5], 0
.LBB51_101:                             ; =>This Inner Loop Header: Depth=1
	scratch_load_dwordx4 v[10:13], v9, off
	ds_read_b128 v[14:17], v8
	v_add_u32_e32 v7, 1, v7
	v_cmp_lt_u32_e32 vcc, 20, v7
	v_add_u32_e32 v8, 16, v8
	v_add_u32_e32 v9, 16, v9
	s_or_b64 s[4:5], vcc, s[4:5]
	s_waitcnt vmcnt(0) lgkmcnt(0)
	v_mul_f64 v[18:19], v[16:17], v[12:13]
	v_mul_f64 v[12:13], v[14:15], v[12:13]
	v_fma_f64 v[14:15], v[14:15], v[10:11], -v[18:19]
	v_fmac_f64_e32 v[12:13], v[16:17], v[10:11]
	v_add_f64 v[4:5], v[4:5], v[14:15]
	v_add_f64 v[2:3], v[2:3], v[12:13]
	s_andn2_b64 exec, exec, s[4:5]
	s_cbranch_execnz .LBB51_101
; %bb.102:
	s_or_b64 exec, exec, s[4:5]
	v_mov_b32_e32 v0, 0
	ds_read_b128 v[8:11], v0 offset:352
	s_waitcnt lgkmcnt(0)
	v_mul_f64 v[14:15], v[2:3], v[10:11]
	v_mul_f64 v[12:13], v[4:5], v[10:11]
	v_fma_f64 v[10:11], v[4:5], v[8:9], -v[14:15]
	v_fmac_f64_e32 v[12:13], v[2:3], v[8:9]
	scratch_store_dwordx4 off, v[10:13], off offset:368
.LBB51_103:
	s_or_b64 exec, exec, s[0:1]
	; wave barrier
	scratch_load_dwordx4 v[2:5], off, s51
	v_cmp_gt_u32_e32 vcc, 23, v246
	s_waitcnt vmcnt(0)
	ds_write_b128 v1, v[2:5]
	s_waitcnt lgkmcnt(0)
	; wave barrier
	s_and_saveexec_b64 s[0:1], vcc
	s_cbranch_execz .LBB51_107
; %bb.104:
	v_add_u32_e32 v7, -1, v246
	v_add_u32_e32 v8, 0x340, v46
	v_add_u32_e32 v9, 16, v46
	v_mov_b64_e32 v[2:3], 0
	s_mov_b64 s[4:5], 0
	v_mov_b64_e32 v[4:5], 0
.LBB51_105:                             ; =>This Inner Loop Header: Depth=1
	scratch_load_dwordx4 v[10:13], v9, off
	ds_read_b128 v[14:17], v8
	v_add_u32_e32 v7, 1, v7
	v_cmp_lt_u32_e32 vcc, 21, v7
	v_add_u32_e32 v8, 16, v8
	v_add_u32_e32 v9, 16, v9
	s_or_b64 s[4:5], vcc, s[4:5]
	s_waitcnt vmcnt(0) lgkmcnt(0)
	v_mul_f64 v[18:19], v[16:17], v[12:13]
	v_mul_f64 v[12:13], v[14:15], v[12:13]
	v_fma_f64 v[14:15], v[14:15], v[10:11], -v[18:19]
	v_fmac_f64_e32 v[12:13], v[16:17], v[10:11]
	v_add_f64 v[4:5], v[4:5], v[14:15]
	v_add_f64 v[2:3], v[2:3], v[12:13]
	s_andn2_b64 exec, exec, s[4:5]
	s_cbranch_execnz .LBB51_105
; %bb.106:
	s_or_b64 exec, exec, s[4:5]
	v_mov_b32_e32 v0, 0
	ds_read_b128 v[8:11], v0 offset:368
	s_waitcnt lgkmcnt(0)
	v_mul_f64 v[14:15], v[2:3], v[10:11]
	v_mul_f64 v[12:13], v[4:5], v[10:11]
	v_fma_f64 v[10:11], v[4:5], v[8:9], -v[14:15]
	v_fmac_f64_e32 v[12:13], v[2:3], v[8:9]
	scratch_store_dwordx4 off, v[10:13], off offset:384
.LBB51_107:
	s_or_b64 exec, exec, s[0:1]
	; wave barrier
	scratch_load_dwordx4 v[2:5], off, s52
	v_cmp_gt_u32_e32 vcc, 24, v246
	;; [unrolled: 45-line block ×28, first 2 shown]
	s_waitcnt vmcnt(0)
	ds_write_b128 v1, v[2:5]
	s_waitcnt lgkmcnt(0)
	; wave barrier
	s_and_saveexec_b64 s[0:1], vcc
	s_cbranch_execz .LBB51_215
; %bb.212:
	v_add_u32_e32 v7, -1, v246
	v_add_u32_e32 v8, 0x340, v46
	v_add_u32_e32 v9, 16, v46
	v_mov_b64_e32 v[2:3], 0
	s_mov_b64 s[4:5], 0
	v_mov_b64_e32 v[4:5], 0
.LBB51_213:                             ; =>This Inner Loop Header: Depth=1
	scratch_load_dwordx4 v[10:13], v9, off
	ds_read_b128 v[14:17], v8
	v_add_u32_e32 v7, 1, v7
	v_cmp_lt_u32_e32 vcc, 48, v7
	v_add_u32_e32 v8, 16, v8
	v_add_u32_e32 v9, 16, v9
	s_or_b64 s[4:5], vcc, s[4:5]
	s_waitcnt vmcnt(0) lgkmcnt(0)
	v_mul_f64 v[18:19], v[16:17], v[12:13]
	v_mul_f64 v[12:13], v[14:15], v[12:13]
	v_fma_f64 v[14:15], v[14:15], v[10:11], -v[18:19]
	v_fmac_f64_e32 v[12:13], v[16:17], v[10:11]
	v_add_f64 v[4:5], v[4:5], v[14:15]
	v_add_f64 v[2:3], v[2:3], v[12:13]
	s_andn2_b64 exec, exec, s[4:5]
	s_cbranch_execnz .LBB51_213
; %bb.214:
	s_or_b64 exec, exec, s[4:5]
	v_mov_b32_e32 v0, 0
	ds_read_b128 v[8:11], v0 offset:800
	s_waitcnt lgkmcnt(0)
	v_mul_f64 v[14:15], v[2:3], v[10:11]
	v_mul_f64 v[12:13], v[4:5], v[10:11]
	v_fma_f64 v[10:11], v[4:5], v[8:9], -v[14:15]
	v_fmac_f64_e32 v[12:13], v[2:3], v[8:9]
	scratch_store_dwordx4 off, v[10:13], off offset:816
.LBB51_215:
	s_or_b64 exec, exec, s[0:1]
	; wave barrier
	scratch_load_dwordx4 v[2:5], off, s63
	v_cmp_ne_u32_e32 vcc, 51, v246
	s_waitcnt vmcnt(0)
	ds_write_b128 v1, v[2:5]
	s_waitcnt lgkmcnt(0)
	; wave barrier
	s_and_saveexec_b64 s[0:1], vcc
	s_cbranch_execz .LBB51_219
; %bb.216:
	v_add_u32_e32 v1, 0x340, v46
	v_add_u32_e32 v7, 16, v46
	v_mov_b64_e32 v[2:3], 0
	s_mov_b64 s[4:5], 0
	v_mov_b64_e32 v[4:5], 0
.LBB51_217:                             ; =>This Inner Loop Header: Depth=1
	scratch_load_dwordx4 v[8:11], v7, off
	ds_read_b128 v[12:15], v1
	v_add_u32_e32 v6, 1, v6
	v_cmp_lt_u32_e32 vcc, 49, v6
	v_add_u32_e32 v1, 16, v1
	v_add_u32_e32 v7, 16, v7
	s_or_b64 s[4:5], vcc, s[4:5]
	s_waitcnt vmcnt(0) lgkmcnt(0)
	v_mul_f64 v[16:17], v[14:15], v[10:11]
	v_mul_f64 v[10:11], v[12:13], v[10:11]
	v_fma_f64 v[12:13], v[12:13], v[8:9], -v[16:17]
	v_fmac_f64_e32 v[10:11], v[14:15], v[8:9]
	v_add_f64 v[4:5], v[4:5], v[12:13]
	v_add_f64 v[2:3], v[2:3], v[10:11]
	s_andn2_b64 exec, exec, s[4:5]
	s_cbranch_execnz .LBB51_217
; %bb.218:
	s_or_b64 exec, exec, s[4:5]
	v_mov_b32_e32 v0, 0
	ds_read_b128 v[6:9], v0 offset:816
	s_waitcnt lgkmcnt(0)
	v_mul_f64 v[12:13], v[2:3], v[8:9]
	v_mul_f64 v[10:11], v[4:5], v[8:9]
	v_fma_f64 v[8:9], v[4:5], v[6:7], -v[12:13]
	v_fmac_f64_e32 v[10:11], v[2:3], v[6:7]
	scratch_store_dwordx4 off, v[8:11], off offset:832
.LBB51_219:
	s_or_b64 exec, exec, s[0:1]
	s_mov_b64 s[4:5], -1
	; wave barrier
.LBB51_220:
	s_and_b64 vcc, exec, s[4:5]
	s_cbranch_vccz .LBB51_222
; %bb.221:
	s_lshl_b64 s[0:1], s[2:3], 2
	s_add_u32 s0, s6, s0
	s_addc_u32 s1, s7, s1
	v_mov_b32_e32 v0, 0
	global_load_dword v0, v0, s[0:1]
	s_waitcnt vmcnt(0)
	v_cmp_ne_u32_e32 vcc, 0, v0
	s_cbranch_vccz .LBB51_223
.LBB51_222:
	s_endpgm
.LBB51_223:
	v_mov_b32_e32 v0, 0x340
	v_lshl_add_u32 v0, v246, 4, v0
	v_accvgpr_write_b32 a105, v0
	v_cmp_eq_u32_e32 vcc, 51, v246
	s_and_saveexec_b64 s[0:1], vcc
	s_cbranch_execz .LBB51_225
; %bb.224:
	scratch_load_dwordx4 v[2:5], off, s31
	v_mov_b32_e32 v6, 0
	v_mov_b32_e32 v7, v6
	v_mov_b32_e32 v8, v6
	v_mov_b32_e32 v9, v6
	v_accvgpr_read_b32 v0, a105
	scratch_store_dwordx4 off, v[6:9], off offset:816
	s_waitcnt vmcnt(1)
	ds_write_b128 v0, v[2:5]
.LBB51_225:
	s_or_b64 exec, exec, s[0:1]
	s_waitcnt lgkmcnt(0)
	; wave barrier
	scratch_load_dwordx4 v[4:7], off, off offset:832
	scratch_load_dwordx4 v[8:11], off, off offset:816
	v_mov_b32_e32 v2, 0
	ds_read_b128 v[12:15], v2 offset:1648
	v_cmp_lt_u32_e32 vcc, 49, v246
	s_waitcnt vmcnt(1) lgkmcnt(0)
	v_mul_f64 v[16:17], v[12:13], v[6:7]
	v_mul_f64 v[6:7], v[14:15], v[6:7]
	v_fmac_f64_e32 v[16:17], v[14:15], v[4:5]
	v_fma_f64 v[4:5], v[12:13], v[4:5], -v[6:7]
	v_add_f64 v[6:7], v[16:17], 0
	v_add_f64 v[4:5], v[4:5], 0
	s_waitcnt vmcnt(0)
	v_add_f64 v[4:5], v[8:9], -v[4:5]
	v_add_f64 v[6:7], v[10:11], -v[6:7]
	scratch_store_dwordx4 off, v[4:7], off offset:816
	s_and_saveexec_b64 s[0:1], vcc
	s_cbranch_execz .LBB51_227
; %bb.226:
	scratch_load_dwordx4 v[6:9], off, s30
	v_mov_b32_e32 v3, v2
	v_mov_b32_e32 v4, v2
	;; [unrolled: 1-line block ×3, first 2 shown]
	v_accvgpr_read_b32 v0, a105
	scratch_store_dwordx4 off, v[2:5], off offset:800
	s_waitcnt vmcnt(1)
	ds_write_b128 v0, v[6:9]
.LBB51_227:
	s_or_b64 exec, exec, s[0:1]
	s_waitcnt lgkmcnt(0)
	; wave barrier
	ds_read_b128 v[4:7], v2 offset:1632
	ds_read_b128 v[8:11], v2 offset:1648
	scratch_load_dwordx4 v[12:15], off, off offset:816
	scratch_load_dwordx4 v[16:19], off, off offset:832
	v_cmp_lt_u32_e32 vcc, 48, v246
	s_waitcnt vmcnt(1) lgkmcnt(1)
	v_mul_f64 v[2:3], v[4:5], v[14:15]
	v_fmac_f64_e32 v[2:3], v[6:7], v[12:13]
	s_waitcnt vmcnt(0) lgkmcnt(0)
	v_mul_f64 v[20:21], v[8:9], v[18:19]
	v_add_f64 v[2:3], v[2:3], 0
	v_fmac_f64_e32 v[20:21], v[10:11], v[16:17]
	v_add_f64 v[20:21], v[2:3], v[20:21]
	v_mul_f64 v[2:3], v[6:7], v[14:15]
	v_fma_f64 v[2:3], v[4:5], v[12:13], -v[2:3]
	v_mul_f64 v[4:5], v[10:11], v[18:19]
	v_add_f64 v[2:3], v[2:3], 0
	v_fma_f64 v[4:5], v[8:9], v[16:17], -v[4:5]
	v_add_f64 v[6:7], v[2:3], v[4:5]
	scratch_load_dwordx4 v[2:5], off, off offset:800
	s_waitcnt vmcnt(0)
	v_add_f64 v[2:3], v[2:3], -v[6:7]
	v_add_f64 v[4:5], v[4:5], -v[20:21]
	scratch_store_dwordx4 off, v[2:5], off offset:800
	s_and_saveexec_b64 s[0:1], vcc
	s_cbranch_execz .LBB51_229
; %bb.228:
	scratch_load_dwordx4 v[2:5], off, s29
	v_mov_b32_e32 v6, 0
	v_mov_b32_e32 v7, v6
	;; [unrolled: 1-line block ×4, first 2 shown]
	v_accvgpr_read_b32 v0, a105
	scratch_store_dwordx4 off, v[6:9], off offset:784
	s_waitcnt vmcnt(1)
	ds_write_b128 v0, v[2:5]
.LBB51_229:
	s_or_b64 exec, exec, s[0:1]
	s_waitcnt lgkmcnt(0)
	; wave barrier
	scratch_load_dwordx4 v[4:7], off, off offset:800
	scratch_load_dwordx4 v[8:11], off, off offset:816
	;; [unrolled: 1-line block ×4, first 2 shown]
	v_mov_b32_e32 v2, 0
	ds_read_b128 v[20:23], v2 offset:1616
	ds_read_b128 v[24:27], v2 offset:1632
	;; [unrolled: 1-line block ×3, first 2 shown]
	v_cmp_lt_u32_e32 vcc, 47, v246
	s_waitcnt vmcnt(3) lgkmcnt(2)
	v_mul_f64 v[32:33], v[20:21], v[6:7]
	v_mul_f64 v[6:7], v[22:23], v[6:7]
	s_waitcnt vmcnt(2) lgkmcnt(1)
	v_mul_f64 v[34:35], v[24:25], v[10:11]
	v_mul_f64 v[10:11], v[26:27], v[10:11]
	v_fmac_f64_e32 v[32:33], v[22:23], v[4:5]
	v_fma_f64 v[4:5], v[20:21], v[4:5], -v[6:7]
	s_waitcnt vmcnt(1) lgkmcnt(0)
	v_mul_f64 v[36:37], v[28:29], v[14:15]
	v_mul_f64 v[14:15], v[30:31], v[14:15]
	v_fmac_f64_e32 v[34:35], v[26:27], v[8:9]
	v_fma_f64 v[6:7], v[24:25], v[8:9], -v[10:11]
	v_add_f64 v[10:11], v[32:33], 0
	v_add_f64 v[4:5], v[4:5], 0
	v_fmac_f64_e32 v[36:37], v[30:31], v[12:13]
	v_fma_f64 v[8:9], v[28:29], v[12:13], -v[14:15]
	v_add_f64 v[10:11], v[10:11], v[34:35]
	v_add_f64 v[4:5], v[4:5], v[6:7]
	;; [unrolled: 1-line block ×4, first 2 shown]
	s_waitcnt vmcnt(0)
	v_add_f64 v[4:5], v[16:17], -v[4:5]
	v_add_f64 v[6:7], v[18:19], -v[6:7]
	scratch_store_dwordx4 off, v[4:7], off offset:784
	s_and_saveexec_b64 s[0:1], vcc
	s_cbranch_execz .LBB51_231
; %bb.230:
	scratch_load_dwordx4 v[6:9], off, s28
	v_mov_b32_e32 v3, v2
	v_mov_b32_e32 v4, v2
	;; [unrolled: 1-line block ×3, first 2 shown]
	v_accvgpr_read_b32 v0, a105
	scratch_store_dwordx4 off, v[2:5], off offset:768
	s_waitcnt vmcnt(1)
	ds_write_b128 v0, v[6:9]
.LBB51_231:
	s_or_b64 exec, exec, s[0:1]
	s_waitcnt lgkmcnt(0)
	; wave barrier
	scratch_load_dwordx4 v[4:7], off, off offset:784
	scratch_load_dwordx4 v[8:11], off, off offset:800
	;; [unrolled: 1-line block ×5, first 2 shown]
	ds_read_b128 v[24:27], v2 offset:1600
	ds_read_b128 v[28:31], v2 offset:1616
	;; [unrolled: 1-line block ×4, first 2 shown]
	v_cmp_lt_u32_e32 vcc, 46, v246
	s_waitcnt vmcnt(4) lgkmcnt(3)
	v_mul_f64 v[2:3], v[24:25], v[6:7]
	v_mul_f64 v[6:7], v[26:27], v[6:7]
	s_waitcnt vmcnt(3) lgkmcnt(2)
	v_mul_f64 v[40:41], v[28:29], v[10:11]
	v_mul_f64 v[10:11], v[30:31], v[10:11]
	v_fmac_f64_e32 v[2:3], v[26:27], v[4:5]
	v_fma_f64 v[4:5], v[24:25], v[4:5], -v[6:7]
	s_waitcnt vmcnt(2) lgkmcnt(1)
	v_mul_f64 v[42:43], v[32:33], v[14:15]
	v_mul_f64 v[14:15], v[34:35], v[14:15]
	v_fmac_f64_e32 v[40:41], v[30:31], v[8:9]
	v_fma_f64 v[6:7], v[28:29], v[8:9], -v[10:11]
	v_add_f64 v[2:3], v[2:3], 0
	v_add_f64 v[4:5], v[4:5], 0
	s_waitcnt vmcnt(1) lgkmcnt(0)
	v_mul_f64 v[44:45], v[36:37], v[18:19]
	v_mul_f64 v[18:19], v[38:39], v[18:19]
	v_fmac_f64_e32 v[42:43], v[34:35], v[12:13]
	v_fma_f64 v[8:9], v[32:33], v[12:13], -v[14:15]
	v_add_f64 v[2:3], v[2:3], v[40:41]
	v_add_f64 v[4:5], v[4:5], v[6:7]
	v_fmac_f64_e32 v[44:45], v[38:39], v[16:17]
	v_fma_f64 v[10:11], v[36:37], v[16:17], -v[18:19]
	v_add_f64 v[2:3], v[2:3], v[42:43]
	v_add_f64 v[4:5], v[4:5], v[8:9]
	;; [unrolled: 1-line block ×4, first 2 shown]
	s_waitcnt vmcnt(0)
	v_add_f64 v[2:3], v[20:21], -v[2:3]
	v_add_f64 v[4:5], v[22:23], -v[6:7]
	scratch_store_dwordx4 off, v[2:5], off offset:768
	s_and_saveexec_b64 s[0:1], vcc
	s_cbranch_execz .LBB51_233
; %bb.232:
	scratch_load_dwordx4 v[2:5], off, s27
	v_mov_b32_e32 v6, 0
	v_mov_b32_e32 v7, v6
	;; [unrolled: 1-line block ×4, first 2 shown]
	v_accvgpr_read_b32 v0, a105
	scratch_store_dwordx4 off, v[6:9], off offset:752
	s_waitcnt vmcnt(1)
	ds_write_b128 v0, v[2:5]
.LBB51_233:
	s_or_b64 exec, exec, s[0:1]
	s_waitcnt lgkmcnt(0)
	; wave barrier
	scratch_load_dwordx4 v[4:7], off, off offset:768
	scratch_load_dwordx4 v[8:11], off, off offset:784
	;; [unrolled: 1-line block ×6, first 2 shown]
	v_mov_b32_e32 v2, 0
	ds_read_b128 v[28:31], v2 offset:1584
	ds_read_b128 v[32:35], v2 offset:1600
	;; [unrolled: 1-line block ×5, first 2 shown]
	v_cmp_lt_u32_e32 vcc, 45, v246
	s_waitcnt vmcnt(5) lgkmcnt(4)
	v_mul_f64 v[48:49], v[28:29], v[6:7]
	v_mul_f64 v[6:7], v[30:31], v[6:7]
	s_waitcnt vmcnt(4) lgkmcnt(3)
	v_mul_f64 v[50:51], v[32:33], v[10:11]
	s_waitcnt vmcnt(3) lgkmcnt(2)
	v_mul_f64 v[52:53], v[36:37], v[14:15]
	v_mul_f64 v[10:11], v[34:35], v[10:11]
	;; [unrolled: 1-line block ×3, first 2 shown]
	v_fmac_f64_e32 v[48:49], v[30:31], v[4:5]
	v_fma_f64 v[4:5], v[28:29], v[4:5], -v[6:7]
	v_fmac_f64_e32 v[50:51], v[34:35], v[8:9]
	v_fma_f64 v[6:7], v[32:33], v[8:9], -v[10:11]
	v_fma_f64 v[8:9], v[36:37], v[12:13], -v[14:15]
	v_add_f64 v[14:15], v[48:49], 0
	v_add_f64 v[4:5], v[4:5], 0
	s_waitcnt vmcnt(2) lgkmcnt(1)
	v_mul_f64 v[54:55], v[40:41], v[18:19]
	v_mul_f64 v[18:19], v[42:43], v[18:19]
	v_fmac_f64_e32 v[52:53], v[38:39], v[12:13]
	v_add_f64 v[14:15], v[14:15], v[50:51]
	v_add_f64 v[4:5], v[4:5], v[6:7]
	s_waitcnt vmcnt(1) lgkmcnt(0)
	v_mul_f64 v[56:57], v[44:45], v[22:23]
	v_mul_f64 v[22:23], v[46:47], v[22:23]
	v_fmac_f64_e32 v[54:55], v[42:43], v[16:17]
	v_fma_f64 v[10:11], v[40:41], v[16:17], -v[18:19]
	v_add_f64 v[6:7], v[14:15], v[52:53]
	v_add_f64 v[4:5], v[4:5], v[8:9]
	v_fmac_f64_e32 v[56:57], v[46:47], v[20:21]
	v_fma_f64 v[12:13], v[44:45], v[20:21], -v[22:23]
	v_add_f64 v[6:7], v[6:7], v[54:55]
	v_add_f64 v[4:5], v[4:5], v[10:11]
	;; [unrolled: 1-line block ×4, first 2 shown]
	s_waitcnt vmcnt(0)
	v_add_f64 v[4:5], v[24:25], -v[4:5]
	v_add_f64 v[6:7], v[26:27], -v[6:7]
	scratch_store_dwordx4 off, v[4:7], off offset:752
	s_and_saveexec_b64 s[0:1], vcc
	s_cbranch_execz .LBB51_235
; %bb.234:
	scratch_load_dwordx4 v[6:9], off, s25
	v_mov_b32_e32 v3, v2
	v_mov_b32_e32 v4, v2
	;; [unrolled: 1-line block ×3, first 2 shown]
	v_accvgpr_read_b32 v0, a105
	scratch_store_dwordx4 off, v[2:5], off offset:736
	s_waitcnt vmcnt(1)
	ds_write_b128 v0, v[6:9]
.LBB51_235:
	s_or_b64 exec, exec, s[0:1]
	s_waitcnt lgkmcnt(0)
	; wave barrier
	ds_read_b128 v[4:7], v2 offset:1568
	ds_read_b128 v[8:11], v2 offset:1584
	;; [unrolled: 1-line block ×4, first 2 shown]
	scratch_load_dwordx4 v[20:23], off, off offset:752
	scratch_load_dwordx4 v[40:43], off, off offset:816
	v_cmp_lt_u32_e32 vcc, 44, v246
	scratch_load_dwordx4 v[48:51], off, off offset:832
	s_waitcnt vmcnt(2) lgkmcnt(3)
	v_mul_f64 v[24:25], v[4:5], v[22:23]
	v_fmac_f64_e32 v[24:25], v[6:7], v[20:21]
	v_add_f64 v[28:29], v[24:25], 0
	scratch_load_dwordx4 v[24:27], off, off offset:768
	s_waitcnt vmcnt(0) lgkmcnt(2)
	v_mul_f64 v[30:31], v[8:9], v[26:27]
	v_fmac_f64_e32 v[30:31], v[10:11], v[24:25]
	v_add_f64 v[32:33], v[28:29], v[30:31]
	scratch_load_dwordx4 v[28:31], off, off offset:784
	s_waitcnt vmcnt(0) lgkmcnt(1)
	v_mul_f64 v[34:35], v[12:13], v[30:31]
	v_fmac_f64_e32 v[34:35], v[14:15], v[28:29]
	v_add_f64 v[36:37], v[32:33], v[34:35]
	scratch_load_dwordx4 v[32:35], off, off offset:800
	s_waitcnt vmcnt(0) lgkmcnt(0)
	v_mul_f64 v[38:39], v[16:17], v[34:35]
	v_fmac_f64_e32 v[38:39], v[18:19], v[32:33]
	v_add_f64 v[44:45], v[36:37], v[38:39]
	ds_read_b128 v[36:39], v2 offset:1632
	s_waitcnt lgkmcnt(0)
	v_mul_f64 v[46:47], v[36:37], v[42:43]
	v_fmac_f64_e32 v[46:47], v[38:39], v[40:41]
	v_add_f64 v[52:53], v[44:45], v[46:47]
	ds_read_b128 v[44:47], v2 offset:1648
	s_waitcnt lgkmcnt(0)
	v_mul_f64 v[2:3], v[44:45], v[50:51]
	v_fmac_f64_e32 v[2:3], v[46:47], v[48:49]
	v_add_f64 v[52:53], v[52:53], v[2:3]
	v_mul_f64 v[2:3], v[6:7], v[22:23]
	v_fma_f64 v[2:3], v[4:5], v[20:21], -v[2:3]
	v_mul_f64 v[4:5], v[10:11], v[26:27]
	v_add_f64 v[2:3], v[2:3], 0
	v_fma_f64 v[4:5], v[8:9], v[24:25], -v[4:5]
	v_add_f64 v[2:3], v[2:3], v[4:5]
	v_mul_f64 v[4:5], v[14:15], v[30:31]
	v_fma_f64 v[4:5], v[12:13], v[28:29], -v[4:5]
	v_add_f64 v[2:3], v[2:3], v[4:5]
	v_mul_f64 v[4:5], v[18:19], v[34:35]
	;; [unrolled: 3-line block ×4, first 2 shown]
	v_fma_f64 v[4:5], v[44:45], v[48:49], -v[4:5]
	v_add_f64 v[6:7], v[2:3], v[4:5]
	scratch_load_dwordx4 v[2:5], off, off offset:736
	s_waitcnt vmcnt(0)
	v_add_f64 v[2:3], v[2:3], -v[6:7]
	v_add_f64 v[4:5], v[4:5], -v[52:53]
	scratch_store_dwordx4 off, v[2:5], off offset:736
	s_and_saveexec_b64 s[0:1], vcc
	s_cbranch_execz .LBB51_237
; %bb.236:
	scratch_load_dwordx4 v[2:5], off, s26
	v_mov_b32_e32 v6, 0
	v_mov_b32_e32 v7, v6
	v_mov_b32_e32 v8, v6
	v_mov_b32_e32 v9, v6
	v_accvgpr_read_b32 v0, a105
	scratch_store_dwordx4 off, v[6:9], off offset:720
	s_waitcnt vmcnt(1)
	ds_write_b128 v0, v[2:5]
.LBB51_237:
	s_or_b64 exec, exec, s[0:1]
	s_waitcnt lgkmcnt(0)
	; wave barrier
	scratch_load_dwordx4 v[4:7], off, off offset:736
	scratch_load_dwordx4 v[8:11], off, off offset:752
	;; [unrolled: 1-line block ×8, first 2 shown]
	v_mov_b32_e32 v2, 0
	ds_read_b128 v[36:39], v2 offset:1552
	ds_read_b128 v[40:43], v2 offset:1568
	;; [unrolled: 1-line block ×7, first 2 shown]
	v_cmp_lt_u32_e32 vcc, 43, v246
	s_waitcnt vmcnt(7) lgkmcnt(6)
	v_mul_f64 v[64:65], v[36:37], v[6:7]
	v_mul_f64 v[6:7], v[38:39], v[6:7]
	s_waitcnt vmcnt(6) lgkmcnt(5)
	v_mul_f64 v[66:67], v[40:41], v[10:11]
	s_waitcnt vmcnt(4) lgkmcnt(3)
	v_mul_f64 v[70:71], v[48:49], v[18:19]
	v_mul_f64 v[10:11], v[42:43], v[10:11]
	;; [unrolled: 1-line block ×3, first 2 shown]
	v_fmac_f64_e32 v[64:65], v[38:39], v[4:5]
	v_fma_f64 v[4:5], v[36:37], v[4:5], -v[6:7]
	v_mul_f64 v[68:69], v[44:45], v[14:15]
	v_mul_f64 v[14:15], v[46:47], v[14:15]
	v_fmac_f64_e32 v[66:67], v[42:43], v[8:9]
	v_fma_f64 v[6:7], v[40:41], v[8:9], -v[10:11]
	v_fma_f64 v[10:11], v[48:49], v[16:17], -v[18:19]
	v_add_f64 v[18:19], v[64:65], 0
	v_add_f64 v[4:5], v[4:5], 0
	v_fmac_f64_e32 v[68:69], v[46:47], v[12:13]
	v_fma_f64 v[8:9], v[44:45], v[12:13], -v[14:15]
	v_add_f64 v[18:19], v[18:19], v[66:67]
	v_add_f64 v[4:5], v[4:5], v[6:7]
	s_waitcnt vmcnt(3) lgkmcnt(2)
	v_mul_f64 v[72:73], v[52:53], v[22:23]
	v_mul_f64 v[22:23], v[54:55], v[22:23]
	v_fmac_f64_e32 v[70:71], v[50:51], v[16:17]
	v_add_f64 v[6:7], v[18:19], v[68:69]
	v_add_f64 v[4:5], v[4:5], v[8:9]
	s_waitcnt vmcnt(2) lgkmcnt(1)
	v_mul_f64 v[74:75], v[56:57], v[26:27]
	v_mul_f64 v[26:27], v[58:59], v[26:27]
	v_fmac_f64_e32 v[72:73], v[54:55], v[20:21]
	v_fma_f64 v[12:13], v[52:53], v[20:21], -v[22:23]
	v_add_f64 v[6:7], v[6:7], v[70:71]
	v_add_f64 v[4:5], v[4:5], v[10:11]
	s_waitcnt vmcnt(1) lgkmcnt(0)
	v_mul_f64 v[76:77], v[60:61], v[30:31]
	v_mul_f64 v[30:31], v[62:63], v[30:31]
	v_fmac_f64_e32 v[74:75], v[58:59], v[24:25]
	v_fma_f64 v[14:15], v[56:57], v[24:25], -v[26:27]
	v_add_f64 v[6:7], v[6:7], v[72:73]
	v_add_f64 v[4:5], v[4:5], v[12:13]
	v_fmac_f64_e32 v[76:77], v[62:63], v[28:29]
	v_fma_f64 v[16:17], v[60:61], v[28:29], -v[30:31]
	v_add_f64 v[6:7], v[6:7], v[74:75]
	v_add_f64 v[4:5], v[4:5], v[14:15]
	;; [unrolled: 1-line block ×4, first 2 shown]
	s_waitcnt vmcnt(0)
	v_add_f64 v[4:5], v[32:33], -v[4:5]
	v_add_f64 v[6:7], v[34:35], -v[6:7]
	scratch_store_dwordx4 off, v[4:7], off offset:720
	s_and_saveexec_b64 s[0:1], vcc
	s_cbranch_execz .LBB51_239
; %bb.238:
	scratch_load_dwordx4 v[6:9], off, s24
	v_mov_b32_e32 v3, v2
	v_mov_b32_e32 v4, v2
	;; [unrolled: 1-line block ×3, first 2 shown]
	v_accvgpr_read_b32 v0, a105
	scratch_store_dwordx4 off, v[2:5], off offset:704
	s_waitcnt vmcnt(1)
	ds_write_b128 v0, v[6:9]
.LBB51_239:
	s_or_b64 exec, exec, s[0:1]
	s_waitcnt lgkmcnt(0)
	; wave barrier
	scratch_load_dwordx4 v[4:7], off, off offset:720
	scratch_load_dwordx4 v[8:11], off, off offset:736
	;; [unrolled: 1-line block ×9, first 2 shown]
	ds_read_b128 v[40:43], v2 offset:1536
	ds_read_b128 v[44:47], v2 offset:1552
	;; [unrolled: 1-line block ×8, first 2 shown]
	v_cmp_lt_u32_e32 vcc, 42, v246
	s_waitcnt vmcnt(8) lgkmcnt(7)
	v_mul_f64 v[2:3], v[40:41], v[6:7]
	v_mul_f64 v[6:7], v[42:43], v[6:7]
	s_waitcnt vmcnt(7) lgkmcnt(6)
	v_mul_f64 v[72:73], v[44:45], v[10:11]
	v_mul_f64 v[10:11], v[46:47], v[10:11]
	v_fmac_f64_e32 v[2:3], v[42:43], v[4:5]
	v_fma_f64 v[4:5], v[40:41], v[4:5], -v[6:7]
	s_waitcnt vmcnt(6) lgkmcnt(5)
	v_mul_f64 v[74:75], v[48:49], v[14:15]
	v_mul_f64 v[14:15], v[50:51], v[14:15]
	v_fmac_f64_e32 v[72:73], v[46:47], v[8:9]
	v_fma_f64 v[6:7], v[44:45], v[8:9], -v[10:11]
	v_add_f64 v[2:3], v[2:3], 0
	v_add_f64 v[4:5], v[4:5], 0
	s_waitcnt vmcnt(5) lgkmcnt(4)
	v_mul_f64 v[76:77], v[52:53], v[18:19]
	v_mul_f64 v[18:19], v[54:55], v[18:19]
	v_fmac_f64_e32 v[74:75], v[50:51], v[12:13]
	v_fma_f64 v[8:9], v[48:49], v[12:13], -v[14:15]
	v_add_f64 v[2:3], v[2:3], v[72:73]
	v_add_f64 v[4:5], v[4:5], v[6:7]
	;; [unrolled: 7-line block ×6, first 2 shown]
	v_fmac_f64_e32 v[84:85], v[70:71], v[32:33]
	v_fma_f64 v[18:19], v[68:69], v[32:33], -v[34:35]
	v_add_f64 v[2:3], v[2:3], v[82:83]
	v_add_f64 v[4:5], v[4:5], v[16:17]
	v_add_f64 v[6:7], v[2:3], v[84:85]
	v_add_f64 v[2:3], v[4:5], v[18:19]
	s_waitcnt vmcnt(0)
	v_add_f64 v[2:3], v[36:37], -v[2:3]
	v_add_f64 v[4:5], v[38:39], -v[6:7]
	scratch_store_dwordx4 off, v[2:5], off offset:704
	s_and_saveexec_b64 s[0:1], vcc
	s_cbranch_execz .LBB51_241
; %bb.240:
	scratch_load_dwordx4 v[2:5], off, s23
	v_mov_b32_e32 v6, 0
	v_mov_b32_e32 v7, v6
	;; [unrolled: 1-line block ×4, first 2 shown]
	v_accvgpr_read_b32 v0, a105
	scratch_store_dwordx4 off, v[6:9], off offset:688
	s_waitcnt vmcnt(1)
	ds_write_b128 v0, v[2:5]
.LBB51_241:
	s_or_b64 exec, exec, s[0:1]
	s_waitcnt lgkmcnt(0)
	; wave barrier
	scratch_load_dwordx4 v[4:7], off, off offset:704
	scratch_load_dwordx4 v[8:11], off, off offset:720
	;; [unrolled: 1-line block ×10, first 2 shown]
	v_mov_b32_e32 v2, 0
	ds_read_b128 v[44:47], v2 offset:1520
	ds_read_b128 v[48:51], v2 offset:1536
	;; [unrolled: 1-line block ×9, first 2 shown]
	v_cmp_lt_u32_e32 vcc, 41, v246
	s_waitcnt vmcnt(9) lgkmcnt(8)
	v_mul_f64 v[80:81], v[44:45], v[6:7]
	v_mul_f64 v[6:7], v[46:47], v[6:7]
	s_waitcnt vmcnt(8) lgkmcnt(7)
	v_mul_f64 v[82:83], v[48:49], v[10:11]
	s_waitcnt vmcnt(7) lgkmcnt(6)
	;; [unrolled: 2-line block ×3, first 2 shown]
	v_mul_f64 v[88:89], v[60:61], v[22:23]
	v_mul_f64 v[10:11], v[50:51], v[10:11]
	;; [unrolled: 1-line block ×4, first 2 shown]
	v_fmac_f64_e32 v[80:81], v[46:47], v[4:5]
	v_fma_f64 v[4:5], v[44:45], v[4:5], -v[6:7]
	v_fmac_f64_e32 v[82:83], v[50:51], v[8:9]
	v_fmac_f64_e32 v[84:85], v[54:55], v[12:13]
	v_fma_f64 v[6:7], v[48:49], v[8:9], -v[10:11]
	v_fma_f64 v[8:9], v[52:53], v[12:13], -v[14:15]
	;; [unrolled: 1-line block ×3, first 2 shown]
	v_add_f64 v[22:23], v[80:81], 0
	v_add_f64 v[4:5], v[4:5], 0
	v_mul_f64 v[86:87], v[56:57], v[18:19]
	v_mul_f64 v[18:19], v[58:59], v[18:19]
	v_add_f64 v[22:23], v[22:23], v[82:83]
	v_add_f64 v[4:5], v[4:5], v[6:7]
	v_fmac_f64_e32 v[86:87], v[58:59], v[16:17]
	v_fma_f64 v[10:11], v[56:57], v[16:17], -v[18:19]
	v_add_f64 v[6:7], v[22:23], v[84:85]
	v_add_f64 v[4:5], v[4:5], v[8:9]
	s_waitcnt vmcnt(4) lgkmcnt(3)
	v_mul_f64 v[90:91], v[64:65], v[26:27]
	v_mul_f64 v[26:27], v[66:67], v[26:27]
	v_fmac_f64_e32 v[88:89], v[62:63], v[20:21]
	v_add_f64 v[6:7], v[6:7], v[86:87]
	v_add_f64 v[4:5], v[4:5], v[10:11]
	s_waitcnt vmcnt(3) lgkmcnt(2)
	v_mul_f64 v[92:93], v[68:69], v[30:31]
	v_mul_f64 v[30:31], v[70:71], v[30:31]
	v_fmac_f64_e32 v[90:91], v[66:67], v[24:25]
	v_fma_f64 v[14:15], v[64:65], v[24:25], -v[26:27]
	v_add_f64 v[6:7], v[6:7], v[88:89]
	v_add_f64 v[4:5], v[4:5], v[12:13]
	s_waitcnt vmcnt(2) lgkmcnt(1)
	v_mul_f64 v[94:95], v[72:73], v[34:35]
	v_mul_f64 v[34:35], v[74:75], v[34:35]
	v_fmac_f64_e32 v[92:93], v[70:71], v[28:29]
	v_fma_f64 v[16:17], v[68:69], v[28:29], -v[30:31]
	;; [unrolled: 7-line block ×3, first 2 shown]
	v_add_f64 v[6:7], v[6:7], v[92:93]
	v_add_f64 v[4:5], v[4:5], v[16:17]
	v_fmac_f64_e32 v[96:97], v[78:79], v[36:37]
	v_fma_f64 v[20:21], v[76:77], v[36:37], -v[38:39]
	v_add_f64 v[6:7], v[6:7], v[94:95]
	v_add_f64 v[4:5], v[4:5], v[18:19]
	;; [unrolled: 1-line block ×4, first 2 shown]
	s_waitcnt vmcnt(0)
	v_add_f64 v[4:5], v[40:41], -v[4:5]
	v_add_f64 v[6:7], v[42:43], -v[6:7]
	scratch_store_dwordx4 off, v[4:7], off offset:688
	s_and_saveexec_b64 s[0:1], vcc
	s_cbranch_execz .LBB51_243
; %bb.242:
	scratch_load_dwordx4 v[6:9], off, s22
	v_mov_b32_e32 v3, v2
	v_mov_b32_e32 v4, v2
	;; [unrolled: 1-line block ×3, first 2 shown]
	v_accvgpr_read_b32 v0, a105
	scratch_store_dwordx4 off, v[2:5], off offset:672
	s_waitcnt vmcnt(1)
	ds_write_b128 v0, v[6:9]
.LBB51_243:
	s_or_b64 exec, exec, s[0:1]
	s_waitcnt lgkmcnt(0)
	; wave barrier
	scratch_load_dwordx4 v[4:7], off, off offset:688
	scratch_load_dwordx4 v[8:11], off, off offset:704
	;; [unrolled: 1-line block ×11, first 2 shown]
	ds_read_b128 v[48:51], v2 offset:1504
	ds_read_b128 v[52:55], v2 offset:1520
	;; [unrolled: 1-line block ×10, first 2 shown]
	v_cmp_lt_u32_e32 vcc, 40, v246
	s_waitcnt vmcnt(10) lgkmcnt(9)
	v_mul_f64 v[2:3], v[48:49], v[6:7]
	v_mul_f64 v[6:7], v[50:51], v[6:7]
	s_waitcnt vmcnt(9) lgkmcnt(8)
	v_mul_f64 v[88:89], v[52:53], v[10:11]
	v_mul_f64 v[10:11], v[54:55], v[10:11]
	v_fmac_f64_e32 v[2:3], v[50:51], v[4:5]
	v_fma_f64 v[4:5], v[48:49], v[4:5], -v[6:7]
	s_waitcnt vmcnt(8) lgkmcnt(7)
	v_mul_f64 v[90:91], v[56:57], v[14:15]
	v_mul_f64 v[14:15], v[58:59], v[14:15]
	v_fmac_f64_e32 v[88:89], v[54:55], v[8:9]
	v_fma_f64 v[6:7], v[52:53], v[8:9], -v[10:11]
	v_add_f64 v[2:3], v[2:3], 0
	v_add_f64 v[4:5], v[4:5], 0
	s_waitcnt vmcnt(7) lgkmcnt(6)
	v_mul_f64 v[92:93], v[60:61], v[18:19]
	v_mul_f64 v[18:19], v[62:63], v[18:19]
	v_fmac_f64_e32 v[90:91], v[58:59], v[12:13]
	v_fma_f64 v[8:9], v[56:57], v[12:13], -v[14:15]
	v_add_f64 v[2:3], v[2:3], v[88:89]
	v_add_f64 v[4:5], v[4:5], v[6:7]
	;; [unrolled: 7-line block ×8, first 2 shown]
	v_fmac_f64_e32 v[104:105], v[86:87], v[40:41]
	v_fma_f64 v[22:23], v[84:85], v[40:41], -v[42:43]
	v_add_f64 v[2:3], v[2:3], v[102:103]
	v_add_f64 v[4:5], v[4:5], v[20:21]
	;; [unrolled: 1-line block ×4, first 2 shown]
	s_waitcnt vmcnt(0)
	v_add_f64 v[2:3], v[44:45], -v[2:3]
	v_add_f64 v[4:5], v[46:47], -v[6:7]
	scratch_store_dwordx4 off, v[2:5], off offset:672
	s_and_saveexec_b64 s[0:1], vcc
	s_cbranch_execz .LBB51_245
; %bb.244:
	scratch_load_dwordx4 v[2:5], off, s21
	v_mov_b32_e32 v6, 0
	v_mov_b32_e32 v7, v6
	;; [unrolled: 1-line block ×4, first 2 shown]
	v_accvgpr_read_b32 v0, a105
	scratch_store_dwordx4 off, v[6:9], off offset:656
	s_waitcnt vmcnt(1)
	ds_write_b128 v0, v[2:5]
.LBB51_245:
	s_or_b64 exec, exec, s[0:1]
	s_waitcnt lgkmcnt(0)
	; wave barrier
	scratch_load_dwordx4 v[4:7], off, off offset:672
	scratch_load_dwordx4 v[8:11], off, off offset:688
	;; [unrolled: 1-line block ×12, first 2 shown]
	v_mov_b32_e32 v2, 0
	ds_read_b128 v[52:55], v2 offset:1488
	ds_read_b128 v[56:59], v2 offset:1504
	;; [unrolled: 1-line block ×11, first 2 shown]
	v_cmp_lt_u32_e32 vcc, 39, v246
	s_waitcnt vmcnt(11) lgkmcnt(10)
	v_mul_f64 v[96:97], v[52:53], v[6:7]
	v_mul_f64 v[6:7], v[54:55], v[6:7]
	s_waitcnt vmcnt(10) lgkmcnt(9)
	v_mul_f64 v[98:99], v[56:57], v[10:11]
	s_waitcnt vmcnt(9) lgkmcnt(8)
	v_mul_f64 v[100:101], v[60:61], v[14:15]
	v_mul_f64 v[10:11], v[58:59], v[10:11]
	s_waitcnt vmcnt(6) lgkmcnt(5)
	v_mul_f64 v[106:107], v[72:73], v[26:27]
	v_mul_f64 v[14:15], v[62:63], v[14:15]
	v_mul_f64 v[26:27], v[74:75], v[26:27]
	v_fmac_f64_e32 v[96:97], v[54:55], v[4:5]
	v_fma_f64 v[4:5], v[52:53], v[4:5], -v[6:7]
	v_fmac_f64_e32 v[98:99], v[58:59], v[8:9]
	v_fma_f64 v[6:7], v[56:57], v[8:9], -v[10:11]
	v_fma_f64 v[8:9], v[60:61], v[12:13], -v[14:15]
	;; [unrolled: 1-line block ×3, first 2 shown]
	v_add_f64 v[26:27], v[96:97], 0
	v_add_f64 v[4:5], v[4:5], 0
	v_mul_f64 v[102:103], v[64:65], v[18:19]
	v_mul_f64 v[18:19], v[66:67], v[18:19]
	v_fmac_f64_e32 v[100:101], v[62:63], v[12:13]
	v_add_f64 v[26:27], v[26:27], v[98:99]
	v_add_f64 v[4:5], v[4:5], v[6:7]
	v_mul_f64 v[104:105], v[68:69], v[22:23]
	v_mul_f64 v[22:23], v[70:71], v[22:23]
	v_fmac_f64_e32 v[102:103], v[66:67], v[16:17]
	v_fma_f64 v[10:11], v[64:65], v[16:17], -v[18:19]
	v_add_f64 v[6:7], v[26:27], v[100:101]
	v_add_f64 v[4:5], v[4:5], v[8:9]
	v_fmac_f64_e32 v[104:105], v[70:71], v[20:21]
	v_fma_f64 v[12:13], v[68:69], v[20:21], -v[22:23]
	v_add_f64 v[6:7], v[6:7], v[102:103]
	v_add_f64 v[4:5], v[4:5], v[10:11]
	s_waitcnt vmcnt(5) lgkmcnt(4)
	v_mul_f64 v[108:109], v[76:77], v[30:31]
	v_mul_f64 v[30:31], v[78:79], v[30:31]
	v_fmac_f64_e32 v[106:107], v[74:75], v[24:25]
	v_add_f64 v[6:7], v[6:7], v[104:105]
	v_add_f64 v[4:5], v[4:5], v[12:13]
	s_waitcnt vmcnt(4) lgkmcnt(3)
	v_mul_f64 v[110:111], v[80:81], v[34:35]
	v_mul_f64 v[34:35], v[82:83], v[34:35]
	v_fmac_f64_e32 v[108:109], v[78:79], v[28:29]
	v_fma_f64 v[16:17], v[76:77], v[28:29], -v[30:31]
	v_add_f64 v[6:7], v[6:7], v[106:107]
	v_add_f64 v[4:5], v[4:5], v[14:15]
	s_waitcnt vmcnt(3) lgkmcnt(2)
	v_mul_f64 v[112:113], v[84:85], v[38:39]
	v_mul_f64 v[38:39], v[86:87], v[38:39]
	v_fmac_f64_e32 v[110:111], v[82:83], v[32:33]
	v_fma_f64 v[18:19], v[80:81], v[32:33], -v[34:35]
	;; [unrolled: 7-line block ×4, first 2 shown]
	v_add_f64 v[6:7], v[6:7], v[112:113]
	v_add_f64 v[4:5], v[4:5], v[20:21]
	v_fmac_f64_e32 v[116:117], v[94:95], v[44:45]
	v_fma_f64 v[24:25], v[92:93], v[44:45], -v[46:47]
	v_add_f64 v[6:7], v[6:7], v[114:115]
	v_add_f64 v[4:5], v[4:5], v[22:23]
	;; [unrolled: 1-line block ×4, first 2 shown]
	s_waitcnt vmcnt(0)
	v_add_f64 v[4:5], v[48:49], -v[4:5]
	v_add_f64 v[6:7], v[50:51], -v[6:7]
	scratch_store_dwordx4 off, v[4:7], off offset:656
	s_and_saveexec_b64 s[0:1], vcc
	s_cbranch_execz .LBB51_247
; %bb.246:
	scratch_load_dwordx4 v[6:9], off, s15
	v_mov_b32_e32 v3, v2
	v_mov_b32_e32 v4, v2
	;; [unrolled: 1-line block ×3, first 2 shown]
	v_accvgpr_read_b32 v0, a105
	scratch_store_dwordx4 off, v[2:5], off offset:640
	s_waitcnt vmcnt(1)
	ds_write_b128 v0, v[6:9]
.LBB51_247:
	s_or_b64 exec, exec, s[0:1]
	s_waitcnt lgkmcnt(0)
	; wave barrier
	scratch_load_dwordx4 v[4:7], off, off offset:656
	scratch_load_dwordx4 v[8:11], off, off offset:672
	;; [unrolled: 1-line block ×12, first 2 shown]
	ds_read_b128 v[52:55], v2 offset:1472
	ds_read_b128 v[56:59], v2 offset:1488
	;; [unrolled: 1-line block ×4, first 2 shown]
	scratch_load_dwordx4 v[68:71], off, off offset:640
	ds_read_b128 v[72:75], v2 offset:1536
	ds_read_b128 v[76:79], v2 offset:1552
	;; [unrolled: 1-line block ×8, first 2 shown]
	v_cmp_lt_u32_e32 vcc, 38, v246
	s_waitcnt vmcnt(12) lgkmcnt(11)
	v_mul_f64 v[2:3], v[52:53], v[6:7]
	s_waitcnt vmcnt(11) lgkmcnt(10)
	v_mul_f64 v[104:105], v[56:57], v[10:11]
	v_fmac_f64_e32 v[2:3], v[54:55], v[4:5]
	s_waitcnt vmcnt(10) lgkmcnt(9)
	v_mul_f64 v[106:107], v[60:61], v[14:15]
	v_mul_f64 v[6:7], v[54:55], v[6:7]
	v_fmac_f64_e32 v[104:105], v[58:59], v[8:9]
	v_add_f64 v[2:3], v[2:3], 0
	s_waitcnt vmcnt(9) lgkmcnt(8)
	v_mul_f64 v[108:109], v[64:65], v[18:19]
	v_mul_f64 v[10:11], v[58:59], v[10:11]
	v_fmac_f64_e32 v[106:107], v[62:63], v[12:13]
	v_fma_f64 v[4:5], v[52:53], v[4:5], -v[6:7]
	v_add_f64 v[2:3], v[2:3], v[104:105]
	s_waitcnt vmcnt(8) lgkmcnt(7)
	v_mul_f64 v[110:111], v[72:73], v[22:23]
	v_mul_f64 v[14:15], v[62:63], v[14:15]
	v_fmac_f64_e32 v[108:109], v[66:67], v[16:17]
	v_fma_f64 v[6:7], v[56:57], v[8:9], -v[10:11]
	v_add_f64 v[4:5], v[4:5], 0
	v_add_f64 v[2:3], v[2:3], v[106:107]
	s_waitcnt vmcnt(7) lgkmcnt(6)
	v_mul_f64 v[112:113], v[76:77], v[26:27]
	v_mul_f64 v[18:19], v[66:67], v[18:19]
	v_fmac_f64_e32 v[110:111], v[74:75], v[20:21]
	v_fma_f64 v[8:9], v[60:61], v[12:13], -v[14:15]
	v_add_f64 v[4:5], v[4:5], v[6:7]
	;; [unrolled: 7-line block ×8, first 2 shown]
	v_add_f64 v[2:3], v[2:3], v[120:121]
	v_mul_f64 v[46:47], v[98:99], v[46:47]
	v_fmac_f64_e32 v[124:125], v[102:103], v[48:49]
	v_fma_f64 v[22:23], v[92:93], v[40:41], -v[42:43]
	v_add_f64 v[4:5], v[4:5], v[20:21]
	v_add_f64 v[2:3], v[2:3], v[122:123]
	;; [unrolled: 1-line block ×4, first 2 shown]
	v_fma_f64 v[2:3], v[96:97], v[44:45], -v[46:47]
	v_add_f64 v[2:3], v[4:5], v[2:3]
	v_mul_f64 v[4:5], v[102:103], v[50:51]
	v_fma_f64 v[4:5], v[100:101], v[48:49], -v[4:5]
	v_add_f64 v[2:3], v[2:3], v[4:5]
	s_waitcnt vmcnt(0)
	v_add_f64 v[2:3], v[68:69], -v[2:3]
	v_add_f64 v[4:5], v[70:71], -v[6:7]
	scratch_store_dwordx4 off, v[2:5], off offset:640
	s_and_saveexec_b64 s[0:1], vcc
	s_cbranch_execz .LBB51_249
; %bb.248:
	scratch_load_dwordx4 v[2:5], off, s20
	v_mov_b32_e32 v6, 0
	v_mov_b32_e32 v7, v6
	v_mov_b32_e32 v8, v6
	v_mov_b32_e32 v9, v6
	v_accvgpr_read_b32 v0, a105
	scratch_store_dwordx4 off, v[6:9], off offset:624
	s_waitcnt vmcnt(1)
	ds_write_b128 v0, v[2:5]
.LBB51_249:
	s_or_b64 exec, exec, s[0:1]
	s_waitcnt lgkmcnt(0)
	; wave barrier
	scratch_load_dwordx4 v[4:7], off, off offset:640
	scratch_load_dwordx4 v[8:11], off, off offset:656
	;; [unrolled: 1-line block ×14, first 2 shown]
	v_mov_b32_e32 v2, 0
	ds_read_b128 v[60:63], v2 offset:1456
	ds_read_b128 v[64:67], v2 offset:1472
	;; [unrolled: 1-line block ×13, first 2 shown]
	v_cmp_lt_u32_e32 vcc, 37, v246
	s_waitcnt vmcnt(13) lgkmcnt(12)
	v_mul_f64 v[112:113], v[60:61], v[6:7]
	v_mul_f64 v[6:7], v[62:63], v[6:7]
	s_waitcnt vmcnt(12) lgkmcnt(11)
	v_mul_f64 v[114:115], v[64:65], v[10:11]
	v_mul_f64 v[10:11], v[66:67], v[10:11]
	v_fmac_f64_e32 v[112:113], v[62:63], v[4:5]
	v_fma_f64 v[4:5], v[60:61], v[4:5], -v[6:7]
	s_waitcnt vmcnt(11) lgkmcnt(10)
	v_mul_f64 v[116:117], v[68:69], v[14:15]
	v_mul_f64 v[14:15], v[70:71], v[14:15]
	v_fma_f64 v[6:7], v[64:65], v[8:9], -v[10:11]
	v_add_f64 v[4:5], v[4:5], 0
	s_waitcnt vmcnt(10) lgkmcnt(9)
	v_mul_f64 v[118:119], v[72:73], v[18:19]
	v_mul_f64 v[18:19], v[74:75], v[18:19]
	v_fmac_f64_e32 v[114:115], v[66:67], v[8:9]
	v_fma_f64 v[8:9], v[68:69], v[12:13], -v[14:15]
	v_add_f64 v[4:5], v[4:5], v[6:7]
	s_waitcnt vmcnt(9) lgkmcnt(8)
	v_mul_f64 v[120:121], v[76:77], v[22:23]
	v_mul_f64 v[22:23], v[78:79], v[22:23]
	v_fma_f64 v[10:11], v[72:73], v[16:17], -v[18:19]
	v_add_f64 v[4:5], v[4:5], v[8:9]
	s_waitcnt vmcnt(8) lgkmcnt(7)
	v_mul_f64 v[122:123], v[80:81], v[26:27]
	v_mul_f64 v[26:27], v[82:83], v[26:27]
	v_fmac_f64_e32 v[116:117], v[70:71], v[12:13]
	v_fma_f64 v[12:13], v[76:77], v[20:21], -v[22:23]
	v_add_f64 v[22:23], v[112:113], 0
	v_add_f64 v[4:5], v[4:5], v[10:11]
	s_waitcnt vmcnt(7) lgkmcnt(6)
	v_mul_f64 v[124:125], v[84:85], v[30:31]
	v_mul_f64 v[30:31], v[86:87], v[30:31]
	v_fma_f64 v[14:15], v[80:81], v[24:25], -v[26:27]
	v_add_f64 v[22:23], v[22:23], v[114:115]
	v_add_f64 v[4:5], v[4:5], v[12:13]
	s_waitcnt vmcnt(6) lgkmcnt(5)
	v_mul_f64 v[126:127], v[88:89], v[34:35]
	v_mul_f64 v[34:35], v[90:91], v[34:35]
	v_fmac_f64_e32 v[118:119], v[74:75], v[16:17]
	v_fma_f64 v[16:17], v[84:85], v[28:29], -v[30:31]
	v_add_f64 v[6:7], v[22:23], v[116:117]
	v_add_f64 v[4:5], v[4:5], v[14:15]
	s_waitcnt vmcnt(5) lgkmcnt(4)
	v_mul_f64 v[128:129], v[92:93], v[38:39]
	v_mul_f64 v[38:39], v[94:95], v[38:39]
	v_fmac_f64_e32 v[120:121], v[78:79], v[20:21]
	v_fma_f64 v[18:19], v[88:89], v[32:33], -v[34:35]
	v_add_f64 v[6:7], v[6:7], v[118:119]
	v_add_f64 v[4:5], v[4:5], v[16:17]
	v_fmac_f64_e32 v[122:123], v[82:83], v[24:25]
	v_fma_f64 v[20:21], v[92:93], v[36:37], -v[38:39]
	v_add_f64 v[6:7], v[6:7], v[120:121]
	v_add_f64 v[4:5], v[4:5], v[18:19]
	s_waitcnt vmcnt(4) lgkmcnt(3)
	v_mul_f64 v[8:9], v[98:99], v[42:43]
	v_fmac_f64_e32 v[124:125], v[86:87], v[28:29]
	v_add_f64 v[6:7], v[6:7], v[122:123]
	v_add_f64 v[4:5], v[4:5], v[20:21]
	v_fma_f64 v[8:9], v[96:97], v[40:41], -v[8:9]
	v_fmac_f64_e32 v[126:127], v[90:91], v[32:33]
	v_add_f64 v[6:7], v[6:7], v[124:125]
	v_add_f64 v[4:5], v[4:5], v[8:9]
	s_waitcnt vmcnt(3) lgkmcnt(2)
	v_mul_f64 v[8:9], v[102:103], v[46:47]
	v_mul_f64 v[130:131], v[96:97], v[42:43]
	v_fmac_f64_e32 v[128:129], v[94:95], v[36:37]
	v_add_f64 v[6:7], v[6:7], v[126:127]
	v_fma_f64 v[8:9], v[100:101], v[44:45], -v[8:9]
	v_mul_f64 v[132:133], v[100:101], v[46:47]
	v_fmac_f64_e32 v[130:131], v[98:99], v[40:41]
	v_add_f64 v[6:7], v[6:7], v[128:129]
	v_add_f64 v[4:5], v[4:5], v[8:9]
	s_waitcnt vmcnt(2) lgkmcnt(1)
	v_mul_f64 v[8:9], v[106:107], v[50:51]
	v_mul_f64 v[134:135], v[104:105], v[50:51]
	v_fmac_f64_e32 v[132:133], v[102:103], v[44:45]
	v_add_f64 v[6:7], v[6:7], v[130:131]
	v_fma_f64 v[8:9], v[104:105], v[48:49], -v[8:9]
	s_waitcnt vmcnt(1) lgkmcnt(0)
	v_mul_f64 v[136:137], v[108:109], v[54:55]
	v_fmac_f64_e32 v[134:135], v[106:107], v[48:49]
	v_add_f64 v[6:7], v[6:7], v[132:133]
	v_add_f64 v[4:5], v[4:5], v[8:9]
	v_mul_f64 v[8:9], v[110:111], v[54:55]
	v_fmac_f64_e32 v[136:137], v[110:111], v[52:53]
	v_add_f64 v[6:7], v[6:7], v[134:135]
	v_fma_f64 v[8:9], v[108:109], v[52:53], -v[8:9]
	v_add_f64 v[6:7], v[6:7], v[136:137]
	v_add_f64 v[4:5], v[4:5], v[8:9]
	s_waitcnt vmcnt(0)
	v_add_f64 v[4:5], v[56:57], -v[4:5]
	v_add_f64 v[6:7], v[58:59], -v[6:7]
	scratch_store_dwordx4 off, v[4:7], off offset:624
	s_and_saveexec_b64 s[0:1], vcc
	s_cbranch_execz .LBB51_251
; %bb.250:
	scratch_load_dwordx4 v[6:9], off, s14
	v_mov_b32_e32 v3, v2
	v_mov_b32_e32 v4, v2
	;; [unrolled: 1-line block ×3, first 2 shown]
	v_accvgpr_read_b32 v0, a105
	scratch_store_dwordx4 off, v[2:5], off offset:608
	s_waitcnt vmcnt(1)
	ds_write_b128 v0, v[6:9]
.LBB51_251:
	s_or_b64 exec, exec, s[0:1]
	s_waitcnt lgkmcnt(0)
	; wave barrier
	scratch_load_dwordx4 v[4:7], off, off offset:624
	scratch_load_dwordx4 v[8:11], off, off offset:640
	;; [unrolled: 1-line block ×14, first 2 shown]
	ds_read_b128 v[60:63], v2 offset:1440
	ds_read_b128 v[64:67], v2 offset:1456
	;; [unrolled: 1-line block ×14, first 2 shown]
	scratch_load_dwordx4 v[116:119], off, off offset:608
	v_cmp_lt_u32_e32 vcc, 36, v246
	s_waitcnt vmcnt(14) lgkmcnt(13)
	v_mul_f64 v[2:3], v[60:61], v[6:7]
	s_waitcnt vmcnt(13) lgkmcnt(12)
	v_mul_f64 v[120:121], v[64:65], v[10:11]
	v_fmac_f64_e32 v[2:3], v[62:63], v[4:5]
	s_waitcnt vmcnt(12) lgkmcnt(11)
	v_mul_f64 v[122:123], v[68:69], v[14:15]
	v_fmac_f64_e32 v[120:121], v[66:67], v[8:9]
	v_add_f64 v[2:3], v[2:3], 0
	s_waitcnt vmcnt(11) lgkmcnt(10)
	v_mul_f64 v[124:125], v[72:73], v[18:19]
	v_fmac_f64_e32 v[122:123], v[70:71], v[12:13]
	v_add_f64 v[2:3], v[2:3], v[120:121]
	s_waitcnt vmcnt(10) lgkmcnt(9)
	v_mul_f64 v[126:127], v[76:77], v[22:23]
	v_fmac_f64_e32 v[124:125], v[74:75], v[16:17]
	v_add_f64 v[2:3], v[2:3], v[122:123]
	s_waitcnt vmcnt(9) lgkmcnt(8)
	v_mul_f64 v[128:129], v[80:81], v[26:27]
	v_fmac_f64_e32 v[126:127], v[78:79], v[20:21]
	v_add_f64 v[2:3], v[2:3], v[124:125]
	s_waitcnt vmcnt(8) lgkmcnt(7)
	v_mul_f64 v[130:131], v[84:85], v[30:31]
	v_mul_f64 v[6:7], v[62:63], v[6:7]
	v_fmac_f64_e32 v[128:129], v[82:83], v[24:25]
	v_add_f64 v[2:3], v[2:3], v[126:127]
	s_waitcnt vmcnt(7) lgkmcnt(6)
	v_mul_f64 v[132:133], v[88:89], v[34:35]
	v_mul_f64 v[10:11], v[66:67], v[10:11]
	v_fmac_f64_e32 v[130:131], v[86:87], v[28:29]
	v_fma_f64 v[4:5], v[60:61], v[4:5], -v[6:7]
	v_add_f64 v[2:3], v[2:3], v[128:129]
	s_waitcnt vmcnt(6) lgkmcnt(5)
	v_mul_f64 v[134:135], v[92:93], v[38:39]
	v_mul_f64 v[14:15], v[70:71], v[14:15]
	v_fmac_f64_e32 v[132:133], v[90:91], v[32:33]
	v_fma_f64 v[6:7], v[64:65], v[8:9], -v[10:11]
	v_add_f64 v[4:5], v[4:5], 0
	v_add_f64 v[2:3], v[2:3], v[130:131]
	s_waitcnt vmcnt(5) lgkmcnt(4)
	v_mul_f64 v[136:137], v[96:97], v[42:43]
	v_mul_f64 v[18:19], v[74:75], v[18:19]
	v_fmac_f64_e32 v[134:135], v[94:95], v[36:37]
	v_fma_f64 v[8:9], v[68:69], v[12:13], -v[14:15]
	v_add_f64 v[4:5], v[4:5], v[6:7]
	v_add_f64 v[2:3], v[2:3], v[132:133]
	s_waitcnt vmcnt(4) lgkmcnt(3)
	v_mul_f64 v[138:139], v[100:101], v[46:47]
	v_mul_f64 v[22:23], v[78:79], v[22:23]
	v_fmac_f64_e32 v[136:137], v[98:99], v[40:41]
	v_fma_f64 v[10:11], v[72:73], v[16:17], -v[18:19]
	v_add_f64 v[4:5], v[4:5], v[8:9]
	v_add_f64 v[2:3], v[2:3], v[134:135]
	s_waitcnt vmcnt(3) lgkmcnt(2)
	v_mul_f64 v[140:141], v[104:105], v[50:51]
	v_mul_f64 v[26:27], v[82:83], v[26:27]
	v_fmac_f64_e32 v[138:139], v[102:103], v[44:45]
	v_fma_f64 v[12:13], v[76:77], v[20:21], -v[22:23]
	v_add_f64 v[4:5], v[4:5], v[10:11]
	v_add_f64 v[2:3], v[2:3], v[136:137]
	s_waitcnt vmcnt(2) lgkmcnt(1)
	v_mul_f64 v[142:143], v[108:109], v[54:55]
	v_mul_f64 v[30:31], v[86:87], v[30:31]
	v_fmac_f64_e32 v[140:141], v[106:107], v[48:49]
	v_fma_f64 v[14:15], v[80:81], v[24:25], -v[26:27]
	v_add_f64 v[4:5], v[4:5], v[12:13]
	v_add_f64 v[2:3], v[2:3], v[138:139]
	s_waitcnt vmcnt(1) lgkmcnt(0)
	v_mul_f64 v[144:145], v[112:113], v[58:59]
	v_mul_f64 v[34:35], v[90:91], v[34:35]
	v_fmac_f64_e32 v[142:143], v[110:111], v[52:53]
	v_fma_f64 v[16:17], v[84:85], v[28:29], -v[30:31]
	v_add_f64 v[4:5], v[4:5], v[14:15]
	v_add_f64 v[2:3], v[2:3], v[140:141]
	v_fmac_f64_e32 v[144:145], v[114:115], v[56:57]
	v_fma_f64 v[18:19], v[88:89], v[32:33], -v[34:35]
	v_add_f64 v[4:5], v[4:5], v[16:17]
	v_add_f64 v[2:3], v[2:3], v[142:143]
	v_add_f64 v[6:7], v[2:3], v[144:145]
	v_add_f64 v[2:3], v[4:5], v[18:19]
	v_mul_f64 v[4:5], v[94:95], v[38:39]
	v_fma_f64 v[4:5], v[92:93], v[36:37], -v[4:5]
	v_add_f64 v[2:3], v[2:3], v[4:5]
	v_mul_f64 v[4:5], v[98:99], v[42:43]
	v_fma_f64 v[4:5], v[96:97], v[40:41], -v[4:5]
	v_add_f64 v[2:3], v[2:3], v[4:5]
	;; [unrolled: 3-line block ×6, first 2 shown]
	s_waitcnt vmcnt(0)
	v_add_f64 v[2:3], v[116:117], -v[2:3]
	v_add_f64 v[4:5], v[118:119], -v[6:7]
	scratch_store_dwordx4 off, v[2:5], off offset:608
	s_and_saveexec_b64 s[0:1], vcc
	s_cbranch_execz .LBB51_253
; %bb.252:
	scratch_load_dwordx4 v[2:5], off, s13
	v_mov_b32_e32 v6, 0
	v_mov_b32_e32 v7, v6
	;; [unrolled: 1-line block ×4, first 2 shown]
	v_accvgpr_read_b32 v0, a105
	scratch_store_dwordx4 off, v[6:9], off offset:592
	s_waitcnt vmcnt(1)
	ds_write_b128 v0, v[2:5]
.LBB51_253:
	s_or_b64 exec, exec, s[0:1]
	v_mov_b32_e32 v2, 0
	s_waitcnt lgkmcnt(0)
	; wave barrier
	ds_read_b128 v[16:19], v2 offset:1424
	ds_read_b128 v[12:15], v2 offset:1440
	;; [unrolled: 1-line block ×4, first 2 shown]
	scratch_load_dwordx4 v[20:23], off, off offset:608
	scratch_load_dwordx4 v[40:43], off, off offset:672
	;; [unrolled: 1-line block ×9, first 2 shown]
	v_cmp_lt_u32_e32 vcc, 35, v246
	scratch_load_dwordx4 v[50:53], off, off offset:688
	scratch_load_dwordx4 v[58:61], off, off offset:704
	;; [unrolled: 1-line block ×3, first 2 shown]
	s_waitcnt vmcnt(11) lgkmcnt(3)
	v_mul_f64 v[24:25], v[16:17], v[22:23]
	v_fmac_f64_e32 v[24:25], v[18:19], v[20:21]
	v_add_f64 v[28:29], v[24:25], 0
	scratch_load_dwordx4 v[24:27], off, off offset:624
	v_mul_f64 v[18:19], v[18:19], v[22:23]
	v_fma_f64 v[16:17], v[16:17], v[20:21], -v[18:19]
	v_add_f64 v[16:17], v[16:17], 0
	s_waitcnt vmcnt(0) lgkmcnt(2)
	v_mul_f64 v[30:31], v[12:13], v[26:27]
	v_fmac_f64_e32 v[30:31], v[14:15], v[24:25]
	v_add_f64 v[32:33], v[28:29], v[30:31]
	scratch_load_dwordx4 v[28:31], off, off offset:640
	v_mul_f64 v[14:15], v[14:15], v[26:27]
	v_fma_f64 v[12:13], v[12:13], v[24:25], -v[14:15]
	v_add_f64 v[12:13], v[16:17], v[12:13]
	;; [unrolled: 8-line block ×3, first 2 shown]
	s_waitcnt vmcnt(0) lgkmcnt(0)
	v_mul_f64 v[38:39], v[4:5], v[34:35]
	v_fmac_f64_e32 v[38:39], v[6:7], v[32:33]
	v_add_f64 v[44:45], v[36:37], v[38:39]
	ds_read_b128 v[36:39], v2 offset:1488
	v_mul_f64 v[6:7], v[6:7], v[34:35]
	v_fma_f64 v[4:5], v[4:5], v[32:33], -v[6:7]
	v_add_f64 v[4:5], v[8:9], v[4:5]
	s_waitcnt lgkmcnt(0)
	v_mul_f64 v[46:47], v[36:37], v[42:43]
	v_fmac_f64_e32 v[46:47], v[38:39], v[40:41]
	v_add_f64 v[48:49], v[44:45], v[46:47]
	ds_read_b128 v[44:47], v2 offset:1504
	v_mul_f64 v[6:7], v[38:39], v[42:43]
	v_fma_f64 v[6:7], v[36:37], v[40:41], -v[6:7]
	v_add_f64 v[4:5], v[4:5], v[6:7]
	s_waitcnt lgkmcnt(0)
	;; [unrolled: 8-line block ×11, first 2 shown]
	v_mul_f64 v[6:7], v[120:121], v[124:125]
	v_fma_f64 v[6:7], v[118:119], v[122:123], -v[6:7]
	v_add_f64 v[8:9], v[4:5], v[6:7]
	scratch_load_dwordx4 v[4:7], off, off offset:592
	v_mul_f64 v[126:127], v[118:119], v[124:125]
	v_fmac_f64_e32 v[126:127], v[120:121], v[122:123]
	v_add_f64 v[48:49], v[48:49], v[126:127]
	s_waitcnt vmcnt(0)
	v_add_f64 v[4:5], v[4:5], -v[8:9]
	v_add_f64 v[6:7], v[6:7], -v[48:49]
	scratch_store_dwordx4 off, v[4:7], off offset:592
	s_and_saveexec_b64 s[0:1], vcc
	s_cbranch_execz .LBB51_255
; %bb.254:
	scratch_load_dwordx4 v[6:9], off, s12
	v_mov_b32_e32 v3, v2
	v_mov_b32_e32 v4, v2
	;; [unrolled: 1-line block ×3, first 2 shown]
	v_accvgpr_read_b32 v0, a105
	scratch_store_dwordx4 off, v[2:5], off offset:576
	s_waitcnt vmcnt(1)
	ds_write_b128 v0, v[6:9]
.LBB51_255:
	s_or_b64 exec, exec, s[0:1]
	s_waitcnt lgkmcnt(0)
	; wave barrier
	ds_read_b128 v[16:19], v2 offset:1408
	ds_read_b128 v[12:15], v2 offset:1424
	;; [unrolled: 1-line block ×4, first 2 shown]
	scratch_load_dwordx4 v[20:23], off, off offset:592
	scratch_load_dwordx4 v[40:43], off, off offset:656
	;; [unrolled: 1-line block ×10, first 2 shown]
	v_cmp_lt_u32_e32 vcc, 34, v246
	scratch_load_dwordx4 v[48:51], off, off offset:672
	scratch_load_dwordx4 v[56:59], off, off offset:688
	;; [unrolled: 1-line block ×3, first 2 shown]
	s_waitcnt vmcnt(12) lgkmcnt(3)
	v_mul_f64 v[24:25], v[16:17], v[22:23]
	v_fmac_f64_e32 v[24:25], v[18:19], v[20:21]
	v_add_f64 v[28:29], v[24:25], 0
	scratch_load_dwordx4 v[24:27], off, off offset:608
	s_waitcnt vmcnt(0) lgkmcnt(2)
	v_mul_f64 v[30:31], v[12:13], v[26:27]
	v_fmac_f64_e32 v[30:31], v[14:15], v[24:25]
	v_add_f64 v[32:33], v[28:29], v[30:31]
	scratch_load_dwordx4 v[28:31], off, off offset:624
	v_mul_f64 v[14:15], v[14:15], v[26:27]
	v_fma_f64 v[12:13], v[12:13], v[24:25], -v[14:15]
	s_waitcnt vmcnt(0) lgkmcnt(1)
	v_mul_f64 v[34:35], v[8:9], v[30:31]
	v_fmac_f64_e32 v[34:35], v[10:11], v[28:29]
	v_add_f64 v[36:37], v[32:33], v[34:35]
	scratch_load_dwordx4 v[32:35], off, off offset:640
	v_mul_f64 v[10:11], v[10:11], v[30:31]
	v_fma_f64 v[8:9], v[8:9], v[28:29], -v[10:11]
	s_waitcnt vmcnt(0) lgkmcnt(0)
	v_mul_f64 v[38:39], v[4:5], v[34:35]
	v_fmac_f64_e32 v[38:39], v[6:7], v[32:33]
	v_add_f64 v[44:45], v[36:37], v[38:39]
	ds_read_b128 v[36:39], v2 offset:1472
	v_mul_f64 v[6:7], v[6:7], v[34:35]
	v_fma_f64 v[4:5], v[4:5], v[32:33], -v[6:7]
	s_waitcnt lgkmcnt(0)
	v_mul_f64 v[46:47], v[36:37], v[42:43]
	v_fmac_f64_e32 v[46:47], v[38:39], v[40:41]
	v_add_f64 v[52:53], v[44:45], v[46:47]
	ds_read_b128 v[44:47], v2 offset:1488
	s_waitcnt lgkmcnt(0)
	v_mul_f64 v[54:55], v[44:45], v[50:51]
	v_fmac_f64_e32 v[54:55], v[46:47], v[48:49]
	v_add_f64 v[60:61], v[52:53], v[54:55]
	ds_read_b128 v[52:55], v2 offset:1504
	;; [unrolled: 5-line block ×11, first 2 shown]
	s_waitcnt lgkmcnt(0)
	v_mul_f64 v[2:3], v[126:127], v[132:133]
	v_fmac_f64_e32 v[2:3], v[128:129], v[130:131]
	v_add_f64 v[64:65], v[64:65], v[2:3]
	v_mul_f64 v[2:3], v[18:19], v[22:23]
	v_fma_f64 v[2:3], v[16:17], v[20:21], -v[2:3]
	v_add_f64 v[2:3], v[2:3], 0
	v_add_f64 v[2:3], v[2:3], v[12:13]
	;; [unrolled: 1-line block ×4, first 2 shown]
	v_mul_f64 v[4:5], v[38:39], v[42:43]
	v_fma_f64 v[4:5], v[36:37], v[40:41], -v[4:5]
	v_add_f64 v[2:3], v[2:3], v[4:5]
	v_mul_f64 v[4:5], v[46:47], v[50:51]
	v_fma_f64 v[4:5], v[44:45], v[48:49], -v[4:5]
	v_add_f64 v[2:3], v[2:3], v[4:5]
	v_mul_f64 v[4:5], v[54:55], v[58:59]
	v_fma_f64 v[4:5], v[52:53], v[56:57], -v[4:5]
	v_add_f64 v[2:3], v[2:3], v[4:5]
	v_mul_f64 v[4:5], v[62:63], v[68:69]
	v_fma_f64 v[4:5], v[60:61], v[66:67], -v[4:5]
	v_add_f64 v[2:3], v[2:3], v[4:5]
	v_mul_f64 v[4:5], v[72:73], v[76:77]
	v_fma_f64 v[4:5], v[70:71], v[74:75], -v[4:5]
	v_add_f64 v[2:3], v[2:3], v[4:5]
	v_mul_f64 v[4:5], v[80:81], v[84:85]
	v_fma_f64 v[4:5], v[78:79], v[82:83], -v[4:5]
	v_add_f64 v[2:3], v[2:3], v[4:5]
	v_mul_f64 v[4:5], v[88:89], v[92:93]
	v_fma_f64 v[4:5], v[86:87], v[90:91], -v[4:5]
	v_add_f64 v[2:3], v[2:3], v[4:5]
	v_mul_f64 v[4:5], v[96:97], v[100:101]
	v_fma_f64 v[4:5], v[94:95], v[98:99], -v[4:5]
	v_add_f64 v[2:3], v[2:3], v[4:5]
	v_mul_f64 v[4:5], v[104:105], v[108:109]
	v_fma_f64 v[4:5], v[102:103], v[106:107], -v[4:5]
	v_add_f64 v[2:3], v[2:3], v[4:5]
	v_mul_f64 v[4:5], v[112:113], v[116:117]
	v_fma_f64 v[4:5], v[110:111], v[114:115], -v[4:5]
	v_add_f64 v[2:3], v[2:3], v[4:5]
	v_mul_f64 v[4:5], v[120:121], v[124:125]
	v_fma_f64 v[4:5], v[118:119], v[122:123], -v[4:5]
	v_add_f64 v[2:3], v[2:3], v[4:5]
	v_mul_f64 v[4:5], v[128:129], v[132:133]
	v_fma_f64 v[4:5], v[126:127], v[130:131], -v[4:5]
	v_add_f64 v[6:7], v[2:3], v[4:5]
	scratch_load_dwordx4 v[2:5], off, off offset:576
	s_waitcnt vmcnt(0)
	v_add_f64 v[2:3], v[2:3], -v[6:7]
	v_add_f64 v[4:5], v[4:5], -v[64:65]
	scratch_store_dwordx4 off, v[2:5], off offset:576
	s_and_saveexec_b64 s[0:1], vcc
	s_cbranch_execz .LBB51_257
; %bb.256:
	scratch_load_dwordx4 v[2:5], off, s62
	v_mov_b32_e32 v6, 0
	v_mov_b32_e32 v7, v6
	;; [unrolled: 1-line block ×4, first 2 shown]
	v_accvgpr_read_b32 v0, a105
	scratch_store_dwordx4 off, v[6:9], off offset:560
	s_waitcnt vmcnt(1)
	ds_write_b128 v0, v[2:5]
.LBB51_257:
	s_or_b64 exec, exec, s[0:1]
	v_mov_b32_e32 v2, 0
	s_waitcnt lgkmcnt(0)
	; wave barrier
	ds_read_b128 v[16:19], v2 offset:1392
	ds_read_b128 v[12:15], v2 offset:1408
	;; [unrolled: 1-line block ×4, first 2 shown]
	scratch_load_dwordx4 v[20:23], off, off offset:576
	scratch_load_dwordx4 v[40:43], off, off offset:640
	;; [unrolled: 1-line block ×11, first 2 shown]
	v_cmp_lt_u32_e32 vcc, 33, v246
	scratch_load_dwordx4 v[48:51], off, off offset:656
	scratch_load_dwordx4 v[56:59], off, off offset:672
	;; [unrolled: 1-line block ×3, first 2 shown]
	s_waitcnt vmcnt(13) lgkmcnt(3)
	v_mul_f64 v[24:25], v[16:17], v[22:23]
	v_fmac_f64_e32 v[24:25], v[18:19], v[20:21]
	v_add_f64 v[28:29], v[24:25], 0
	scratch_load_dwordx4 v[24:27], off, off offset:592
	v_mul_f64 v[18:19], v[18:19], v[22:23]
	v_fma_f64 v[16:17], v[16:17], v[20:21], -v[18:19]
	v_add_f64 v[16:17], v[16:17], 0
	s_waitcnt vmcnt(0) lgkmcnt(2)
	v_mul_f64 v[30:31], v[12:13], v[26:27]
	v_fmac_f64_e32 v[30:31], v[14:15], v[24:25]
	v_add_f64 v[32:33], v[28:29], v[30:31]
	scratch_load_dwordx4 v[28:31], off, off offset:608
	v_mul_f64 v[14:15], v[14:15], v[26:27]
	v_fma_f64 v[12:13], v[12:13], v[24:25], -v[14:15]
	v_add_f64 v[12:13], v[16:17], v[12:13]
	;; [unrolled: 8-line block ×3, first 2 shown]
	s_waitcnt vmcnt(0) lgkmcnt(0)
	v_mul_f64 v[38:39], v[4:5], v[34:35]
	v_fmac_f64_e32 v[38:39], v[6:7], v[32:33]
	v_add_f64 v[44:45], v[36:37], v[38:39]
	ds_read_b128 v[36:39], v2 offset:1456
	v_mul_f64 v[6:7], v[6:7], v[34:35]
	v_fma_f64 v[4:5], v[4:5], v[32:33], -v[6:7]
	v_add_f64 v[4:5], v[8:9], v[4:5]
	s_waitcnt lgkmcnt(0)
	v_mul_f64 v[46:47], v[36:37], v[42:43]
	v_fmac_f64_e32 v[46:47], v[38:39], v[40:41]
	v_add_f64 v[52:53], v[44:45], v[46:47]
	ds_read_b128 v[44:47], v2 offset:1472
	v_mul_f64 v[6:7], v[38:39], v[42:43]
	v_fma_f64 v[6:7], v[36:37], v[40:41], -v[6:7]
	v_add_f64 v[4:5], v[4:5], v[6:7]
	s_waitcnt lgkmcnt(0)
	;; [unrolled: 8-line block ×13, first 2 shown]
	v_mul_f64 v[6:7], v[136:137], v[140:141]
	v_fma_f64 v[6:7], v[134:135], v[138:139], -v[6:7]
	v_add_f64 v[8:9], v[4:5], v[6:7]
	scratch_load_dwordx4 v[4:7], off, off offset:560
	v_mul_f64 v[142:143], v[134:135], v[140:141]
	v_fmac_f64_e32 v[142:143], v[136:137], v[138:139]
	v_add_f64 v[72:73], v[72:73], v[142:143]
	s_waitcnt vmcnt(0)
	v_add_f64 v[4:5], v[4:5], -v[8:9]
	v_add_f64 v[6:7], v[6:7], -v[72:73]
	scratch_store_dwordx4 off, v[4:7], off offset:560
	s_and_saveexec_b64 s[0:1], vcc
	s_cbranch_execz .LBB51_259
; %bb.258:
	scratch_load_dwordx4 v[6:9], off, s61
	v_mov_b32_e32 v3, v2
	v_mov_b32_e32 v4, v2
	;; [unrolled: 1-line block ×3, first 2 shown]
	v_accvgpr_read_b32 v0, a105
	scratch_store_dwordx4 off, v[2:5], off offset:544
	s_waitcnt vmcnt(1)
	ds_write_b128 v0, v[6:9]
.LBB51_259:
	s_or_b64 exec, exec, s[0:1]
	s_waitcnt lgkmcnt(0)
	; wave barrier
	ds_read_b128 v[16:19], v2 offset:1376
	ds_read_b128 v[12:15], v2 offset:1392
	;; [unrolled: 1-line block ×4, first 2 shown]
	scratch_load_dwordx4 v[20:23], off, off offset:560
	scratch_load_dwordx4 v[40:43], off, off offset:624
	;; [unrolled: 1-line block ×12, first 2 shown]
	v_cmp_lt_u32_e32 vcc, 32, v246
	scratch_load_dwordx4 v[48:51], off, off offset:640
	scratch_load_dwordx4 v[56:59], off, off offset:656
	;; [unrolled: 1-line block ×3, first 2 shown]
	s_waitcnt vmcnt(14) lgkmcnt(3)
	v_mul_f64 v[24:25], v[16:17], v[22:23]
	v_fmac_f64_e32 v[24:25], v[18:19], v[20:21]
	v_add_f64 v[28:29], v[24:25], 0
	scratch_load_dwordx4 v[24:27], off, off offset:576
	s_waitcnt vmcnt(0) lgkmcnt(2)
	v_mul_f64 v[30:31], v[12:13], v[26:27]
	v_fmac_f64_e32 v[30:31], v[14:15], v[24:25]
	v_add_f64 v[32:33], v[28:29], v[30:31]
	scratch_load_dwordx4 v[28:31], off, off offset:592
	v_mul_f64 v[14:15], v[14:15], v[26:27]
	v_fma_f64 v[12:13], v[12:13], v[24:25], -v[14:15]
	s_waitcnt vmcnt(0) lgkmcnt(1)
	v_mul_f64 v[34:35], v[8:9], v[30:31]
	v_fmac_f64_e32 v[34:35], v[10:11], v[28:29]
	v_add_f64 v[36:37], v[32:33], v[34:35]
	scratch_load_dwordx4 v[32:35], off, off offset:608
	v_mul_f64 v[10:11], v[10:11], v[30:31]
	v_fma_f64 v[8:9], v[8:9], v[28:29], -v[10:11]
	s_waitcnt vmcnt(0) lgkmcnt(0)
	v_mul_f64 v[38:39], v[4:5], v[34:35]
	v_fmac_f64_e32 v[38:39], v[6:7], v[32:33]
	v_add_f64 v[44:45], v[36:37], v[38:39]
	ds_read_b128 v[36:39], v2 offset:1440
	v_mul_f64 v[6:7], v[6:7], v[34:35]
	v_fma_f64 v[4:5], v[4:5], v[32:33], -v[6:7]
	s_waitcnt lgkmcnt(0)
	v_mul_f64 v[46:47], v[36:37], v[42:43]
	v_fmac_f64_e32 v[46:47], v[38:39], v[40:41]
	v_add_f64 v[52:53], v[44:45], v[46:47]
	ds_read_b128 v[44:47], v2 offset:1456
	s_waitcnt lgkmcnt(0)
	v_mul_f64 v[54:55], v[44:45], v[50:51]
	v_fmac_f64_e32 v[54:55], v[46:47], v[48:49]
	v_add_f64 v[60:61], v[52:53], v[54:55]
	ds_read_b128 v[52:55], v2 offset:1472
	;; [unrolled: 5-line block ×13, first 2 shown]
	s_waitcnt lgkmcnt(0)
	v_mul_f64 v[2:3], v[142:143], v[148:149]
	v_fmac_f64_e32 v[2:3], v[144:145], v[146:147]
	v_add_f64 v[80:81], v[80:81], v[2:3]
	v_mul_f64 v[2:3], v[18:19], v[22:23]
	v_fma_f64 v[2:3], v[16:17], v[20:21], -v[2:3]
	v_add_f64 v[2:3], v[2:3], 0
	v_add_f64 v[2:3], v[2:3], v[12:13]
	;; [unrolled: 1-line block ×4, first 2 shown]
	v_mul_f64 v[4:5], v[38:39], v[42:43]
	v_fma_f64 v[4:5], v[36:37], v[40:41], -v[4:5]
	v_add_f64 v[2:3], v[2:3], v[4:5]
	v_mul_f64 v[4:5], v[46:47], v[50:51]
	v_fma_f64 v[4:5], v[44:45], v[48:49], -v[4:5]
	v_add_f64 v[2:3], v[2:3], v[4:5]
	;; [unrolled: 3-line block ×14, first 2 shown]
	scratch_load_dwordx4 v[2:5], off, off offset:544
	s_waitcnt vmcnt(0)
	v_add_f64 v[2:3], v[2:3], -v[6:7]
	v_add_f64 v[4:5], v[4:5], -v[80:81]
	scratch_store_dwordx4 off, v[2:5], off offset:544
	s_and_saveexec_b64 s[0:1], vcc
	s_cbranch_execz .LBB51_261
; %bb.260:
	scratch_load_dwordx4 v[2:5], off, s60
	v_mov_b32_e32 v6, 0
	v_mov_b32_e32 v7, v6
	;; [unrolled: 1-line block ×4, first 2 shown]
	v_accvgpr_read_b32 v0, a105
	scratch_store_dwordx4 off, v[6:9], off offset:528
	s_waitcnt vmcnt(1)
	ds_write_b128 v0, v[2:5]
.LBB51_261:
	s_or_b64 exec, exec, s[0:1]
	v_mov_b32_e32 v2, 0
	s_waitcnt lgkmcnt(0)
	; wave barrier
	ds_read_b128 v[16:19], v2 offset:1360
	ds_read_b128 v[12:15], v2 offset:1376
	;; [unrolled: 1-line block ×4, first 2 shown]
	scratch_load_dwordx4 v[20:23], off, off offset:544
	scratch_load_dwordx4 v[40:43], off, off offset:608
	;; [unrolled: 1-line block ×13, first 2 shown]
	v_cmp_lt_u32_e32 vcc, 31, v246
	scratch_load_dwordx4 v[48:51], off, off offset:624
	scratch_load_dwordx4 v[56:59], off, off offset:640
	;; [unrolled: 1-line block ×3, first 2 shown]
	s_waitcnt vmcnt(15) lgkmcnt(3)
	v_mul_f64 v[24:25], v[16:17], v[22:23]
	v_fmac_f64_e32 v[24:25], v[18:19], v[20:21]
	v_add_f64 v[28:29], v[24:25], 0
	scratch_load_dwordx4 v[24:27], off, off offset:560
	v_mul_f64 v[18:19], v[18:19], v[22:23]
	v_fma_f64 v[16:17], v[16:17], v[20:21], -v[18:19]
	v_add_f64 v[16:17], v[16:17], 0
	s_waitcnt vmcnt(0) lgkmcnt(2)
	v_mul_f64 v[30:31], v[12:13], v[26:27]
	v_fmac_f64_e32 v[30:31], v[14:15], v[24:25]
	v_add_f64 v[32:33], v[28:29], v[30:31]
	scratch_load_dwordx4 v[28:31], off, off offset:576
	v_mul_f64 v[14:15], v[14:15], v[26:27]
	v_fma_f64 v[12:13], v[12:13], v[24:25], -v[14:15]
	v_add_f64 v[12:13], v[16:17], v[12:13]
	;; [unrolled: 8-line block ×3, first 2 shown]
	s_waitcnt vmcnt(0) lgkmcnt(0)
	v_mul_f64 v[38:39], v[4:5], v[34:35]
	v_fmac_f64_e32 v[38:39], v[6:7], v[32:33]
	v_add_f64 v[44:45], v[36:37], v[38:39]
	ds_read_b128 v[36:39], v2 offset:1424
	v_mul_f64 v[6:7], v[6:7], v[34:35]
	v_fma_f64 v[4:5], v[4:5], v[32:33], -v[6:7]
	v_add_f64 v[4:5], v[8:9], v[4:5]
	s_waitcnt lgkmcnt(0)
	v_mul_f64 v[46:47], v[36:37], v[42:43]
	v_fmac_f64_e32 v[46:47], v[38:39], v[40:41]
	v_add_f64 v[52:53], v[44:45], v[46:47]
	ds_read_b128 v[44:47], v2 offset:1440
	v_mul_f64 v[6:7], v[38:39], v[42:43]
	v_fma_f64 v[6:7], v[36:37], v[40:41], -v[6:7]
	v_add_f64 v[4:5], v[4:5], v[6:7]
	s_waitcnt lgkmcnt(0)
	;; [unrolled: 8-line block ×15, first 2 shown]
	v_mul_f64 v[6:7], v[152:153], v[156:157]
	v_fma_f64 v[6:7], v[150:151], v[154:155], -v[6:7]
	v_add_f64 v[8:9], v[4:5], v[6:7]
	scratch_load_dwordx4 v[4:7], off, off offset:528
	v_mul_f64 v[158:159], v[150:151], v[156:157]
	v_fmac_f64_e32 v[158:159], v[152:153], v[154:155]
	v_add_f64 v[88:89], v[88:89], v[158:159]
	s_waitcnt vmcnt(0)
	v_add_f64 v[4:5], v[4:5], -v[8:9]
	v_add_f64 v[6:7], v[6:7], -v[88:89]
	scratch_store_dwordx4 off, v[4:7], off offset:528
	s_and_saveexec_b64 s[0:1], vcc
	s_cbranch_execz .LBB51_263
; %bb.262:
	scratch_load_dwordx4 v[6:9], off, s59
	v_mov_b32_e32 v3, v2
	v_mov_b32_e32 v4, v2
	v_mov_b32_e32 v5, v2
	v_accvgpr_read_b32 v0, a105
	scratch_store_dwordx4 off, v[2:5], off offset:512
	s_waitcnt vmcnt(1)
	ds_write_b128 v0, v[6:9]
.LBB51_263:
	s_or_b64 exec, exec, s[0:1]
	s_waitcnt lgkmcnt(0)
	; wave barrier
	ds_read_b128 v[16:19], v2 offset:1344
	ds_read_b128 v[12:15], v2 offset:1360
	;; [unrolled: 1-line block ×4, first 2 shown]
	scratch_load_dwordx4 v[20:23], off, off offset:528
	scratch_load_dwordx4 v[40:43], off, off offset:592
	scratch_load_dwordx4 v[72:75], off, off offset:656
	scratch_load_dwordx4 v[80:83], off, off offset:672
	scratch_load_dwordx4 v[88:91], off, off offset:688
	scratch_load_dwordx4 v[98:101], off, off offset:704
	scratch_load_dwordx4 v[106:109], off, off offset:720
	scratch_load_dwordx4 v[114:117], off, off offset:736
	scratch_load_dwordx4 v[122:125], off, off offset:752
	scratch_load_dwordx4 v[130:133], off, off offset:768
	scratch_load_dwordx4 v[138:141], off, off offset:784
	scratch_load_dwordx4 v[146:149], off, off offset:800
	scratch_load_dwordx4 v[154:157], off, off offset:816
	scratch_load_dwordx4 v[162:165], off, off offset:832
	v_cmp_lt_u32_e32 vcc, 30, v246
	scratch_load_dwordx4 v[48:51], off, off offset:608
	scratch_load_dwordx4 v[56:59], off, off offset:624
	;; [unrolled: 1-line block ×3, first 2 shown]
	s_waitcnt vmcnt(16) lgkmcnt(3)
	v_mul_f64 v[24:25], v[16:17], v[22:23]
	v_fmac_f64_e32 v[24:25], v[18:19], v[20:21]
	v_add_f64 v[28:29], v[24:25], 0
	scratch_load_dwordx4 v[24:27], off, off offset:544
	s_waitcnt vmcnt(0) lgkmcnt(2)
	v_mul_f64 v[30:31], v[12:13], v[26:27]
	v_fmac_f64_e32 v[30:31], v[14:15], v[24:25]
	v_add_f64 v[32:33], v[28:29], v[30:31]
	scratch_load_dwordx4 v[28:31], off, off offset:560
	v_mul_f64 v[14:15], v[14:15], v[26:27]
	v_fma_f64 v[12:13], v[12:13], v[24:25], -v[14:15]
	s_waitcnt vmcnt(0) lgkmcnt(1)
	v_mul_f64 v[34:35], v[8:9], v[30:31]
	v_fmac_f64_e32 v[34:35], v[10:11], v[28:29]
	v_add_f64 v[36:37], v[32:33], v[34:35]
	scratch_load_dwordx4 v[32:35], off, off offset:576
	v_mul_f64 v[10:11], v[10:11], v[30:31]
	v_fma_f64 v[8:9], v[8:9], v[28:29], -v[10:11]
	s_waitcnt vmcnt(0) lgkmcnt(0)
	v_mul_f64 v[38:39], v[4:5], v[34:35]
	v_fmac_f64_e32 v[38:39], v[6:7], v[32:33]
	v_add_f64 v[44:45], v[36:37], v[38:39]
	ds_read_b128 v[36:39], v2 offset:1408
	v_mul_f64 v[6:7], v[6:7], v[34:35]
	v_fma_f64 v[4:5], v[4:5], v[32:33], -v[6:7]
	s_waitcnt lgkmcnt(0)
	v_mul_f64 v[46:47], v[36:37], v[42:43]
	v_fmac_f64_e32 v[46:47], v[38:39], v[40:41]
	v_add_f64 v[52:53], v[44:45], v[46:47]
	ds_read_b128 v[44:47], v2 offset:1424
	s_waitcnt lgkmcnt(0)
	v_mul_f64 v[54:55], v[44:45], v[50:51]
	v_fmac_f64_e32 v[54:55], v[46:47], v[48:49]
	v_add_f64 v[60:61], v[52:53], v[54:55]
	ds_read_b128 v[52:55], v2 offset:1440
	;; [unrolled: 5-line block ×15, first 2 shown]
	s_waitcnt lgkmcnt(0)
	v_mul_f64 v[2:3], v[158:159], v[164:165]
	v_fmac_f64_e32 v[2:3], v[160:161], v[162:163]
	v_add_f64 v[96:97], v[96:97], v[2:3]
	v_mul_f64 v[2:3], v[18:19], v[22:23]
	v_fma_f64 v[2:3], v[16:17], v[20:21], -v[2:3]
	v_add_f64 v[2:3], v[2:3], 0
	v_add_f64 v[2:3], v[2:3], v[12:13]
	;; [unrolled: 1-line block ×4, first 2 shown]
	v_mul_f64 v[4:5], v[38:39], v[42:43]
	v_fma_f64 v[4:5], v[36:37], v[40:41], -v[4:5]
	v_add_f64 v[2:3], v[2:3], v[4:5]
	v_mul_f64 v[4:5], v[46:47], v[50:51]
	v_fma_f64 v[4:5], v[44:45], v[48:49], -v[4:5]
	v_add_f64 v[2:3], v[2:3], v[4:5]
	;; [unrolled: 3-line block ×16, first 2 shown]
	scratch_load_dwordx4 v[2:5], off, off offset:512
	s_waitcnt vmcnt(0)
	v_add_f64 v[2:3], v[2:3], -v[6:7]
	v_add_f64 v[4:5], v[4:5], -v[96:97]
	scratch_store_dwordx4 off, v[2:5], off offset:512
	s_and_saveexec_b64 s[0:1], vcc
	s_cbranch_execz .LBB51_265
; %bb.264:
	scratch_load_dwordx4 v[2:5], off, s58
	v_mov_b32_e32 v6, 0
	v_mov_b32_e32 v7, v6
	;; [unrolled: 1-line block ×4, first 2 shown]
	v_accvgpr_read_b32 v0, a105
	scratch_store_dwordx4 off, v[6:9], off offset:496
	s_waitcnt vmcnt(1)
	ds_write_b128 v0, v[2:5]
.LBB51_265:
	s_or_b64 exec, exec, s[0:1]
	v_mov_b32_e32 v2, 0
	s_waitcnt lgkmcnt(0)
	; wave barrier
	ds_read_b128 v[16:19], v2 offset:1328
	ds_read_b128 v[12:15], v2 offset:1344
	;; [unrolled: 1-line block ×4, first 2 shown]
	scratch_load_dwordx4 v[20:23], off, off offset:512
	scratch_load_dwordx4 v[40:43], off, off offset:576
	;; [unrolled: 1-line block ×15, first 2 shown]
	v_cmp_lt_u32_e32 vcc, 29, v246
	scratch_load_dwordx4 v[48:51], off, off offset:592
	scratch_load_dwordx4 v[56:59], off, off offset:608
	;; [unrolled: 1-line block ×3, first 2 shown]
	s_waitcnt vmcnt(17) lgkmcnt(3)
	v_mul_f64 v[24:25], v[16:17], v[22:23]
	v_fmac_f64_e32 v[24:25], v[18:19], v[20:21]
	v_add_f64 v[28:29], v[24:25], 0
	scratch_load_dwordx4 v[24:27], off, off offset:528
	v_mul_f64 v[18:19], v[18:19], v[22:23]
	v_fma_f64 v[16:17], v[16:17], v[20:21], -v[18:19]
	v_add_f64 v[16:17], v[16:17], 0
	s_waitcnt vmcnt(0) lgkmcnt(2)
	v_mul_f64 v[30:31], v[12:13], v[26:27]
	v_fmac_f64_e32 v[30:31], v[14:15], v[24:25]
	v_add_f64 v[32:33], v[28:29], v[30:31]
	scratch_load_dwordx4 v[28:31], off, off offset:544
	v_mul_f64 v[14:15], v[14:15], v[26:27]
	v_fma_f64 v[12:13], v[12:13], v[24:25], -v[14:15]
	v_add_f64 v[12:13], v[16:17], v[12:13]
	;; [unrolled: 8-line block ×3, first 2 shown]
	s_waitcnt vmcnt(0) lgkmcnt(0)
	v_mul_f64 v[38:39], v[4:5], v[34:35]
	v_fmac_f64_e32 v[38:39], v[6:7], v[32:33]
	v_add_f64 v[44:45], v[36:37], v[38:39]
	ds_read_b128 v[36:39], v2 offset:1392
	v_mul_f64 v[6:7], v[6:7], v[34:35]
	v_fma_f64 v[4:5], v[4:5], v[32:33], -v[6:7]
	v_add_f64 v[4:5], v[8:9], v[4:5]
	s_waitcnt lgkmcnt(0)
	v_mul_f64 v[46:47], v[36:37], v[42:43]
	v_fmac_f64_e32 v[46:47], v[38:39], v[40:41]
	v_add_f64 v[52:53], v[44:45], v[46:47]
	ds_read_b128 v[44:47], v2 offset:1408
	v_mul_f64 v[6:7], v[38:39], v[42:43]
	v_fma_f64 v[6:7], v[36:37], v[40:41], -v[6:7]
	v_add_f64 v[4:5], v[4:5], v[6:7]
	s_waitcnt lgkmcnt(0)
	;; [unrolled: 8-line block ×17, first 2 shown]
	v_mul_f64 v[6:7], v[168:169], v[172:173]
	v_fma_f64 v[6:7], v[166:167], v[170:171], -v[6:7]
	v_add_f64 v[8:9], v[4:5], v[6:7]
	scratch_load_dwordx4 v[4:7], off, off offset:496
	v_mul_f64 v[174:175], v[166:167], v[172:173]
	v_fmac_f64_e32 v[174:175], v[168:169], v[170:171]
	v_add_f64 v[104:105], v[104:105], v[174:175]
	s_waitcnt vmcnt(0)
	v_add_f64 v[4:5], v[4:5], -v[8:9]
	v_add_f64 v[6:7], v[6:7], -v[104:105]
	scratch_store_dwordx4 off, v[4:7], off offset:496
	s_and_saveexec_b64 s[0:1], vcc
	s_cbranch_execz .LBB51_267
; %bb.266:
	scratch_load_dwordx4 v[6:9], off, s57
	v_mov_b32_e32 v3, v2
	v_mov_b32_e32 v4, v2
	;; [unrolled: 1-line block ×3, first 2 shown]
	v_accvgpr_read_b32 v0, a105
	scratch_store_dwordx4 off, v[2:5], off offset:480
	s_waitcnt vmcnt(1)
	ds_write_b128 v0, v[6:9]
.LBB51_267:
	s_or_b64 exec, exec, s[0:1]
	s_waitcnt lgkmcnt(0)
	; wave barrier
	ds_read_b128 v[16:19], v2 offset:1312
	ds_read_b128 v[12:15], v2 offset:1328
	;; [unrolled: 1-line block ×4, first 2 shown]
	scratch_load_dwordx4 v[20:23], off, off offset:496
	scratch_load_dwordx4 v[40:43], off, off offset:560
	;; [unrolled: 1-line block ×16, first 2 shown]
	v_cmp_lt_u32_e32 vcc, 28, v246
	scratch_load_dwordx4 v[48:51], off, off offset:576
	scratch_load_dwordx4 v[56:59], off, off offset:592
	;; [unrolled: 1-line block ×3, first 2 shown]
	s_waitcnt vmcnt(18) lgkmcnt(3)
	v_mul_f64 v[24:25], v[16:17], v[22:23]
	v_fmac_f64_e32 v[24:25], v[18:19], v[20:21]
	v_add_f64 v[28:29], v[24:25], 0
	scratch_load_dwordx4 v[24:27], off, off offset:512
	s_waitcnt vmcnt(0) lgkmcnt(2)
	v_mul_f64 v[30:31], v[12:13], v[26:27]
	v_fmac_f64_e32 v[30:31], v[14:15], v[24:25]
	v_add_f64 v[32:33], v[28:29], v[30:31]
	scratch_load_dwordx4 v[28:31], off, off offset:528
	v_mul_f64 v[14:15], v[14:15], v[26:27]
	v_fma_f64 v[12:13], v[12:13], v[24:25], -v[14:15]
	s_waitcnt vmcnt(0) lgkmcnt(1)
	v_mul_f64 v[34:35], v[8:9], v[30:31]
	v_fmac_f64_e32 v[34:35], v[10:11], v[28:29]
	v_add_f64 v[36:37], v[32:33], v[34:35]
	scratch_load_dwordx4 v[32:35], off, off offset:544
	v_mul_f64 v[10:11], v[10:11], v[30:31]
	v_fma_f64 v[8:9], v[8:9], v[28:29], -v[10:11]
	s_waitcnt vmcnt(0) lgkmcnt(0)
	v_mul_f64 v[38:39], v[4:5], v[34:35]
	v_fmac_f64_e32 v[38:39], v[6:7], v[32:33]
	v_add_f64 v[44:45], v[36:37], v[38:39]
	ds_read_b128 v[36:39], v2 offset:1376
	v_mul_f64 v[6:7], v[6:7], v[34:35]
	v_fma_f64 v[4:5], v[4:5], v[32:33], -v[6:7]
	s_waitcnt lgkmcnt(0)
	v_mul_f64 v[46:47], v[36:37], v[42:43]
	v_fmac_f64_e32 v[46:47], v[38:39], v[40:41]
	v_add_f64 v[52:53], v[44:45], v[46:47]
	ds_read_b128 v[44:47], v2 offset:1392
	s_waitcnt lgkmcnt(0)
	v_mul_f64 v[54:55], v[44:45], v[50:51]
	v_fmac_f64_e32 v[54:55], v[46:47], v[48:49]
	v_add_f64 v[60:61], v[52:53], v[54:55]
	ds_read_b128 v[52:55], v2 offset:1408
	s_waitcnt lgkmcnt(0)
	v_mul_f64 v[62:63], v[52:53], v[58:59]
	v_fmac_f64_e32 v[62:63], v[54:55], v[56:57]
	v_add_f64 v[68:69], v[60:61], v[62:63]
	ds_read_b128 v[60:63], v2 offset:1424
	s_waitcnt lgkmcnt(0)
	v_mul_f64 v[70:71], v[60:61], v[66:67]
	v_fmac_f64_e32 v[70:71], v[62:63], v[64:65]
	v_add_f64 v[76:77], v[68:69], v[70:71]
	ds_read_b128 v[68:71], v2 offset:1440
	s_waitcnt lgkmcnt(0)
	v_mul_f64 v[78:79], v[68:69], v[74:75]
	v_fmac_f64_e32 v[78:79], v[70:71], v[72:73]
	v_add_f64 v[84:85], v[76:77], v[78:79]
	ds_read_b128 v[76:79], v2 offset:1456
	s_waitcnt lgkmcnt(0)
	v_mul_f64 v[86:87], v[76:77], v[82:83]
	v_fmac_f64_e32 v[86:87], v[78:79], v[80:81]
	v_add_f64 v[92:93], v[84:85], v[86:87]
	ds_read_b128 v[84:87], v2 offset:1472
	s_waitcnt lgkmcnt(0)
	v_mul_f64 v[94:95], v[84:85], v[90:91]
	v_fmac_f64_e32 v[94:95], v[86:87], v[88:89]
	v_add_f64 v[100:101], v[92:93], v[94:95]
	ds_read_b128 v[92:95], v2 offset:1488
	s_waitcnt lgkmcnt(0)
	v_mul_f64 v[102:103], v[92:93], v[98:99]
	v_fmac_f64_e32 v[102:103], v[94:95], v[96:97]
	v_add_f64 v[108:109], v[100:101], v[102:103]
	ds_read_b128 v[100:103], v2 offset:1504
	s_waitcnt lgkmcnt(0)
	v_mul_f64 v[110:111], v[100:101], v[106:107]
	v_fmac_f64_e32 v[110:111], v[102:103], v[104:105]
	v_add_f64 v[116:117], v[108:109], v[110:111]
	ds_read_b128 v[108:111], v2 offset:1520
	s_waitcnt lgkmcnt(0)
	v_mul_f64 v[118:119], v[108:109], v[114:115]
	v_fmac_f64_e32 v[118:119], v[110:111], v[112:113]
	v_add_f64 v[120:121], v[116:117], v[118:119]
	ds_read_b128 v[116:119], v2 offset:1536
	s_waitcnt lgkmcnt(0)
	v_mul_f64 v[126:127], v[116:117], v[124:125]
	v_fmac_f64_e32 v[126:127], v[118:119], v[122:123]
	v_add_f64 v[120:121], v[120:121], v[126:127]
	ds_read_b128 v[126:129], v2 offset:1552
	s_waitcnt lgkmcnt(0)
	v_mul_f64 v[134:135], v[126:127], v[132:133]
	v_fmac_f64_e32 v[134:135], v[128:129], v[130:131]
	v_add_f64 v[120:121], v[120:121], v[134:135]
	ds_read_b128 v[134:137], v2 offset:1568
	s_waitcnt lgkmcnt(0)
	v_mul_f64 v[142:143], v[134:135], v[140:141]
	v_fmac_f64_e32 v[142:143], v[136:137], v[138:139]
	v_add_f64 v[120:121], v[120:121], v[142:143]
	ds_read_b128 v[142:145], v2 offset:1584
	s_waitcnt lgkmcnt(0)
	v_mul_f64 v[150:151], v[142:143], v[148:149]
	v_fmac_f64_e32 v[150:151], v[144:145], v[146:147]
	v_add_f64 v[120:121], v[120:121], v[150:151]
	ds_read_b128 v[150:153], v2 offset:1600
	s_waitcnt lgkmcnt(0)
	v_mul_f64 v[158:159], v[150:151], v[156:157]
	v_fmac_f64_e32 v[158:159], v[152:153], v[154:155]
	v_add_f64 v[120:121], v[120:121], v[158:159]
	ds_read_b128 v[158:161], v2 offset:1616
	s_waitcnt lgkmcnt(0)
	v_mul_f64 v[166:167], v[158:159], v[164:165]
	v_fmac_f64_e32 v[166:167], v[160:161], v[162:163]
	v_add_f64 v[120:121], v[120:121], v[166:167]
	ds_read_b128 v[166:169], v2 offset:1632
	s_waitcnt lgkmcnt(0)
	v_mul_f64 v[174:175], v[166:167], v[172:173]
	v_fmac_f64_e32 v[174:175], v[168:169], v[170:171]
	v_add_f64 v[120:121], v[120:121], v[174:175]
	ds_read_b128 v[174:177], v2 offset:1648
	s_waitcnt lgkmcnt(0)
	v_mul_f64 v[2:3], v[174:175], v[180:181]
	v_fmac_f64_e32 v[2:3], v[176:177], v[178:179]
	v_add_f64 v[120:121], v[120:121], v[2:3]
	v_mul_f64 v[2:3], v[18:19], v[22:23]
	v_fma_f64 v[2:3], v[16:17], v[20:21], -v[2:3]
	v_add_f64 v[2:3], v[2:3], 0
	v_add_f64 v[2:3], v[2:3], v[12:13]
	;; [unrolled: 1-line block ×4, first 2 shown]
	v_mul_f64 v[4:5], v[38:39], v[42:43]
	v_fma_f64 v[4:5], v[36:37], v[40:41], -v[4:5]
	v_add_f64 v[2:3], v[2:3], v[4:5]
	v_mul_f64 v[4:5], v[46:47], v[50:51]
	v_fma_f64 v[4:5], v[44:45], v[48:49], -v[4:5]
	v_add_f64 v[2:3], v[2:3], v[4:5]
	;; [unrolled: 3-line block ×18, first 2 shown]
	scratch_load_dwordx4 v[2:5], off, off offset:480
	s_waitcnt vmcnt(0)
	v_add_f64 v[2:3], v[2:3], -v[6:7]
	v_add_f64 v[4:5], v[4:5], -v[120:121]
	scratch_store_dwordx4 off, v[2:5], off offset:480
	s_and_saveexec_b64 s[0:1], vcc
	s_cbranch_execz .LBB51_269
; %bb.268:
	scratch_load_dwordx4 v[2:5], off, s56
	v_mov_b32_e32 v6, 0
	v_mov_b32_e32 v7, v6
	v_mov_b32_e32 v8, v6
	v_mov_b32_e32 v9, v6
	v_accvgpr_read_b32 v0, a105
	scratch_store_dwordx4 off, v[6:9], off offset:464
	s_waitcnt vmcnt(1)
	ds_write_b128 v0, v[2:5]
.LBB51_269:
	s_or_b64 exec, exec, s[0:1]
	v_mov_b32_e32 v2, 0
	s_waitcnt lgkmcnt(0)
	; wave barrier
	ds_read_b128 v[16:19], v2 offset:1296
	ds_read_b128 v[12:15], v2 offset:1312
	;; [unrolled: 1-line block ×4, first 2 shown]
	scratch_load_dwordx4 v[20:23], off, off offset:480
	scratch_load_dwordx4 v[40:43], off, off offset:544
	;; [unrolled: 1-line block ×17, first 2 shown]
	v_cmp_lt_u32_e32 vcc, 27, v246
	scratch_load_dwordx4 v[48:51], off, off offset:560
	scratch_load_dwordx4 v[56:59], off, off offset:576
	;; [unrolled: 1-line block ×3, first 2 shown]
	s_waitcnt vmcnt(19) lgkmcnt(3)
	v_mul_f64 v[24:25], v[16:17], v[22:23]
	v_fmac_f64_e32 v[24:25], v[18:19], v[20:21]
	v_add_f64 v[28:29], v[24:25], 0
	scratch_load_dwordx4 v[24:27], off, off offset:496
	v_mul_f64 v[18:19], v[18:19], v[22:23]
	v_fma_f64 v[16:17], v[16:17], v[20:21], -v[18:19]
	v_add_f64 v[16:17], v[16:17], 0
	s_waitcnt vmcnt(0) lgkmcnt(2)
	v_mul_f64 v[30:31], v[12:13], v[26:27]
	v_fmac_f64_e32 v[30:31], v[14:15], v[24:25]
	v_add_f64 v[32:33], v[28:29], v[30:31]
	scratch_load_dwordx4 v[28:31], off, off offset:512
	v_mul_f64 v[14:15], v[14:15], v[26:27]
	v_fma_f64 v[12:13], v[12:13], v[24:25], -v[14:15]
	v_add_f64 v[12:13], v[16:17], v[12:13]
	;; [unrolled: 8-line block ×3, first 2 shown]
	s_waitcnt vmcnt(0) lgkmcnt(0)
	v_mul_f64 v[38:39], v[4:5], v[34:35]
	v_fmac_f64_e32 v[38:39], v[6:7], v[32:33]
	v_add_f64 v[44:45], v[36:37], v[38:39]
	ds_read_b128 v[36:39], v2 offset:1360
	v_mul_f64 v[6:7], v[6:7], v[34:35]
	v_fma_f64 v[4:5], v[4:5], v[32:33], -v[6:7]
	v_add_f64 v[4:5], v[8:9], v[4:5]
	s_waitcnt lgkmcnt(0)
	v_mul_f64 v[46:47], v[36:37], v[42:43]
	v_fmac_f64_e32 v[46:47], v[38:39], v[40:41]
	v_add_f64 v[52:53], v[44:45], v[46:47]
	ds_read_b128 v[44:47], v2 offset:1376
	v_mul_f64 v[6:7], v[38:39], v[42:43]
	v_fma_f64 v[6:7], v[36:37], v[40:41], -v[6:7]
	v_add_f64 v[4:5], v[4:5], v[6:7]
	s_waitcnt lgkmcnt(0)
	;; [unrolled: 8-line block ×19, first 2 shown]
	v_mul_f64 v[6:7], v[184:185], v[188:189]
	v_fma_f64 v[6:7], v[182:183], v[186:187], -v[6:7]
	v_add_f64 v[8:9], v[4:5], v[6:7]
	scratch_load_dwordx4 v[4:7], off, off offset:464
	v_mul_f64 v[190:191], v[182:183], v[188:189]
	v_fmac_f64_e32 v[190:191], v[184:185], v[186:187]
	v_add_f64 v[128:129], v[128:129], v[190:191]
	s_waitcnt vmcnt(0)
	v_add_f64 v[4:5], v[4:5], -v[8:9]
	v_add_f64 v[6:7], v[6:7], -v[128:129]
	scratch_store_dwordx4 off, v[4:7], off offset:464
	s_and_saveexec_b64 s[0:1], vcc
	s_cbranch_execz .LBB51_271
; %bb.270:
	scratch_load_dwordx4 v[6:9], off, s55
	v_mov_b32_e32 v3, v2
	v_mov_b32_e32 v4, v2
	v_mov_b32_e32 v5, v2
	v_accvgpr_read_b32 v0, a105
	scratch_store_dwordx4 off, v[2:5], off offset:448
	s_waitcnt vmcnt(1)
	ds_write_b128 v0, v[6:9]
.LBB51_271:
	s_or_b64 exec, exec, s[0:1]
	s_waitcnt lgkmcnt(0)
	; wave barrier
	ds_read_b128 v[16:19], v2 offset:1280
	ds_read_b128 v[12:15], v2 offset:1296
	;; [unrolled: 1-line block ×4, first 2 shown]
	scratch_load_dwordx4 v[20:23], off, off offset:464
	scratch_load_dwordx4 v[40:43], off, off offset:528
	;; [unrolled: 1-line block ×18, first 2 shown]
	v_cmp_lt_u32_e32 vcc, 26, v246
	scratch_load_dwordx4 v[48:51], off, off offset:544
	scratch_load_dwordx4 v[56:59], off, off offset:560
	;; [unrolled: 1-line block ×3, first 2 shown]
	s_waitcnt vmcnt(20) lgkmcnt(3)
	v_mul_f64 v[24:25], v[16:17], v[22:23]
	v_fmac_f64_e32 v[24:25], v[18:19], v[20:21]
	v_add_f64 v[28:29], v[24:25], 0
	scratch_load_dwordx4 v[24:27], off, off offset:480
	s_waitcnt vmcnt(0) lgkmcnt(2)
	v_mul_f64 v[30:31], v[12:13], v[26:27]
	v_fmac_f64_e32 v[30:31], v[14:15], v[24:25]
	v_add_f64 v[32:33], v[28:29], v[30:31]
	scratch_load_dwordx4 v[28:31], off, off offset:496
	v_mul_f64 v[14:15], v[14:15], v[26:27]
	v_fma_f64 v[12:13], v[12:13], v[24:25], -v[14:15]
	s_waitcnt vmcnt(0) lgkmcnt(1)
	v_mul_f64 v[34:35], v[8:9], v[30:31]
	v_fmac_f64_e32 v[34:35], v[10:11], v[28:29]
	v_add_f64 v[36:37], v[32:33], v[34:35]
	scratch_load_dwordx4 v[32:35], off, off offset:512
	v_mul_f64 v[10:11], v[10:11], v[30:31]
	v_fma_f64 v[8:9], v[8:9], v[28:29], -v[10:11]
	s_waitcnt vmcnt(0) lgkmcnt(0)
	v_mul_f64 v[38:39], v[4:5], v[34:35]
	v_fmac_f64_e32 v[38:39], v[6:7], v[32:33]
	v_add_f64 v[44:45], v[36:37], v[38:39]
	ds_read_b128 v[36:39], v2 offset:1344
	v_mul_f64 v[6:7], v[6:7], v[34:35]
	v_fma_f64 v[4:5], v[4:5], v[32:33], -v[6:7]
	s_waitcnt lgkmcnt(0)
	v_mul_f64 v[46:47], v[36:37], v[42:43]
	v_fmac_f64_e32 v[46:47], v[38:39], v[40:41]
	v_add_f64 v[52:53], v[44:45], v[46:47]
	ds_read_b128 v[44:47], v2 offset:1360
	s_waitcnt lgkmcnt(0)
	v_mul_f64 v[54:55], v[44:45], v[50:51]
	v_fmac_f64_e32 v[54:55], v[46:47], v[48:49]
	v_add_f64 v[60:61], v[52:53], v[54:55]
	ds_read_b128 v[52:55], v2 offset:1376
	;; [unrolled: 5-line block ×19, first 2 shown]
	s_waitcnt lgkmcnt(0)
	v_mul_f64 v[2:3], v[190:191], v[196:197]
	v_fmac_f64_e32 v[2:3], v[192:193], v[194:195]
	v_add_f64 v[148:149], v[148:149], v[2:3]
	v_mul_f64 v[2:3], v[18:19], v[22:23]
	v_fma_f64 v[2:3], v[16:17], v[20:21], -v[2:3]
	v_add_f64 v[2:3], v[2:3], 0
	v_add_f64 v[2:3], v[2:3], v[12:13]
	;; [unrolled: 1-line block ×4, first 2 shown]
	v_mul_f64 v[4:5], v[38:39], v[42:43]
	v_fma_f64 v[4:5], v[36:37], v[40:41], -v[4:5]
	v_add_f64 v[2:3], v[2:3], v[4:5]
	v_mul_f64 v[4:5], v[46:47], v[50:51]
	v_fma_f64 v[4:5], v[44:45], v[48:49], -v[4:5]
	v_add_f64 v[2:3], v[2:3], v[4:5]
	;; [unrolled: 3-line block ×20, first 2 shown]
	scratch_load_dwordx4 v[2:5], off, off offset:448
	s_waitcnt vmcnt(0)
	v_add_f64 v[2:3], v[2:3], -v[6:7]
	v_add_f64 v[4:5], v[4:5], -v[148:149]
	scratch_store_dwordx4 off, v[2:5], off offset:448
	s_and_saveexec_b64 s[0:1], vcc
	s_cbranch_execz .LBB51_273
; %bb.272:
	scratch_load_dwordx4 v[2:5], off, s54
	v_mov_b32_e32 v6, 0
	v_mov_b32_e32 v7, v6
	;; [unrolled: 1-line block ×4, first 2 shown]
	v_accvgpr_read_b32 v0, a105
	scratch_store_dwordx4 off, v[6:9], off offset:432
	s_waitcnt vmcnt(1)
	ds_write_b128 v0, v[2:5]
.LBB51_273:
	s_or_b64 exec, exec, s[0:1]
	v_mov_b32_e32 v2, 0
	s_waitcnt lgkmcnt(0)
	; wave barrier
	ds_read_b128 v[16:19], v2 offset:1264
	ds_read_b128 v[12:15], v2 offset:1280
	;; [unrolled: 1-line block ×4, first 2 shown]
	scratch_load_dwordx4 v[20:23], off, off offset:448
	scratch_load_dwordx4 v[40:43], off, off offset:512
	scratch_load_dwordx4 v[72:75], off, off offset:576
	scratch_load_dwordx4 v[80:83], off, off offset:592
	scratch_load_dwordx4 v[88:91], off, off offset:608
	scratch_load_dwordx4 v[96:99], off, off offset:624
	scratch_load_dwordx4 v[104:107], off, off offset:640
	scratch_load_dwordx4 v[112:115], off, off offset:656
	scratch_load_dwordx4 v[120:123], off, off offset:672
	scratch_load_dwordx4 v[128:131], off, off offset:688
	scratch_load_dwordx4 v[136:139], off, off offset:704
	scratch_load_dwordx4 v[146:149], off, off offset:720
	scratch_load_dwordx4 v[154:157], off, off offset:736
	scratch_load_dwordx4 v[162:165], off, off offset:752
	scratch_load_dwordx4 v[170:173], off, off offset:768
	scratch_load_dwordx4 v[178:181], off, off offset:784
	scratch_load_dwordx4 v[186:189], off, off offset:800
	scratch_load_dwordx4 v[194:197], off, off offset:816
	scratch_load_dwordx4 v[202:205], off, off offset:832
	v_cmp_lt_u32_e32 vcc, 25, v246
	scratch_load_dwordx4 v[48:51], off, off offset:528
	scratch_load_dwordx4 v[56:59], off, off offset:544
	scratch_load_dwordx4 v[64:67], off, off offset:560
	s_waitcnt vmcnt(21) lgkmcnt(3)
	v_mul_f64 v[24:25], v[16:17], v[22:23]
	v_fmac_f64_e32 v[24:25], v[18:19], v[20:21]
	v_add_f64 v[28:29], v[24:25], 0
	scratch_load_dwordx4 v[24:27], off, off offset:464
	v_mul_f64 v[18:19], v[18:19], v[22:23]
	v_fma_f64 v[16:17], v[16:17], v[20:21], -v[18:19]
	v_add_f64 v[16:17], v[16:17], 0
	s_waitcnt vmcnt(0) lgkmcnt(2)
	v_mul_f64 v[30:31], v[12:13], v[26:27]
	v_fmac_f64_e32 v[30:31], v[14:15], v[24:25]
	v_add_f64 v[32:33], v[28:29], v[30:31]
	scratch_load_dwordx4 v[28:31], off, off offset:480
	v_mul_f64 v[14:15], v[14:15], v[26:27]
	v_fma_f64 v[12:13], v[12:13], v[24:25], -v[14:15]
	v_add_f64 v[12:13], v[16:17], v[12:13]
	s_waitcnt vmcnt(0) lgkmcnt(1)
	v_mul_f64 v[34:35], v[8:9], v[30:31]
	v_fmac_f64_e32 v[34:35], v[10:11], v[28:29]
	v_add_f64 v[36:37], v[32:33], v[34:35]
	scratch_load_dwordx4 v[32:35], off, off offset:496
	v_mul_f64 v[10:11], v[10:11], v[30:31]
	v_fma_f64 v[8:9], v[8:9], v[28:29], -v[10:11]
	v_add_f64 v[8:9], v[12:13], v[8:9]
	s_waitcnt vmcnt(0) lgkmcnt(0)
	v_mul_f64 v[38:39], v[4:5], v[34:35]
	v_fmac_f64_e32 v[38:39], v[6:7], v[32:33]
	v_add_f64 v[44:45], v[36:37], v[38:39]
	ds_read_b128 v[36:39], v2 offset:1328
	v_mul_f64 v[6:7], v[6:7], v[34:35]
	v_fma_f64 v[4:5], v[4:5], v[32:33], -v[6:7]
	v_add_f64 v[4:5], v[8:9], v[4:5]
	s_waitcnt lgkmcnt(0)
	v_mul_f64 v[46:47], v[36:37], v[42:43]
	v_fmac_f64_e32 v[46:47], v[38:39], v[40:41]
	v_add_f64 v[52:53], v[44:45], v[46:47]
	ds_read_b128 v[44:47], v2 offset:1344
	v_mul_f64 v[6:7], v[38:39], v[42:43]
	v_fma_f64 v[6:7], v[36:37], v[40:41], -v[6:7]
	v_add_f64 v[4:5], v[4:5], v[6:7]
	s_waitcnt lgkmcnt(0)
	;; [unrolled: 8-line block ×21, first 2 shown]
	v_mul_f64 v[6:7], v[200:201], v[204:205]
	v_fma_f64 v[6:7], v[198:199], v[202:203], -v[6:7]
	v_add_f64 v[8:9], v[4:5], v[6:7]
	scratch_load_dwordx4 v[4:7], off, off offset:432
	v_mul_f64 v[206:207], v[198:199], v[204:205]
	v_fmac_f64_e32 v[206:207], v[200:201], v[202:203]
	v_add_f64 v[144:145], v[144:145], v[206:207]
	s_waitcnt vmcnt(0)
	v_add_f64 v[4:5], v[4:5], -v[8:9]
	v_add_f64 v[6:7], v[6:7], -v[144:145]
	scratch_store_dwordx4 off, v[4:7], off offset:432
	s_and_saveexec_b64 s[0:1], vcc
	s_cbranch_execz .LBB51_275
; %bb.274:
	scratch_load_dwordx4 v[6:9], off, s53
	v_mov_b32_e32 v3, v2
	v_mov_b32_e32 v4, v2
	;; [unrolled: 1-line block ×3, first 2 shown]
	v_accvgpr_read_b32 v0, a105
	scratch_store_dwordx4 off, v[2:5], off offset:416
	s_waitcnt vmcnt(1)
	ds_write_b128 v0, v[6:9]
.LBB51_275:
	s_or_b64 exec, exec, s[0:1]
	s_waitcnt lgkmcnt(0)
	; wave barrier
	ds_read_b128 v[16:19], v2 offset:1248
	ds_read_b128 v[12:15], v2 offset:1264
	;; [unrolled: 1-line block ×4, first 2 shown]
	scratch_load_dwordx4 v[20:23], off, off offset:432
	scratch_load_dwordx4 v[40:43], off, off offset:496
	;; [unrolled: 1-line block ×20, first 2 shown]
	v_cmp_lt_u32_e32 vcc, 24, v246
	scratch_load_dwordx4 v[48:51], off, off offset:512
	scratch_load_dwordx4 v[56:59], off, off offset:528
	;; [unrolled: 1-line block ×3, first 2 shown]
	s_waitcnt vmcnt(22) lgkmcnt(3)
	v_mul_f64 v[24:25], v[16:17], v[22:23]
	v_fmac_f64_e32 v[24:25], v[18:19], v[20:21]
	v_add_f64 v[28:29], v[24:25], 0
	scratch_load_dwordx4 v[24:27], off, off offset:448
	s_waitcnt vmcnt(0) lgkmcnt(2)
	v_mul_f64 v[30:31], v[12:13], v[26:27]
	v_fmac_f64_e32 v[30:31], v[14:15], v[24:25]
	v_add_f64 v[32:33], v[28:29], v[30:31]
	scratch_load_dwordx4 v[28:31], off, off offset:464
	v_mul_f64 v[14:15], v[14:15], v[26:27]
	v_fma_f64 v[12:13], v[12:13], v[24:25], -v[14:15]
	s_waitcnt vmcnt(0) lgkmcnt(1)
	v_mul_f64 v[34:35], v[8:9], v[30:31]
	v_fmac_f64_e32 v[34:35], v[10:11], v[28:29]
	v_add_f64 v[36:37], v[32:33], v[34:35]
	scratch_load_dwordx4 v[32:35], off, off offset:480
	v_mul_f64 v[10:11], v[10:11], v[30:31]
	v_fma_f64 v[8:9], v[8:9], v[28:29], -v[10:11]
	s_waitcnt vmcnt(0) lgkmcnt(0)
	v_mul_f64 v[38:39], v[4:5], v[34:35]
	v_fmac_f64_e32 v[38:39], v[6:7], v[32:33]
	v_add_f64 v[44:45], v[36:37], v[38:39]
	ds_read_b128 v[36:39], v2 offset:1312
	v_mul_f64 v[6:7], v[6:7], v[34:35]
	v_fma_f64 v[4:5], v[4:5], v[32:33], -v[6:7]
	s_waitcnt lgkmcnt(0)
	v_mul_f64 v[46:47], v[36:37], v[42:43]
	v_fmac_f64_e32 v[46:47], v[38:39], v[40:41]
	v_add_f64 v[52:53], v[44:45], v[46:47]
	ds_read_b128 v[44:47], v2 offset:1328
	s_waitcnt lgkmcnt(0)
	v_mul_f64 v[54:55], v[44:45], v[50:51]
	v_fmac_f64_e32 v[54:55], v[46:47], v[48:49]
	v_add_f64 v[60:61], v[52:53], v[54:55]
	ds_read_b128 v[52:55], v2 offset:1344
	;; [unrolled: 5-line block ×21, first 2 shown]
	s_waitcnt lgkmcnt(0)
	v_mul_f64 v[2:3], v[206:207], v[212:213]
	v_fmac_f64_e32 v[2:3], v[208:209], v[210:211]
	v_add_f64 v[168:169], v[168:169], v[2:3]
	v_mul_f64 v[2:3], v[18:19], v[22:23]
	v_fma_f64 v[2:3], v[16:17], v[20:21], -v[2:3]
	v_add_f64 v[2:3], v[2:3], 0
	v_add_f64 v[2:3], v[2:3], v[12:13]
	;; [unrolled: 1-line block ×4, first 2 shown]
	v_mul_f64 v[4:5], v[38:39], v[42:43]
	v_fma_f64 v[4:5], v[36:37], v[40:41], -v[4:5]
	v_add_f64 v[2:3], v[2:3], v[4:5]
	v_mul_f64 v[4:5], v[46:47], v[50:51]
	v_fma_f64 v[4:5], v[44:45], v[48:49], -v[4:5]
	v_add_f64 v[2:3], v[2:3], v[4:5]
	;; [unrolled: 3-line block ×22, first 2 shown]
	scratch_load_dwordx4 v[2:5], off, off offset:416
	s_waitcnt vmcnt(0)
	v_add_f64 v[2:3], v[2:3], -v[6:7]
	v_add_f64 v[4:5], v[4:5], -v[168:169]
	scratch_store_dwordx4 off, v[2:5], off offset:416
	s_and_saveexec_b64 s[0:1], vcc
	s_cbranch_execz .LBB51_277
; %bb.276:
	scratch_load_dwordx4 v[2:5], off, s52
	v_mov_b32_e32 v6, 0
	v_mov_b32_e32 v7, v6
	;; [unrolled: 1-line block ×4, first 2 shown]
	v_accvgpr_read_b32 v0, a105
	scratch_store_dwordx4 off, v[6:9], off offset:400
	s_waitcnt vmcnt(1)
	ds_write_b128 v0, v[2:5]
.LBB51_277:
	s_or_b64 exec, exec, s[0:1]
	v_mov_b32_e32 v2, 0
	s_waitcnt lgkmcnt(0)
	; wave barrier
	ds_read_b128 v[16:19], v2 offset:1232
	ds_read_b128 v[12:15], v2 offset:1248
	;; [unrolled: 1-line block ×4, first 2 shown]
	scratch_load_dwordx4 v[20:23], off, off offset:416
	scratch_load_dwordx4 v[40:43], off, off offset:480
	;; [unrolled: 1-line block ×21, first 2 shown]
	v_cmp_lt_u32_e32 vcc, 23, v246
	scratch_load_dwordx4 v[48:51], off, off offset:496
	scratch_load_dwordx4 v[56:59], off, off offset:512
	;; [unrolled: 1-line block ×3, first 2 shown]
	s_waitcnt vmcnt(23) lgkmcnt(3)
	v_mul_f64 v[24:25], v[16:17], v[22:23]
	v_fmac_f64_e32 v[24:25], v[18:19], v[20:21]
	v_add_f64 v[28:29], v[24:25], 0
	scratch_load_dwordx4 v[24:27], off, off offset:432
	v_mul_f64 v[18:19], v[18:19], v[22:23]
	v_fma_f64 v[16:17], v[16:17], v[20:21], -v[18:19]
	v_add_f64 v[16:17], v[16:17], 0
	s_waitcnt vmcnt(0) lgkmcnt(2)
	v_mul_f64 v[30:31], v[12:13], v[26:27]
	v_fmac_f64_e32 v[30:31], v[14:15], v[24:25]
	v_add_f64 v[32:33], v[28:29], v[30:31]
	scratch_load_dwordx4 v[28:31], off, off offset:448
	v_mul_f64 v[14:15], v[14:15], v[26:27]
	v_fma_f64 v[12:13], v[12:13], v[24:25], -v[14:15]
	v_add_f64 v[12:13], v[16:17], v[12:13]
	;; [unrolled: 8-line block ×3, first 2 shown]
	s_waitcnt vmcnt(0) lgkmcnt(0)
	v_mul_f64 v[38:39], v[4:5], v[34:35]
	v_fmac_f64_e32 v[38:39], v[6:7], v[32:33]
	v_add_f64 v[44:45], v[36:37], v[38:39]
	ds_read_b128 v[36:39], v2 offset:1296
	v_mul_f64 v[6:7], v[6:7], v[34:35]
	v_fma_f64 v[4:5], v[4:5], v[32:33], -v[6:7]
	v_add_f64 v[4:5], v[8:9], v[4:5]
	s_waitcnt lgkmcnt(0)
	v_mul_f64 v[46:47], v[36:37], v[42:43]
	v_fmac_f64_e32 v[46:47], v[38:39], v[40:41]
	v_add_f64 v[52:53], v[44:45], v[46:47]
	ds_read_b128 v[44:47], v2 offset:1312
	v_mul_f64 v[6:7], v[38:39], v[42:43]
	v_fma_f64 v[6:7], v[36:37], v[40:41], -v[6:7]
	v_add_f64 v[4:5], v[4:5], v[6:7]
	s_waitcnt lgkmcnt(0)
	;; [unrolled: 8-line block ×23, first 2 shown]
	v_mul_f64 v[6:7], v[216:217], v[220:221]
	v_fma_f64 v[6:7], v[214:215], v[218:219], -v[6:7]
	v_add_f64 v[8:9], v[4:5], v[6:7]
	scratch_load_dwordx4 v[4:7], off, off offset:400
	v_mul_f64 v[222:223], v[214:215], v[220:221]
	v_fmac_f64_e32 v[222:223], v[216:217], v[218:219]
	v_add_f64 v[160:161], v[160:161], v[222:223]
	s_waitcnt vmcnt(0)
	v_add_f64 v[4:5], v[4:5], -v[8:9]
	v_add_f64 v[6:7], v[6:7], -v[160:161]
	scratch_store_dwordx4 off, v[4:7], off offset:400
	s_and_saveexec_b64 s[0:1], vcc
	s_cbranch_execz .LBB51_279
; %bb.278:
	scratch_load_dwordx4 v[6:9], off, s51
	v_mov_b32_e32 v3, v2
	v_mov_b32_e32 v4, v2
	;; [unrolled: 1-line block ×3, first 2 shown]
	v_accvgpr_read_b32 v0, a105
	scratch_store_dwordx4 off, v[2:5], off offset:384
	s_waitcnt vmcnt(1)
	ds_write_b128 v0, v[6:9]
.LBB51_279:
	s_or_b64 exec, exec, s[0:1]
	s_waitcnt lgkmcnt(0)
	; wave barrier
	ds_read_b128 v[16:19], v2 offset:1216
	ds_read_b128 v[12:15], v2 offset:1232
	;; [unrolled: 1-line block ×4, first 2 shown]
	scratch_load_dwordx4 v[20:23], off, off offset:400
	scratch_load_dwordx4 v[40:43], off, off offset:464
	;; [unrolled: 1-line block ×22, first 2 shown]
	v_cmp_lt_u32_e32 vcc, 22, v246
	scratch_load_dwordx4 v[48:51], off, off offset:480
	scratch_load_dwordx4 v[56:59], off, off offset:496
	scratch_load_dwordx4 v[64:67], off, off offset:512
	s_waitcnt vmcnt(24) lgkmcnt(3)
	v_mul_f64 v[24:25], v[16:17], v[22:23]
	v_fmac_f64_e32 v[24:25], v[18:19], v[20:21]
	v_add_f64 v[28:29], v[24:25], 0
	scratch_load_dwordx4 v[24:27], off, off offset:416
	s_waitcnt vmcnt(0) lgkmcnt(2)
	v_mul_f64 v[30:31], v[12:13], v[26:27]
	v_fmac_f64_e32 v[30:31], v[14:15], v[24:25]
	v_add_f64 v[32:33], v[28:29], v[30:31]
	scratch_load_dwordx4 v[28:31], off, off offset:432
	v_mul_f64 v[14:15], v[14:15], v[26:27]
	v_fma_f64 v[12:13], v[12:13], v[24:25], -v[14:15]
	s_waitcnt vmcnt(0) lgkmcnt(1)
	v_mul_f64 v[34:35], v[8:9], v[30:31]
	v_fmac_f64_e32 v[34:35], v[10:11], v[28:29]
	v_add_f64 v[36:37], v[32:33], v[34:35]
	scratch_load_dwordx4 v[32:35], off, off offset:448
	v_mul_f64 v[10:11], v[10:11], v[30:31]
	v_fma_f64 v[8:9], v[8:9], v[28:29], -v[10:11]
	s_waitcnt vmcnt(0) lgkmcnt(0)
	v_mul_f64 v[38:39], v[4:5], v[34:35]
	v_fmac_f64_e32 v[38:39], v[6:7], v[32:33]
	v_add_f64 v[44:45], v[36:37], v[38:39]
	ds_read_b128 v[36:39], v2 offset:1280
	v_mul_f64 v[6:7], v[6:7], v[34:35]
	v_fma_f64 v[4:5], v[4:5], v[32:33], -v[6:7]
	s_waitcnt lgkmcnt(0)
	v_mul_f64 v[46:47], v[36:37], v[42:43]
	v_fmac_f64_e32 v[46:47], v[38:39], v[40:41]
	v_add_f64 v[52:53], v[44:45], v[46:47]
	ds_read_b128 v[44:47], v2 offset:1296
	s_waitcnt lgkmcnt(0)
	v_mul_f64 v[54:55], v[44:45], v[50:51]
	v_fmac_f64_e32 v[54:55], v[46:47], v[48:49]
	v_add_f64 v[60:61], v[52:53], v[54:55]
	ds_read_b128 v[52:55], v2 offset:1312
	;; [unrolled: 5-line block ×23, first 2 shown]
	s_waitcnt lgkmcnt(0)
	v_mul_f64 v[2:3], v[222:223], v[228:229]
	v_fmac_f64_e32 v[2:3], v[224:225], v[226:227]
	v_add_f64 v[176:177], v[176:177], v[2:3]
	v_mul_f64 v[2:3], v[18:19], v[22:23]
	v_fma_f64 v[2:3], v[16:17], v[20:21], -v[2:3]
	v_add_f64 v[2:3], v[2:3], 0
	v_add_f64 v[2:3], v[2:3], v[12:13]
	;; [unrolled: 1-line block ×4, first 2 shown]
	v_mul_f64 v[4:5], v[38:39], v[42:43]
	v_fma_f64 v[4:5], v[36:37], v[40:41], -v[4:5]
	v_add_f64 v[2:3], v[2:3], v[4:5]
	v_mul_f64 v[4:5], v[46:47], v[50:51]
	v_fma_f64 v[4:5], v[44:45], v[48:49], -v[4:5]
	v_add_f64 v[2:3], v[2:3], v[4:5]
	;; [unrolled: 3-line block ×24, first 2 shown]
	scratch_load_dwordx4 v[2:5], off, off offset:384
	s_waitcnt vmcnt(0)
	v_add_f64 v[2:3], v[2:3], -v[6:7]
	v_add_f64 v[4:5], v[4:5], -v[176:177]
	scratch_store_dwordx4 off, v[2:5], off offset:384
	s_and_saveexec_b64 s[0:1], vcc
	s_cbranch_execz .LBB51_281
; %bb.280:
	scratch_load_dwordx4 v[2:5], off, s50
	v_mov_b32_e32 v6, 0
	v_mov_b32_e32 v7, v6
	;; [unrolled: 1-line block ×4, first 2 shown]
	v_accvgpr_read_b32 v0, a105
	scratch_store_dwordx4 off, v[6:9], off offset:368
	s_waitcnt vmcnt(1)
	ds_write_b128 v0, v[2:5]
.LBB51_281:
	s_or_b64 exec, exec, s[0:1]
	v_mov_b32_e32 v2, 0
	s_waitcnt lgkmcnt(0)
	; wave barrier
	ds_read_b128 v[16:19], v2 offset:1200
	ds_read_b128 v[12:15], v2 offset:1216
	;; [unrolled: 1-line block ×4, first 2 shown]
	scratch_load_dwordx4 v[20:23], off, off offset:384
	scratch_load_dwordx4 v[40:43], off, off offset:448
	;; [unrolled: 1-line block ×23, first 2 shown]
	v_cmp_lt_u32_e32 vcc, 21, v246
	scratch_load_dwordx4 v[48:51], off, off offset:464
	scratch_load_dwordx4 v[56:59], off, off offset:480
	;; [unrolled: 1-line block ×3, first 2 shown]
	s_waitcnt vmcnt(25) lgkmcnt(3)
	v_mul_f64 v[24:25], v[16:17], v[22:23]
	v_fmac_f64_e32 v[24:25], v[18:19], v[20:21]
	v_add_f64 v[28:29], v[24:25], 0
	scratch_load_dwordx4 v[24:27], off, off offset:400
	v_mul_f64 v[18:19], v[18:19], v[22:23]
	v_fma_f64 v[16:17], v[16:17], v[20:21], -v[18:19]
	v_add_f64 v[16:17], v[16:17], 0
	s_waitcnt vmcnt(0) lgkmcnt(2)
	v_mul_f64 v[30:31], v[12:13], v[26:27]
	v_fmac_f64_e32 v[30:31], v[14:15], v[24:25]
	v_add_f64 v[32:33], v[28:29], v[30:31]
	scratch_load_dwordx4 v[28:31], off, off offset:416
	v_mul_f64 v[14:15], v[14:15], v[26:27]
	v_fma_f64 v[12:13], v[12:13], v[24:25], -v[14:15]
	v_add_f64 v[12:13], v[16:17], v[12:13]
	s_waitcnt vmcnt(0) lgkmcnt(1)
	v_mul_f64 v[34:35], v[8:9], v[30:31]
	v_fmac_f64_e32 v[34:35], v[10:11], v[28:29]
	v_add_f64 v[36:37], v[32:33], v[34:35]
	scratch_load_dwordx4 v[32:35], off, off offset:432
	v_mul_f64 v[10:11], v[10:11], v[30:31]
	v_fma_f64 v[8:9], v[8:9], v[28:29], -v[10:11]
	v_add_f64 v[8:9], v[12:13], v[8:9]
	s_waitcnt vmcnt(0) lgkmcnt(0)
	v_mul_f64 v[38:39], v[4:5], v[34:35]
	v_fmac_f64_e32 v[38:39], v[6:7], v[32:33]
	v_add_f64 v[44:45], v[36:37], v[38:39]
	ds_read_b128 v[36:39], v2 offset:1264
	v_mul_f64 v[6:7], v[6:7], v[34:35]
	v_fma_f64 v[4:5], v[4:5], v[32:33], -v[6:7]
	v_add_f64 v[4:5], v[8:9], v[4:5]
	s_waitcnt lgkmcnt(0)
	v_mul_f64 v[46:47], v[36:37], v[42:43]
	v_fmac_f64_e32 v[46:47], v[38:39], v[40:41]
	v_add_f64 v[52:53], v[44:45], v[46:47]
	ds_read_b128 v[44:47], v2 offset:1280
	v_mul_f64 v[6:7], v[38:39], v[42:43]
	v_fma_f64 v[6:7], v[36:37], v[40:41], -v[6:7]
	v_add_f64 v[4:5], v[4:5], v[6:7]
	s_waitcnt lgkmcnt(0)
	;; [unrolled: 8-line block ×25, first 2 shown]
	v_mul_f64 v[6:7], v[232:233], v[236:237]
	v_fma_f64 v[6:7], v[230:231], v[234:235], -v[6:7]
	v_add_f64 v[8:9], v[4:5], v[6:7]
	scratch_load_dwordx4 v[4:7], off, off offset:368
	v_mul_f64 v[238:239], v[230:231], v[236:237]
	v_fmac_f64_e32 v[238:239], v[232:233], v[234:235]
	v_add_f64 v[176:177], v[176:177], v[238:239]
	s_waitcnt vmcnt(0)
	v_add_f64 v[4:5], v[4:5], -v[8:9]
	v_add_f64 v[6:7], v[6:7], -v[176:177]
	scratch_store_dwordx4 off, v[4:7], off offset:368
	s_and_saveexec_b64 s[0:1], vcc
	s_cbranch_execz .LBB51_283
; %bb.282:
	scratch_load_dwordx4 v[6:9], off, s49
	v_mov_b32_e32 v3, v2
	v_mov_b32_e32 v4, v2
	;; [unrolled: 1-line block ×3, first 2 shown]
	v_accvgpr_read_b32 v0, a105
	scratch_store_dwordx4 off, v[2:5], off offset:352
	s_waitcnt vmcnt(1)
	ds_write_b128 v0, v[6:9]
.LBB51_283:
	s_or_b64 exec, exec, s[0:1]
	s_waitcnt lgkmcnt(0)
	; wave barrier
	ds_read_b128 v[16:19], v2 offset:1184
	ds_read_b128 v[12:15], v2 offset:1200
	;; [unrolled: 1-line block ×4, first 2 shown]
	scratch_load_dwordx4 v[20:23], off, off offset:368
	scratch_load_dwordx4 v[40:43], off, off offset:432
	;; [unrolled: 1-line block ×24, first 2 shown]
	v_cmp_lt_u32_e32 vcc, 20, v246
	scratch_load_dwordx4 v[48:51], off, off offset:448
	scratch_load_dwordx4 v[56:59], off, off offset:464
	;; [unrolled: 1-line block ×3, first 2 shown]
	ds_read_b128 v[248:251], v2 offset:1648
	s_waitcnt vmcnt(26) lgkmcnt(4)
	v_mul_f64 v[24:25], v[16:17], v[22:23]
	v_fmac_f64_e32 v[24:25], v[18:19], v[20:21]
	v_add_f64 v[28:29], v[24:25], 0
	scratch_load_dwordx4 v[24:27], off, off offset:384
	s_waitcnt vmcnt(0) lgkmcnt(3)
	v_mul_f64 v[30:31], v[12:13], v[26:27]
	v_fmac_f64_e32 v[30:31], v[14:15], v[24:25]
	v_add_f64 v[32:33], v[28:29], v[30:31]
	scratch_load_dwordx4 v[28:31], off, off offset:400
	v_mul_f64 v[14:15], v[14:15], v[26:27]
	v_fma_f64 v[12:13], v[12:13], v[24:25], -v[14:15]
	s_waitcnt vmcnt(0) lgkmcnt(2)
	v_mul_f64 v[34:35], v[8:9], v[30:31]
	v_fmac_f64_e32 v[34:35], v[10:11], v[28:29]
	v_add_f64 v[36:37], v[32:33], v[34:35]
	scratch_load_dwordx4 v[32:35], off, off offset:416
	v_mul_f64 v[10:11], v[10:11], v[30:31]
	v_fma_f64 v[8:9], v[8:9], v[28:29], -v[10:11]
	s_waitcnt vmcnt(0) lgkmcnt(1)
	v_mul_f64 v[38:39], v[4:5], v[34:35]
	v_fmac_f64_e32 v[38:39], v[6:7], v[32:33]
	v_add_f64 v[44:45], v[36:37], v[38:39]
	ds_read_b128 v[36:39], v2 offset:1248
	v_mul_f64 v[6:7], v[6:7], v[34:35]
	v_fma_f64 v[4:5], v[4:5], v[32:33], -v[6:7]
	s_waitcnt lgkmcnt(0)
	v_mul_f64 v[46:47], v[36:37], v[42:43]
	v_fmac_f64_e32 v[46:47], v[38:39], v[40:41]
	v_add_f64 v[52:53], v[44:45], v[46:47]
	ds_read_b128 v[44:47], v2 offset:1264
	s_waitcnt lgkmcnt(0)
	v_mul_f64 v[54:55], v[44:45], v[50:51]
	v_fmac_f64_e32 v[54:55], v[46:47], v[48:49]
	v_add_f64 v[60:61], v[52:53], v[54:55]
	ds_read_b128 v[52:55], v2 offset:1280
	;; [unrolled: 5-line block ×24, first 2 shown]
	v_mul_f64 v[2:3], v[248:249], v[254:255]
	v_fmac_f64_e32 v[2:3], v[250:251], v[252:253]
	s_waitcnt lgkmcnt(0)
	v_mul_f64 v[238:239], v[230:231], v[236:237]
	v_fmac_f64_e32 v[238:239], v[232:233], v[234:235]
	v_add_f64 v[184:185], v[184:185], v[238:239]
	v_add_f64 v[184:185], v[184:185], v[2:3]
	v_mul_f64 v[2:3], v[18:19], v[22:23]
	v_fma_f64 v[2:3], v[16:17], v[20:21], -v[2:3]
	v_add_f64 v[2:3], v[2:3], 0
	v_add_f64 v[2:3], v[2:3], v[12:13]
	;; [unrolled: 1-line block ×4, first 2 shown]
	v_mul_f64 v[4:5], v[38:39], v[42:43]
	v_fma_f64 v[4:5], v[36:37], v[40:41], -v[4:5]
	v_add_f64 v[2:3], v[2:3], v[4:5]
	v_mul_f64 v[4:5], v[46:47], v[50:51]
	v_fma_f64 v[4:5], v[44:45], v[48:49], -v[4:5]
	v_add_f64 v[2:3], v[2:3], v[4:5]
	;; [unrolled: 3-line block ×26, first 2 shown]
	scratch_load_dwordx4 v[2:5], off, off offset:352
	s_waitcnt vmcnt(0)
	v_add_f64 v[2:3], v[2:3], -v[6:7]
	v_add_f64 v[4:5], v[4:5], -v[184:185]
	scratch_store_dwordx4 off, v[2:5], off offset:352
	s_and_saveexec_b64 s[0:1], vcc
	s_cbranch_execz .LBB51_285
; %bb.284:
	scratch_load_dwordx4 v[2:5], off, s48
	v_mov_b32_e32 v6, 0
	v_mov_b32_e32 v7, v6
	;; [unrolled: 1-line block ×4, first 2 shown]
	v_accvgpr_read_b32 v0, a105
	scratch_store_dwordx4 off, v[6:9], off offset:336
	s_waitcnt vmcnt(1)
	ds_write_b128 v0, v[2:5]
.LBB51_285:
	s_or_b64 exec, exec, s[0:1]
	s_waitcnt lgkmcnt(0)
	; wave barrier
	scratch_load_dwordx4 v[16:19], off, off offset:352
	scratch_load_dwordx4 v[12:15], off, off offset:368
	;; [unrolled: 1-line block ×32, first 2 shown]
	v_mov_b32_e32 v2, 0
	ds_read_b128 v[132:135], v2 offset:1168
	ds_read_b128 v[136:139], v2 offset:1184
	;; [unrolled: 1-line block ×17, first 2 shown]
	v_cmp_lt_u32_e32 vcc, 19, v246
	s_waitcnt vmcnt(31) lgkmcnt(14)
	v_mul_f64 v[200:201], v[132:133], v[18:19]
	s_waitcnt vmcnt(30)
	v_mul_f64 v[202:203], v[136:137], v[14:15]
	v_fmac_f64_e32 v[200:201], v[134:135], v[16:17]
	s_waitcnt vmcnt(29)
	v_mul_f64 v[204:205], v[140:141], v[10:11]
	v_fmac_f64_e32 v[202:203], v[138:139], v[12:13]
	v_add_f64 v[200:201], v[200:201], 0
	s_waitcnt vmcnt(28) lgkmcnt(13)
	v_mul_f64 v[206:207], v[144:145], v[6:7]
	v_fmac_f64_e32 v[204:205], v[142:143], v[8:9]
	v_add_f64 v[200:201], v[200:201], v[202:203]
	s_waitcnt vmcnt(27) lgkmcnt(12)
	;; [unrolled: 4-line block ×12, first 2 shown]
	v_mul_f64 v[228:229], v[188:189], v[62:63]
	v_fmac_f64_e32 v[226:227], v[186:187], v[56:57]
	v_add_f64 v[200:201], v[200:201], v[224:225]
	v_fmac_f64_e32 v[228:229], v[190:191], v[60:61]
	v_add_f64 v[200:201], v[200:201], v[226:227]
	s_waitcnt vmcnt(16) lgkmcnt(1)
	v_mul_f64 v[202:203], v[192:193], v[66:67]
	v_add_f64 v[200:201], v[200:201], v[228:229]
	v_fmac_f64_e32 v[202:203], v[194:195], v[64:65]
	s_waitcnt vmcnt(15) lgkmcnt(0)
	v_mul_f64 v[206:207], v[196:197], v[70:71]
	v_add_f64 v[204:205], v[200:201], v[202:203]
	ds_read_b128 v[200:203], v2 offset:1440
	v_fmac_f64_e32 v[206:207], v[198:199], v[68:69]
	v_add_f64 v[208:209], v[204:205], v[206:207]
	ds_read_b128 v[204:207], v2 offset:1456
	v_mul_f64 v[18:19], v[134:135], v[18:19]
	s_waitcnt vmcnt(14) lgkmcnt(1)
	v_mul_f64 v[210:211], v[200:201], v[74:75]
	v_fmac_f64_e32 v[210:211], v[202:203], v[72:73]
	v_add_f64 v[212:213], v[208:209], v[210:211]
	s_waitcnt vmcnt(13) lgkmcnt(0)
	v_mul_f64 v[214:215], v[204:205], v[78:79]
	ds_read_b128 v[208:211], v2 offset:1472
	v_fmac_f64_e32 v[214:215], v[206:207], v[76:77]
	v_add_f64 v[216:217], v[212:213], v[214:215]
	ds_read_b128 v[212:215], v2 offset:1488
	v_fma_f64 v[250:251], v[132:133], v[16:17], -v[18:19]
	s_waitcnt vmcnt(12) lgkmcnt(1)
	v_mul_f64 v[218:219], v[208:209], v[82:83]
	v_fmac_f64_e32 v[218:219], v[210:211], v[80:81]
	v_add_f64 v[220:221], v[216:217], v[218:219]
	s_waitcnt vmcnt(11) lgkmcnt(0)
	v_mul_f64 v[222:223], v[212:213], v[86:87]
	ds_read_b128 v[216:219], v2 offset:1504
	v_fmac_f64_e32 v[222:223], v[214:215], v[84:85]
	v_add_f64 v[224:225], v[220:221], v[222:223]
	ds_read_b128 v[220:223], v2 offset:1520
	ds_read_b128 v[16:19], v2 offset:1600
	s_waitcnt vmcnt(10) lgkmcnt(2)
	v_mul_f64 v[226:227], v[216:217], v[90:91]
	v_fmac_f64_e32 v[226:227], v[218:219], v[88:89]
	v_add_f64 v[228:229], v[224:225], v[226:227]
	s_waitcnt vmcnt(9) lgkmcnt(1)
	v_mul_f64 v[230:231], v[220:221], v[94:95]
	ds_read_b128 v[224:227], v2 offset:1536
	v_fmac_f64_e32 v[230:231], v[222:223], v[92:93]
	v_add_f64 v[232:233], v[228:229], v[230:231]
	ds_read_b128 v[228:231], v2 offset:1552
	v_mul_f64 v[14:15], v[138:139], v[14:15]
	s_waitcnt vmcnt(8) lgkmcnt(1)
	v_mul_f64 v[234:235], v[224:225], v[98:99]
	v_fmac_f64_e32 v[234:235], v[226:227], v[96:97]
	v_add_f64 v[236:237], v[232:233], v[234:235]
	s_waitcnt vmcnt(7) lgkmcnt(0)
	v_mul_f64 v[238:239], v[228:229], v[102:103]
	ds_read_b128 v[232:235], v2 offset:1568
	v_fmac_f64_e32 v[238:239], v[230:231], v[100:101]
	v_add_f64 v[248:249], v[236:237], v[238:239]
	ds_read_b128 v[236:239], v2 offset:1584
	v_fma_f64 v[136:137], v[136:137], v[12:13], -v[14:15]
	s_waitcnt vmcnt(6) lgkmcnt(1)
	v_mul_f64 v[132:133], v[232:233], v[106:107]
	v_fmac_f64_e32 v[132:133], v[234:235], v[104:105]
	v_add_f64 v[132:133], v[248:249], v[132:133]
	s_waitcnt vmcnt(5) lgkmcnt(0)
	v_mul_f64 v[134:135], v[236:237], v[110:111]
	v_fmac_f64_e32 v[134:135], v[238:239], v[108:109]
	v_add_f64 v[132:133], v[132:133], v[134:135]
	ds_read_b128 v[12:15], v2 offset:1616
	s_waitcnt vmcnt(4)
	v_mul_f64 v[134:135], v[16:17], v[114:115]
	v_fmac_f64_e32 v[134:135], v[18:19], v[112:113]
	v_add_f64 v[138:139], v[132:133], v[134:135]
	ds_read_b128 v[132:135], v2 offset:1632
	v_mul_f64 v[10:11], v[142:143], v[10:11]
	v_fma_f64 v[140:141], v[140:141], v[8:9], -v[10:11]
	ds_read_b128 v[8:11], v2 offset:1648
	s_waitcnt vmcnt(3) lgkmcnt(2)
	v_mul_f64 v[142:143], v[12:13], v[118:119]
	v_fmac_f64_e32 v[142:143], v[14:15], v[116:117]
	v_add_f64 v[138:139], v[138:139], v[142:143]
	s_waitcnt vmcnt(2) lgkmcnt(1)
	v_mul_f64 v[142:143], v[132:133], v[122:123]
	v_fmac_f64_e32 v[142:143], v[134:135], v[120:121]
	v_add_f64 v[138:139], v[138:139], v[142:143]
	;; [unrolled: 4-line block ×3, first 2 shown]
	v_add_f64 v[142:143], v[250:251], 0
	v_add_f64 v[136:137], v[142:143], v[136:137]
	v_mul_f64 v[6:7], v[146:147], v[6:7]
	v_add_f64 v[136:137], v[136:137], v[140:141]
	v_fma_f64 v[4:5], v[144:145], v[4:5], -v[6:7]
	v_mul_f64 v[6:7], v[150:151], v[22:23]
	v_add_f64 v[4:5], v[136:137], v[4:5]
	v_fma_f64 v[6:7], v[148:149], v[20:21], -v[6:7]
	v_add_f64 v[4:5], v[4:5], v[6:7]
	v_mul_f64 v[6:7], v[154:155], v[26:27]
	v_fma_f64 v[6:7], v[152:153], v[24:25], -v[6:7]
	v_add_f64 v[4:5], v[4:5], v[6:7]
	v_mul_f64 v[6:7], v[158:159], v[30:31]
	;; [unrolled: 3-line block ×26, first 2 shown]
	v_fma_f64 v[6:7], v[8:9], v[124:125], -v[6:7]
	v_add_f64 v[4:5], v[4:5], v[6:7]
	s_waitcnt vmcnt(0)
	v_add_f64 v[4:5], v[128:129], -v[4:5]
	v_add_f64 v[6:7], v[130:131], -v[138:139]
	scratch_store_dwordx4 off, v[4:7], off offset:336
	s_and_saveexec_b64 s[0:1], vcc
	s_cbranch_execz .LBB51_287
; %bb.286:
	scratch_load_dwordx4 v[6:9], off, s47
	v_mov_b32_e32 v3, v2
	v_mov_b32_e32 v4, v2
	;; [unrolled: 1-line block ×3, first 2 shown]
	v_accvgpr_read_b32 v0, a105
	scratch_store_dwordx4 off, v[2:5], off offset:320
	s_waitcnt vmcnt(1)
	ds_write_b128 v0, v[6:9]
.LBB51_287:
	s_or_b64 exec, exec, s[0:1]
	s_waitcnt lgkmcnt(0)
	; wave barrier
	scratch_load_dwordx4 v[140:143], off, off offset:336
	scratch_load_dwordx4 v[148:151], off, off offset:352
	;; [unrolled: 1-line block ×16, first 2 shown]
	ds_read_b128 v[188:191], v2 offset:1152
	ds_read_b128 v[184:187], v2 offset:1168
	scratch_load_dwordx4 v[56:59], off, off offset:592
	ds_read_b128 v[192:195], v2 offset:1184
	ds_read_b128 v[68:71], v2 offset:1200
	scratch_load_dwordx4 v[60:63], off, off offset:608
	ds_read_b128 v[88:91], v2 offset:1216
	ds_read_b128 v[84:87], v2 offset:1232
	;; [unrolled: 1-line block ×4, first 2 shown]
	scratch_load_dwordx4 v[64:67], off, off offset:624
	ds_read_b128 v[100:103], v2 offset:1280
	ds_read_b128 v[96:99], v2 offset:1296
	scratch_load_dwordx4 v[72:75], off, off offset:640
	ds_read_b128 v[116:119], v2 offset:1312
	ds_read_b128 v[112:115], v2 offset:1328
	;; [unrolled: 1-line block ×4, first 2 shown]
	scratch_load_dwordx4 v[92:95], off, off offset:656
	ds_read_b128 v[132:135], v2 offset:1376
	ds_read_b128 v[128:131], v2 offset:1392
	;; [unrolled: 1-line block ×3, first 2 shown]
	scratch_load_dwordx4 v[120:123], off, off offset:672
	scratch_load_dwordx4 v[136:139], off, off offset:688
	scratch_load_dwordx4 v[144:147], off, off offset:704
	scratch_load_dwordx4 v[156:159], off, off offset:720
	scratch_load_dwordx4 v[160:163], off, off offset:736
	scratch_load_dwordx4 v[164:167], off, off offset:752
	scratch_load_dwordx4 v[168:171], off, off offset:768
	scratch_load_dwordx4 v[172:175], off, off offset:784
	scratch_load_dwordx4 v[176:179], off, off offset:800
	scratch_load_dwordx4 v[180:183], off, off offset:816
	scratch_load_dwordx4 v[196:199], off, off offset:832
	v_cmp_lt_u32_e32 vcc, 18, v246
	s_waitcnt vmcnt(31) lgkmcnt(14)
	v_mul_f64 v[200:201], v[188:189], v[142:143]
	s_waitcnt vmcnt(30)
	v_mul_f64 v[202:203], v[184:185], v[150:151]
	v_fmac_f64_e32 v[200:201], v[190:191], v[140:141]
	s_waitcnt vmcnt(29)
	v_mul_f64 v[204:205], v[192:193], v[154:155]
	v_fmac_f64_e32 v[202:203], v[186:187], v[148:149]
	v_add_f64 v[200:201], v[200:201], 0
	s_waitcnt vmcnt(28) lgkmcnt(13)
	v_mul_f64 v[206:207], v[68:69], v[6:7]
	v_fmac_f64_e32 v[204:205], v[194:195], v[152:153]
	v_add_f64 v[200:201], v[200:201], v[202:203]
	s_waitcnt vmcnt(27) lgkmcnt(12)
	;; [unrolled: 4-line block ×13, first 2 shown]
	v_mul_f64 v[230:231], v[128:129], v[54:55]
	v_fmac_f64_e32 v[228:229], v[134:135], v[48:49]
	v_add_f64 v[200:201], v[200:201], v[226:227]
	v_add_f64 v[200:201], v[200:201], v[228:229]
	v_fmac_f64_e32 v[230:231], v[130:131], v[52:53]
	v_add_f64 v[204:205], v[200:201], v[230:231]
	ds_read_b128 v[200:203], v2 offset:1424
	s_waitcnt vmcnt(15) lgkmcnt(1)
	v_mul_f64 v[206:207], v[124:125], v[58:59]
	v_fmac_f64_e32 v[206:207], v[126:127], v[56:57]
	v_add_f64 v[208:209], v[204:205], v[206:207]
	ds_read_b128 v[204:207], v2 offset:1440
	s_waitcnt vmcnt(14) lgkmcnt(1)
	v_mul_f64 v[210:211], v[200:201], v[62:63]
	;; [unrolled: 5-line block ×10, first 2 shown]
	v_fmac_f64_e32 v[250:251], v[234:235], v[160:161]
	v_mul_f64 v[142:143], v[190:191], v[142:143]
	v_add_f64 v[250:251], v[248:249], v[250:251]
	v_fma_f64 v[248:249], v[188:189], v[140:141], -v[142:143]
	ds_read_b128 v[140:143], v2 offset:1584
	s_waitcnt vmcnt(5) lgkmcnt(1)
	v_mul_f64 v[188:189], v[236:237], v[166:167]
	v_fmac_f64_e32 v[188:189], v[238:239], v[164:165]
	v_mul_f64 v[150:151], v[186:187], v[150:151]
	v_add_f64 v[188:189], v[250:251], v[188:189]
	v_fma_f64 v[250:251], v[184:185], v[148:149], -v[150:151]
	ds_read_b128 v[148:151], v2 offset:1600
	s_waitcnt vmcnt(4) lgkmcnt(1)
	v_mul_f64 v[184:185], v[140:141], v[170:171]
	v_fmac_f64_e32 v[184:185], v[142:143], v[168:169]
	v_add_f64 v[188:189], v[188:189], v[184:185]
	ds_read_b128 v[184:187], v2 offset:1616
	v_mul_f64 v[154:155], v[194:195], v[154:155]
	s_waitcnt vmcnt(3) lgkmcnt(1)
	v_mul_f64 v[190:191], v[148:149], v[174:175]
	v_fma_f64 v[254:255], v[192:193], v[152:153], -v[154:155]
	ds_read_b128 v[152:155], v2 offset:1632
	v_fmac_f64_e32 v[190:191], v[150:151], v[172:173]
	v_add_f64 v[252:253], v[188:189], v[190:191]
	ds_read_b128 v[188:191], v2 offset:1648
	s_waitcnt vmcnt(2) lgkmcnt(2)
	v_mul_f64 v[192:193], v[184:185], v[178:179]
	v_fmac_f64_e32 v[192:193], v[186:187], v[176:177]
	v_add_f64 v[2:3], v[252:253], v[192:193]
	s_waitcnt vmcnt(1) lgkmcnt(1)
	v_mul_f64 v[192:193], v[152:153], v[182:183]
	v_fmac_f64_e32 v[192:193], v[154:155], v[180:181]
	v_add_f64 v[2:3], v[2:3], v[192:193]
	;; [unrolled: 4-line block ×3, first 2 shown]
	scratch_load_dwordx4 v[192:195], off, off offset:320
	v_add_f64 v[248:249], v[248:249], 0
	v_add_f64 v[248:249], v[248:249], v[250:251]
	v_mul_f64 v[6:7], v[70:71], v[6:7]
	v_add_f64 v[248:249], v[248:249], v[254:255]
	v_fma_f64 v[4:5], v[68:69], v[4:5], -v[6:7]
	v_mul_f64 v[6:7], v[90:91], v[10:11]
	v_add_f64 v[4:5], v[248:249], v[4:5]
	v_fma_f64 v[6:7], v[88:89], v[8:9], -v[6:7]
	v_add_f64 v[4:5], v[4:5], v[6:7]
	v_mul_f64 v[6:7], v[86:87], v[14:15]
	v_fma_f64 v[6:7], v[84:85], v[12:13], -v[6:7]
	v_add_f64 v[4:5], v[4:5], v[6:7]
	v_mul_f64 v[6:7], v[82:83], v[18:19]
	;; [unrolled: 3-line block ×27, first 2 shown]
	v_fma_f64 v[6:7], v[188:189], v[196:197], -v[6:7]
	v_add_f64 v[4:5], v[4:5], v[6:7]
	s_waitcnt vmcnt(0)
	v_add_f64 v[4:5], v[192:193], -v[4:5]
	v_add_f64 v[6:7], v[194:195], -v[2:3]
	scratch_store_dwordx4 off, v[4:7], off offset:320
	s_and_saveexec_b64 s[0:1], vcc
	s_cbranch_execz .LBB51_289
; %bb.288:
	scratch_load_dwordx4 v[2:5], off, s46
	v_mov_b32_e32 v6, 0
	v_mov_b32_e32 v7, v6
	;; [unrolled: 1-line block ×4, first 2 shown]
	v_accvgpr_read_b32 v0, a105
	scratch_store_dwordx4 off, v[6:9], off offset:304
	s_waitcnt vmcnt(1)
	ds_write_b128 v0, v[2:5]
.LBB51_289:
	s_or_b64 exec, exec, s[0:1]
	s_waitcnt lgkmcnt(0)
	; wave barrier
	scratch_load_dwordx4 v[108:111], off, off offset:320
	scratch_load_dwordx4 v[116:119], off, off offset:336
	;; [unrolled: 1-line block ×33, first 2 shown]
	v_mov_b32_e32 v2, 0
	ds_read_b128 v[220:223], v2 offset:1136
	ds_read_b128 v[224:227], v2 offset:1152
	;; [unrolled: 1-line block ×16, first 2 shown]
	v_cmp_lt_u32_e32 vcc, 17, v246
	s_waitcnt vmcnt(32) lgkmcnt(14)
	v_mul_f64 v[180:181], v[220:221], v[110:111]
	s_waitcnt vmcnt(31)
	v_mul_f64 v[182:183], v[224:225], v[118:119]
	v_fmac_f64_e32 v[180:181], v[222:223], v[108:109]
	s_waitcnt vmcnt(30) lgkmcnt(13)
	v_mul_f64 v[184:185], v[234:235], v[122:123]
	v_fmac_f64_e32 v[182:183], v[226:227], v[116:117]
	v_add_f64 v[180:181], v[180:181], 0
	s_waitcnt vmcnt(29) lgkmcnt(12)
	v_mul_f64 v[186:187], v[248:249], v[126:127]
	v_fmac_f64_e32 v[184:185], v[236:237], v[120:121]
	v_add_f64 v[180:181], v[180:181], v[182:183]
	;; [unrolled: 4-line block ×13, first 2 shown]
	v_fmac_f64_e32 v[208:209], v[142:143], v[40:41]
	v_add_f64 v[180:181], v[180:181], v[206:207]
	v_add_f64 v[184:185], v[180:181], v[208:209]
	ds_read_b128 v[180:183], v2 offset:1392
	s_waitcnt vmcnt(17) lgkmcnt(1)
	v_mul_f64 v[186:187], v[136:137], v[46:47]
	v_fmac_f64_e32 v[186:187], v[138:139], v[44:45]
	v_add_f64 v[188:189], v[184:185], v[186:187]
	ds_read_b128 v[184:187], v2 offset:1408
	s_waitcnt vmcnt(16) lgkmcnt(1)
	v_mul_f64 v[190:191], v[180:181], v[50:51]
	v_fmac_f64_e32 v[190:191], v[182:183], v[48:49]
	;; [unrolled: 5-line block ×10, first 2 shown]
	v_mul_f64 v[110:111], v[222:223], v[110:111]
	v_add_f64 v[228:229], v[228:229], v[230:231]
	v_fma_f64 v[230:231], v[220:221], v[108:109], -v[110:111]
	ds_read_b128 v[108:111], v2 offset:1552
	s_waitcnt vmcnt(7) lgkmcnt(1)
	v_mul_f64 v[220:221], v[216:217], v[86:87]
	v_mul_f64 v[118:119], v[226:227], v[118:119]
	v_fmac_f64_e32 v[220:221], v[218:219], v[84:85]
	v_fma_f64 v[232:233], v[224:225], v[116:117], -v[118:119]
	ds_read_b128 v[116:119], v2 offset:1568
	s_waitcnt vmcnt(6) lgkmcnt(1)
	v_mul_f64 v[222:223], v[108:109], v[90:91]
	v_add_f64 v[220:221], v[228:229], v[220:221]
	v_fmac_f64_e32 v[222:223], v[110:111], v[88:89]
	v_add_f64 v[224:225], v[220:221], v[222:223]
	ds_read_b128 v[220:223], v2 offset:1584
	v_mul_f64 v[122:123], v[236:237], v[122:123]
	v_fma_f64 v[234:235], v[234:235], v[120:121], -v[122:123]
	ds_read_b128 v[120:123], v2 offset:1600
	s_waitcnt vmcnt(5) lgkmcnt(2)
	v_mul_f64 v[226:227], v[116:117], v[94:95]
	v_fmac_f64_e32 v[226:227], v[118:119], v[92:93]
	v_mul_f64 v[126:127], v[250:251], v[126:127]
	v_add_f64 v[224:225], v[224:225], v[226:227]
	s_waitcnt vmcnt(4) lgkmcnt(1)
	v_mul_f64 v[226:227], v[220:221], v[98:99]
	v_fma_f64 v[236:237], v[248:249], v[124:125], -v[126:127]
	ds_read_b128 v[124:127], v2 offset:1616
	v_fmac_f64_e32 v[226:227], v[222:223], v[96:97]
	v_add_f64 v[228:229], v[224:225], v[226:227]
	s_waitcnt vmcnt(3) lgkmcnt(1)
	v_mul_f64 v[238:239], v[120:121], v[102:103]
	ds_read_b128 v[224:227], v2 offset:1632
	v_fmac_f64_e32 v[238:239], v[122:123], v[100:101]
	v_mul_f64 v[130:131], v[254:255], v[130:131]
	v_add_f64 v[228:229], v[228:229], v[238:239]
	v_fma_f64 v[238:239], v[252:253], v[128:129], -v[130:131]
	ds_read_b128 v[128:131], v2 offset:1648
	s_waitcnt vmcnt(2) lgkmcnt(2)
	v_mul_f64 v[248:249], v[124:125], v[106:107]
	v_fmac_f64_e32 v[248:249], v[126:127], v[104:105]
	v_add_f64 v[228:229], v[228:229], v[248:249]
	s_waitcnt vmcnt(1) lgkmcnt(1)
	v_mul_f64 v[248:249], v[224:225], v[114:115]
	v_fmac_f64_e32 v[248:249], v[226:227], v[112:113]
	v_add_f64 v[228:229], v[228:229], v[248:249]
	;; [unrolled: 4-line block ×3, first 2 shown]
	scratch_load_dwordx4 v[248:251], off, off offset:304
	v_add_f64 v[230:231], v[230:231], 0
	v_add_f64 v[230:231], v[230:231], v[232:233]
	;; [unrolled: 1-line block ×4, first 2 shown]
	v_mul_f64 v[6:7], v[178:179], v[6:7]
	v_add_f64 v[230:231], v[230:231], v[238:239]
	v_fma_f64 v[4:5], v[176:177], v[4:5], -v[6:7]
	v_mul_f64 v[6:7], v[174:175], v[10:11]
	v_add_f64 v[4:5], v[230:231], v[4:5]
	v_fma_f64 v[6:7], v[172:173], v[8:9], -v[6:7]
	v_add_f64 v[4:5], v[4:5], v[6:7]
	v_mul_f64 v[6:7], v[170:171], v[14:15]
	v_fma_f64 v[6:7], v[168:169], v[12:13], -v[6:7]
	v_add_f64 v[4:5], v[4:5], v[6:7]
	v_mul_f64 v[6:7], v[166:167], v[18:19]
	;; [unrolled: 3-line block ×26, first 2 shown]
	v_fma_f64 v[6:7], v[128:129], v[132:133], -v[6:7]
	v_add_f64 v[4:5], v[4:5], v[6:7]
	s_waitcnt vmcnt(0)
	v_add_f64 v[4:5], v[248:249], -v[4:5]
	v_add_f64 v[6:7], v[250:251], -v[228:229]
	scratch_store_dwordx4 off, v[4:7], off offset:304
	s_and_saveexec_b64 s[0:1], vcc
	s_cbranch_execz .LBB51_291
; %bb.290:
	scratch_load_dwordx4 v[6:9], off, s45
	v_mov_b32_e32 v3, v2
	v_mov_b32_e32 v4, v2
	;; [unrolled: 1-line block ×3, first 2 shown]
	v_accvgpr_read_b32 v0, a105
	scratch_store_dwordx4 off, v[2:5], off offset:288
	s_waitcnt vmcnt(1)
	ds_write_b128 v0, v[6:9]
.LBB51_291:
	s_or_b64 exec, exec, s[0:1]
	s_waitcnt lgkmcnt(0)
	; wave barrier
	scratch_load_dwordx4 v[144:147], off, off offset:304
	scratch_load_dwordx4 v[152:155], off, off offset:320
	;; [unrolled: 1-line block ×16, first 2 shown]
	ds_read_b128 v[196:199], v2 offset:1120
	ds_read_b128 v[188:191], v2 offset:1136
	ds_read_b128 v[180:183], v2 offset:1152
	scratch_load_dwordx4 v[48:51], off, off offset:560
	ds_read_b128 v[192:195], v2 offset:1168
	ds_read_b128 v[184:187], v2 offset:1184
	ds_read_b128 v[64:67], v2 offset:1200
	scratch_load_dwordx4 v[52:55], off, off offset:576
	;; [unrolled: 4-line block ×5, first 2 shown]
	ds_read_b128 v[116:119], v2 offset:1360
	ds_read_b128 v[112:115], v2 offset:1376
	scratch_load_dwordx4 v[108:111], off, off offset:640
	scratch_load_dwordx4 v[120:123], off, off offset:656
	;; [unrolled: 1-line block ×12, first 2 shown]
	v_cmp_lt_u32_e32 vcc, 16, v246
	s_waitcnt vmcnt(32) lgkmcnt(14)
	v_mul_f64 v[204:205], v[196:197], v[146:147]
	s_waitcnt vmcnt(31)
	v_mul_f64 v[206:207], v[188:189], v[154:155]
	v_fmac_f64_e32 v[204:205], v[198:199], v[144:145]
	s_waitcnt vmcnt(30)
	v_mul_f64 v[208:209], v[180:181], v[158:159]
	v_fmac_f64_e32 v[206:207], v[190:191], v[152:153]
	v_add_f64 v[204:205], v[204:205], 0
	s_waitcnt vmcnt(29) lgkmcnt(13)
	v_mul_f64 v[210:211], v[192:193], v[162:163]
	v_fmac_f64_e32 v[208:209], v[182:183], v[156:157]
	v_add_f64 v[204:205], v[204:205], v[206:207]
	s_waitcnt vmcnt(28) lgkmcnt(12)
	;; [unrolled: 4-line block ×12, first 2 shown]
	v_mul_f64 v[232:233], v[96:97], v[42:43]
	v_fmac_f64_e32 v[230:231], v[102:103], v[36:37]
	v_add_f64 v[204:205], v[204:205], v[228:229]
	v_fmac_f64_e32 v[232:233], v[98:99], v[40:41]
	v_add_f64 v[204:205], v[204:205], v[230:231]
	s_waitcnt vmcnt(17) lgkmcnt(1)
	v_mul_f64 v[206:207], v[116:117], v[46:47]
	v_add_f64 v[204:205], v[204:205], v[232:233]
	v_fmac_f64_e32 v[206:207], v[118:119], v[44:45]
	s_waitcnt vmcnt(16) lgkmcnt(0)
	v_mul_f64 v[210:211], v[112:113], v[50:51]
	v_add_f64 v[208:209], v[204:205], v[206:207]
	ds_read_b128 v[204:207], v2 offset:1392
	v_fmac_f64_e32 v[210:211], v[114:115], v[48:49]
	v_add_f64 v[212:213], v[208:209], v[210:211]
	ds_read_b128 v[208:211], v2 offset:1408
	v_mul_f64 v[146:147], v[198:199], v[146:147]
	s_waitcnt vmcnt(15) lgkmcnt(1)
	v_mul_f64 v[214:215], v[204:205], v[54:55]
	v_fmac_f64_e32 v[214:215], v[206:207], v[52:53]
	v_add_f64 v[216:217], v[212:213], v[214:215]
	s_waitcnt vmcnt(14) lgkmcnt(0)
	v_mul_f64 v[218:219], v[208:209], v[58:59]
	ds_read_b128 v[212:215], v2 offset:1424
	v_fmac_f64_e32 v[218:219], v[210:211], v[56:57]
	v_add_f64 v[220:221], v[216:217], v[218:219]
	ds_read_b128 v[216:219], v2 offset:1440
	v_mul_f64 v[154:155], v[190:191], v[154:155]
	s_waitcnt vmcnt(13) lgkmcnt(1)
	v_mul_f64 v[222:223], v[212:213], v[62:63]
	v_fmac_f64_e32 v[222:223], v[214:215], v[60:61]
	v_add_f64 v[224:225], v[220:221], v[222:223]
	s_waitcnt vmcnt(12) lgkmcnt(0)
	v_mul_f64 v[226:227], v[216:217], v[94:95]
	ds_read_b128 v[220:223], v2 offset:1456
	v_fmac_f64_e32 v[226:227], v[218:219], v[92:93]
	v_add_f64 v[228:229], v[224:225], v[226:227]
	ds_read_b128 v[224:227], v2 offset:1472
	v_fma_f64 v[252:253], v[188:189], v[152:153], -v[154:155]
	s_waitcnt vmcnt(11) lgkmcnt(1)
	v_mul_f64 v[230:231], v[220:221], v[110:111]
	v_fmac_f64_e32 v[230:231], v[222:223], v[108:109]
	v_add_f64 v[232:233], v[228:229], v[230:231]
	s_waitcnt vmcnt(10) lgkmcnt(0)
	v_mul_f64 v[234:235], v[224:225], v[122:123]
	ds_read_b128 v[228:231], v2 offset:1488
	v_fmac_f64_e32 v[234:235], v[226:227], v[120:121]
	v_add_f64 v[236:237], v[232:233], v[234:235]
	ds_read_b128 v[232:235], v2 offset:1504
	ds_read_b128 v[152:155], v2 offset:1552
	s_waitcnt vmcnt(9) lgkmcnt(2)
	v_mul_f64 v[238:239], v[228:229], v[126:127]
	v_fmac_f64_e32 v[238:239], v[230:231], v[124:125]
	v_add_f64 v[248:249], v[236:237], v[238:239]
	s_waitcnt vmcnt(8) lgkmcnt(1)
	v_mul_f64 v[250:251], v[232:233], v[130:131]
	ds_read_b128 v[236:239], v2 offset:1520
	v_fmac_f64_e32 v[250:251], v[234:235], v[128:129]
	v_add_f64 v[248:249], v[248:249], v[250:251]
	v_fma_f64 v[250:251], v[196:197], v[144:145], -v[146:147]
	ds_read_b128 v[144:147], v2 offset:1536
	s_waitcnt vmcnt(7) lgkmcnt(1)
	v_mul_f64 v[196:197], v[236:237], v[134:135]
	v_fmac_f64_e32 v[196:197], v[238:239], v[132:133]
	v_add_f64 v[188:189], v[248:249], v[196:197]
	v_mul_f64 v[158:159], v[182:183], v[158:159]
	s_waitcnt vmcnt(6) lgkmcnt(0)
	v_mul_f64 v[190:191], v[144:145], v[138:139]
	v_fmac_f64_e32 v[190:191], v[146:147], v[136:137]
	v_add_f64 v[196:197], v[188:189], v[190:191]
	ds_read_b128 v[188:191], v2 offset:1568
	v_fma_f64 v[248:249], v[180:181], v[156:157], -v[158:159]
	ds_read_b128 v[156:159], v2 offset:1584
	s_waitcnt vmcnt(5)
	v_mul_f64 v[198:199], v[152:153], v[142:143]
	v_fmac_f64_e32 v[198:199], v[154:155], v[140:141]
	s_waitcnt vmcnt(4) lgkmcnt(1)
	v_mul_f64 v[180:181], v[188:189], v[150:151]
	v_add_f64 v[196:197], v[196:197], v[198:199]
	v_fmac_f64_e32 v[180:181], v[190:191], v[148:149]
	v_mul_f64 v[162:163], v[194:195], v[162:163]
	v_add_f64 v[198:199], v[196:197], v[180:181]
	v_fma_f64 v[196:197], v[192:193], v[160:161], -v[162:163]
	ds_read_b128 v[160:163], v2 offset:1600
	s_waitcnt vmcnt(3) lgkmcnt(1)
	v_mul_f64 v[192:193], v[156:157], v[166:167]
	ds_read_b128 v[180:183], v2 offset:1616
	v_fmac_f64_e32 v[192:193], v[158:159], v[164:165]
	v_mul_f64 v[170:171], v[186:187], v[170:171]
	v_add_f64 v[192:193], v[198:199], v[192:193]
	v_fma_f64 v[198:199], v[184:185], v[168:169], -v[170:171]
	ds_read_b128 v[168:171], v2 offset:1632
	s_waitcnt vmcnt(2) lgkmcnt(2)
	v_mul_f64 v[184:185], v[160:161], v[174:175]
	v_fmac_f64_e32 v[184:185], v[162:163], v[172:173]
	s_waitcnt vmcnt(1) lgkmcnt(1)
	v_mul_f64 v[186:187], v[180:181], v[178:179]
	v_add_f64 v[184:185], v[192:193], v[184:185]
	v_fmac_f64_e32 v[186:187], v[182:183], v[176:177]
	v_add_f64 v[184:185], v[184:185], v[186:187]
	s_waitcnt vmcnt(0) lgkmcnt(0)
	v_mul_f64 v[186:187], v[168:169], v[202:203]
	v_fmac_f64_e32 v[186:187], v[170:171], v[200:201]
	v_add_f64 v[254:255], v[184:185], v[186:187]
	scratch_load_dwordx4 v[184:187], off, off offset:832
	v_add_f64 v[250:251], v[250:251], 0
	v_add_f64 v[250:251], v[250:251], v[252:253]
	;; [unrolled: 1-line block ×3, first 2 shown]
	scratch_load_dwordx4 v[250:253], off, off offset:288
	v_add_f64 v[196:197], v[248:249], v[196:197]
	v_mul_f64 v[6:7], v[66:67], v[6:7]
	v_add_f64 v[196:197], v[196:197], v[198:199]
	v_fma_f64 v[4:5], v[64:65], v[4:5], -v[6:7]
	v_mul_f64 v[6:7], v[78:79], v[10:11]
	v_add_f64 v[4:5], v[196:197], v[4:5]
	v_fma_f64 v[6:7], v[76:77], v[8:9], -v[6:7]
	v_add_f64 v[4:5], v[4:5], v[6:7]
	v_mul_f64 v[6:7], v[74:75], v[14:15]
	v_fma_f64 v[6:7], v[72:73], v[12:13], -v[6:7]
	v_add_f64 v[4:5], v[4:5], v[6:7]
	v_mul_f64 v[6:7], v[70:71], v[18:19]
	;; [unrolled: 3-line block ×24, first 2 shown]
	ds_read_b128 v[192:195], v2 offset:1648
	v_fma_f64 v[6:7], v[160:161], v[172:173], -v[6:7]
	v_add_f64 v[4:5], v[4:5], v[6:7]
	v_mul_f64 v[6:7], v[182:183], v[178:179]
	v_fma_f64 v[6:7], v[180:181], v[176:177], -v[6:7]
	v_add_f64 v[4:5], v[4:5], v[6:7]
	v_mul_f64 v[6:7], v[170:171], v[202:203]
	v_fma_f64 v[6:7], v[168:169], v[200:201], -v[6:7]
	s_waitcnt vmcnt(1) lgkmcnt(0)
	v_mul_f64 v[2:3], v[192:193], v[186:187]
	v_add_f64 v[4:5], v[4:5], v[6:7]
	v_mul_f64 v[6:7], v[194:195], v[186:187]
	v_fmac_f64_e32 v[2:3], v[194:195], v[184:185]
	v_fma_f64 v[6:7], v[192:193], v[184:185], -v[6:7]
	v_add_f64 v[2:3], v[254:255], v[2:3]
	v_add_f64 v[4:5], v[4:5], v[6:7]
	s_waitcnt vmcnt(0)
	v_add_f64 v[4:5], v[250:251], -v[4:5]
	v_add_f64 v[6:7], v[252:253], -v[2:3]
	scratch_store_dwordx4 off, v[4:7], off offset:288
	s_and_saveexec_b64 s[0:1], vcc
	s_cbranch_execz .LBB51_293
; %bb.292:
	scratch_load_dwordx4 v[2:5], off, s44
	v_mov_b32_e32 v6, 0
	v_mov_b32_e32 v7, v6
	;; [unrolled: 1-line block ×4, first 2 shown]
	v_accvgpr_read_b32 v0, a105
	scratch_store_dwordx4 off, v[6:9], off offset:272
	s_waitcnt vmcnt(1)
	ds_write_b128 v0, v[2:5]
.LBB51_293:
	s_or_b64 exec, exec, s[0:1]
	s_waitcnt lgkmcnt(0)
	; wave barrier
	scratch_load_dwordx4 v[184:187], off, off offset:288
	scratch_load_dwordx4 v[188:191], off, off offset:304
	scratch_load_dwordx4 v[196:199], off, off offset:320
	scratch_load_dwordx4 v[200:203], off, off offset:336
	scratch_load_dwordx4 v[208:211], off, off offset:352
	scratch_load_dwordx4 v[212:215], off, off offset:368
	scratch_load_dwordx4 v[220:223], off, off offset:384
	scratch_load_dwordx4 v[4:7], off, off offset:400
	scratch_load_dwordx4 v[8:11], off, off offset:416
	scratch_load_dwordx4 v[12:15], off, off offset:432
	scratch_load_dwordx4 v[16:19], off, off offset:448
	scratch_load_dwordx4 v[20:23], off, off offset:464
	scratch_load_dwordx4 v[24:27], off, off offset:480
	scratch_load_dwordx4 v[28:31], off, off offset:496
	scratch_load_dwordx4 v[32:35], off, off offset:512
	scratch_load_dwordx4 v[36:39], off, off offset:528
	scratch_load_dwordx4 v[40:43], off, off offset:544
	scratch_load_dwordx4 v[44:47], off, off offset:560
	scratch_load_dwordx4 v[48:51], off, off offset:576
	scratch_load_dwordx4 v[52:55], off, off offset:592
	scratch_load_dwordx4 v[56:59], off, off offset:608
	scratch_load_dwordx4 v[60:63], off, off offset:624
	scratch_load_dwordx4 v[64:67], off, off offset:640
	scratch_load_dwordx4 v[68:71], off, off offset:656
	scratch_load_dwordx4 v[72:75], off, off offset:672
	scratch_load_dwordx4 v[76:79], off, off offset:688
	scratch_load_dwordx4 v[80:83], off, off offset:704
	scratch_load_dwordx4 v[84:87], off, off offset:720
	scratch_load_dwordx4 v[88:91], off, off offset:736
	scratch_load_dwordx4 v[92:95], off, off offset:752
	scratch_load_dwordx4 v[100:103], off, off offset:768
	scratch_load_dwordx4 v[96:99], off, off offset:784
	v_mov_b32_e32 v2, 0
	ds_read_b128 v[192:195], v2 offset:1104
	ds_read_b128 v[204:207], v2 offset:1120
	;; [unrolled: 1-line block ×16, first 2 shown]
	v_cmp_lt_u32_e32 vcc, 15, v246
	s_waitcnt vmcnt(31) lgkmcnt(14)
	v_mul_f64 v[104:105], v[192:193], v[186:187]
	s_waitcnt vmcnt(30)
	v_mul_f64 v[106:107], v[204:205], v[190:191]
	v_fmac_f64_e32 v[104:105], v[194:195], v[184:185]
	s_waitcnt vmcnt(29) lgkmcnt(13)
	v_mul_f64 v[112:113], v[216:217], v[198:199]
	v_fmac_f64_e32 v[106:107], v[206:207], v[188:189]
	v_add_f64 v[104:105], v[104:105], 0
	s_waitcnt vmcnt(28) lgkmcnt(12)
	v_mul_f64 v[114:115], v[224:225], v[202:203]
	v_fmac_f64_e32 v[112:113], v[218:219], v[196:197]
	v_add_f64 v[104:105], v[104:105], v[106:107]
	;; [unrolled: 4-line block ×10, first 2 shown]
	ds_read_b128 v[152:155], v2 offset:1360
	ds_read_b128 v[156:159], v2 offset:1376
	s_waitcnt vmcnt(19) lgkmcnt(5)
	v_mul_f64 v[164:165], v[124:125], v[26:27]
	v_fmac_f64_e32 v[162:163], v[134:135], v[20:21]
	v_add_f64 v[104:105], v[104:105], v[160:161]
	s_waitcnt vmcnt(18) lgkmcnt(4)
	v_mul_f64 v[166:167], v[120:121], v[30:31]
	v_fmac_f64_e32 v[164:165], v[126:127], v[24:25]
	v_add_f64 v[104:105], v[104:105], v[162:163]
	;; [unrolled: 4-line block ×4, first 2 shown]
	v_add_f64 v[112:113], v[104:105], v[168:169]
	v_fmac_f64_e32 v[170:171], v[110:111], v[36:37]
	scratch_load_dwordx4 v[104:107], off, off offset:800
	s_waitcnt vmcnt(16) lgkmcnt(1)
	v_mul_f64 v[114:115], v[152:153], v[42:43]
	v_add_f64 v[112:113], v[112:113], v[170:171]
	v_fmac_f64_e32 v[114:115], v[154:155], v[40:41]
	v_add_f64 v[128:129], v[112:113], v[114:115]
	scratch_load_dwordx4 v[112:115], off, off offset:816
	s_waitcnt vmcnt(16) lgkmcnt(0)
	v_mul_f64 v[130:131], v[156:157], v[46:47]
	v_fmac_f64_e32 v[130:131], v[158:159], v[44:45]
	v_add_f64 v[168:169], v[128:129], v[130:131]
	scratch_load_dwordx4 v[128:131], off, off offset:832
	ds_read_b128 v[160:163], v2 offset:1392
	ds_read_b128 v[164:167], v2 offset:1408
	v_mul_f64 v[186:187], v[194:195], v[186:187]
	v_fma_f64 v[240:241], v[192:193], v[184:185], -v[186:187]
	ds_read_b128 v[184:187], v2 offset:1488
	s_waitcnt vmcnt(16) lgkmcnt(2)
	v_mul_f64 v[170:171], v[160:161], v[50:51]
	v_fmac_f64_e32 v[170:171], v[162:163], v[48:49]
	s_waitcnt vmcnt(15) lgkmcnt(1)
	v_mul_f64 v[174:175], v[164:165], v[54:55]
	v_add_f64 v[172:173], v[168:169], v[170:171]
	ds_read_b128 v[168:171], v2 offset:1424
	v_fmac_f64_e32 v[174:175], v[166:167], v[52:53]
	v_add_f64 v[176:177], v[172:173], v[174:175]
	ds_read_b128 v[172:175], v2 offset:1440
	v_mul_f64 v[190:191], v[206:207], v[190:191]
	s_waitcnt vmcnt(14) lgkmcnt(1)
	v_mul_f64 v[178:179], v[168:169], v[58:59]
	v_fmac_f64_e32 v[178:179], v[170:171], v[56:57]
	v_add_f64 v[180:181], v[176:177], v[178:179]
	s_waitcnt vmcnt(13) lgkmcnt(0)
	v_mul_f64 v[182:183], v[172:173], v[62:63]
	ds_read_b128 v[176:179], v2 offset:1456
	v_fmac_f64_e32 v[182:183], v[174:175], v[60:61]
	v_add_f64 v[232:233], v[180:181], v[182:183]
	ds_read_b128 v[180:183], v2 offset:1472
	v_fma_f64 v[242:243], v[204:205], v[188:189], -v[190:191]
	s_waitcnt vmcnt(12) lgkmcnt(1)
	v_mul_f64 v[234:235], v[176:177], v[66:67]
	v_fmac_f64_e32 v[234:235], v[178:179], v[64:65]
	v_add_f64 v[232:233], v[232:233], v[234:235]
	s_waitcnt vmcnt(11) lgkmcnt(0)
	v_mul_f64 v[192:193], v[180:181], v[70:71]
	v_fmac_f64_e32 v[192:193], v[182:183], v[68:69]
	ds_read_b128 v[188:191], v2 offset:1504
	s_waitcnt vmcnt(10)
	v_mul_f64 v[194:195], v[184:185], v[74:75]
	v_add_f64 v[192:193], v[232:233], v[192:193]
	v_fmac_f64_e32 v[194:195], v[186:187], v[72:73]
	v_add_f64 v[204:205], v[192:193], v[194:195]
	ds_read_b128 v[192:195], v2 offset:1520
	v_mul_f64 v[198:199], v[218:219], v[198:199]
	v_fma_f64 v[244:245], v[216:217], v[196:197], -v[198:199]
	ds_read_b128 v[196:199], v2 offset:1536
	s_waitcnt vmcnt(9) lgkmcnt(2)
	v_mul_f64 v[206:207], v[188:189], v[78:79]
	v_fmac_f64_e32 v[206:207], v[190:191], v[76:77]
	v_add_f64 v[204:205], v[204:205], v[206:207]
	s_waitcnt vmcnt(8) lgkmcnt(1)
	v_mul_f64 v[206:207], v[192:193], v[82:83]
	v_fmac_f64_e32 v[206:207], v[194:195], v[80:81]
	v_mul_f64 v[202:203], v[226:227], v[202:203]
	v_add_f64 v[204:205], v[204:205], v[206:207]
	v_fma_f64 v[234:235], v[224:225], v[200:201], -v[202:203]
	ds_read_b128 v[200:203], v2 offset:1552
	s_waitcnt vmcnt(7) lgkmcnt(1)
	v_mul_f64 v[206:207], v[196:197], v[86:87]
	v_fmac_f64_e32 v[206:207], v[198:199], v[84:85]
	v_add_f64 v[216:217], v[204:205], v[206:207]
	ds_read_b128 v[204:207], v2 offset:1568
	v_mul_f64 v[210:211], v[230:231], v[210:211]
	v_fma_f64 v[236:237], v[228:229], v[208:209], -v[210:211]
	ds_read_b128 v[208:211], v2 offset:1584
	s_waitcnt vmcnt(6) lgkmcnt(2)
	v_mul_f64 v[218:219], v[200:201], v[90:91]
	v_fmac_f64_e32 v[218:219], v[202:203], v[88:89]
	v_add_f64 v[216:217], v[216:217], v[218:219]
	s_waitcnt vmcnt(5) lgkmcnt(1)
	v_mul_f64 v[218:219], v[204:205], v[94:95]
	v_fmac_f64_e32 v[218:219], v[206:207], v[92:93]
	v_mul_f64 v[214:215], v[250:251], v[214:215]
	v_fma_f64 v[238:239], v[248:249], v[212:213], -v[214:215]
	ds_read_b128 v[212:215], v2 offset:1600
	v_add_f64 v[216:217], v[216:217], v[218:219]
	s_waitcnt vmcnt(4) lgkmcnt(1)
	v_mul_f64 v[218:219], v[208:209], v[102:103]
	v_fmac_f64_e32 v[218:219], v[210:211], v[100:101]
	v_add_f64 v[224:225], v[216:217], v[218:219]
	ds_read_b128 v[216:219], v2 offset:1616
	v_mul_f64 v[222:223], v[254:255], v[222:223]
	v_fma_f64 v[248:249], v[252:253], v[220:221], -v[222:223]
	ds_read_b128 v[220:223], v2 offset:1632
	s_waitcnt vmcnt(3) lgkmcnt(2)
	v_mul_f64 v[226:227], v[212:213], v[98:99]
	v_fmac_f64_e32 v[226:227], v[214:215], v[96:97]
	v_add_f64 v[224:225], v[224:225], v[226:227]
	s_waitcnt vmcnt(2) lgkmcnt(1)
	v_mul_f64 v[226:227], v[216:217], v[106:107]
	v_fmac_f64_e32 v[226:227], v[218:219], v[104:105]
	v_add_f64 v[224:225], v[224:225], v[226:227]
	;; [unrolled: 4-line block ×3, first 2 shown]
	ds_read_b128 v[224:227], v2 offset:1648
	v_mul_f64 v[6:7], v[150:151], v[6:7]
	v_fma_f64 v[4:5], v[148:149], v[4:5], -v[6:7]
	v_mul_f64 v[6:7], v[146:147], v[10:11]
	v_fma_f64 v[6:7], v[144:145], v[8:9], -v[6:7]
	s_waitcnt vmcnt(0) lgkmcnt(0)
	v_mul_f64 v[230:231], v[224:225], v[130:131]
	v_fmac_f64_e32 v[230:231], v[226:227], v[128:129]
	v_add_f64 v[232:233], v[228:229], v[230:231]
	v_add_f64 v[228:229], v[240:241], 0
	v_add_f64 v[228:229], v[228:229], v[242:243]
	v_add_f64 v[250:251], v[228:229], v[244:245]
	scratch_load_dwordx4 v[228:231], off, off offset:272
	v_add_f64 v[234:235], v[250:251], v[234:235]
	v_add_f64 v[234:235], v[234:235], v[236:237]
	v_add_f64 v[234:235], v[234:235], v[238:239]
	v_add_f64 v[234:235], v[234:235], v[248:249]
	v_add_f64 v[4:5], v[234:235], v[4:5]
	v_add_f64 v[4:5], v[4:5], v[6:7]
	v_mul_f64 v[6:7], v[142:143], v[14:15]
	v_fma_f64 v[6:7], v[140:141], v[12:13], -v[6:7]
	v_add_f64 v[4:5], v[4:5], v[6:7]
	v_mul_f64 v[6:7], v[138:139], v[18:19]
	v_fma_f64 v[6:7], v[136:137], v[16:17], -v[6:7]
	v_add_f64 v[4:5], v[4:5], v[6:7]
	;; [unrolled: 3-line block ×26, first 2 shown]
	s_waitcnt vmcnt(0)
	v_add_f64 v[4:5], v[228:229], -v[4:5]
	v_add_f64 v[6:7], v[230:231], -v[232:233]
	scratch_store_dwordx4 off, v[4:7], off offset:272
	s_and_saveexec_b64 s[0:1], vcc
	s_cbranch_execz .LBB51_295
; %bb.294:
	scratch_load_dwordx4 v[6:9], off, s43
	v_mov_b32_e32 v3, v2
	v_mov_b32_e32 v4, v2
	;; [unrolled: 1-line block ×3, first 2 shown]
	v_accvgpr_read_b32 v0, a105
	scratch_store_dwordx4 off, v[2:5], off offset:256
	s_waitcnt vmcnt(1)
	ds_write_b128 v0, v[6:9]
.LBB51_295:
	s_or_b64 exec, exec, s[0:1]
	s_waitcnt lgkmcnt(0)
	; wave barrier
	scratch_load_dwordx4 v[140:143], off, off offset:272
	scratch_load_dwordx4 v[144:147], off, off offset:288
	;; [unrolled: 1-line block ×16, first 2 shown]
	ds_read_b128 v[208:211], v2 offset:1088
	ds_read_b128 v[200:203], v2 offset:1104
	;; [unrolled: 1-line block ×3, first 2 shown]
	scratch_load_dwordx4 v[40:43], off, off offset:528
	ds_read_b128 v[204:207], v2 offset:1136
	ds_read_b128 v[192:195], v2 offset:1152
	;; [unrolled: 1-line block ×3, first 2 shown]
	scratch_load_dwordx4 v[44:47], off, off offset:544
	ds_read_b128 v[196:199], v2 offset:1184
	ds_read_b128 v[64:67], v2 offset:1200
	;; [unrolled: 1-line block ×4, first 2 shown]
	scratch_load_dwordx4 v[48:51], off, off offset:560
	ds_read_b128 v[72:75], v2 offset:1248
	ds_read_b128 v[68:71], v2 offset:1264
	scratch_load_dwordx4 v[56:59], off, off offset:576
	ds_read_b128 v[92:95], v2 offset:1280
	ds_read_b128 v[88:91], v2 offset:1296
	;; [unrolled: 1-line block ×4, first 2 shown]
	scratch_load_dwordx4 v[76:79], off, off offset:592
	scratch_load_dwordx4 v[96:99], off, off offset:608
	;; [unrolled: 1-line block ×12, first 2 shown]
	ds_read_b128 v[168:171], v2 offset:1344
	v_accvgpr_write_b32 a104, v246
	v_cmp_lt_u32_e32 vcc, 14, v246
	s_waitcnt vmcnt(31) lgkmcnt(14)
	v_mul_f64 v[172:173], v[208:209], v[142:143]
	s_waitcnt vmcnt(30)
	v_mul_f64 v[174:175], v[200:201], v[146:147]
	v_fmac_f64_e32 v[172:173], v[210:211], v[140:141]
	s_waitcnt vmcnt(29)
	v_mul_f64 v[176:177], v[188:189], v[150:151]
	v_fmac_f64_e32 v[174:175], v[202:203], v[144:145]
	v_add_f64 v[172:173], v[172:173], 0
	s_waitcnt vmcnt(28) lgkmcnt(13)
	v_mul_f64 v[178:179], v[204:205], v[154:155]
	v_fmac_f64_e32 v[176:177], v[190:191], v[148:149]
	v_add_f64 v[172:173], v[172:173], v[174:175]
	s_waitcnt vmcnt(27) lgkmcnt(12)
	;; [unrolled: 4-line block ×10, first 2 shown]
	v_mul_f64 v[224:225], v[92:93], v[26:27]
	v_fmac_f64_e32 v[222:223], v[70:71], v[20:21]
	v_add_f64 v[172:173], v[172:173], v[220:221]
	ds_read_b128 v[212:215], v2 offset:1360
	s_waitcnt vmcnt(18) lgkmcnt(4)
	v_mul_f64 v[226:227], v[88:89], v[30:31]
	v_fmac_f64_e32 v[224:225], v[94:95], v[24:25]
	v_add_f64 v[172:173], v[172:173], v[222:223]
	ds_read_b128 v[216:219], v2 offset:1376
	ds_read_b128 v[220:223], v2 offset:1392
	s_waitcnt vmcnt(17) lgkmcnt(5)
	v_mul_f64 v[228:229], v[84:85], v[34:35]
	v_fmac_f64_e32 v[226:227], v[90:91], v[28:29]
	v_add_f64 v[172:173], v[172:173], v[224:225]
	s_waitcnt vmcnt(16) lgkmcnt(4)
	v_mul_f64 v[230:231], v[80:81], v[38:39]
	v_fmac_f64_e32 v[228:229], v[86:87], v[32:33]
	v_add_f64 v[172:173], v[172:173], v[226:227]
	v_add_f64 v[176:177], v[172:173], v[228:229]
	v_fmac_f64_e32 v[230:231], v[82:83], v[36:37]
	s_waitcnt vmcnt(15) lgkmcnt(3)
	v_mul_f64 v[178:179], v[168:169], v[42:43]
	v_add_f64 v[176:177], v[176:177], v[230:231]
	v_fmac_f64_e32 v[178:179], v[170:171], v[40:41]
	s_waitcnt vmcnt(14) lgkmcnt(2)
	v_mul_f64 v[182:183], v[212:213], v[46:47]
	;; [unrolled: 4-line block ×3, first 2 shown]
	v_add_f64 v[224:225], v[180:181], v[182:183]
	v_fmac_f64_e32 v[226:227], v[218:219], v[48:49]
	v_add_f64 v[228:229], v[224:225], v[226:227]
	ds_read_b128 v[224:227], v2 offset:1408
	s_waitcnt vmcnt(12) lgkmcnt(1)
	v_mul_f64 v[230:231], v[220:221], v[58:59]
	v_fmac_f64_e32 v[230:231], v[222:223], v[56:57]
	v_add_f64 v[232:233], v[228:229], v[230:231]
	ds_read_b128 v[228:231], v2 offset:1424
	s_waitcnt vmcnt(11) lgkmcnt(1)
	v_mul_f64 v[234:235], v[224:225], v[78:79]
	;; [unrolled: 5-line block ×4, first 2 shown]
	v_fmac_f64_e32 v[242:243], v[234:235], v[100:101]
	v_mul_f64 v[142:143], v[210:211], v[142:143]
	v_add_f64 v[240:241], v[240:241], v[242:243]
	v_fma_f64 v[242:243], v[208:209], v[140:141], -v[142:143]
	ds_read_b128 v[140:143], v2 offset:1472
	s_waitcnt vmcnt(8) lgkmcnt(1)
	v_mul_f64 v[208:209], v[236:237], v[106:107]
	v_fmac_f64_e32 v[208:209], v[238:239], v[104:105]
	v_mul_f64 v[146:147], v[202:203], v[146:147]
	v_add_f64 v[208:209], v[240:241], v[208:209]
	v_fma_f64 v[240:241], v[200:201], v[144:145], -v[146:147]
	ds_read_b128 v[144:147], v2 offset:1488
	s_waitcnt vmcnt(7) lgkmcnt(1)
	v_mul_f64 v[200:201], v[140:141], v[110:111]
	scratch_load_dwordx4 v[172:175], off, off offset:784
	scratch_load_dwordx4 v[176:179], off, off offset:800
	v_fmac_f64_e32 v[200:201], v[142:143], v[108:109]
	v_add_f64 v[208:209], v[208:209], v[200:201]
	ds_read_b128 v[200:203], v2 offset:1504
	v_mul_f64 v[150:151], v[190:191], v[150:151]
	v_fma_f64 v[244:245], v[188:189], v[148:149], -v[150:151]
	ds_read_b128 v[148:151], v2 offset:1520
	s_waitcnt vmcnt(8) lgkmcnt(2)
	v_mul_f64 v[210:211], v[144:145], v[114:115]
	v_fmac_f64_e32 v[210:211], v[146:147], v[112:113]
	s_waitcnt vmcnt(7) lgkmcnt(1)
	v_mul_f64 v[188:189], v[200:201], v[118:119]
	v_add_f64 v[208:209], v[208:209], v[210:211]
	v_fmac_f64_e32 v[188:189], v[202:203], v[116:117]
	v_mul_f64 v[154:155], v[206:207], v[154:155]
	s_waitcnt vmcnt(6) lgkmcnt(0)
	v_mul_f64 v[190:191], v[148:149], v[122:123]
	v_add_f64 v[188:189], v[208:209], v[188:189]
	v_fma_f64 v[248:249], v[204:205], v[152:153], -v[154:155]
	ds_read_b128 v[152:155], v2 offset:1536
	v_fmac_f64_e32 v[190:191], v[150:151], v[120:121]
	scratch_load_dwordx4 v[180:183], off, off offset:816
	v_add_f64 v[204:205], v[188:189], v[190:191]
	ds_read_b128 v[188:191], v2 offset:1552
	s_waitcnt vmcnt(6) lgkmcnt(1)
	v_mul_f64 v[206:207], v[152:153], v[126:127]
	v_mul_f64 v[158:159], v[194:195], v[158:159]
	v_fmac_f64_e32 v[206:207], v[154:155], v[124:125]
	v_fma_f64 v[250:251], v[192:193], v[156:157], -v[158:159]
	s_waitcnt vmcnt(5) lgkmcnt(0)
	v_mul_f64 v[192:193], v[188:189], v[130:131]
	v_add_f64 v[204:205], v[204:205], v[206:207]
	v_fmac_f64_e32 v[192:193], v[190:191], v[128:129]
	v_mul_f64 v[162:163], v[186:187], v[162:163]
	v_fma_f64 v[208:209], v[184:185], v[160:161], -v[162:163]
	v_add_f64 v[184:185], v[204:205], v[192:193]
	scratch_load_dwordx4 v[204:207], off, off offset:832
	ds_read_b128 v[156:159], v2 offset:1568
	ds_read_b128 v[160:163], v2 offset:1584
	v_mul_f64 v[166:167], v[198:199], v[166:167]
	v_fma_f64 v[210:211], v[196:197], v[164:165], -v[166:167]
	ds_read_b128 v[164:167], v2 offset:1616
	s_waitcnt vmcnt(5) lgkmcnt(2)
	v_mul_f64 v[186:187], v[156:157], v[138:139]
	v_fmac_f64_e32 v[186:187], v[158:159], v[136:137]
	v_add_f64 v[192:193], v[184:185], v[186:187]
	ds_read_b128 v[184:187], v2 offset:1600
	s_waitcnt vmcnt(4) lgkmcnt(2)
	v_mul_f64 v[194:195], v[160:161], v[134:135]
	v_fmac_f64_e32 v[194:195], v[162:163], v[132:133]
	v_add_f64 v[192:193], v[192:193], v[194:195]
	v_add_f64 v[242:243], v[242:243], 0
	;; [unrolled: 1-line block ×7, first 2 shown]
	v_mul_f64 v[6:7], v[66:67], v[6:7]
	v_add_f64 v[208:209], v[208:209], v[210:211]
	v_fma_f64 v[4:5], v[64:65], v[4:5], -v[6:7]
	v_mul_f64 v[6:7], v[62:63], v[10:11]
	v_add_f64 v[4:5], v[208:209], v[4:5]
	v_fma_f64 v[6:7], v[60:61], v[8:9], -v[6:7]
	v_add_f64 v[4:5], v[4:5], v[6:7]
	v_mul_f64 v[6:7], v[54:55], v[14:15]
	v_fma_f64 v[6:7], v[52:53], v[12:13], -v[6:7]
	v_add_f64 v[4:5], v[4:5], v[6:7]
	v_mul_f64 v[6:7], v[74:75], v[18:19]
	;; [unrolled: 3-line block ×8, first 2 shown]
	s_waitcnt vmcnt(3) lgkmcnt(0)
	v_mul_f64 v[194:195], v[184:185], v[174:175]
	v_fmac_f64_e32 v[194:195], v[186:187], v[172:173]
	v_add_f64 v[192:193], v[192:193], v[194:195]
	s_waitcnt vmcnt(2)
	v_mul_f64 v[194:195], v[164:165], v[178:179]
	v_fmac_f64_e32 v[194:195], v[166:167], v[176:177]
	v_add_f64 v[196:197], v[192:193], v[194:195]
	ds_read_b128 v[192:195], v2 offset:1632
	v_fma_f64 v[6:7], v[168:169], v[40:41], -v[6:7]
	v_add_f64 v[4:5], v[4:5], v[6:7]
	v_mul_f64 v[6:7], v[214:215], v[46:47]
	v_fma_f64 v[6:7], v[212:213], v[44:45], -v[6:7]
	v_add_f64 v[4:5], v[4:5], v[6:7]
	v_mul_f64 v[6:7], v[218:219], v[50:51]
	;; [unrolled: 3-line block ×4, first 2 shown]
	s_waitcnt vmcnt(1) lgkmcnt(0)
	v_mul_f64 v[198:199], v[192:193], v[182:183]
	v_fmac_f64_e32 v[198:199], v[194:195], v[180:181]
	v_add_f64 v[252:253], v[196:197], v[198:199]
	ds_read_b128 v[196:199], v2 offset:1648
	v_fma_f64 v[6:7], v[224:225], v[76:77], -v[6:7]
	v_add_f64 v[4:5], v[4:5], v[6:7]
	v_mul_f64 v[6:7], v[230:231], v[98:99]
	v_fma_f64 v[6:7], v[228:229], v[96:97], -v[6:7]
	v_add_f64 v[4:5], v[4:5], v[6:7]
	v_mul_f64 v[6:7], v[234:235], v[102:103]
	;; [unrolled: 3-line block ×3, first 2 shown]
	s_waitcnt vmcnt(0) lgkmcnt(0)
	v_mul_f64 v[2:3], v[196:197], v[206:207]
	v_fmac_f64_e32 v[2:3], v[198:199], v[204:205]
	v_add_f64 v[2:3], v[252:253], v[2:3]
	scratch_load_dwordx4 v[250:253], off, off offset:256
	v_fma_f64 v[6:7], v[236:237], v[104:105], -v[6:7]
	v_add_f64 v[4:5], v[4:5], v[6:7]
	v_mul_f64 v[6:7], v[142:143], v[110:111]
	v_fma_f64 v[6:7], v[140:141], v[108:109], -v[6:7]
	v_add_f64 v[4:5], v[4:5], v[6:7]
	v_mul_f64 v[6:7], v[146:147], v[114:115]
	;; [unrolled: 3-line block ×12, first 2 shown]
	v_fma_f64 v[6:7], v[196:197], v[204:205], -v[6:7]
	v_add_f64 v[4:5], v[4:5], v[6:7]
	s_waitcnt vmcnt(0)
	v_add_f64 v[4:5], v[250:251], -v[4:5]
	v_add_f64 v[6:7], v[252:253], -v[2:3]
	scratch_store_dwordx4 off, v[4:7], off offset:256
	s_and_saveexec_b64 s[0:1], vcc
	s_cbranch_execz .LBB51_297
; %bb.296:
	scratch_load_dwordx4 v[2:5], off, s42
	v_mov_b32_e32 v6, 0
	v_mov_b32_e32 v7, v6
	;; [unrolled: 1-line block ×4, first 2 shown]
	v_accvgpr_read_b32 v0, a105
	scratch_store_dwordx4 off, v[6:9], off offset:240
	s_waitcnt vmcnt(1)
	ds_write_b128 v0, v[2:5]
.LBB51_297:
	s_or_b64 exec, exec, s[0:1]
	s_waitcnt lgkmcnt(0)
	; wave barrier
	scratch_load_dwordx4 v[168:171], off, off offset:256
	scratch_load_dwordx4 v[172:175], off, off offset:272
	;; [unrolled: 1-line block ×32, first 2 shown]
	v_mov_b32_e32 v2, 0
	ds_read_b128 v[176:179], v2 offset:1072
	ds_read_b128 v[188:191], v2 offset:1088
	;; [unrolled: 1-line block ×17, first 2 shown]
	v_accvgpr_read_b32 v0, a104
	v_cmp_lt_u32_e32 vcc, 13, v0
	s_waitcnt vmcnt(31) lgkmcnt(14)
	v_mul_f64 v[104:105], v[176:177], v[170:171]
	s_waitcnt vmcnt(30)
	v_mul_f64 v[106:107], v[188:189], v[174:175]
	v_fmac_f64_e32 v[104:105], v[178:179], v[168:169]
	s_waitcnt vmcnt(29)
	v_mul_f64 v[108:109], v[200:201], v[182:183]
	v_fmac_f64_e32 v[106:107], v[190:191], v[172:173]
	v_add_f64 v[104:105], v[104:105], 0
	s_waitcnt vmcnt(28) lgkmcnt(13)
	v_mul_f64 v[110:111], v[212:213], v[186:187]
	v_fmac_f64_e32 v[108:109], v[202:203], v[180:181]
	v_add_f64 v[104:105], v[104:105], v[106:107]
	s_waitcnt vmcnt(27) lgkmcnt(12)
	;; [unrolled: 4-line block ×12, first 2 shown]
	v_mul_f64 v[156:157], v[112:113], v[26:27]
	v_fmac_f64_e32 v[154:155], v[118:119], v[20:21]
	v_add_f64 v[104:105], v[104:105], v[152:153]
	v_fmac_f64_e32 v[156:157], v[114:115], v[24:25]
	v_add_f64 v[104:105], v[104:105], v[154:155]
	s_waitcnt vmcnt(16) lgkmcnt(1)
	v_mul_f64 v[106:107], v[100:101], v[30:31]
	v_add_f64 v[104:105], v[104:105], v[156:157]
	v_fmac_f64_e32 v[106:107], v[102:103], v[28:29]
	v_add_f64 v[108:109], v[104:105], v[106:107]
	ds_read_b128 v[144:147], v2 offset:1344
	ds_read_b128 v[148:151], v2 offset:1360
	scratch_load_dwordx4 v[104:107], off, off offset:768
	s_waitcnt vmcnt(16) lgkmcnt(2)
	v_mul_f64 v[110:111], v[96:97], v[34:35]
	v_fmac_f64_e32 v[110:111], v[98:99], v[32:33]
	v_add_f64 v[120:121], v[108:109], v[110:111]
	scratch_load_dwordx4 v[108:111], off, off offset:784
	s_waitcnt vmcnt(16) lgkmcnt(1)
	v_mul_f64 v[122:123], v[144:145], v[38:39]
	v_fmac_f64_e32 v[122:123], v[146:147], v[36:37]
	v_add_f64 v[132:133], v[120:121], v[122:123]
	s_waitcnt vmcnt(15) lgkmcnt(0)
	v_mul_f64 v[134:135], v[148:149], v[42:43]
	scratch_load_dwordx4 v[120:123], off, off offset:800
	v_fmac_f64_e32 v[134:135], v[150:151], v[40:41]
	v_add_f64 v[160:161], v[132:133], v[134:135]
	scratch_load_dwordx4 v[132:135], off, off offset:816
	ds_read_b128 v[152:155], v2 offset:1376
	ds_read_b128 v[156:159], v2 offset:1392
	v_mul_f64 v[170:171], v[178:179], v[170:171]
	v_fma_f64 v[240:241], v[176:177], v[168:169], -v[170:171]
	ds_read_b128 v[168:171], v2 offset:1440
	s_waitcnt vmcnt(16) lgkmcnt(2)
	v_mul_f64 v[162:163], v[152:153], v[46:47]
	v_fmac_f64_e32 v[162:163], v[154:155], v[44:45]
	s_waitcnt vmcnt(15) lgkmcnt(1)
	v_mul_f64 v[166:167], v[156:157], v[50:51]
	v_add_f64 v[164:165], v[160:161], v[162:163]
	ds_read_b128 v[160:163], v2 offset:1408
	v_fmac_f64_e32 v[166:167], v[158:159], v[48:49]
	v_add_f64 v[232:233], v[164:165], v[166:167]
	ds_read_b128 v[164:167], v2 offset:1424
	v_mul_f64 v[174:175], v[190:191], v[174:175]
	s_waitcnt vmcnt(14) lgkmcnt(1)
	v_mul_f64 v[234:235], v[160:161], v[54:55]
	v_fmac_f64_e32 v[234:235], v[162:163], v[52:53]
	v_add_f64 v[232:233], v[232:233], v[234:235]
	s_waitcnt vmcnt(13) lgkmcnt(0)
	v_mul_f64 v[176:177], v[164:165], v[58:59]
	v_fmac_f64_e32 v[176:177], v[166:167], v[56:57]
	v_fma_f64 v[242:243], v[188:189], v[172:173], -v[174:175]
	ds_read_b128 v[172:175], v2 offset:1456
	s_waitcnt vmcnt(12)
	v_mul_f64 v[178:179], v[168:169], v[62:63]
	v_add_f64 v[176:177], v[232:233], v[176:177]
	v_fmac_f64_e32 v[178:179], v[170:171], v[60:61]
	v_add_f64 v[188:189], v[176:177], v[178:179]
	ds_read_b128 v[176:179], v2 offset:1472
	v_mul_f64 v[182:183], v[202:203], v[182:183]
	v_fma_f64 v[244:245], v[200:201], v[180:181], -v[182:183]
	ds_read_b128 v[180:183], v2 offset:1488
	s_waitcnt vmcnt(11) lgkmcnt(2)
	v_mul_f64 v[190:191], v[172:173], v[66:67]
	v_fmac_f64_e32 v[190:191], v[174:175], v[64:65]
	v_add_f64 v[188:189], v[188:189], v[190:191]
	s_waitcnt vmcnt(10) lgkmcnt(1)
	v_mul_f64 v[190:191], v[176:177], v[70:71]
	v_fmac_f64_e32 v[190:191], v[178:179], v[68:69]
	v_mul_f64 v[186:187], v[214:215], v[186:187]
	v_fma_f64 v[246:247], v[212:213], v[184:185], -v[186:187]
	ds_read_b128 v[184:187], v2 offset:1504
	v_add_f64 v[188:189], v[188:189], v[190:191]
	s_waitcnt vmcnt(9) lgkmcnt(1)
	v_mul_f64 v[190:191], v[180:181], v[74:75]
	v_fmac_f64_e32 v[190:191], v[182:183], v[72:73]
	v_add_f64 v[200:201], v[188:189], v[190:191]
	ds_read_b128 v[188:191], v2 offset:1520
	v_mul_f64 v[194:195], v[222:223], v[194:195]
	v_fma_f64 v[232:233], v[220:221], v[192:193], -v[194:195]
	ds_read_b128 v[192:195], v2 offset:1536
	s_waitcnt vmcnt(8) lgkmcnt(2)
	v_mul_f64 v[202:203], v[184:185], v[78:79]
	v_fmac_f64_e32 v[202:203], v[186:187], v[76:77]
	v_add_f64 v[200:201], v[200:201], v[202:203]
	s_waitcnt vmcnt(7) lgkmcnt(1)
	v_mul_f64 v[202:203], v[188:189], v[82:83]
	v_fmac_f64_e32 v[202:203], v[190:191], v[80:81]
	v_mul_f64 v[198:199], v[226:227], v[198:199]
	v_add_f64 v[200:201], v[200:201], v[202:203]
	v_fma_f64 v[234:235], v[224:225], v[196:197], -v[198:199]
	ds_read_b128 v[196:199], v2 offset:1552
	s_waitcnt vmcnt(6) lgkmcnt(1)
	v_mul_f64 v[202:203], v[192:193], v[86:87]
	v_fmac_f64_e32 v[202:203], v[194:195], v[84:85]
	v_add_f64 v[212:213], v[200:201], v[202:203]
	ds_read_b128 v[200:203], v2 offset:1568
	v_mul_f64 v[206:207], v[230:231], v[206:207]
	v_fma_f64 v[236:237], v[228:229], v[204:205], -v[206:207]
	ds_read_b128 v[204:207], v2 offset:1584
	s_waitcnt vmcnt(5) lgkmcnt(2)
	v_mul_f64 v[214:215], v[196:197], v[94:95]
	v_fmac_f64_e32 v[214:215], v[198:199], v[92:93]
	v_add_f64 v[212:213], v[212:213], v[214:215]
	s_waitcnt vmcnt(4) lgkmcnt(1)
	v_mul_f64 v[214:215], v[200:201], v[90:91]
	v_fmac_f64_e32 v[214:215], v[202:203], v[88:89]
	v_mul_f64 v[210:211], v[250:251], v[210:211]
	v_fma_f64 v[238:239], v[248:249], v[208:209], -v[210:211]
	ds_read_b128 v[208:211], v2 offset:1600
	v_add_f64 v[212:213], v[212:213], v[214:215]
	s_waitcnt vmcnt(3) lgkmcnt(1)
	v_mul_f64 v[214:215], v[204:205], v[106:107]
	v_fmac_f64_e32 v[214:215], v[206:207], v[104:105]
	v_add_f64 v[220:221], v[212:213], v[214:215]
	ds_read_b128 v[212:215], v2 offset:1616
	v_mul_f64 v[218:219], v[254:255], v[218:219]
	v_fma_f64 v[248:249], v[252:253], v[216:217], -v[218:219]
	ds_read_b128 v[216:219], v2 offset:1632
	ds_read_b128 v[224:227], v2 offset:1648
	s_waitcnt vmcnt(2) lgkmcnt(3)
	v_mul_f64 v[222:223], v[208:209], v[110:111]
	v_fmac_f64_e32 v[222:223], v[210:211], v[108:109]
	v_add_f64 v[220:221], v[220:221], v[222:223]
	s_waitcnt vmcnt(1) lgkmcnt(2)
	v_mul_f64 v[222:223], v[212:213], v[122:123]
	v_fmac_f64_e32 v[222:223], v[214:215], v[120:121]
	v_add_f64 v[220:221], v[220:221], v[222:223]
	s_waitcnt vmcnt(0) lgkmcnt(1)
	v_mul_f64 v[222:223], v[216:217], v[134:135]
	v_fmac_f64_e32 v[222:223], v[218:219], v[132:133]
	v_add_f64 v[228:229], v[220:221], v[222:223]
	scratch_load_dwordx4 v[220:223], off, off offset:832
	v_mul_f64 v[6:7], v[142:143], v[6:7]
	v_fma_f64 v[4:5], v[140:141], v[4:5], -v[6:7]
	v_mul_f64 v[6:7], v[138:139], v[10:11]
	v_fma_f64 v[6:7], v[136:137], v[8:9], -v[6:7]
	s_waitcnt vmcnt(0) lgkmcnt(0)
	v_mul_f64 v[230:231], v[224:225], v[222:223]
	v_fmac_f64_e32 v[230:231], v[226:227], v[220:221]
	v_add_f64 v[252:253], v[228:229], v[230:231]
	v_add_f64 v[228:229], v[240:241], 0
	;; [unrolled: 1-line block ×6, first 2 shown]
	scratch_load_dwordx4 v[228:231], off, off offset:240
	v_add_f64 v[232:233], v[250:251], v[234:235]
	v_add_f64 v[232:233], v[232:233], v[236:237]
	;; [unrolled: 1-line block ×6, first 2 shown]
	v_mul_f64 v[6:7], v[130:131], v[14:15]
	v_fma_f64 v[6:7], v[128:129], v[12:13], -v[6:7]
	v_add_f64 v[4:5], v[4:5], v[6:7]
	v_mul_f64 v[6:7], v[126:127], v[18:19]
	v_fma_f64 v[6:7], v[124:125], v[16:17], -v[6:7]
	v_add_f64 v[4:5], v[4:5], v[6:7]
	;; [unrolled: 3-line block ×26, first 2 shown]
	s_waitcnt vmcnt(0)
	v_add_f64 v[4:5], v[228:229], -v[4:5]
	v_add_f64 v[6:7], v[230:231], -v[252:253]
	scratch_store_dwordx4 off, v[4:7], off offset:240
	s_and_saveexec_b64 s[0:1], vcc
	s_cbranch_execz .LBB51_299
; %bb.298:
	scratch_load_dwordx4 v[6:9], off, s41
	v_mov_b32_e32 v3, v2
	v_mov_b32_e32 v4, v2
	;; [unrolled: 1-line block ×3, first 2 shown]
	v_accvgpr_read_b32 v0, a105
	scratch_store_dwordx4 off, v[2:5], off offset:224
	s_waitcnt vmcnt(1)
	ds_write_b128 v0, v[6:9]
.LBB51_299:
	s_or_b64 exec, exec, s[0:1]
	s_waitcnt lgkmcnt(0)
	; wave barrier
	scratch_load_dwordx4 v[168:171], off, off offset:240
	scratch_load_dwordx4 v[172:175], off, off offset:256
	;; [unrolled: 1-line block ×16, first 2 shown]
	ds_read_b128 v[232:235], v2 offset:1056
	ds_read_b128 v[176:179], v2 offset:1072
	scratch_load_dwordx4 v[32:35], off, off offset:496
	ds_read_b128 v[236:239], v2 offset:1088
	ds_read_b128 v[188:191], v2 offset:1104
	;; [unrolled: 1-line block ×5, first 2 shown]
	scratch_load_dwordx4 v[36:39], off, off offset:512
	ds_read_b128 v[224:227], v2 offset:1168
	ds_read_b128 v[220:223], v2 offset:1184
	;; [unrolled: 1-line block ×3, first 2 shown]
	scratch_load_dwordx4 v[40:43], off, off offset:528
	ds_read_b128 v[64:67], v2 offset:1216
	ds_read_b128 v[60:63], v2 offset:1232
	;; [unrolled: 1-line block ×4, first 2 shown]
	scratch_load_dwordx4 v[48:51], off, off offset:544
	ds_read_b128 v[80:83], v2 offset:1280
	ds_read_b128 v[72:75], v2 offset:1296
	;; [unrolled: 1-line block ×3, first 2 shown]
	scratch_load_dwordx4 v[76:79], off, off offset:560
	scratch_load_dwordx4 v[84:87], off, off offset:576
	;; [unrolled: 1-line block ×12, first 2 shown]
	v_accvgpr_read_b32 v0, a104
	v_cmp_lt_u32_e32 vcc, 12, v0
	s_waitcnt vmcnt(31) lgkmcnt(14)
	v_mul_f64 v[128:129], v[232:233], v[170:171]
	s_waitcnt vmcnt(30)
	v_mul_f64 v[130:131], v[176:177], v[174:175]
	v_fmac_f64_e32 v[128:129], v[234:235], v[168:169]
	s_waitcnt vmcnt(29)
	v_mul_f64 v[132:133], v[236:237], v[182:183]
	v_fmac_f64_e32 v[130:131], v[178:179], v[172:173]
	v_add_f64 v[128:129], v[128:129], 0
	s_waitcnt vmcnt(28) lgkmcnt(13)
	v_mul_f64 v[134:135], v[188:189], v[186:187]
	v_fmac_f64_e32 v[132:133], v[238:239], v[180:181]
	v_add_f64 v[128:129], v[128:129], v[130:131]
	s_waitcnt vmcnt(27) lgkmcnt(12)
	v_mul_f64 v[136:137], v[228:229], v[194:195]
	v_fmac_f64_e32 v[134:135], v[190:191], v[184:185]
	v_add_f64 v[128:129], v[128:129], v[132:133]
	s_waitcnt vmcnt(26) lgkmcnt(11)
	v_mul_f64 v[138:139], v[200:201], v[198:199]
	v_fmac_f64_e32 v[136:137], v[230:231], v[192:193]
	v_add_f64 v[128:129], v[128:129], v[134:135]
	s_waitcnt vmcnt(25) lgkmcnt(10)
	v_mul_f64 v[140:141], v[212:213], v[206:207]
	v_fmac_f64_e32 v[138:139], v[202:203], v[196:197]
	v_add_f64 v[128:129], v[128:129], v[136:137]
	s_waitcnt vmcnt(24) lgkmcnt(9)
	v_mul_f64 v[142:143], v[224:225], v[210:211]
	v_fmac_f64_e32 v[140:141], v[214:215], v[204:205]
	v_add_f64 v[128:129], v[128:129], v[138:139]
	s_waitcnt vmcnt(23) lgkmcnt(8)
	v_mul_f64 v[144:145], v[220:221], v[218:219]
	v_fmac_f64_e32 v[142:143], v[226:227], v[208:209]
	v_add_f64 v[128:129], v[128:129], v[140:141]
	s_waitcnt vmcnt(22) lgkmcnt(7)
	v_mul_f64 v[146:147], v[44:45], v[6:7]
	v_fmac_f64_e32 v[144:145], v[222:223], v[216:217]
	v_add_f64 v[128:129], v[128:129], v[142:143]
	s_waitcnt vmcnt(21) lgkmcnt(6)
	v_mul_f64 v[148:149], v[64:65], v[10:11]
	v_fmac_f64_e32 v[146:147], v[46:47], v[4:5]
	v_add_f64 v[128:129], v[128:129], v[144:145]
	s_waitcnt vmcnt(20) lgkmcnt(5)
	v_mul_f64 v[150:151], v[60:61], v[14:15]
	v_fmac_f64_e32 v[148:149], v[66:67], v[8:9]
	v_add_f64 v[128:129], v[128:129], v[146:147]
	s_waitcnt vmcnt(19) lgkmcnt(4)
	v_mul_f64 v[152:153], v[56:57], v[18:19]
	v_fmac_f64_e32 v[150:151], v[62:63], v[12:13]
	v_add_f64 v[128:129], v[128:129], v[148:149]
	s_waitcnt vmcnt(18) lgkmcnt(3)
	v_mul_f64 v[154:155], v[52:53], v[22:23]
	v_fmac_f64_e32 v[152:153], v[58:59], v[16:17]
	v_add_f64 v[128:129], v[128:129], v[150:151]
	s_waitcnt vmcnt(17) lgkmcnt(2)
	v_mul_f64 v[156:157], v[80:81], v[26:27]
	v_fmac_f64_e32 v[154:155], v[54:55], v[20:21]
	v_add_f64 v[128:129], v[128:129], v[152:153]
	s_waitcnt vmcnt(16) lgkmcnt(1)
	v_mul_f64 v[158:159], v[72:73], v[30:31]
	v_fmac_f64_e32 v[156:157], v[82:83], v[24:25]
	v_add_f64 v[128:129], v[128:129], v[154:155]
	v_add_f64 v[128:129], v[128:129], v[156:157]
	v_fmac_f64_e32 v[158:159], v[74:75], v[28:29]
	v_add_f64 v[132:133], v[128:129], v[158:159]
	ds_read_b128 v[144:147], v2 offset:1328
	ds_read_b128 v[148:151], v2 offset:1344
	scratch_load_dwordx4 v[128:131], off, off offset:752
	s_waitcnt vmcnt(16) lgkmcnt(2)
	v_mul_f64 v[134:135], v[68:69], v[34:35]
	v_fmac_f64_e32 v[134:135], v[70:71], v[32:33]
	s_waitcnt vmcnt(15) lgkmcnt(1)
	v_mul_f64 v[138:139], v[144:145], v[38:39]
	v_add_f64 v[136:137], v[132:133], v[134:135]
	scratch_load_dwordx4 v[132:135], off, off offset:768
	v_fmac_f64_e32 v[138:139], v[146:147], v[36:37]
	v_add_f64 v[140:141], v[136:137], v[138:139]
	s_waitcnt vmcnt(15) lgkmcnt(0)
	v_mul_f64 v[142:143], v[148:149], v[42:43]
	scratch_load_dwordx4 v[136:139], off, off offset:784
	v_fmac_f64_e32 v[142:143], v[150:151], v[40:41]
	v_add_f64 v[160:161], v[140:141], v[142:143]
	scratch_load_dwordx4 v[140:143], off, off offset:800
	ds_read_b128 v[152:155], v2 offset:1360
	ds_read_b128 v[156:159], v2 offset:1376
	v_mul_f64 v[170:171], v[234:235], v[170:171]
	v_mul_f64 v[174:175], v[178:179], v[174:175]
	;; [unrolled: 1-line block ×3, first 2 shown]
	s_waitcnt vmcnt(16) lgkmcnt(1)
	v_mul_f64 v[162:163], v[152:153], v[50:51]
	v_fmac_f64_e32 v[162:163], v[154:155], v[48:49]
	v_add_f64 v[164:165], v[160:161], v[162:163]
	ds_read_b128 v[160:163], v2 offset:1392
	s_waitcnt vmcnt(15) lgkmcnt(1)
	v_mul_f64 v[166:167], v[156:157], v[78:79]
	v_fmac_f64_e32 v[166:167], v[158:159], v[76:77]
	v_add_f64 v[240:241], v[164:165], v[166:167]
	ds_read_b128 v[164:167], v2 offset:1408
	s_waitcnt vmcnt(14) lgkmcnt(1)
	v_mul_f64 v[242:243], v[160:161], v[86:87]
	v_fmac_f64_e32 v[242:243], v[162:163], v[84:85]
	v_add_f64 v[240:241], v[240:241], v[242:243]
	v_fma_f64 v[242:243], v[232:233], v[168:169], -v[170:171]
	ds_read_b128 v[168:171], v2 offset:1424
	s_waitcnt vmcnt(13) lgkmcnt(1)
	v_mul_f64 v[232:233], v[164:165], v[90:91]
	v_fmac_f64_e32 v[232:233], v[166:167], v[88:89]
	v_add_f64 v[232:233], v[240:241], v[232:233]
	v_fma_f64 v[240:241], v[176:177], v[172:173], -v[174:175]
	ds_read_b128 v[172:175], v2 offset:1440
	s_waitcnt vmcnt(12) lgkmcnt(1)
	v_mul_f64 v[176:177], v[168:169], v[94:95]
	v_fmac_f64_e32 v[176:177], v[170:171], v[92:93]
	v_add_f64 v[232:233], v[232:233], v[176:177]
	ds_read_b128 v[176:179], v2 offset:1456
	v_fma_f64 v[236:237], v[236:237], v[180:181], -v[182:183]
	ds_read_b128 v[180:183], v2 offset:1472
	s_waitcnt vmcnt(11) lgkmcnt(2)
	v_mul_f64 v[234:235], v[172:173], v[98:99]
	v_fmac_f64_e32 v[234:235], v[174:175], v[96:97]
	v_add_f64 v[232:233], v[232:233], v[234:235]
	s_waitcnt vmcnt(10) lgkmcnt(1)
	v_mul_f64 v[234:235], v[176:177], v[102:103]
	v_fmac_f64_e32 v[234:235], v[178:179], v[100:101]
	v_mul_f64 v[186:187], v[190:191], v[186:187]
	s_waitcnt vmcnt(9) lgkmcnt(0)
	v_mul_f64 v[190:191], v[180:181], v[106:107]
	v_fma_f64 v[238:239], v[188:189], v[184:185], -v[186:187]
	ds_read_b128 v[184:187], v2 offset:1488
	v_add_f64 v[188:189], v[232:233], v[234:235]
	v_fmac_f64_e32 v[190:191], v[182:183], v[104:105]
	v_add_f64 v[232:233], v[188:189], v[190:191]
	ds_read_b128 v[188:191], v2 offset:1504
	v_mul_f64 v[194:195], v[230:231], v[194:195]
	v_fma_f64 v[244:245], v[228:229], v[192:193], -v[194:195]
	ds_read_b128 v[192:195], v2 offset:1520
	s_waitcnt vmcnt(8) lgkmcnt(2)
	v_mul_f64 v[234:235], v[184:185], v[110:111]
	v_fmac_f64_e32 v[234:235], v[186:187], v[108:109]
	s_waitcnt vmcnt(7) lgkmcnt(1)
	v_mul_f64 v[228:229], v[188:189], v[114:115]
	v_mul_f64 v[198:199], v[202:203], v[198:199]
	v_add_f64 v[232:233], v[232:233], v[234:235]
	v_fmac_f64_e32 v[228:229], v[190:191], v[112:113]
	v_fma_f64 v[246:247], v[200:201], v[196:197], -v[198:199]
	ds_read_b128 v[196:199], v2 offset:1536
	s_waitcnt vmcnt(6) lgkmcnt(1)
	v_mul_f64 v[200:201], v[192:193], v[118:119]
	v_add_f64 v[228:229], v[232:233], v[228:229]
	v_fmac_f64_e32 v[200:201], v[194:195], v[116:117]
	v_add_f64 v[228:229], v[228:229], v[200:201]
	ds_read_b128 v[200:203], v2 offset:1552
	v_mul_f64 v[206:207], v[214:215], v[206:207]
	v_add_f64 v[242:243], v[242:243], 0
	v_fma_f64 v[252:253], v[212:213], v[204:205], -v[206:207]
	ds_read_b128 v[204:207], v2 offset:1568
	v_add_f64 v[240:241], v[242:243], v[240:241]
	v_add_f64 v[236:237], v[240:241], v[236:237]
	;; [unrolled: 1-line block ×3, first 2 shown]
	s_waitcnt vmcnt(5) lgkmcnt(2)
	v_mul_f64 v[230:231], v[196:197], v[126:127]
	v_add_f64 v[236:237], v[236:237], v[244:245]
	v_fmac_f64_e32 v[230:231], v[198:199], v[124:125]
	s_waitcnt vmcnt(4) lgkmcnt(1)
	v_mul_f64 v[212:213], v[200:201], v[122:123]
	v_add_f64 v[236:237], v[236:237], v[246:247]
	v_add_f64 v[228:229], v[228:229], v[230:231]
	v_fmac_f64_e32 v[212:213], v[202:203], v[120:121]
	v_mul_f64 v[210:211], v[226:227], v[210:211]
	v_add_f64 v[252:253], v[236:237], v[252:253]
	scratch_load_dwordx4 v[236:239], off, off offset:224
	s_waitcnt vmcnt(4) lgkmcnt(0)
	v_mul_f64 v[214:215], v[204:205], v[130:131]
	v_fma_f64 v[248:249], v[224:225], v[208:209], -v[210:211]
	ds_read_b128 v[208:211], v2 offset:1584
	v_add_f64 v[212:213], v[228:229], v[212:213]
	v_fmac_f64_e32 v[214:215], v[206:207], v[128:129]
	v_add_f64 v[224:225], v[212:213], v[214:215]
	ds_read_b128 v[212:215], v2 offset:1600
	v_mul_f64 v[218:219], v[222:223], v[218:219]
	v_fma_f64 v[250:251], v[220:221], v[216:217], -v[218:219]
	ds_read_b128 v[216:219], v2 offset:1616
	s_waitcnt vmcnt(3) lgkmcnt(2)
	v_mul_f64 v[220:221], v[208:209], v[134:135]
	v_fmac_f64_e32 v[220:221], v[210:211], v[132:133]
	s_waitcnt vmcnt(2) lgkmcnt(1)
	v_mul_f64 v[222:223], v[212:213], v[138:139]
	v_add_f64 v[220:221], v[224:225], v[220:221]
	v_fmac_f64_e32 v[222:223], v[214:215], v[136:137]
	v_add_f64 v[220:221], v[220:221], v[222:223]
	ds_read_b128 v[224:227], v2 offset:1632
	scratch_load_dwordx4 v[232:235], off, off offset:832
	s_waitcnt vmcnt(2) lgkmcnt(1)
	v_mul_f64 v[222:223], v[216:217], v[142:143]
	v_fmac_f64_e32 v[222:223], v[218:219], v[140:141]
	v_add_f64 v[228:229], v[220:221], v[222:223]
	scratch_load_dwordx4 v[220:223], off, off offset:816
	v_add_f64 v[240:241], v[252:253], v[248:249]
	v_mul_f64 v[6:7], v[46:47], v[6:7]
	v_add_f64 v[240:241], v[240:241], v[250:251]
	v_fma_f64 v[4:5], v[44:45], v[4:5], -v[6:7]
	v_mul_f64 v[6:7], v[66:67], v[10:11]
	v_add_f64 v[4:5], v[240:241], v[4:5]
	v_fma_f64 v[6:7], v[64:65], v[8:9], -v[6:7]
	v_add_f64 v[4:5], v[4:5], v[6:7]
	v_mul_f64 v[6:7], v[62:63], v[14:15]
	v_fma_f64 v[6:7], v[60:61], v[12:13], -v[6:7]
	v_add_f64 v[4:5], v[4:5], v[6:7]
	v_mul_f64 v[6:7], v[58:59], v[18:19]
	;; [unrolled: 3-line block ×24, first 2 shown]
	v_fma_f64 v[6:7], v[212:213], v[136:137], -v[6:7]
	s_waitcnt vmcnt(0) lgkmcnt(0)
	v_mul_f64 v[230:231], v[224:225], v[222:223]
	v_fmac_f64_e32 v[230:231], v[226:227], v[220:221]
	v_add_f64 v[254:255], v[228:229], v[230:231]
	ds_read_b128 v[228:231], v2 offset:1648
	v_add_f64 v[4:5], v[4:5], v[6:7]
	v_mul_f64 v[6:7], v[218:219], v[142:143]
	v_fma_f64 v[6:7], v[216:217], v[140:141], -v[6:7]
	v_add_f64 v[4:5], v[4:5], v[6:7]
	v_mul_f64 v[6:7], v[226:227], v[222:223]
	v_fma_f64 v[6:7], v[224:225], v[220:221], -v[6:7]
	s_waitcnt lgkmcnt(0)
	v_mul_f64 v[2:3], v[228:229], v[234:235]
	v_add_f64 v[4:5], v[4:5], v[6:7]
	v_mul_f64 v[6:7], v[230:231], v[234:235]
	v_fmac_f64_e32 v[2:3], v[230:231], v[232:233]
	v_fma_f64 v[6:7], v[228:229], v[232:233], -v[6:7]
	v_add_f64 v[2:3], v[254:255], v[2:3]
	v_add_f64 v[4:5], v[4:5], v[6:7]
	v_add_f64 v[4:5], v[236:237], -v[4:5]
	v_add_f64 v[6:7], v[238:239], -v[2:3]
	scratch_store_dwordx4 off, v[4:7], off offset:224
	s_and_saveexec_b64 s[0:1], vcc
	s_cbranch_execz .LBB51_301
; %bb.300:
	scratch_load_dwordx4 v[2:5], off, s40
	v_mov_b32_e32 v6, 0
	v_mov_b32_e32 v7, v6
	;; [unrolled: 1-line block ×4, first 2 shown]
	v_accvgpr_read_b32 v0, a105
	scratch_store_dwordx4 off, v[6:9], off offset:208
	s_waitcnt vmcnt(1)
	ds_write_b128 v0, v[2:5]
.LBB51_301:
	s_or_b64 exec, exec, s[0:1]
	s_waitcnt lgkmcnt(0)
	; wave barrier
	scratch_load_dwordx4 v[80:83], off, off offset:224
	scratch_load_dwordx4 v[84:87], off, off offset:240
	;; [unrolled: 1-line block ×31, first 2 shown]
	v_mov_b32_e32 v2, 0
	ds_read_b128 v[196:199], v2 offset:1040
	ds_read_b128 v[200:203], v2 offset:1056
	;; [unrolled: 1-line block ×20, first 2 shown]
	s_waitcnt vmcnt(30) lgkmcnt(14)
	v_mul_f64 v[140:141], v[196:197], v[82:83]
	s_waitcnt vmcnt(29)
	v_mul_f64 v[142:143], v[200:201], v[86:87]
	v_fmac_f64_e32 v[140:141], v[198:199], v[80:81]
	s_waitcnt vmcnt(28)
	v_mul_f64 v[152:153], v[204:205], v[90:91]
	v_fmac_f64_e32 v[142:143], v[202:203], v[84:85]
	v_add_f64 v[140:141], v[140:141], 0
	s_waitcnt vmcnt(27)
	v_mul_f64 v[154:155], v[208:209], v[94:95]
	v_fmac_f64_e32 v[152:153], v[206:207], v[88:89]
	v_add_f64 v[140:141], v[140:141], v[142:143]
	s_waitcnt vmcnt(26)
	v_mul_f64 v[160:161], v[212:213], v[98:99]
	v_fmac_f64_e32 v[154:155], v[210:211], v[92:93]
	v_add_f64 v[140:141], v[140:141], v[152:153]
	s_waitcnt vmcnt(25)
	v_mul_f64 v[162:163], v[216:217], v[102:103]
	v_fmac_f64_e32 v[160:161], v[214:215], v[96:97]
	v_add_f64 v[140:141], v[140:141], v[154:155]
	s_waitcnt vmcnt(24) lgkmcnt(13)
	v_mul_f64 v[164:165], v[220:221], v[106:107]
	v_fmac_f64_e32 v[162:163], v[218:219], v[100:101]
	v_add_f64 v[140:141], v[140:141], v[160:161]
	s_waitcnt vmcnt(23) lgkmcnt(12)
	v_mul_f64 v[166:167], v[224:225], v[110:111]
	v_fmac_f64_e32 v[164:165], v[222:223], v[104:105]
	v_add_f64 v[140:141], v[140:141], v[162:163]
	;; [unrolled: 4-line block ×8, first 2 shown]
	v_fmac_f64_e32 v[178:179], v[146:147], v[12:13]
	v_add_f64 v[140:141], v[140:141], v[176:177]
	v_add_f64 v[140:141], v[140:141], v[178:179]
	ds_read_b128 v[176:179], v2 offset:1312
	s_waitcnt vmcnt(16) lgkmcnt(6)
	v_mul_f64 v[180:181], v[136:137], v[18:19]
	s_waitcnt vmcnt(15) lgkmcnt(5)
	v_mul_f64 v[182:183], v[132:133], v[22:23]
	v_fmac_f64_e32 v[180:181], v[138:139], v[16:17]
	v_add_f64 v[152:153], v[140:141], v[180:181]
	v_fmac_f64_e32 v[182:183], v[134:135], v[20:21]
	scratch_load_dwordx4 v[140:143], off, off offset:720
	s_waitcnt vmcnt(15) lgkmcnt(4)
	v_mul_f64 v[154:155], v[128:129], v[26:27]
	v_add_f64 v[152:153], v[152:153], v[182:183]
	v_fmac_f64_e32 v[154:155], v[130:131], v[24:25]
	v_add_f64 v[160:161], v[152:153], v[154:155]
	ds_read_b128 v[180:183], v2 offset:1328
	s_waitcnt vmcnt(14) lgkmcnt(1)
	v_mul_f64 v[162:163], v[176:177], v[30:31]
	scratch_load_dwordx4 v[152:155], off, off offset:736
	v_fmac_f64_e32 v[162:163], v[178:179], v[28:29]
	v_add_f64 v[164:165], v[160:161], v[162:163]
	scratch_load_dwordx4 v[160:163], off, off offset:752
	s_waitcnt vmcnt(15) lgkmcnt(0)
	v_mul_f64 v[166:167], v[180:181], v[34:35]
	v_fmac_f64_e32 v[166:167], v[182:183], v[32:33]
	v_add_f64 v[168:169], v[164:165], v[166:167]
	s_waitcnt vmcnt(14)
	v_mul_f64 v[170:171], v[184:185], v[38:39]
	scratch_load_dwordx4 v[164:167], off, off offset:768
	v_fmac_f64_e32 v[170:171], v[186:187], v[36:37]
	v_add_f64 v[168:169], v[168:169], v[170:171]
	s_waitcnt vmcnt(14)
	v_mul_f64 v[170:171], v[188:189], v[42:43]
	scratch_load_dwordx4 v[172:175], off, off offset:784
	v_fmac_f64_e32 v[170:171], v[190:191], v[40:41]
	v_add_f64 v[232:233], v[168:169], v[170:171]
	scratch_load_dwordx4 v[168:171], off, off offset:800
	v_mul_f64 v[82:83], v[198:199], v[82:83]
	v_fma_f64 v[240:241], v[196:197], v[80:81], -v[82:83]
	ds_read_b128 v[196:199], v2 offset:1392
	s_waitcnt vmcnt(15)
	v_mul_f64 v[80:81], v[192:193], v[46:47]
	v_fmac_f64_e32 v[80:81], v[194:195], v[44:45]
	v_add_f64 v[232:233], v[232:233], v[80:81]
	v_mul_f64 v[80:81], v[202:203], v[86:87]
	v_fma_f64 v[242:243], v[200:201], v[84:85], -v[80:81]
	scratch_load_dwordx4 v[80:83], off, off offset:816
	ds_read_b128 v[84:87], v2 offset:1408
	v_mul_f64 v[90:91], v[206:207], v[90:91]
	v_fma_f64 v[244:245], v[204:205], v[88:89], -v[90:91]
	ds_read_b128 v[88:91], v2 offset:1424
	s_waitcnt vmcnt(15) lgkmcnt(2)
	v_mul_f64 v[200:201], v[196:197], v[50:51]
	v_fmac_f64_e32 v[200:201], v[198:199], v[48:49]
	s_waitcnt vmcnt(14) lgkmcnt(1)
	v_mul_f64 v[202:203], v[84:85], v[54:55]
	v_add_f64 v[200:201], v[232:233], v[200:201]
	v_fmac_f64_e32 v[202:203], v[86:87], v[52:53]
	v_mul_f64 v[94:95], v[210:211], v[94:95]
	v_fma_f64 v[246:247], v[208:209], v[92:93], -v[94:95]
	ds_read_b128 v[92:95], v2 offset:1440
	v_add_f64 v[200:201], v[200:201], v[202:203]
	s_waitcnt vmcnt(13) lgkmcnt(1)
	v_mul_f64 v[202:203], v[88:89], v[58:59]
	v_fmac_f64_e32 v[202:203], v[90:91], v[56:57]
	v_add_f64 v[204:205], v[200:201], v[202:203]
	ds_read_b128 v[200:203], v2 offset:1456
	v_mul_f64 v[98:99], v[214:215], v[98:99]
	v_fma_f64 v[232:233], v[212:213], v[96:97], -v[98:99]
	ds_read_b128 v[96:99], v2 offset:1472
	s_waitcnt vmcnt(12) lgkmcnt(2)
	v_mul_f64 v[206:207], v[92:93], v[62:63]
	v_fmac_f64_e32 v[206:207], v[94:95], v[60:61]
	v_add_f64 v[204:205], v[204:205], v[206:207]
	s_waitcnt vmcnt(11) lgkmcnt(1)
	v_mul_f64 v[206:207], v[200:201], v[66:67]
	v_fmac_f64_e32 v[206:207], v[202:203], v[64:65]
	v_mul_f64 v[102:103], v[218:219], v[102:103]
	v_add_f64 v[204:205], v[204:205], v[206:207]
	v_fma_f64 v[4:5], v[216:217], v[100:101], -v[102:103]
	ds_read_b128 v[100:103], v2 offset:1488
	s_waitcnt vmcnt(10) lgkmcnt(1)
	v_mul_f64 v[206:207], v[96:97], v[70:71]
	v_fmac_f64_e32 v[206:207], v[98:99], v[68:69]
	v_add_f64 v[208:209], v[204:205], v[206:207]
	ds_read_b128 v[204:207], v2 offset:1504
	v_mul_f64 v[106:107], v[222:223], v[106:107]
	v_fma_f64 v[0:1], v[220:221], v[104:105], -v[106:107]
	ds_read_b128 v[104:107], v2 offset:1520
	s_waitcnt vmcnt(9) lgkmcnt(2)
	v_mul_f64 v[210:211], v[100:101], v[74:75]
	v_fmac_f64_e32 v[210:211], v[102:103], v[72:73]
	v_add_f64 v[208:209], v[208:209], v[210:211]
	s_waitcnt vmcnt(8) lgkmcnt(1)
	v_mul_f64 v[210:211], v[204:205], v[78:79]
	v_fmac_f64_e32 v[210:211], v[206:207], v[76:77]
	v_mul_f64 v[6:7], v[226:227], v[110:111]
	v_fma_f64 v[6:7], v[224:225], v[108:109], -v[6:7]
	ds_read_b128 v[108:111], v2 offset:1536
	v_add_f64 v[208:209], v[208:209], v[210:211]
	s_waitcnt vmcnt(7) lgkmcnt(1)
	v_mul_f64 v[210:211], v[104:105], v[126:127]
	v_fmac_f64_e32 v[210:211], v[106:107], v[124:125]
	v_mul_f64 v[114:115], v[230:231], v[114:115]
	v_add_f64 v[212:213], v[208:209], v[210:211]
	ds_read_b128 v[208:211], v2 offset:1552
	v_fma_f64 v[112:113], v[228:229], v[112:113], -v[114:115]
	v_accvgpr_write_b32 a106, v112
	v_accvgpr_write_b32 a107, v113
	ds_read_b128 v[112:115], v2 offset:1568
	s_waitcnt vmcnt(6) lgkmcnt(2)
	v_mul_f64 v[214:215], v[108:109], v[142:143]
	v_fmac_f64_e32 v[214:215], v[110:111], v[140:141]
	v_add_f64 v[212:213], v[212:213], v[214:215]
	s_waitcnt vmcnt(5) lgkmcnt(1)
	v_mul_f64 v[214:215], v[208:209], v[154:155]
	v_fmac_f64_e32 v[214:215], v[210:211], v[152:153]
	v_mul_f64 v[118:119], v[250:251], v[118:119]
	v_add_f64 v[212:213], v[212:213], v[214:215]
	v_fma_f64 v[238:239], v[248:249], v[116:117], -v[118:119]
	ds_read_b128 v[116:119], v2 offset:1584
	s_waitcnt vmcnt(4) lgkmcnt(1)
	v_mul_f64 v[214:215], v[112:113], v[162:163]
	v_fmac_f64_e32 v[214:215], v[114:115], v[160:161]
	v_add_f64 v[216:217], v[212:213], v[214:215]
	ds_read_b128 v[212:215], v2 offset:1600
	v_mul_f64 v[122:123], v[254:255], v[122:123]
	v_fma_f64 v[248:249], v[252:253], v[120:121], -v[122:123]
	ds_read_b128 v[120:123], v2 offset:1616
	s_waitcnt vmcnt(3) lgkmcnt(2)
	v_mul_f64 v[218:219], v[116:117], v[166:167]
	v_fmac_f64_e32 v[218:219], v[118:119], v[164:165]
	v_add_f64 v[216:217], v[216:217], v[218:219]
	s_waitcnt vmcnt(2) lgkmcnt(1)
	v_mul_f64 v[218:219], v[212:213], v[174:175]
	v_fmac_f64_e32 v[218:219], v[214:215], v[172:173]
	v_add_f64 v[216:217], v[216:217], v[218:219]
	;; [unrolled: 4-line block ×3, first 2 shown]
	ds_read_b128 v[216:219], v2 offset:1632
	ds_read_b128 v[224:227], v2 offset:1648
	s_waitcnt vmcnt(0) lgkmcnt(1)
	v_mul_f64 v[222:223], v[216:217], v[82:83]
	v_fmac_f64_e32 v[222:223], v[218:219], v[80:81]
	v_add_f64 v[228:229], v[220:221], v[222:223]
	scratch_load_dwordx4 v[220:223], off, off offset:832
	s_waitcnt vmcnt(0) lgkmcnt(0)
	v_mul_f64 v[230:231], v[224:225], v[222:223]
	v_fmac_f64_e32 v[230:231], v[226:227], v[220:221]
	v_add_f64 v[252:253], v[228:229], v[230:231]
	v_add_f64 v[228:229], v[240:241], 0
	;; [unrolled: 1-line block ×7, first 2 shown]
	scratch_load_dwordx4 v[228:231], off, off offset:208
	v_add_f64 v[250:251], v[4:5], v[0:1]
	v_accvgpr_read_b32 v4, a106
	v_add_f64 v[0:1], v[250:251], v[6:7]
	v_accvgpr_read_b32 v5, a107
	v_add_f64 v[0:1], v[0:1], v[4:5]
	v_add_f64 v[0:1], v[0:1], v[238:239]
	v_mul_f64 v[4:5], v[158:159], v[236:237]
	v_add_f64 v[0:1], v[0:1], v[248:249]
	v_fma_f64 v[4:5], v[156:157], v[234:235], -v[4:5]
	v_add_f64 v[0:1], v[0:1], v[4:5]
	v_mul_f64 v[4:5], v[150:151], v[10:11]
	v_fma_f64 v[4:5], v[148:149], v[8:9], -v[4:5]
	v_add_f64 v[0:1], v[0:1], v[4:5]
	v_mul_f64 v[4:5], v[146:147], v[14:15]
	;; [unrolled: 3-line block ×27, first 2 shown]
	v_fma_f64 v[4:5], v[224:225], v[220:221], -v[4:5]
	v_add_f64 v[0:1], v[0:1], v[4:5]
	s_waitcnt vmcnt(0)
	v_add_f64 v[4:5], v[228:229], -v[0:1]
	v_accvgpr_read_b32 v0, a104
	v_add_f64 v[6:7], v[230:231], -v[252:253]
	v_cmp_lt_u32_e32 vcc, 11, v0
	scratch_store_dwordx4 off, v[4:7], off offset:208
	s_and_saveexec_b64 s[0:1], vcc
	s_cbranch_execz .LBB51_303
; %bb.302:
	scratch_load_dwordx4 v[6:9], off, s39
	v_mov_b32_e32 v3, v2
	v_mov_b32_e32 v4, v2
	v_mov_b32_e32 v5, v2
	v_accvgpr_read_b32 v0, a105
	scratch_store_dwordx4 off, v[2:5], off offset:192
	s_waitcnt vmcnt(1)
	ds_write_b128 v0, v[6:9]
.LBB51_303:
	s_or_b64 exec, exec, s[0:1]
	s_waitcnt lgkmcnt(0)
	; wave barrier
	scratch_load_dwordx4 v[132:135], off, off offset:208
	scratch_load_dwordx4 v[160:163], off, off offset:224
	;; [unrolled: 1-line block ×16, first 2 shown]
	ds_read_b128 v[156:159], v2 offset:1024
	ds_read_b128 v[172:175], v2 offset:1040
	scratch_load_dwordx4 v[24:27], off, off offset:464
	ds_read_b128 v[232:235], v2 offset:1056
	ds_read_b128 v[228:231], v2 offset:1072
	scratch_load_dwordx4 v[28:31], off, off offset:480
	ds_read_b128 v[236:239], v2 offset:1088
	ds_read_b128 v[184:187], v2 offset:1104
	ds_read_b128 v[224:227], v2 offset:1120
	ds_read_b128 v[196:199], v2 offset:1136
	ds_read_b128 v[208:211], v2 offset:1152
	scratch_load_dwordx4 v[32:35], off, off offset:496
	ds_read_b128 v[220:223], v2 offset:1168
	ds_read_b128 v[216:219], v2 offset:1184
	;; [unrolled: 1-line block ×3, first 2 shown]
	scratch_load_dwordx4 v[36:39], off, off offset:512
	ds_read_b128 v[64:67], v2 offset:1216
	ds_read_b128 v[60:63], v2 offset:1232
	;; [unrolled: 1-line block ×5, first 2 shown]
	scratch_load_dwordx4 v[52:55], off, off offset:528
	scratch_load_dwordx4 v[68:71], off, off offset:544
	;; [unrolled: 1-line block ×11, first 2 shown]
	ds_read_b128 v[144:147], v2 offset:1328
	ds_read_b128 v[148:151], v2 offset:1344
	;; [unrolled: 1-line block ×3, first 2 shown]
	s_waitcnt vmcnt(30) lgkmcnt(14)
	v_mul_f64 v[0:1], v[156:157], v[134:135]
	s_waitcnt vmcnt(29)
	v_mul_f64 v[108:109], v[172:173], v[162:163]
	v_fmac_f64_e32 v[0:1], v[158:159], v[132:133]
	s_waitcnt vmcnt(28)
	v_mul_f64 v[110:111], v[232:233], v[166:167]
	v_fmac_f64_e32 v[108:109], v[174:175], v[160:161]
	v_add_f64 v[0:1], v[0:1], 0
	s_waitcnt vmcnt(27)
	v_mul_f64 v[112:113], v[228:229], v[170:171]
	v_fmac_f64_e32 v[110:111], v[234:235], v[164:165]
	v_add_f64 v[0:1], v[0:1], v[108:109]
	s_waitcnt vmcnt(26)
	v_mul_f64 v[114:115], v[236:237], v[178:179]
	v_fmac_f64_e32 v[112:113], v[230:231], v[168:169]
	v_add_f64 v[0:1], v[0:1], v[110:111]
	s_waitcnt vmcnt(25)
	v_mul_f64 v[116:117], v[184:185], v[182:183]
	v_fmac_f64_e32 v[114:115], v[238:239], v[176:177]
	v_add_f64 v[0:1], v[0:1], v[112:113]
	s_waitcnt vmcnt(24) lgkmcnt(13)
	v_mul_f64 v[118:119], v[224:225], v[190:191]
	v_fmac_f64_e32 v[116:117], v[186:187], v[180:181]
	v_add_f64 v[0:1], v[0:1], v[114:115]
	s_waitcnt vmcnt(23) lgkmcnt(12)
	v_mul_f64 v[120:121], v[196:197], v[194:195]
	v_fmac_f64_e32 v[118:119], v[226:227], v[188:189]
	v_add_f64 v[0:1], v[0:1], v[116:117]
	;; [unrolled: 4-line block ×9, first 2 shown]
	v_fmac_f64_e32 v[138:139], v[58:59], v[16:17]
	v_add_f64 v[0:1], v[0:1], v[136:137]
	v_add_f64 v[0:1], v[0:1], v[138:139]
	ds_read_b128 v[136:139], v2 offset:1296
	s_waitcnt vmcnt(15) lgkmcnt(5)
	v_mul_f64 v[140:141], v[48:49], v[22:23]
	v_fmac_f64_e32 v[140:141], v[50:51], v[20:21]
	s_waitcnt vmcnt(14) lgkmcnt(4)
	v_mul_f64 v[112:113], v[44:45], v[26:27]
	scratch_load_dwordx4 v[108:111], off, off offset:704
	v_add_f64 v[0:1], v[0:1], v[140:141]
	v_fmac_f64_e32 v[112:113], v[46:47], v[24:25]
	v_add_f64 v[0:1], v[0:1], v[112:113]
	scratch_load_dwordx4 v[112:115], off, off offset:720
	ds_read_b128 v[140:143], v2 offset:1312
	s_waitcnt vmcnt(15) lgkmcnt(1)
	v_mul_f64 v[116:117], v[136:137], v[30:31]
	v_fmac_f64_e32 v[116:117], v[138:139], v[28:29]
	v_add_f64 v[0:1], v[0:1], v[116:117]
	scratch_load_dwordx4 v[116:119], off, off offset:736
	s_waitcnt vmcnt(15) lgkmcnt(0)
	v_mul_f64 v[120:121], v[140:141], v[34:35]
	v_fmac_f64_e32 v[120:121], v[142:143], v[32:33]
	s_waitcnt vmcnt(14)
	v_mul_f64 v[124:125], v[144:145], v[38:39]
	v_add_f64 v[0:1], v[0:1], v[120:121]
	scratch_load_dwordx4 v[120:123], off, off offset:752
	v_fmac_f64_e32 v[124:125], v[146:147], v[36:37]
	v_add_f64 v[0:1], v[0:1], v[124:125]
	s_waitcnt vmcnt(14)
	v_mul_f64 v[124:125], v[148:149], v[54:55]
	scratch_load_dwordx4 v[128:131], off, off offset:768
	v_fmac_f64_e32 v[124:125], v[150:151], v[52:53]
	v_add_f64 v[0:1], v[0:1], v[124:125]
	scratch_load_dwordx4 v[124:127], off, off offset:784
	v_mul_f64 v[134:135], v[158:159], v[134:135]
	v_fma_f64 v[240:241], v[156:157], v[132:133], -v[134:135]
	ds_read_b128 v[156:159], v2 offset:1376
	s_waitcnt vmcnt(15)
	v_mul_f64 v[132:133], v[152:153], v[70:71]
	v_fmac_f64_e32 v[132:133], v[154:155], v[68:69]
	v_add_f64 v[0:1], v[0:1], v[132:133]
	v_mul_f64 v[132:133], v[174:175], v[162:163]
	v_fma_f64 v[242:243], v[172:173], v[160:161], -v[132:133]
	scratch_load_dwordx4 v[132:135], off, off offset:800
	ds_read_b128 v[160:163], v2 offset:1392
	v_mul_f64 v[166:167], v[234:235], v[166:167]
	v_fma_f64 v[244:245], v[232:233], v[164:165], -v[166:167]
	ds_read_b128 v[164:167], v2 offset:1408
	s_waitcnt vmcnt(15) lgkmcnt(2)
	v_mul_f64 v[172:173], v[156:157], v[74:75]
	v_fmac_f64_e32 v[172:173], v[158:159], v[72:73]
	v_add_f64 v[0:1], v[0:1], v[172:173]
	s_waitcnt vmcnt(14) lgkmcnt(1)
	v_mul_f64 v[172:173], v[160:161], v[78:79]
	v_fmac_f64_e32 v[172:173], v[162:163], v[76:77]
	v_mul_f64 v[170:171], v[230:231], v[170:171]
	v_fma_f64 v[246:247], v[228:229], v[168:169], -v[170:171]
	ds_read_b128 v[168:171], v2 offset:1424
	v_add_f64 v[0:1], v[0:1], v[172:173]
	s_waitcnt vmcnt(13) lgkmcnt(1)
	v_mul_f64 v[172:173], v[164:165], v[82:83]
	v_fmac_f64_e32 v[172:173], v[166:167], v[80:81]
	v_add_f64 v[0:1], v[0:1], v[172:173]
	ds_read_b128 v[172:175], v2 offset:1440
	v_mul_f64 v[178:179], v[238:239], v[178:179]
	v_fma_f64 v[236:237], v[236:237], v[176:177], -v[178:179]
	ds_read_b128 v[176:179], v2 offset:1456
	s_waitcnt vmcnt(12) lgkmcnt(2)
	v_mul_f64 v[228:229], v[168:169], v[86:87]
	v_fmac_f64_e32 v[228:229], v[170:171], v[84:85]
	v_add_f64 v[0:1], v[0:1], v[228:229]
	s_waitcnt vmcnt(11) lgkmcnt(1)
	v_mul_f64 v[228:229], v[172:173], v[90:91]
	v_mul_f64 v[182:183], v[186:187], v[182:183]
	v_fmac_f64_e32 v[228:229], v[174:175], v[88:89]
	v_fma_f64 v[238:239], v[184:185], v[180:181], -v[182:183]
	ds_read_b128 v[180:183], v2 offset:1472
	s_waitcnt vmcnt(10) lgkmcnt(1)
	v_mul_f64 v[184:185], v[176:177], v[94:95]
	v_add_f64 v[0:1], v[0:1], v[228:229]
	v_fmac_f64_e32 v[184:185], v[178:179], v[92:93]
	v_add_f64 v[0:1], v[0:1], v[184:185]
	ds_read_b128 v[184:187], v2 offset:1488
	v_mul_f64 v[190:191], v[226:227], v[190:191]
	v_fma_f64 v[252:253], v[224:225], v[188:189], -v[190:191]
	ds_read_b128 v[188:191], v2 offset:1504
	s_waitcnt vmcnt(9) lgkmcnt(2)
	v_mul_f64 v[228:229], v[180:181], v[98:99]
	v_fmac_f64_e32 v[228:229], v[182:183], v[96:97]
	s_waitcnt vmcnt(8) lgkmcnt(1)
	v_mul_f64 v[224:225], v[184:185], v[102:103]
	v_mul_f64 v[194:195], v[198:199], v[194:195]
	v_add_f64 v[0:1], v[0:1], v[228:229]
	v_fmac_f64_e32 v[224:225], v[186:187], v[100:101]
	v_fma_f64 v[254:255], v[196:197], v[192:193], -v[194:195]
	s_waitcnt vmcnt(7) lgkmcnt(0)
	v_mul_f64 v[196:197], v[188:189], v[106:107]
	ds_read_b128 v[192:195], v2 offset:1520
	v_add_f64 v[0:1], v[0:1], v[224:225]
	v_fmac_f64_e32 v[196:197], v[190:191], v[104:105]
	v_add_f64 v[0:1], v[0:1], v[196:197]
	ds_read_b128 v[196:199], v2 offset:1536
	v_mul_f64 v[202:203], v[210:211], v[202:203]
	v_fma_f64 v[248:249], v[208:209], v[200:201], -v[202:203]
	ds_read_b128 v[200:203], v2 offset:1552
	s_waitcnt vmcnt(6) lgkmcnt(2)
	v_mul_f64 v[224:225], v[192:193], v[110:111]
	v_fmac_f64_e32 v[224:225], v[194:195], v[108:109]
	s_waitcnt vmcnt(5) lgkmcnt(1)
	v_mul_f64 v[208:209], v[196:197], v[114:115]
	v_add_f64 v[0:1], v[0:1], v[224:225]
	v_fmac_f64_e32 v[208:209], v[198:199], v[112:113]
	v_add_f64 v[208:209], v[0:1], v[208:209]
	v_mul_f64 v[0:1], v[222:223], v[206:207]
	v_fma_f64 v[0:1], v[220:221], v[204:205], -v[0:1]
	ds_read_b128 v[204:207], v2 offset:1568
	s_waitcnt vmcnt(4) lgkmcnt(1)
	v_mul_f64 v[210:211], v[200:201], v[118:119]
	v_fmac_f64_e32 v[210:211], v[202:203], v[116:117]
	v_add_f64 v[220:221], v[208:209], v[210:211]
	ds_read_b128 v[208:211], v2 offset:1584
	v_mul_f64 v[214:215], v[218:219], v[214:215]
	v_fma_f64 v[250:251], v[216:217], v[212:213], -v[214:215]
	ds_read_b128 v[212:215], v2 offset:1600
	s_waitcnt vmcnt(3) lgkmcnt(2)
	v_mul_f64 v[216:217], v[204:205], v[122:123]
	v_fmac_f64_e32 v[216:217], v[206:207], v[120:121]
	s_waitcnt vmcnt(2) lgkmcnt(1)
	v_mul_f64 v[218:219], v[208:209], v[130:131]
	v_add_f64 v[216:217], v[220:221], v[216:217]
	v_fmac_f64_e32 v[218:219], v[210:211], v[128:129]
	v_add_f64 v[216:217], v[216:217], v[218:219]
	s_waitcnt vmcnt(1) lgkmcnt(0)
	v_mul_f64 v[218:219], v[212:213], v[126:127]
	v_fmac_f64_e32 v[218:219], v[214:215], v[124:125]
	v_add_f64 v[220:221], v[216:217], v[218:219]
	ds_read_b128 v[216:219], v2 offset:1616
	ds_read_b128 v[224:227], v2 offset:1632
	scratch_load_dwordx4 v[232:235], off, off offset:832
	v_accvgpr_write_b32 a107, v1
	v_accvgpr_write_b32 a106, v0
	s_waitcnt vmcnt(1) lgkmcnt(1)
	v_mul_f64 v[222:223], v[216:217], v[134:135]
	v_fmac_f64_e32 v[222:223], v[218:219], v[132:133]
	v_add_f64 v[228:229], v[220:221], v[222:223]
	scratch_load_dwordx4 v[220:223], off, off offset:816
	v_mul_f64 v[6:7], v[42:43], v[6:7]
	v_fma_f64 v[4:5], v[40:41], v[4:5], -v[6:7]
	s_waitcnt vmcnt(0) lgkmcnt(0)
	v_mul_f64 v[230:231], v[224:225], v[222:223]
	v_fmac_f64_e32 v[230:231], v[226:227], v[220:221]
	v_add_f64 v[0:1], v[228:229], v[230:231]
	ds_read_b128 v[228:231], v2 offset:1648
	s_waitcnt lgkmcnt(0)
	v_mul_f64 v[2:3], v[228:229], v[234:235]
	v_fmac_f64_e32 v[2:3], v[230:231], v[232:233]
	v_add_f64 v[2:3], v[0:1], v[2:3]
	v_add_f64 v[0:1], v[240:241], 0
	;; [unrolled: 1-line block ×7, first 2 shown]
	scratch_load_dwordx4 v[236:239], off, off offset:192
	v_add_f64 v[0:1], v[0:1], v[252:253]
	v_add_f64 v[0:1], v[0:1], v[254:255]
	;; [unrolled: 1-line block ×3, first 2 shown]
	v_accvgpr_read_b32 v0, a106
	v_accvgpr_read_b32 v1, a107
	v_add_f64 v[0:1], v[252:253], v[0:1]
	v_add_f64 v[0:1], v[0:1], v[250:251]
	;; [unrolled: 1-line block ×3, first 2 shown]
	v_mul_f64 v[4:5], v[66:67], v[10:11]
	v_fma_f64 v[4:5], v[64:65], v[8:9], -v[4:5]
	v_add_f64 v[0:1], v[0:1], v[4:5]
	v_mul_f64 v[4:5], v[62:63], v[14:15]
	v_fma_f64 v[4:5], v[60:61], v[12:13], -v[4:5]
	v_add_f64 v[0:1], v[0:1], v[4:5]
	;; [unrolled: 3-line block ×28, first 2 shown]
	s_waitcnt vmcnt(0)
	v_add_f64 v[4:5], v[236:237], -v[0:1]
	v_accvgpr_read_b32 v0, a104
	v_add_f64 v[6:7], v[238:239], -v[2:3]
	v_cmp_lt_u32_e32 vcc, 10, v0
	scratch_store_dwordx4 off, v[4:7], off offset:192
	s_and_saveexec_b64 s[0:1], vcc
	s_cbranch_execz .LBB51_305
; %bb.304:
	scratch_load_dwordx4 v[2:5], off, s38
	v_mov_b32_e32 v6, 0
	v_mov_b32_e32 v7, v6
	;; [unrolled: 1-line block ×4, first 2 shown]
	v_accvgpr_read_b32 v0, a105
	scratch_store_dwordx4 off, v[6:9], off offset:176
	s_waitcnt vmcnt(1)
	ds_write_b128 v0, v[2:5]
.LBB51_305:
	s_or_b64 exec, exec, s[0:1]
	s_waitcnt lgkmcnt(0)
	; wave barrier
	scratch_load_dwordx4 v[112:115], off, off offset:192
	scratch_load_dwordx4 v[116:119], off, off offset:208
	;; [unrolled: 1-line block ×30, first 2 shown]
	v_mov_b32_e32 v2, 0
	ds_read_b128 v[144:147], v2 offset:1008
	ds_read_b128 v[156:159], v2 offset:1024
	;; [unrolled: 1-line block ×20, first 2 shown]
	s_waitcnt vmcnt(29) lgkmcnt(14)
	v_mul_f64 v[0:1], v[144:145], v[114:115]
	s_waitcnt vmcnt(28)
	v_mul_f64 v[88:89], v[156:157], v[118:119]
	v_fmac_f64_e32 v[0:1], v[146:147], v[112:113]
	s_waitcnt vmcnt(27)
	v_mul_f64 v[90:91], v[168:169], v[122:123]
	v_fmac_f64_e32 v[88:89], v[158:159], v[116:117]
	v_add_f64 v[0:1], v[0:1], 0
	s_waitcnt vmcnt(26)
	v_mul_f64 v[92:93], v[180:181], v[154:155]
	v_fmac_f64_e32 v[90:91], v[170:171], v[120:121]
	v_add_f64 v[0:1], v[0:1], v[88:89]
	;; [unrolled: 4-line block ×4, first 2 shown]
	s_waitcnt vmcnt(23) lgkmcnt(13)
	v_mul_f64 v[98:99], v[212:213], v[174:175]
	v_fmac_f64_e32 v[96:97], v[206:207], v[164:165]
	v_add_f64 v[0:1], v[0:1], v[94:95]
	s_waitcnt vmcnt(22) lgkmcnt(12)
	v_mul_f64 v[100:101], v[216:217], v[178:179]
	v_fmac_f64_e32 v[98:99], v[214:215], v[172:173]
	v_add_f64 v[0:1], v[0:1], v[96:97]
	;; [unrolled: 4-line block ×9, first 2 shown]
	v_fmac_f64_e32 v[126:127], v[82:83], v[8:9]
	v_add_f64 v[0:1], v[0:1], v[124:125]
	scratch_load_dwordx4 v[88:91], off, off offset:672
	s_waitcnt vmcnt(15) lgkmcnt(4)
	v_mul_f64 v[128:129], v[76:77], v[236:237]
	v_add_f64 v[0:1], v[0:1], v[126:127]
	ds_read_b128 v[124:127], v2 offset:1280
	v_fmac_f64_e32 v[128:129], v[78:79], v[234:235]
	v_add_f64 v[0:1], v[0:1], v[128:129]
	ds_read_b128 v[128:131], v2 offset:1296
	s_waitcnt vmcnt(14) lgkmcnt(5)
	v_mul_f64 v[92:93], v[72:73], v[18:19]
	v_fmac_f64_e32 v[92:93], v[74:75], v[16:17]
	v_add_f64 v[0:1], v[0:1], v[92:93]
	s_waitcnt vmcnt(13) lgkmcnt(1)
	v_mul_f64 v[96:97], v[124:125], v[22:23]
	scratch_load_dwordx4 v[92:95], off, off offset:688
	v_fmac_f64_e32 v[96:97], v[126:127], v[20:21]
	v_add_f64 v[0:1], v[0:1], v[96:97]
	s_waitcnt vmcnt(13) lgkmcnt(0)
	v_mul_f64 v[100:101], v[128:129], v[26:27]
	scratch_load_dwordx4 v[96:99], off, off offset:704
	v_fmac_f64_e32 v[100:101], v[130:131], v[24:25]
	v_add_f64 v[0:1], v[0:1], v[100:101]
	scratch_load_dwordx4 v[100:103], off, off offset:720
	s_waitcnt vmcnt(14)
	v_mul_f64 v[104:105], v[132:133], v[30:31]
	v_fmac_f64_e32 v[104:105], v[134:135], v[28:29]
	v_add_f64 v[0:1], v[0:1], v[104:105]
	s_waitcnt vmcnt(13)
	v_mul_f64 v[104:105], v[136:137], v[34:35]
	v_fmac_f64_e32 v[104:105], v[138:139], v[32:33]
	v_add_f64 v[0:1], v[0:1], v[104:105]
	scratch_load_dwordx4 v[104:107], off, off offset:736
	s_waitcnt vmcnt(13)
	v_mul_f64 v[108:109], v[140:141], v[38:39]
	v_fmac_f64_e32 v[108:109], v[142:143], v[36:37]
	v_add_f64 v[0:1], v[0:1], v[108:109]
	scratch_load_dwordx4 v[108:111], off, off offset:752
	v_mul_f64 v[114:115], v[146:147], v[114:115]
	v_fma_f64 v[240:241], v[144:145], v[112:113], -v[114:115]
	v_mul_f64 v[112:113], v[158:159], v[118:119]
	ds_read_b128 v[148:151], v2 offset:1360
	ds_read_b128 v[144:147], v2 offset:1376
	v_fma_f64 v[242:243], v[156:157], v[116:117], -v[112:113]
	scratch_load_dwordx4 v[116:119], off, off offset:768
	scratch_load_dwordx4 v[112:115], off, off offset:784
	v_mul_f64 v[122:123], v[170:171], v[122:123]
	v_fma_f64 v[244:245], v[168:169], v[120:121], -v[122:123]
	scratch_load_dwordx4 v[120:123], off, off offset:800
	s_waitcnt vmcnt(16) lgkmcnt(1)
	v_mul_f64 v[156:157], v[148:149], v[42:43]
	v_fmac_f64_e32 v[156:157], v[150:151], v[40:41]
	v_mul_f64 v[154:155], v[182:183], v[154:155]
	v_add_f64 v[0:1], v[0:1], v[156:157]
	v_fma_f64 v[246:247], v[180:181], v[152:153], -v[154:155]
	ds_read_b128 v[152:155], v2 offset:1392
	s_waitcnt vmcnt(15) lgkmcnt(1)
	v_mul_f64 v[156:157], v[144:145], v[46:47]
	v_fmac_f64_e32 v[156:157], v[146:147], v[44:45]
	v_add_f64 v[0:1], v[0:1], v[156:157]
	ds_read_b128 v[156:159], v2 offset:1408
	v_mul_f64 v[162:163], v[194:195], v[162:163]
	v_fma_f64 v[232:233], v[192:193], v[160:161], -v[162:163]
	ds_read_b128 v[160:163], v2 offset:1424
	s_waitcnt vmcnt(14) lgkmcnt(2)
	v_mul_f64 v[168:169], v[152:153], v[50:51]
	v_fmac_f64_e32 v[168:169], v[154:155], v[48:49]
	v_mul_f64 v[166:167], v[206:207], v[166:167]
	v_add_f64 v[0:1], v[0:1], v[168:169]
	s_waitcnt vmcnt(13) lgkmcnt(1)
	v_mul_f64 v[168:169], v[156:157], v[54:55]
	v_fma_f64 v[12:13], v[204:205], v[164:165], -v[166:167]
	ds_read_b128 v[164:167], v2 offset:1440
	v_accvgpr_write_b32 a109, v7
	v_fmac_f64_e32 v[168:169], v[158:159], v[52:53]
	v_accvgpr_write_b32 a108, v6
	v_accvgpr_write_b32 a107, v5
	;; [unrolled: 1-line block ×3, first 2 shown]
	v_add_f64 v[0:1], v[0:1], v[168:169]
	s_waitcnt vmcnt(12) lgkmcnt(1)
	v_mul_f64 v[6:7], v[160:161], v[58:59]
	ds_read_b128 v[168:171], v2 offset:1456
	v_fmac_f64_e32 v[6:7], v[162:163], v[56:57]
	v_accvgpr_write_b32 a113, v11
	v_add_f64 v[0:1], v[0:1], v[6:7]
	v_mul_f64 v[6:7], v[214:215], v[174:175]
	v_accvgpr_write_b32 a112, v10
	v_accvgpr_write_b32 a111, v9
	;; [unrolled: 1-line block ×3, first 2 shown]
	v_fma_f64 v[8:9], v[212:213], v[172:173], -v[6:7]
	s_waitcnt vmcnt(11) lgkmcnt(1)
	v_mul_f64 v[6:7], v[164:165], v[62:63]
	v_fmac_f64_e32 v[6:7], v[166:167], v[60:61]
	ds_read_b128 v[172:175], v2 offset:1472
	v_add_f64 v[0:1], v[0:1], v[6:7]
	s_waitcnt vmcnt(10) lgkmcnt(1)
	v_mul_f64 v[6:7], v[168:169], v[66:67]
	v_fmac_f64_e32 v[6:7], v[170:171], v[64:65]
	v_add_f64 v[0:1], v[0:1], v[6:7]
	v_mul_f64 v[6:7], v[218:219], v[178:179]
	v_fma_f64 v[10:11], v[216:217], v[176:177], -v[6:7]
	ds_read_b128 v[176:179], v2 offset:1488
	ds_read_b128 v[180:183], v2 offset:1504
	s_waitcnt vmcnt(9) lgkmcnt(2)
	v_mul_f64 v[6:7], v[172:173], v[70:71]
	v_fmac_f64_e32 v[6:7], v[174:175], v[68:69]
	v_add_f64 v[0:1], v[0:1], v[6:7]
	s_waitcnt vmcnt(8) lgkmcnt(1)
	v_mul_f64 v[6:7], v[176:177], v[90:91]
	v_fmac_f64_e32 v[6:7], v[178:179], v[88:89]
	v_add_f64 v[0:1], v[0:1], v[6:7]
	v_mul_f64 v[6:7], v[222:223], v[186:187]
	v_fma_f64 v[4:5], v[220:221], v[184:185], -v[6:7]
	ds_read_b128 v[184:187], v2 offset:1520
	v_mul_f64 v[6:7], v[226:227], v[190:191]
	v_fma_f64 v[6:7], v[224:225], v[188:189], -v[6:7]
	ds_read_b128 v[188:191], v2 offset:1536
	s_waitcnt vmcnt(7) lgkmcnt(2)
	v_mul_f64 v[14:15], v[180:181], v[94:95]
	v_fmac_f64_e32 v[14:15], v[182:183], v[92:93]
	v_add_f64 v[0:1], v[0:1], v[14:15]
	s_waitcnt vmcnt(6) lgkmcnt(1)
	v_mul_f64 v[14:15], v[184:185], v[98:99]
	v_fmac_f64_e32 v[14:15], v[186:187], v[96:97]
	v_add_f64 v[0:1], v[0:1], v[14:15]
	s_waitcnt vmcnt(5) lgkmcnt(0)
	v_mul_f64 v[14:15], v[188:189], v[102:103]
	ds_read_b128 v[192:195], v2 offset:1552
	v_fmac_f64_e32 v[14:15], v[190:191], v[100:101]
	v_add_f64 v[14:15], v[0:1], v[14:15]
	v_mul_f64 v[0:1], v[230:231], v[198:199]
	v_fma_f64 v[0:1], v[228:229], v[196:197], -v[0:1]
	ds_read_b128 v[196:199], v2 offset:1568
	v_mul_f64 v[202:203], v[250:251], v[202:203]
	s_waitcnt vmcnt(4) lgkmcnt(1)
	v_mul_f64 v[204:205], v[192:193], v[106:107]
	v_fma_f64 v[238:239], v[248:249], v[200:201], -v[202:203]
	ds_read_b128 v[200:203], v2 offset:1584
	v_fmac_f64_e32 v[204:205], v[194:195], v[104:105]
	v_add_f64 v[14:15], v[14:15], v[204:205]
	ds_read_b128 v[204:207], v2 offset:1600
	s_waitcnt vmcnt(3) lgkmcnt(2)
	v_mul_f64 v[212:213], v[196:197], v[110:111]
	v_mul_f64 v[210:211], v[254:255], v[210:211]
	v_fmac_f64_e32 v[212:213], v[198:199], v[108:109]
	v_fma_f64 v[248:249], v[252:253], v[208:209], -v[210:211]
	ds_read_b128 v[208:211], v2 offset:1616
	ds_read_b128 v[216:219], v2 offset:1632
	v_add_f64 v[14:15], v[14:15], v[212:213]
	s_waitcnt vmcnt(2) lgkmcnt(3)
	v_mul_f64 v[212:213], v[200:201], v[118:119]
	v_fmac_f64_e32 v[212:213], v[202:203], v[116:117]
	v_add_f64 v[14:15], v[14:15], v[212:213]
	s_waitcnt vmcnt(1) lgkmcnt(2)
	v_mul_f64 v[212:213], v[204:205], v[114:115]
	v_fmac_f64_e32 v[212:213], v[206:207], v[112:113]
	;; [unrolled: 4-line block ×3, first 2 shown]
	v_add_f64 v[14:15], v[14:15], v[212:213]
	scratch_load_dwordx4 v[212:215], off, off offset:816
	ds_read_b128 v[224:227], v2 offset:1648
	s_waitcnt vmcnt(0) lgkmcnt(1)
	v_mul_f64 v[220:221], v[216:217], v[214:215]
	v_fmac_f64_e32 v[220:221], v[218:219], v[212:213]
	v_add_f64 v[14:15], v[14:15], v[220:221]
	scratch_load_dwordx4 v[220:223], off, off offset:832
	s_waitcnt vmcnt(0) lgkmcnt(0)
	v_mul_f64 v[228:229], v[224:225], v[222:223]
	v_fmac_f64_e32 v[228:229], v[226:227], v[220:221]
	v_add_f64 v[252:253], v[14:15], v[228:229]
	scratch_load_dwordx4 v[228:231], off, off offset:176
	v_add_f64 v[14:15], v[240:241], 0
	v_add_f64 v[14:15], v[14:15], v[242:243]
	;; [unrolled: 1-line block ×10, first 2 shown]
	v_accvgpr_read_b32 v6, a106
	v_accvgpr_read_b32 v8, a108
	;; [unrolled: 1-line block ×3, first 2 shown]
	v_add_f64 v[0:1], v[4:5], v[0:1]
	v_accvgpr_read_b32 v7, a107
	v_mul_f64 v[4:5], v[86:87], v[8:9]
	v_add_f64 v[0:1], v[0:1], v[238:239]
	v_fma_f64 v[4:5], v[84:85], v[6:7], -v[4:5]
	v_accvgpr_read_b32 v6, a110
	v_add_f64 v[0:1], v[0:1], v[248:249]
	v_accvgpr_read_b32 v8, a112
	v_accvgpr_read_b32 v9, a113
	v_add_f64 v[0:1], v[0:1], v[4:5]
	v_accvgpr_read_b32 v7, a111
	v_mul_f64 v[4:5], v[82:83], v[8:9]
	v_fma_f64 v[4:5], v[80:81], v[6:7], -v[4:5]
	v_add_f64 v[0:1], v[0:1], v[4:5]
	v_mul_f64 v[4:5], v[78:79], v[236:237]
	v_fma_f64 v[4:5], v[76:77], v[234:235], -v[4:5]
	v_add_f64 v[0:1], v[0:1], v[4:5]
	;; [unrolled: 3-line block ×27, first 2 shown]
	s_waitcnt vmcnt(0)
	v_add_f64 v[4:5], v[228:229], -v[0:1]
	v_accvgpr_read_b32 v0, a104
	v_add_f64 v[6:7], v[230:231], -v[252:253]
	v_cmp_lt_u32_e32 vcc, 9, v0
	scratch_store_dwordx4 off, v[4:7], off offset:176
	s_and_saveexec_b64 s[0:1], vcc
	s_cbranch_execz .LBB51_307
; %bb.306:
	scratch_load_dwordx4 v[6:9], off, s37
	v_mov_b32_e32 v3, v2
	v_mov_b32_e32 v4, v2
	;; [unrolled: 1-line block ×3, first 2 shown]
	v_accvgpr_read_b32 v0, a105
	scratch_store_dwordx4 off, v[2:5], off offset:160
	s_waitcnt vmcnt(1)
	ds_write_b128 v0, v[6:9]
.LBB51_307:
	s_or_b64 exec, exec, s[0:1]
	s_waitcnt lgkmcnt(0)
	; wave barrier
	scratch_load_dwordx4 v[88:91], off, off offset:176
	scratch_load_dwordx4 v[92:95], off, off offset:192
	;; [unrolled: 1-line block ×17, first 2 shown]
	ds_read_b128 v[212:215], v2 offset:992
	ds_read_b128 v[204:207], v2 offset:1008
	;; [unrolled: 1-line block ×3, first 2 shown]
	scratch_load_dwordx4 v[20:23], off, off offset:448
	ds_read_b128 v[216:219], v2 offset:1040
	ds_read_b128 v[208:211], v2 offset:1056
	;; [unrolled: 1-line block ×5, first 2 shown]
	scratch_load_dwordx4 v[24:27], off, off offset:464
	ds_read_b128 v[180:183], v2 offset:1120
	ds_read_b128 v[160:163], v2 offset:1136
	;; [unrolled: 1-line block ×3, first 2 shown]
	scratch_load_dwordx4 v[28:31], off, off offset:480
	ds_read_b128 v[172:175], v2 offset:1168
	ds_read_b128 v[148:151], v2 offset:1184
	;; [unrolled: 1-line block ×5, first 2 shown]
	scratch_load_dwordx4 v[36:39], off, off offset:496
	ds_read_b128 v[48:51], v2 offset:1248
	scratch_load_dwordx4 v[52:55], off, off offset:512
	scratch_load_dwordx4 v[56:59], off, off offset:528
	;; [unrolled: 1-line block ×9, first 2 shown]
	ds_read_b128 v[140:143], v2 offset:1264
	ds_read_b128 v[232:235], v2 offset:1328
	;; [unrolled: 1-line block ×3, first 2 shown]
	s_waitcnt vmcnt(29) lgkmcnt(14)
	v_mul_f64 v[0:1], v[212:213], v[90:91]
	s_waitcnt vmcnt(28)
	v_mul_f64 v[152:153], v[204:205], v[94:95]
	v_fmac_f64_e32 v[0:1], v[214:215], v[88:89]
	s_waitcnt vmcnt(27)
	v_mul_f64 v[154:155], v[196:197], v[98:99]
	v_fmac_f64_e32 v[152:153], v[206:207], v[92:93]
	v_add_f64 v[0:1], v[0:1], 0
	s_waitcnt vmcnt(26)
	v_mul_f64 v[164:165], v[216:217], v[102:103]
	v_fmac_f64_e32 v[154:155], v[198:199], v[96:97]
	v_add_f64 v[0:1], v[0:1], v[152:153]
	;; [unrolled: 4-line block ×4, first 2 shown]
	s_waitcnt vmcnt(23) lgkmcnt(13)
	v_mul_f64 v[170:171], v[184:185], v[114:115]
	v_fmac_f64_e32 v[168:169], v[202:203], v[108:109]
	v_add_f64 v[0:1], v[0:1], v[166:167]
	s_waitcnt vmcnt(22) lgkmcnt(12)
	v_mul_f64 v[176:177], v[156:157], v[118:119]
	v_fmac_f64_e32 v[170:171], v[186:187], v[112:113]
	v_add_f64 v[0:1], v[0:1], v[168:169]
	;; [unrolled: 4-line block ×10, first 2 shown]
	v_fmac_f64_e32 v[224:225], v[34:35], v[12:13]
	v_add_f64 v[0:1], v[0:1], v[222:223]
	ds_read_b128 v[220:223], v2 offset:1280
	v_add_f64 v[0:1], v[0:1], v[224:225]
	ds_read_b128 v[224:227], v2 offset:1296
	s_waitcnt vmcnt(13) lgkmcnt(5)
	v_mul_f64 v[164:165], v[48:49], v[18:19]
	scratch_load_dwordx4 v[152:155], off, off offset:656
	v_fmac_f64_e32 v[164:165], v[50:51], v[16:17]
	s_waitcnt vmcnt(13) lgkmcnt(4)
	v_mul_f64 v[168:169], v[140:141], v[22:23]
	v_add_f64 v[0:1], v[0:1], v[164:165]
	v_fmac_f64_e32 v[168:169], v[142:143], v[20:21]
	scratch_load_dwordx4 v[164:167], off, off offset:672
	v_add_f64 v[0:1], v[0:1], v[168:169]
	s_waitcnt vmcnt(13) lgkmcnt(1)
	v_mul_f64 v[176:177], v[220:221], v[26:27]
	scratch_load_dwordx4 v[168:171], off, off offset:688
	v_fmac_f64_e32 v[176:177], v[222:223], v[24:25]
	s_waitcnt vmcnt(13) lgkmcnt(0)
	v_mul_f64 v[188:189], v[224:225], v[30:31]
	v_add_f64 v[0:1], v[0:1], v[176:177]
	scratch_load_dwordx4 v[176:179], off, off offset:704
	v_fmac_f64_e32 v[188:189], v[226:227], v[28:29]
	v_add_f64 v[0:1], v[0:1], v[188:189]
	s_waitcnt vmcnt(13)
	v_mul_f64 v[188:189], v[228:229], v[38:39]
	v_fmac_f64_e32 v[188:189], v[230:231], v[36:37]
	v_add_f64 v[0:1], v[0:1], v[188:189]
	scratch_load_dwordx4 v[188:191], off, off offset:720
	s_waitcnt vmcnt(13)
	v_mul_f64 v[192:193], v[232:233], v[54:55]
	v_fmac_f64_e32 v[192:193], v[234:235], v[52:53]
	v_mul_f64 v[90:91], v[214:215], v[90:91]
	v_add_f64 v[0:1], v[0:1], v[192:193]
	scratch_load_dwordx4 v[192:195], off, off offset:736
	v_fma_f64 v[240:241], v[212:213], v[88:89], -v[90:91]
	v_mul_f64 v[88:89], v[206:207], v[94:95]
	ds_read_b128 v[236:239], v2 offset:1344
	ds_read_b128 v[212:215], v2 offset:1360
	v_fma_f64 v[242:243], v[204:205], v[92:93], -v[88:89]
	scratch_load_dwordx4 v[92:95], off, off offset:752
	scratch_load_dwordx4 v[88:91], off, off offset:768
	v_mul_f64 v[98:99], v[198:199], v[98:99]
	v_fma_f64 v[244:245], v[196:197], v[96:97], -v[98:99]
	scratch_load_dwordx4 v[96:99], off, off offset:784
	s_waitcnt vmcnt(16) lgkmcnt(1)
	v_mul_f64 v[204:205], v[236:237], v[58:59]
	v_mul_f64 v[102:103], v[218:219], v[102:103]
	v_fmac_f64_e32 v[204:205], v[238:239], v[56:57]
	v_fma_f64 v[216:217], v[216:217], v[100:101], -v[102:103]
	ds_read_b128 v[100:103], v2 offset:1376
	s_waitcnt vmcnt(15) lgkmcnt(1)
	v_mul_f64 v[196:197], v[212:213], v[62:63]
	v_add_f64 v[0:1], v[0:1], v[204:205]
	v_fmac_f64_e32 v[196:197], v[214:215], v[60:61]
	v_add_f64 v[0:1], v[0:1], v[196:197]
	ds_read_b128 v[196:199], v2 offset:1392
	v_mul_f64 v[106:107], v[210:211], v[106:107]
	v_fma_f64 v[218:219], v[208:209], v[104:105], -v[106:107]
	ds_read_b128 v[104:107], v2 offset:1408
	s_waitcnt vmcnt(14) lgkmcnt(2)
	v_mul_f64 v[204:205], v[100:101], v[66:67]
	v_fmac_f64_e32 v[204:205], v[102:103], v[64:65]
	v_add_f64 v[0:1], v[0:1], v[204:205]
	s_waitcnt vmcnt(13) lgkmcnt(1)
	v_mul_f64 v[204:205], v[196:197], v[70:71]
	v_mul_f64 v[110:111], v[202:203], v[110:111]
	v_fmac_f64_e32 v[204:205], v[198:199], v[68:69]
	v_fma_f64 v[246:247], v[200:201], v[108:109], -v[110:111]
	ds_read_b128 v[108:111], v2 offset:1424
	s_waitcnt vmcnt(12) lgkmcnt(1)
	v_mul_f64 v[200:201], v[104:105], v[74:75]
	v_add_f64 v[0:1], v[0:1], v[204:205]
	v_fmac_f64_e32 v[200:201], v[106:107], v[72:73]
	v_add_f64 v[0:1], v[0:1], v[200:201]
	ds_read_b128 v[200:203], v2 offset:1440
	v_mul_f64 v[114:115], v[186:187], v[114:115]
	v_fma_f64 v[252:253], v[184:185], v[112:113], -v[114:115]
	ds_read_b128 v[112:115], v2 offset:1456
	s_waitcnt vmcnt(11) lgkmcnt(2)
	v_mul_f64 v[184:185], v[108:109], v[78:79]
	v_fmac_f64_e32 v[184:185], v[110:111], v[76:77]
	v_add_f64 v[0:1], v[0:1], v[184:185]
	s_waitcnt vmcnt(10) lgkmcnt(1)
	v_mul_f64 v[184:185], v[200:201], v[82:83]
	v_mul_f64 v[118:119], v[158:159], v[118:119]
	v_fmac_f64_e32 v[184:185], v[202:203], v[80:81]
	v_fma_f64 v[254:255], v[156:157], v[116:117], -v[118:119]
	s_waitcnt vmcnt(9) lgkmcnt(0)
	v_mul_f64 v[156:157], v[112:113], v[86:87]
	v_add_f64 v[0:1], v[0:1], v[184:185]
	ds_read_b128 v[116:119], v2 offset:1472
	v_fmac_f64_e32 v[156:157], v[114:115], v[84:85]
	v_add_f64 v[0:1], v[0:1], v[156:157]
	ds_read_b128 v[156:159], v2 offset:1488
	v_mul_f64 v[122:123], v[182:183], v[122:123]
	v_fma_f64 v[248:249], v[180:181], v[120:121], -v[122:123]
	ds_read_b128 v[120:123], v2 offset:1504
	v_accvgpr_write_b32 a109, v7
	v_mul_f64 v[126:127], v[162:163], v[126:127]
	v_accvgpr_write_b32 a108, v6
	v_accvgpr_write_b32 a107, v5
	;; [unrolled: 1-line block ×3, first 2 shown]
	v_fma_f64 v[4:5], v[160:161], v[124:125], -v[126:127]
	ds_read_b128 v[124:127], v2 offset:1520
	s_waitcnt vmcnt(8) lgkmcnt(3)
	v_mul_f64 v[184:185], v[116:117], v[154:155]
	v_fmac_f64_e32 v[184:185], v[118:119], v[152:153]
	s_waitcnt vmcnt(7) lgkmcnt(2)
	v_mul_f64 v[180:181], v[156:157], v[166:167]
	v_add_f64 v[0:1], v[0:1], v[184:185]
	v_fmac_f64_e32 v[180:181], v[158:159], v[164:165]
	s_waitcnt vmcnt(6) lgkmcnt(1)
	v_mul_f64 v[6:7], v[120:121], v[170:171]
	ds_read_b128 v[160:163], v2 offset:1536
	v_add_f64 v[0:1], v[0:1], v[180:181]
	v_fmac_f64_e32 v[6:7], v[122:123], v[168:169]
	v_add_f64 v[0:1], v[0:1], v[6:7]
	s_waitcnt vmcnt(5) lgkmcnt(1)
	v_mul_f64 v[6:7], v[124:125], v[178:179]
	v_fmac_f64_e32 v[6:7], v[126:127], v[176:177]
	v_add_f64 v[0:1], v[0:1], v[6:7]
	v_mul_f64 v[6:7], v[146:147], v[130:131]
	v_fma_f64 v[6:7], v[144:145], v[128:129], -v[6:7]
	ds_read_b128 v[128:131], v2 offset:1552
	s_waitcnt vmcnt(4) lgkmcnt(1)
	v_mul_f64 v[144:145], v[160:161], v[190:191]
	v_fmac_f64_e32 v[144:145], v[162:163], v[188:189]
	v_add_f64 v[180:181], v[0:1], v[144:145]
	v_mul_f64 v[0:1], v[174:175], v[134:135]
	v_fma_f64 v[0:1], v[172:173], v[132:133], -v[0:1]
	ds_read_b128 v[132:135], v2 offset:1568
	ds_read_b128 v[144:147], v2 offset:1584
	v_mul_f64 v[138:139], v[150:151], v[138:139]
	v_fma_f64 v[250:251], v[148:149], v[136:137], -v[138:139]
	ds_read_b128 v[136:139], v2 offset:1600
	s_waitcnt vmcnt(3) lgkmcnt(3)
	v_mul_f64 v[172:173], v[128:129], v[194:195]
	v_fmac_f64_e32 v[172:173], v[130:131], v[192:193]
	s_waitcnt vmcnt(2) lgkmcnt(2)
	v_mul_f64 v[148:149], v[132:133], v[94:95]
	v_add_f64 v[172:173], v[180:181], v[172:173]
	v_fmac_f64_e32 v[148:149], v[134:135], v[92:93]
	s_waitcnt vmcnt(1) lgkmcnt(1)
	v_mul_f64 v[150:151], v[144:145], v[90:91]
	v_add_f64 v[148:149], v[172:173], v[148:149]
	v_fmac_f64_e32 v[150:151], v[146:147], v[88:89]
	v_add_f64 v[148:149], v[148:149], v[150:151]
	ds_read_b128 v[172:175], v2 offset:1616
	scratch_load_dwordx4 v[208:211], off, off offset:832
	s_waitcnt vmcnt(1) lgkmcnt(1)
	v_mul_f64 v[150:151], v[136:137], v[98:99]
	v_fmac_f64_e32 v[150:151], v[138:139], v[96:97]
	v_add_f64 v[180:181], v[148:149], v[150:151]
	scratch_load_dwordx4 v[148:151], off, off offset:800
	ds_read_b128 v[184:187], v2 offset:1632
	v_accvgpr_write_b32 a111, v1
	v_accvgpr_write_b32 a110, v0
	s_waitcnt vmcnt(0) lgkmcnt(1)
	v_mul_f64 v[182:183], v[172:173], v[150:151]
	v_fmac_f64_e32 v[182:183], v[174:175], v[148:149]
	v_add_f64 v[204:205], v[180:181], v[182:183]
	scratch_load_dwordx4 v[180:183], off, off offset:816
	s_waitcnt vmcnt(0) lgkmcnt(0)
	v_mul_f64 v[206:207], v[184:185], v[182:183]
	v_fmac_f64_e32 v[206:207], v[186:187], v[180:181]
	v_add_f64 v[0:1], v[204:205], v[206:207]
	ds_read_b128 v[204:207], v2 offset:1648
	s_waitcnt lgkmcnt(0)
	v_mul_f64 v[2:3], v[204:205], v[210:211]
	v_fmac_f64_e32 v[2:3], v[206:207], v[208:209]
	v_add_f64 v[2:3], v[0:1], v[2:3]
	v_add_f64 v[0:1], v[240:241], 0
	;; [unrolled: 1-line block ×6, first 2 shown]
	scratch_load_dwordx4 v[216:219], off, off offset:160
	v_add_f64 v[0:1], v[0:1], v[246:247]
	v_add_f64 v[0:1], v[0:1], v[252:253]
	;; [unrolled: 1-line block ×6, first 2 shown]
	v_accvgpr_read_b32 v0, a110
	v_accvgpr_read_b32 v243, a109
	;; [unrolled: 1-line block ×4, first 2 shown]
	v_add_f64 v[0:1], v[252:253], v[0:1]
	v_accvgpr_read_b32 v241, a107
	v_accvgpr_read_b32 v240, a106
	v_mul_f64 v[4:5], v[46:47], v[242:243]
	v_add_f64 v[0:1], v[0:1], v[250:251]
	v_fma_f64 v[4:5], v[44:45], v[240:241], -v[4:5]
	v_add_f64 v[0:1], v[0:1], v[4:5]
	v_mul_f64 v[4:5], v[42:43], v[10:11]
	v_fma_f64 v[4:5], v[40:41], v[8:9], -v[4:5]
	v_add_f64 v[0:1], v[0:1], v[4:5]
	v_mul_f64 v[4:5], v[34:35], v[14:15]
	;; [unrolled: 3-line block ×28, first 2 shown]
	v_fma_f64 v[4:5], v[204:205], v[208:209], -v[4:5]
	v_add_f64 v[0:1], v[0:1], v[4:5]
	s_waitcnt vmcnt(0)
	v_add_f64 v[4:5], v[216:217], -v[0:1]
	v_accvgpr_read_b32 v0, a104
	v_add_f64 v[6:7], v[218:219], -v[2:3]
	v_cmp_lt_u32_e32 vcc, 8, v0
	scratch_store_dwordx4 off, v[4:7], off offset:160
	s_and_saveexec_b64 s[0:1], vcc
	s_cbranch_execz .LBB51_309
; %bb.308:
	scratch_load_dwordx4 v[2:5], off, s36
	v_mov_b32_e32 v6, 0
	v_mov_b32_e32 v7, v6
	;; [unrolled: 1-line block ×4, first 2 shown]
	v_accvgpr_read_b32 v0, a105
	scratch_store_dwordx4 off, v[6:9], off offset:144
	s_waitcnt vmcnt(1)
	ds_write_b128 v0, v[2:5]
.LBB51_309:
	s_or_b64 exec, exec, s[0:1]
	s_waitcnt lgkmcnt(0)
	; wave barrier
	scratch_load_dwordx4 v[96:99], off, off offset:160
	scratch_load_dwordx4 v[100:103], off, off offset:176
	;; [unrolled: 1-line block ×30, first 2 shown]
	v_mov_b32_e32 v2, 0
	ds_read_b128 v[136:139], v2 offset:976
	ds_read_b128 v[144:147], v2 offset:992
	ds_read_b128 v[148:151], v2 offset:1008
	ds_read_b128 v[164:167], v2 offset:1024
	ds_read_b128 v[176:179], v2 offset:1040
	ds_read_b128 v[188:191], v2 offset:1056
	ds_read_b128 v[200:203], v2 offset:1072
	ds_read_b128 v[208:211], v2 offset:1088
	ds_read_b128 v[212:215], v2 offset:1104
	ds_read_b128 v[216:219], v2 offset:1120
	ds_read_b128 v[220:223], v2 offset:1136
	ds_read_b128 v[224:227], v2 offset:1152
	ds_read_b128 v[228:231], v2 offset:1168
	ds_read_b128 v[248:251], v2 offset:1184
	ds_read_b128 v[252:255], v2 offset:1200
	ds_read_b128 v[68:71], v2 offset:1216
	ds_read_b128 v[64:67], v2 offset:1232
	ds_read_b128 v[124:127], v2 offset:1280
	ds_read_b128 v[128:131], v2 offset:1296
	ds_read_b128 v[132:135], v2 offset:1312
	s_waitcnt vmcnt(29) lgkmcnt(14)
	v_mul_f64 v[0:1], v[136:137], v[98:99]
	s_waitcnt vmcnt(28)
	v_mul_f64 v[72:73], v[144:145], v[102:103]
	v_fmac_f64_e32 v[0:1], v[138:139], v[96:97]
	s_waitcnt vmcnt(27)
	v_mul_f64 v[74:75], v[148:149], v[106:107]
	v_fmac_f64_e32 v[72:73], v[146:147], v[100:101]
	v_add_f64 v[0:1], v[0:1], 0
	s_waitcnt vmcnt(26)
	v_mul_f64 v[76:77], v[164:165], v[110:111]
	v_fmac_f64_e32 v[74:75], v[150:151], v[104:105]
	v_add_f64 v[0:1], v[0:1], v[72:73]
	;; [unrolled: 4-line block ×4, first 2 shown]
	s_waitcnt vmcnt(23) lgkmcnt(13)
	v_mul_f64 v[82:83], v[200:201], v[158:159]
	v_fmac_f64_e32 v[80:81], v[190:191], v[152:153]
	v_add_f64 v[0:1], v[0:1], v[78:79]
	s_waitcnt vmcnt(22) lgkmcnt(12)
	v_mul_f64 v[84:85], v[208:209], v[162:163]
	v_fmac_f64_e32 v[82:83], v[202:203], v[156:157]
	v_add_f64 v[0:1], v[0:1], v[80:81]
	;; [unrolled: 4-line block ×9, first 2 shown]
	s_waitcnt vmcnt(14) lgkmcnt(4)
	v_mul_f64 v[120:121], v[68:69], v[6:7]
	v_fmac_f64_e32 v[118:119], v[254:255], v[204:205]
	v_accvgpr_write_b32 a109, v7
	v_add_f64 v[0:1], v[0:1], v[116:117]
	v_fmac_f64_e32 v[120:121], v[70:71], v[4:5]
	v_accvgpr_write_b32 a108, v6
	v_accvgpr_write_b32 a107, v5
	;; [unrolled: 1-line block ×3, first 2 shown]
	v_add_f64 v[0:1], v[0:1], v[118:119]
	ds_read_b128 v[116:119], v2 offset:1248
	s_waitcnt vmcnt(13)
	v_mov_b64_e32 v[4:5], v[8:9]
	v_mov_b64_e32 v[6:7], v[10:11]
	s_waitcnt lgkmcnt(4)
	v_mul_f64 v[76:77], v[64:65], v[6:7]
	scratch_load_dwordx4 v[72:75], off, off offset:640
	v_add_f64 v[0:1], v[0:1], v[120:121]
	v_fmac_f64_e32 v[76:77], v[66:67], v[4:5]
	s_waitcnt vmcnt(13)
	v_mov_b64_e32 v[4:5], v[12:13]
	v_add_f64 v[0:1], v[0:1], v[76:77]
	v_mov_b64_e32 v[6:7], v[14:15]
	scratch_load_dwordx4 v[76:79], off, off offset:656
	ds_read_b128 v[120:123], v2 offset:1264
	s_waitcnt lgkmcnt(1)
	v_mul_f64 v[80:81], v[116:117], v[6:7]
	v_fmac_f64_e32 v[80:81], v[118:119], v[4:5]
	v_add_f64 v[0:1], v[0:1], v[80:81]
	scratch_load_dwordx4 v[80:83], off, off offset:672
	s_waitcnt vmcnt(14) lgkmcnt(0)
	v_mul_f64 v[84:85], v[120:121], v[236:237]
	v_fmac_f64_e32 v[84:85], v[122:123], v[234:235]
	s_waitcnt vmcnt(13)
	v_mul_f64 v[88:89], v[124:125], v[22:23]
	v_add_f64 v[0:1], v[0:1], v[84:85]
	v_fmac_f64_e32 v[88:89], v[126:127], v[20:21]
	scratch_load_dwordx4 v[84:87], off, off offset:688
	v_add_f64 v[0:1], v[0:1], v[88:89]
	s_waitcnt vmcnt(13)
	v_mul_f64 v[88:89], v[128:129], v[26:27]
	v_fmac_f64_e32 v[88:89], v[130:131], v[24:25]
	v_add_f64 v[0:1], v[0:1], v[88:89]
	scratch_load_dwordx4 v[88:91], off, off offset:704
	s_waitcnt vmcnt(13)
	v_mul_f64 v[92:93], v[132:133], v[30:31]
	v_fmac_f64_e32 v[92:93], v[134:135], v[28:29]
	v_add_f64 v[0:1], v[0:1], v[92:93]
	scratch_load_dwordx4 v[92:95], off, off offset:720
	v_mul_f64 v[98:99], v[138:139], v[98:99]
	v_fma_f64 v[240:241], v[136:137], v[96:97], -v[98:99]
	v_mul_f64 v[96:97], v[146:147], v[102:103]
	ds_read_b128 v[140:143], v2 offset:1328
	ds_read_b128 v[136:139], v2 offset:1344
	v_fma_f64 v[242:243], v[144:145], v[100:101], -v[96:97]
	scratch_load_dwordx4 v[100:103], off, off offset:736
	scratch_load_dwordx4 v[96:99], off, off offset:752
	s_waitcnt vmcnt(15) lgkmcnt(1)
	v_mul_f64 v[144:145], v[140:141], v[34:35]
	v_fmac_f64_e32 v[144:145], v[142:143], v[32:33]
	v_mul_f64 v[106:107], v[150:151], v[106:107]
	v_add_f64 v[0:1], v[0:1], v[144:145]
	s_waitcnt vmcnt(14) lgkmcnt(0)
	v_mul_f64 v[144:145], v[136:137], v[38:39]
	v_fma_f64 v[244:245], v[148:149], v[104:105], -v[106:107]
	v_mul_f64 v[104:105], v[166:167], v[110:111]
	v_fmac_f64_e32 v[144:145], v[138:139], v[36:37]
	v_fma_f64 v[246:247], v[164:165], v[108:109], -v[104:105]
	scratch_load_dwordx4 v[104:107], off, off offset:768
	v_add_f64 v[0:1], v[0:1], v[144:145]
	ds_read_b128 v[144:147], v2 offset:1360
	ds_read_b128 v[148:151], v2 offset:1376
	v_mul_f64 v[108:109], v[178:179], v[114:115]
	v_fma_f64 v[232:233], v[176:177], v[112:113], -v[108:109]
	scratch_load_dwordx4 v[108:111], off, off offset:784
	s_waitcnt vmcnt(15) lgkmcnt(1)
	v_mul_f64 v[112:113], v[144:145], v[42:43]
	v_fmac_f64_e32 v[112:113], v[146:147], v[40:41]
	v_add_f64 v[0:1], v[0:1], v[112:113]
	v_mul_f64 v[112:113], v[190:191], v[154:155]
	v_fma_f64 v[16:17], v[188:189], v[152:153], -v[112:113]
	scratch_load_dwordx4 v[112:115], off, off offset:800
	ds_read_b128 v[152:155], v2 offset:1392
	s_waitcnt vmcnt(15) lgkmcnt(1)
	v_mul_f64 v[6:7], v[148:149], v[46:47]
	v_fmac_f64_e32 v[6:7], v[150:151], v[44:45]
	v_accvgpr_write_b32 a117, v15
	v_add_f64 v[0:1], v[0:1], v[6:7]
	v_mul_f64 v[6:7], v[202:203], v[158:159]
	v_accvgpr_write_b32 a116, v14
	v_accvgpr_write_b32 a115, v13
	;; [unrolled: 1-line block ×3, first 2 shown]
	v_fma_f64 v[12:13], v[200:201], v[156:157], -v[6:7]
	ds_read_b128 v[156:159], v2 offset:1408
	s_waitcnt vmcnt(14) lgkmcnt(1)
	v_mul_f64 v[6:7], v[152:153], v[50:51]
	v_fmac_f64_e32 v[6:7], v[154:155], v[48:49]
	v_accvgpr_write_b32 a113, v11
	v_add_f64 v[0:1], v[0:1], v[6:7]
	v_mul_f64 v[6:7], v[210:211], v[162:163]
	v_accvgpr_write_b32 a112, v10
	v_accvgpr_write_b32 a111, v9
	v_accvgpr_write_b32 a110, v8
	v_fma_f64 v[10:11], v[208:209], v[160:161], -v[6:7]
	ds_read_b128 v[160:163], v2 offset:1424
	ds_read_b128 v[164:167], v2 offset:1440
	s_waitcnt vmcnt(13) lgkmcnt(2)
	v_mul_f64 v[6:7], v[156:157], v[54:55]
	v_fmac_f64_e32 v[6:7], v[158:159], v[52:53]
	v_add_f64 v[0:1], v[0:1], v[6:7]
	s_waitcnt vmcnt(12) lgkmcnt(1)
	v_mul_f64 v[6:7], v[160:161], v[62:63]
	v_fmac_f64_e32 v[6:7], v[162:163], v[60:61]
	v_add_f64 v[0:1], v[0:1], v[6:7]
	v_mul_f64 v[6:7], v[214:215], v[170:171]
	v_fma_f64 v[8:9], v[212:213], v[168:169], -v[6:7]
	s_waitcnt vmcnt(11) lgkmcnt(0)
	v_mul_f64 v[6:7], v[164:165], v[58:59]
	v_fmac_f64_e32 v[6:7], v[166:167], v[56:57]
	ds_read_b128 v[168:171], v2 offset:1456
	v_add_f64 v[0:1], v[0:1], v[6:7]
	v_mul_f64 v[6:7], v[218:219], v[174:175]
	v_fma_f64 v[14:15], v[216:217], v[172:173], -v[6:7]
	ds_read_b128 v[172:175], v2 offset:1472
	s_waitcnt vmcnt(10) lgkmcnt(1)
	v_mul_f64 v[6:7], v[168:169], v[74:75]
	ds_read_b128 v[176:179], v2 offset:1488
	v_fmac_f64_e32 v[6:7], v[170:171], v[72:73]
	v_add_f64 v[0:1], v[0:1], v[6:7]
	s_waitcnt vmcnt(9) lgkmcnt(1)
	v_mul_f64 v[6:7], v[172:173], v[78:79]
	v_fmac_f64_e32 v[6:7], v[174:175], v[76:77]
	v_add_f64 v[0:1], v[0:1], v[6:7]
	v_mul_f64 v[6:7], v[222:223], v[182:183]
	v_fma_f64 v[4:5], v[220:221], v[180:181], -v[6:7]
	ds_read_b128 v[180:183], v2 offset:1504
	s_waitcnt vmcnt(8) lgkmcnt(1)
	v_mul_f64 v[6:7], v[176:177], v[82:83]
	v_fmac_f64_e32 v[6:7], v[178:179], v[80:81]
	v_add_f64 v[0:1], v[0:1], v[6:7]
	v_mul_f64 v[6:7], v[226:227], v[186:187]
	v_fma_f64 v[6:7], v[224:225], v[184:185], -v[6:7]
	ds_read_b128 v[184:187], v2 offset:1520
	ds_read_b128 v[188:191], v2 offset:1536
	s_waitcnt vmcnt(7) lgkmcnt(2)
	v_mul_f64 v[18:19], v[180:181], v[86:87]
	v_fmac_f64_e32 v[18:19], v[182:183], v[84:85]
	v_add_f64 v[0:1], v[0:1], v[18:19]
	s_waitcnt vmcnt(6) lgkmcnt(1)
	v_mul_f64 v[18:19], v[184:185], v[90:91]
	v_fmac_f64_e32 v[18:19], v[186:187], v[88:89]
	v_add_f64 v[18:19], v[0:1], v[18:19]
	v_mul_f64 v[0:1], v[230:231], v[194:195]
	v_fma_f64 v[0:1], v[228:229], v[192:193], -v[0:1]
	ds_read_b128 v[192:195], v2 offset:1552
	s_waitcnt vmcnt(5) lgkmcnt(1)
	v_mul_f64 v[200:201], v[188:189], v[94:95]
	v_fmac_f64_e32 v[200:201], v[190:191], v[92:93]
	v_mul_f64 v[198:199], v[250:251], v[198:199]
	v_fma_f64 v[238:239], v[248:249], v[196:197], -v[198:199]
	ds_read_b128 v[196:199], v2 offset:1568
	v_add_f64 v[18:19], v[18:19], v[200:201]
	s_waitcnt vmcnt(4) lgkmcnt(1)
	v_mul_f64 v[200:201], v[192:193], v[102:103]
	v_fmac_f64_e32 v[200:201], v[194:195], v[100:101]
	v_add_f64 v[18:19], v[18:19], v[200:201]
	ds_read_b128 v[200:203], v2 offset:1584
	v_mul_f64 v[206:207], v[254:255], v[206:207]
	v_fma_f64 v[248:249], v[252:253], v[204:205], -v[206:207]
	ds_read_b128 v[204:207], v2 offset:1600
	s_waitcnt vmcnt(3) lgkmcnt(2)
	v_mul_f64 v[208:209], v[196:197], v[98:99]
	v_fmac_f64_e32 v[208:209], v[198:199], v[96:97]
	v_add_f64 v[18:19], v[18:19], v[208:209]
	s_waitcnt vmcnt(2) lgkmcnt(1)
	v_mul_f64 v[208:209], v[200:201], v[106:107]
	v_fmac_f64_e32 v[208:209], v[202:203], v[104:105]
	v_add_f64 v[18:19], v[18:19], v[208:209]
	;; [unrolled: 4-line block ×3, first 2 shown]
	ds_read_b128 v[208:211], v2 offset:1616
	ds_read_b128 v[216:219], v2 offset:1632
	;; [unrolled: 1-line block ×3, first 2 shown]
	s_waitcnt vmcnt(0) lgkmcnt(2)
	v_mul_f64 v[212:213], v[208:209], v[114:115]
	v_fmac_f64_e32 v[212:213], v[210:211], v[112:113]
	v_add_f64 v[18:19], v[18:19], v[212:213]
	scratch_load_dwordx4 v[212:215], off, off offset:816
	s_waitcnt vmcnt(0) lgkmcnt(1)
	v_mul_f64 v[220:221], v[216:217], v[214:215]
	v_fmac_f64_e32 v[220:221], v[218:219], v[212:213]
	v_add_f64 v[18:19], v[18:19], v[220:221]
	scratch_load_dwordx4 v[220:223], off, off offset:832
	;; [unrolled: 5-line block ×3, first 2 shown]
	v_add_f64 v[18:19], v[240:241], 0
	v_add_f64 v[18:19], v[18:19], v[242:243]
	v_add_f64 v[18:19], v[18:19], v[244:245]
	v_add_f64 v[18:19], v[18:19], v[246:247]
	v_add_f64 v[18:19], v[18:19], v[232:233]
	v_add_f64 v[16:17], v[18:19], v[16:17]
	v_add_f64 v[12:13], v[16:17], v[12:13]
	v_add_f64 v[10:11], v[12:13], v[10:11]
	v_add_f64 v[8:9], v[10:11], v[8:9]
	v_add_f64 v[8:9], v[8:9], v[14:15]
	v_add_f64 v[250:251], v[8:9], v[4:5]
	v_add_f64 v[4:5], v[250:251], v[6:7]
	v_accvgpr_read_b32 v6, a106
	v_accvgpr_read_b32 v8, a108
	;; [unrolled: 1-line block ×3, first 2 shown]
	v_add_f64 v[0:1], v[4:5], v[0:1]
	v_accvgpr_read_b32 v7, a107
	v_mul_f64 v[4:5], v[70:71], v[8:9]
	v_add_f64 v[0:1], v[0:1], v[238:239]
	v_fma_f64 v[4:5], v[68:69], v[6:7], -v[4:5]
	v_accvgpr_read_b32 v6, a110
	v_add_f64 v[0:1], v[0:1], v[248:249]
	v_accvgpr_read_b32 v8, a112
	v_accvgpr_read_b32 v9, a113
	v_add_f64 v[0:1], v[0:1], v[4:5]
	v_accvgpr_read_b32 v7, a111
	v_mul_f64 v[4:5], v[66:67], v[8:9]
	v_fma_f64 v[4:5], v[64:65], v[6:7], -v[4:5]
	v_accvgpr_read_b32 v6, a114
	v_accvgpr_read_b32 v8, a116
	;; [unrolled: 1-line block ×3, first 2 shown]
	v_add_f64 v[0:1], v[0:1], v[4:5]
	v_accvgpr_read_b32 v7, a115
	v_mul_f64 v[4:5], v[118:119], v[8:9]
	v_fma_f64 v[4:5], v[116:117], v[6:7], -v[4:5]
	v_add_f64 v[0:1], v[0:1], v[4:5]
	v_mul_f64 v[4:5], v[122:123], v[236:237]
	v_fma_f64 v[4:5], v[120:121], v[234:235], -v[4:5]
	v_add_f64 v[0:1], v[0:1], v[4:5]
	;; [unrolled: 3-line block ×26, first 2 shown]
	s_waitcnt vmcnt(0)
	v_add_f64 v[4:5], v[228:229], -v[0:1]
	v_accvgpr_read_b32 v0, a104
	v_add_f64 v[6:7], v[230:231], -v[252:253]
	v_cmp_lt_u32_e32 vcc, 7, v0
	scratch_store_dwordx4 off, v[4:7], off offset:144
	s_and_saveexec_b64 s[0:1], vcc
	s_cbranch_execz .LBB51_311
; %bb.310:
	scratch_load_dwordx4 v[6:9], off, s35
	v_mov_b32_e32 v3, v2
	v_mov_b32_e32 v4, v2
	;; [unrolled: 1-line block ×3, first 2 shown]
	v_accvgpr_read_b32 v0, a105
	scratch_store_dwordx4 off, v[2:5], off offset:128
	s_waitcnt vmcnt(1)
	ds_write_b128 v0, v[6:9]
.LBB51_311:
	s_or_b64 exec, exec, s[0:1]
	s_waitcnt lgkmcnt(0)
	; wave barrier
	scratch_load_dwordx4 v[72:75], off, off offset:144
	scratch_load_dwordx4 v[76:79], off, off offset:160
	;; [unrolled: 1-line block ×17, first 2 shown]
	ds_read_b128 v[176:179], v2 offset:960
	ds_read_b128 v[192:195], v2 offset:976
	ds_read_b128 v[188:191], v2 offset:992
	scratch_load_dwordx4 v[20:23], off, off offset:416
	ds_read_b128 v[236:239], v2 offset:1008
	ds_read_b128 v[232:235], v2 offset:1024
	;; [unrolled: 1-line block ×5, first 2 shown]
	scratch_load_dwordx4 v[168:171], off, off offset:432
	ds_read_b128 v[224:227], v2 offset:1088
	ds_read_b128 v[212:215], v2 offset:1104
	;; [unrolled: 1-line block ×3, first 2 shown]
	scratch_load_dwordx4 v[12:15], off, off offset:448
	ds_read_b128 v[216:219], v2 offset:1136
	ds_read_b128 v[204:207], v2 offset:1152
	;; [unrolled: 1-line block ×5, first 2 shown]
	scratch_load_dwordx4 v[28:31], off, off offset:464
	ds_read_b128 v[32:35], v2 offset:1216
	scratch_load_dwordx4 v[36:39], off, off offset:480
	scratch_load_dwordx4 v[40:43], off, off offset:496
	;; [unrolled: 1-line block ×9, first 2 shown]
	ds_read_b128 v[132:135], v2 offset:1232
	s_waitcnt lgkmcnt(2)
	v_accvgpr_write_b32 a113, v19
	v_accvgpr_write_b32 a112, v18
	;; [unrolled: 1-line block ×4, first 2 shown]
	ds_read_b128 v[172:175], v2 offset:1296
	s_waitcnt vmcnt(29)
	v_mul_f64 v[0:1], v[176:177], v[74:75]
	s_waitcnt vmcnt(28)
	v_mul_f64 v[136:137], v[192:193], v[78:79]
	v_fmac_f64_e32 v[0:1], v[178:179], v[72:73]
	s_waitcnt vmcnt(27)
	v_mul_f64 v[138:139], v[188:189], v[82:83]
	v_fmac_f64_e32 v[136:137], v[194:195], v[76:77]
	v_add_f64 v[0:1], v[0:1], 0
	s_waitcnt vmcnt(26)
	v_mul_f64 v[140:141], v[236:237], v[86:87]
	v_fmac_f64_e32 v[138:139], v[190:191], v[80:81]
	v_add_f64 v[0:1], v[0:1], v[136:137]
	;; [unrolled: 4-line block ×14, first 2 shown]
	v_fmac_f64_e32 v[164:165], v[18:19], v[4:5]
	v_add_f64 v[0:1], v[0:1], v[162:163]
	s_waitcnt vmcnt(13) lgkmcnt(2)
	v_mul_f64 v[140:141], v[32:33], v[26:27]
	scratch_load_dwordx4 v[136:139], off, off offset:624
	v_add_f64 v[0:1], v[0:1], v[164:165]
	v_fmac_f64_e32 v[140:141], v[34:35], v[24:25]
	v_add_f64 v[0:1], v[0:1], v[140:141]
	ds_read_b128 v[160:163], v2 offset:1248
	scratch_load_dwordx4 v[140:143], off, off offset:640
	ds_read_b128 v[164:167], v2 offset:1264
	s_waitcnt vmcnt(13)
	v_mov_b64_e32 v[16:17], v[168:169]
	v_mov_b64_e32 v[18:19], v[170:171]
	ds_read_b128 v[168:171], v2 offset:1280
	s_waitcnt lgkmcnt(4)
	v_mul_f64 v[144:145], v[132:133], v[22:23]
	v_fmac_f64_e32 v[144:145], v[134:135], v[20:21]
	s_waitcnt lgkmcnt(2)
	v_mul_f64 v[148:149], v[160:161], v[18:19]
	v_add_f64 v[0:1], v[0:1], v[144:145]
	v_fmac_f64_e32 v[148:149], v[162:163], v[16:17]
	s_waitcnt vmcnt(12) lgkmcnt(1)
	v_mul_f64 v[152:153], v[164:165], v[14:15]
	scratch_load_dwordx4 v[144:147], off, off offset:656
	v_add_f64 v[0:1], v[0:1], v[148:149]
	v_fmac_f64_e32 v[152:153], v[166:167], v[12:13]
	scratch_load_dwordx4 v[148:151], off, off offset:672
	v_add_f64 v[0:1], v[0:1], v[152:153]
	s_waitcnt vmcnt(13) lgkmcnt(0)
	v_mul_f64 v[152:153], v[168:169], v[30:31]
	v_fmac_f64_e32 v[152:153], v[170:171], v[28:29]
	v_add_f64 v[0:1], v[0:1], v[152:153]
	scratch_load_dwordx4 v[152:155], off, off offset:688
	s_waitcnt vmcnt(13)
	v_mul_f64 v[156:157], v[172:173], v[38:39]
	v_fmac_f64_e32 v[156:157], v[174:175], v[36:37]
	v_mul_f64 v[74:75], v[178:179], v[74:75]
	v_add_f64 v[0:1], v[0:1], v[156:157]
	scratch_load_dwordx4 v[156:159], off, off offset:704
	v_fma_f64 v[240:241], v[176:177], v[72:73], -v[74:75]
	v_mul_f64 v[72:73], v[194:195], v[78:79]
	ds_read_b128 v[180:183], v2 offset:1312
	ds_read_b128 v[176:179], v2 offset:1328
	v_fma_f64 v[242:243], v[192:193], v[76:77], -v[72:73]
	scratch_load_dwordx4 v[76:79], off, off offset:720
	scratch_load_dwordx4 v[72:75], off, off offset:736
	v_mul_f64 v[82:83], v[190:191], v[82:83]
	v_fma_f64 v[244:245], v[188:189], v[80:81], -v[82:83]
	v_mul_f64 v[80:81], v[238:239], v[86:87]
	v_fma_f64 v[236:237], v[236:237], v[84:85], -v[80:81]
	scratch_load_dwordx4 v[80:83], off, off offset:752
	ds_read_b128 v[188:191], v2 offset:1344
	v_mul_f64 v[84:85], v[234:235], v[90:91]
	s_waitcnt vmcnt(16) lgkmcnt(2)
	v_mul_f64 v[192:193], v[180:181], v[42:43]
	v_fma_f64 v[238:239], v[232:233], v[88:89], -v[84:85]
	scratch_load_dwordx4 v[84:87], off, off offset:768
	v_fmac_f64_e32 v[192:193], v[182:183], v[40:41]
	v_add_f64 v[0:1], v[0:1], v[192:193]
	s_waitcnt vmcnt(16) lgkmcnt(1)
	v_mul_f64 v[192:193], v[176:177], v[46:47]
	v_fmac_f64_e32 v[192:193], v[178:179], v[44:45]
	v_add_f64 v[0:1], v[0:1], v[192:193]
	ds_read_b128 v[192:195], v2 offset:1360
	s_waitcnt vmcnt(15) lgkmcnt(1)
	v_mul_f64 v[88:89], v[188:189], v[50:51]
	v_fmac_f64_e32 v[88:89], v[190:191], v[48:49]
	v_add_f64 v[0:1], v[0:1], v[88:89]
	v_mul_f64 v[88:89], v[230:231], v[94:95]
	v_fma_f64 v[246:247], v[228:229], v[92:93], -v[88:89]
	scratch_load_dwordx4 v[88:91], off, off offset:784
	scratch_load_dwordx4 v[232:235], off, off offset:832
	ds_read_b128 v[92:95], v2 offset:1376
	v_mul_f64 v[98:99], v[222:223], v[98:99]
	v_fma_f64 v[252:253], v[220:221], v[96:97], -v[98:99]
	ds_read_b128 v[96:99], v2 offset:1392
	v_mul_f64 v[102:103], v[210:211], v[102:103]
	s_waitcnt vmcnt(16) lgkmcnt(2)
	v_mul_f64 v[228:229], v[192:193], v[54:55]
	v_fma_f64 v[254:255], v[208:209], v[100:101], -v[102:103]
	ds_read_b128 v[100:103], v2 offset:1408
	ds_read_b128 v[208:211], v2 offset:1424
	v_fmac_f64_e32 v[228:229], v[194:195], v[52:53]
	s_waitcnt vmcnt(15) lgkmcnt(3)
	v_mul_f64 v[220:221], v[92:93], v[58:59]
	v_add_f64 v[0:1], v[0:1], v[228:229]
	v_fmac_f64_e32 v[220:221], v[94:95], v[56:57]
	v_mul_f64 v[106:107], v[226:227], v[106:107]
	v_add_f64 v[0:1], v[0:1], v[220:221]
	s_waitcnt vmcnt(14) lgkmcnt(2)
	v_mul_f64 v[220:221], v[96:97], v[62:63]
	v_fma_f64 v[248:249], v[224:225], v[104:105], -v[106:107]
	ds_read_b128 v[104:107], v2 offset:1440
	v_fmac_f64_e32 v[220:221], v[98:99], v[60:61]
	v_mul_f64 v[110:111], v[214:215], v[110:111]
	v_add_f64 v[0:1], v[0:1], v[220:221]
	s_waitcnt vmcnt(13) lgkmcnt(2)
	v_mul_f64 v[220:221], v[100:101], v[70:71]
	v_fma_f64 v[8:9], v[212:213], v[108:109], -v[110:111]
	ds_read_b128 v[108:111], v2 offset:1456
	v_fmac_f64_e32 v[220:221], v[102:103], v[68:69]
	v_accvgpr_write_b32 a109, v7
	v_add_f64 v[0:1], v[0:1], v[220:221]
	s_waitcnt vmcnt(12) lgkmcnt(2)
	v_mul_f64 v[220:221], v[208:209], v[66:67]
	v_accvgpr_write_b32 a108, v6
	v_accvgpr_write_b32 a107, v5
	;; [unrolled: 1-line block ×3, first 2 shown]
	v_fmac_f64_e32 v[220:221], v[210:211], v[64:65]
	s_waitcnt vmcnt(11) lgkmcnt(1)
	v_mul_f64 v[6:7], v[104:105], v[138:139]
	v_add_f64 v[0:1], v[0:1], v[220:221]
	v_fmac_f64_e32 v[6:7], v[106:107], v[136:137]
	v_add_f64 v[0:1], v[0:1], v[6:7]
	s_waitcnt vmcnt(10) lgkmcnt(0)
	v_mul_f64 v[6:7], v[108:109], v[142:143]
	v_fmac_f64_e32 v[6:7], v[110:111], v[140:141]
	ds_read_b128 v[212:215], v2 offset:1472
	v_add_f64 v[0:1], v[0:1], v[6:7]
	v_mul_f64 v[6:7], v[202:203], v[114:115]
	v_fma_f64 v[6:7], v[200:201], v[112:113], -v[6:7]
	ds_read_b128 v[112:115], v2 offset:1488
	v_mul_f64 v[118:119], v[218:219], v[118:119]
	v_fma_f64 v[4:5], v[216:217], v[116:117], -v[118:119]
	ds_read_b128 v[116:119], v2 offset:1504
	s_waitcnt vmcnt(9) lgkmcnt(2)
	v_mul_f64 v[200:201], v[212:213], v[146:147]
	v_fmac_f64_e32 v[200:201], v[214:215], v[144:145]
	s_waitcnt vmcnt(8) lgkmcnt(1)
	v_mul_f64 v[10:11], v[112:113], v[150:151]
	v_add_f64 v[0:1], v[0:1], v[200:201]
	v_fmac_f64_e32 v[10:11], v[114:115], v[148:149]
	v_add_f64 v[0:1], v[0:1], v[10:11]
	ds_read_b128 v[200:203], v2 offset:1520
	s_waitcnt vmcnt(7) lgkmcnt(1)
	v_mul_f64 v[10:11], v[116:117], v[154:155]
	v_fmac_f64_e32 v[10:11], v[118:119], v[152:153]
	v_add_f64 v[10:11], v[0:1], v[10:11]
	v_mul_f64 v[0:1], v[206:207], v[122:123]
	v_fma_f64 v[0:1], v[204:205], v[120:121], -v[0:1]
	ds_read_b128 v[120:123], v2 offset:1536
	v_mul_f64 v[126:127], v[198:199], v[126:127]
	v_fma_f64 v[124:125], v[196:197], v[124:125], -v[126:127]
	s_waitcnt vmcnt(6) lgkmcnt(1)
	v_mul_f64 v[204:205], v[200:201], v[158:159]
	v_accvgpr_write_b32 a114, v124
	v_fmac_f64_e32 v[204:205], v[202:203], v[156:157]
	v_accvgpr_write_b32 a115, v125
	ds_read_b128 v[124:127], v2 offset:1552
	s_waitcnt vmcnt(5) lgkmcnt(1)
	v_mul_f64 v[196:197], v[120:121], v[78:79]
	v_add_f64 v[10:11], v[10:11], v[204:205]
	v_fmac_f64_e32 v[196:197], v[122:123], v[76:77]
	v_add_f64 v[10:11], v[10:11], v[196:197]
	ds_read_b128 v[196:199], v2 offset:1568
	v_mul_f64 v[130:131], v[186:187], v[130:131]
	v_fma_f64 v[250:251], v[184:185], v[128:129], -v[130:131]
	ds_read_b128 v[128:131], v2 offset:1584
	s_waitcnt vmcnt(4) lgkmcnt(2)
	v_mul_f64 v[184:185], v[124:125], v[74:75]
	v_fmac_f64_e32 v[184:185], v[126:127], v[72:73]
	v_add_f64 v[10:11], v[10:11], v[184:185]
	s_waitcnt vmcnt(3) lgkmcnt(1)
	v_mul_f64 v[184:185], v[196:197], v[82:83]
	v_fmac_f64_e32 v[184:185], v[198:199], v[80:81]
	v_add_f64 v[10:11], v[10:11], v[184:185]
	;; [unrolled: 4-line block ×3, first 2 shown]
	ds_read_b128 v[184:187], v2 offset:1600
	ds_read_b128 v[216:219], v2 offset:1616
	;; [unrolled: 1-line block ×3, first 2 shown]
	s_waitcnt vmcnt(1) lgkmcnt(2)
	v_mul_f64 v[204:205], v[184:185], v[90:91]
	v_fmac_f64_e32 v[204:205], v[186:187], v[88:89]
	v_add_f64 v[10:11], v[10:11], v[204:205]
	scratch_load_dwordx4 v[204:207], off, off offset:800
	s_waitcnt vmcnt(0) lgkmcnt(1)
	v_mul_f64 v[220:221], v[216:217], v[206:207]
	v_fmac_f64_e32 v[220:221], v[218:219], v[204:205]
	v_add_f64 v[10:11], v[10:11], v[220:221]
	scratch_load_dwordx4 v[220:223], off, off offset:816
	s_waitcnt vmcnt(0) lgkmcnt(0)
	v_mul_f64 v[228:229], v[224:225], v[222:223]
	v_fmac_f64_e32 v[228:229], v[226:227], v[220:221]
	v_add_f64 v[10:11], v[10:11], v[228:229]
	ds_read_b128 v[228:231], v2 offset:1648
	s_waitcnt lgkmcnt(0)
	v_mul_f64 v[2:3], v[228:229], v[234:235]
	v_fmac_f64_e32 v[2:3], v[230:231], v[232:233]
	v_add_f64 v[2:3], v[10:11], v[2:3]
	v_add_f64 v[10:11], v[240:241], 0
	;; [unrolled: 1-line block ×6, first 2 shown]
	scratch_load_dwordx4 v[236:239], off, off offset:128
	v_add_f64 v[10:11], v[10:11], v[246:247]
	v_add_f64 v[10:11], v[10:11], v[252:253]
	;; [unrolled: 1-line block ×8, first 2 shown]
	v_accvgpr_read_b32 v0, a114
	v_accvgpr_read_b32 v6, a106
	;; [unrolled: 1-line block ×7, first 2 shown]
	v_add_f64 v[0:1], v[252:253], v[0:1]
	v_accvgpr_read_b32 v7, a107
	v_accvgpr_read_b32 v241, a111
	;; [unrolled: 1-line block ×3, first 2 shown]
	v_mul_f64 v[4:5], v[242:243], v[8:9]
	v_add_f64 v[0:1], v[0:1], v[250:251]
	v_fma_f64 v[4:5], v[240:241], v[6:7], -v[4:5]
	v_add_f64 v[0:1], v[0:1], v[4:5]
	v_mul_f64 v[4:5], v[34:35], v[26:27]
	v_fma_f64 v[4:5], v[32:33], v[24:25], -v[4:5]
	v_add_f64 v[0:1], v[0:1], v[4:5]
	v_mul_f64 v[4:5], v[134:135], v[22:23]
	;; [unrolled: 3-line block ×28, first 2 shown]
	v_fma_f64 v[4:5], v[228:229], v[232:233], -v[4:5]
	v_add_f64 v[0:1], v[0:1], v[4:5]
	s_waitcnt vmcnt(0)
	v_add_f64 v[4:5], v[236:237], -v[0:1]
	v_accvgpr_read_b32 v0, a104
	v_add_f64 v[6:7], v[238:239], -v[2:3]
	v_cmp_lt_u32_e32 vcc, 6, v0
	scratch_store_dwordx4 off, v[4:7], off offset:128
	s_and_saveexec_b64 s[0:1], vcc
	s_cbranch_execz .LBB51_313
; %bb.312:
	scratch_load_dwordx4 v[2:5], off, s34
	v_mov_b32_e32 v6, 0
	v_mov_b32_e32 v7, v6
	;; [unrolled: 1-line block ×4, first 2 shown]
	v_accvgpr_read_b32 v0, a105
	scratch_store_dwordx4 off, v[6:9], off offset:112
	s_waitcnt vmcnt(1)
	ds_write_b128 v0, v[2:5]
.LBB51_313:
	s_or_b64 exec, exec, s[0:1]
	s_waitcnt lgkmcnt(0)
	; wave barrier
	scratch_load_dwordx4 v[80:83], off, off offset:128
	scratch_load_dwordx4 v[84:87], off, off offset:144
	;; [unrolled: 1-line block ×29, first 2 shown]
	v_mov_b32_e32 v2, 0
	ds_read_b128 v[132:135], v2 offset:944
	ds_read_b128 v[136:139], v2 offset:960
	;; [unrolled: 1-line block ×22, first 2 shown]
	s_waitcnt vmcnt(28) lgkmcnt(14)
	v_mul_f64 v[0:1], v[132:133], v[82:83]
	s_waitcnt vmcnt(27)
	v_mul_f64 v[56:57], v[136:137], v[86:87]
	v_fmac_f64_e32 v[0:1], v[134:135], v[80:81]
	s_waitcnt vmcnt(26)
	v_mul_f64 v[58:59], v[140:141], v[90:91]
	v_fmac_f64_e32 v[56:57], v[138:139], v[84:85]
	v_add_f64 v[0:1], v[0:1], 0
	s_waitcnt vmcnt(25)
	v_mul_f64 v[60:61], v[148:149], v[94:95]
	v_fmac_f64_e32 v[58:59], v[142:143], v[88:89]
	v_add_f64 v[0:1], v[0:1], v[56:57]
	;; [unrolled: 4-line block ×6, first 2 shown]
	s_waitcnt vmcnt(20) lgkmcnt(13)
	v_mul_f64 v[70:71], v[204:205], v[154:155]
	v_fmac_f64_e32 v[68:69], v[198:199], v[144:145]
	v_add_f64 v[0:1], v[0:1], v[66:67]
	s_waitcnt vmcnt(19) lgkmcnt(12)
	v_mul_f64 v[72:73], v[208:209], v[158:159]
	v_fmac_f64_e32 v[70:71], v[206:207], v[152:153]
	v_add_f64 v[0:1], v[0:1], v[68:69]
	;; [unrolled: 4-line block ×8, first 2 shown]
	v_fmac_f64_e32 v[112:113], v[250:251], v[192:193]
	v_add_f64 v[0:1], v[0:1], v[110:111]
	s_waitcnt vmcnt(12) lgkmcnt(5)
	v_mul_f64 v[60:61], v[252:253], v[202:203]
	scratch_load_dwordx4 v[56:59], off, off offset:592
	ds_read_b128 v[108:111], v2 offset:1232
	v_add_f64 v[0:1], v[0:1], v[112:113]
	v_fmac_f64_e32 v[60:61], v[254:255], v[200:201]
	v_add_f64 v[0:1], v[0:1], v[60:61]
	s_waitcnt vmcnt(12) lgkmcnt(5)
	v_mul_f64 v[64:65], v[52:53], v[6:7]
	scratch_load_dwordx4 v[60:63], off, off offset:608
	v_accvgpr_write_b32 a109, v7
	v_fmac_f64_e32 v[64:65], v[54:55], v[4:5]
	v_accvgpr_write_b32 a108, v6
	v_accvgpr_write_b32 a107, v5
	;; [unrolled: 1-line block ×3, first 2 shown]
	ds_read_b128 v[112:115], v2 offset:1248
	s_waitcnt vmcnt(12)
	v_mov_b64_e32 v[4:5], v[8:9]
	v_mov_b64_e32 v[6:7], v[10:11]
	s_waitcnt lgkmcnt(1)
	v_mul_f64 v[68:69], v[108:109], v[6:7]
	v_fmac_f64_e32 v[68:69], v[110:111], v[4:5]
	s_waitcnt vmcnt(11)
	v_mov_b64_e32 v[4:5], v[12:13]
	v_add_f64 v[0:1], v[0:1], v[64:65]
	v_mov_b64_e32 v[6:7], v[14:15]
	scratch_load_dwordx4 v[64:67], off, off offset:624
	v_add_f64 v[0:1], v[0:1], v[68:69]
	s_waitcnt lgkmcnt(0)
	v_mul_f64 v[68:69], v[112:113], v[6:7]
	v_fmac_f64_e32 v[68:69], v[114:115], v[4:5]
	s_waitcnt vmcnt(11)
	v_mov_b64_e32 v[4:5], v[16:17]
	v_add_f64 v[0:1], v[0:1], v[68:69]
	scratch_load_dwordx4 v[68:71], off, off offset:640
	v_mov_b64_e32 v[6:7], v[18:19]
	v_mul_f64 v[76:77], v[116:117], v[6:7]
	scratch_load_dwordx4 v[72:75], off, off offset:656
	v_fmac_f64_e32 v[76:77], v[118:119], v[4:5]
	v_add_f64 v[0:1], v[0:1], v[76:77]
	s_waitcnt vmcnt(12)
	v_mul_f64 v[76:77], v[120:121], v[236:237]
	v_fmac_f64_e32 v[76:77], v[122:123], v[234:235]
	v_add_f64 v[0:1], v[0:1], v[76:77]
	scratch_load_dwordx4 v[76:79], off, off offset:672
	v_mul_f64 v[82:83], v[134:135], v[82:83]
	v_fma_f64 v[240:241], v[132:133], v[80:81], -v[82:83]
	scratch_load_dwordx4 v[80:83], off, off offset:688
	v_mul_f64 v[86:87], v[138:139], v[86:87]
	v_fma_f64 v[242:243], v[136:137], v[84:85], -v[86:87]
	scratch_load_dwordx4 v[84:87], off, off offset:704
	v_mul_f64 v[90:91], v[142:143], v[90:91]
	s_waitcnt vmcnt(14)
	v_mul_f64 v[132:133], v[124:125], v[26:27]
	v_fma_f64 v[244:245], v[140:141], v[88:89], -v[90:91]
	scratch_load_dwordx4 v[88:91], off, off offset:720
	v_fmac_f64_e32 v[132:133], v[126:127], v[24:25]
	s_waitcnt vmcnt(14)
	v_mul_f64 v[136:137], v[128:129], v[30:31]
	v_mul_f64 v[94:95], v[150:151], v[94:95]
	v_add_f64 v[0:1], v[0:1], v[132:133]
	v_fmac_f64_e32 v[136:137], v[130:131], v[28:29]
	v_fma_f64 v[246:247], v[148:149], v[92:93], -v[94:95]
	v_mul_f64 v[92:93], v[162:163], v[98:99]
	ds_read_b128 v[132:135], v2 offset:1328
	v_add_f64 v[0:1], v[0:1], v[136:137]
	ds_read_b128 v[136:139], v2 offset:1344
	v_fma_f64 v[232:233], v[160:161], v[96:97], -v[92:93]
	scratch_load_dwordx4 v[96:99], off, off offset:736
	scratch_load_dwordx4 v[92:95], off, off offset:752
	v_mul_f64 v[102:103], v[174:175], v[102:103]
	v_fma_f64 v[20:21], v[172:173], v[100:101], -v[102:103]
	scratch_load_dwordx4 v[100:103], off, off offset:768
	v_accvgpr_write_b32 a121, v19
	v_mul_f64 v[6:7], v[186:187], v[106:107]
	v_accvgpr_write_b32 a120, v18
	v_accvgpr_write_b32 a119, v17
	;; [unrolled: 1-line block ×3, first 2 shown]
	v_fma_f64 v[16:17], v[184:185], v[104:105], -v[6:7]
	scratch_load_dwordx4 v[104:107], off, off offset:784
	s_waitcnt vmcnt(17) lgkmcnt(1)
	v_mul_f64 v[140:141], v[132:133], v[34:35]
	v_fmac_f64_e32 v[140:141], v[134:135], v[32:33]
	v_add_f64 v[0:1], v[0:1], v[140:141]
	ds_read_b128 v[140:143], v2 offset:1360
	v_accvgpr_write_b32 a117, v15
	v_mul_f64 v[6:7], v[198:199], v[146:147]
	v_accvgpr_write_b32 a116, v14
	v_accvgpr_write_b32 a115, v13
	v_accvgpr_write_b32 a114, v12
	v_fma_f64 v[12:13], v[196:197], v[144:145], -v[6:7]
	ds_read_b128 v[144:147], v2 offset:1376
	s_waitcnt vmcnt(16) lgkmcnt(2)
	v_mul_f64 v[148:149], v[136:137], v[38:39]
	v_fmac_f64_e32 v[148:149], v[138:139], v[36:37]
	v_add_f64 v[0:1], v[0:1], v[148:149]
	s_waitcnt vmcnt(15) lgkmcnt(1)
	v_mul_f64 v[6:7], v[140:141], v[42:43]
	ds_read_b128 v[148:151], v2 offset:1392
	v_fmac_f64_e32 v[6:7], v[142:143], v[40:41]
	v_add_f64 v[0:1], v[0:1], v[6:7]
	s_waitcnt vmcnt(14) lgkmcnt(1)
	v_mul_f64 v[6:7], v[144:145], v[46:47]
	v_fmac_f64_e32 v[6:7], v[146:147], v[44:45]
	v_accvgpr_write_b32 a113, v11
	v_add_f64 v[0:1], v[0:1], v[6:7]
	v_mul_f64 v[6:7], v[206:207], v[154:155]
	v_accvgpr_write_b32 a112, v10
	v_accvgpr_write_b32 a111, v9
	;; [unrolled: 1-line block ×3, first 2 shown]
	v_fma_f64 v[10:11], v[204:205], v[152:153], -v[6:7]
	ds_read_b128 v[152:155], v2 offset:1408
	s_waitcnt vmcnt(13) lgkmcnt(1)
	v_mul_f64 v[6:7], v[148:149], v[50:51]
	v_fmac_f64_e32 v[6:7], v[150:151], v[48:49]
	v_add_f64 v[0:1], v[0:1], v[6:7]
	v_mul_f64 v[6:7], v[210:211], v[158:159]
	v_fma_f64 v[14:15], v[208:209], v[156:157], -v[6:7]
	ds_read_b128 v[156:159], v2 offset:1424
	ds_read_b128 v[160:163], v2 offset:1440
	s_waitcnt vmcnt(12) lgkmcnt(2)
	v_mul_f64 v[6:7], v[152:153], v[58:59]
	v_fmac_f64_e32 v[6:7], v[154:155], v[56:57]
	v_add_f64 v[0:1], v[0:1], v[6:7]
	s_waitcnt vmcnt(11) lgkmcnt(1)
	v_mul_f64 v[6:7], v[156:157], v[62:63]
	v_fmac_f64_e32 v[6:7], v[158:159], v[60:61]
	v_add_f64 v[0:1], v[0:1], v[6:7]
	v_mul_f64 v[6:7], v[214:215], v[166:167]
	v_fma_f64 v[8:9], v[212:213], v[164:165], -v[6:7]
	ds_read_b128 v[164:167], v2 offset:1456
	v_mul_f64 v[18:19], v[218:219], v[170:171]
	v_fma_f64 v[18:19], v[216:217], v[168:169], -v[18:19]
	ds_read_b128 v[168:171], v2 offset:1472
	s_waitcnt vmcnt(10) lgkmcnt(2)
	v_mul_f64 v[6:7], v[160:161], v[66:67]
	v_fmac_f64_e32 v[6:7], v[162:163], v[64:65]
	v_add_f64 v[0:1], v[0:1], v[6:7]
	s_waitcnt vmcnt(9) lgkmcnt(1)
	v_mul_f64 v[6:7], v[164:165], v[70:71]
	ds_read_b128 v[172:175], v2 offset:1488
	v_fmac_f64_e32 v[6:7], v[166:167], v[68:69]
	v_add_f64 v[0:1], v[0:1], v[6:7]
	s_waitcnt vmcnt(8) lgkmcnt(1)
	v_mul_f64 v[6:7], v[168:169], v[74:75]
	v_fmac_f64_e32 v[6:7], v[170:171], v[72:73]
	v_add_f64 v[0:1], v[0:1], v[6:7]
	v_mul_f64 v[6:7], v[222:223], v[178:179]
	v_fma_f64 v[4:5], v[220:221], v[176:177], -v[6:7]
	ds_read_b128 v[176:179], v2 offset:1504
	s_waitcnt vmcnt(7) lgkmcnt(1)
	v_mul_f64 v[6:7], v[172:173], v[78:79]
	v_fmac_f64_e32 v[6:7], v[174:175], v[76:77]
	v_add_f64 v[0:1], v[0:1], v[6:7]
	v_mul_f64 v[6:7], v[226:227], v[182:183]
	v_fma_f64 v[6:7], v[224:225], v[180:181], -v[6:7]
	ds_read_b128 v[180:183], v2 offset:1520
	ds_read_b128 v[184:187], v2 offset:1536
	s_waitcnt vmcnt(6) lgkmcnt(2)
	v_mul_f64 v[22:23], v[176:177], v[82:83]
	v_fmac_f64_e32 v[22:23], v[178:179], v[80:81]
	v_add_f64 v[0:1], v[0:1], v[22:23]
	s_waitcnt vmcnt(5) lgkmcnt(1)
	v_mul_f64 v[22:23], v[180:181], v[86:87]
	v_fmac_f64_e32 v[22:23], v[182:183], v[84:85]
	v_add_f64 v[22:23], v[0:1], v[22:23]
	v_mul_f64 v[0:1], v[230:231], v[190:191]
	v_fma_f64 v[0:1], v[228:229], v[188:189], -v[0:1]
	ds_read_b128 v[188:191], v2 offset:1552
	s_waitcnt vmcnt(4) lgkmcnt(1)
	v_mul_f64 v[196:197], v[184:185], v[90:91]
	v_fmac_f64_e32 v[196:197], v[186:187], v[88:89]
	v_mul_f64 v[194:195], v[250:251], v[194:195]
	v_fma_f64 v[238:239], v[248:249], v[192:193], -v[194:195]
	ds_read_b128 v[192:195], v2 offset:1568
	v_add_f64 v[22:23], v[22:23], v[196:197]
	s_waitcnt vmcnt(3) lgkmcnt(1)
	v_mul_f64 v[196:197], v[188:189], v[98:99]
	v_fmac_f64_e32 v[196:197], v[190:191], v[96:97]
	v_add_f64 v[22:23], v[22:23], v[196:197]
	ds_read_b128 v[196:199], v2 offset:1584
	v_mul_f64 v[202:203], v[254:255], v[202:203]
	v_fma_f64 v[248:249], v[252:253], v[200:201], -v[202:203]
	ds_read_b128 v[200:203], v2 offset:1600
	s_waitcnt vmcnt(2) lgkmcnt(2)
	v_mul_f64 v[204:205], v[192:193], v[94:95]
	v_fmac_f64_e32 v[204:205], v[194:195], v[92:93]
	v_add_f64 v[22:23], v[22:23], v[204:205]
	s_waitcnt vmcnt(1) lgkmcnt(1)
	v_mul_f64 v[204:205], v[196:197], v[102:103]
	v_fmac_f64_e32 v[204:205], v[198:199], v[100:101]
	v_add_f64 v[22:23], v[22:23], v[204:205]
	;; [unrolled: 4-line block ×3, first 2 shown]
	scratch_load_dwordx4 v[204:207], off, off offset:800
	ds_read_b128 v[208:211], v2 offset:1616
	ds_read_b128 v[216:219], v2 offset:1632
	;; [unrolled: 1-line block ×3, first 2 shown]
	s_waitcnt vmcnt(0) lgkmcnt(2)
	v_mul_f64 v[212:213], v[208:209], v[206:207]
	v_fmac_f64_e32 v[212:213], v[210:211], v[204:205]
	v_add_f64 v[22:23], v[22:23], v[212:213]
	scratch_load_dwordx4 v[212:215], off, off offset:816
	s_waitcnt vmcnt(0) lgkmcnt(1)
	v_mul_f64 v[220:221], v[216:217], v[214:215]
	v_fmac_f64_e32 v[220:221], v[218:219], v[212:213]
	v_add_f64 v[22:23], v[22:23], v[220:221]
	scratch_load_dwordx4 v[220:223], off, off offset:832
	;; [unrolled: 5-line block ×3, first 2 shown]
	v_add_f64 v[22:23], v[240:241], 0
	v_add_f64 v[22:23], v[22:23], v[242:243]
	;; [unrolled: 1-line block ×14, first 2 shown]
	v_accvgpr_read_b32 v6, a106
	v_accvgpr_read_b32 v8, a108
	;; [unrolled: 1-line block ×3, first 2 shown]
	v_add_f64 v[0:1], v[4:5], v[0:1]
	v_accvgpr_read_b32 v7, a107
	v_mul_f64 v[4:5], v[54:55], v[8:9]
	v_add_f64 v[0:1], v[0:1], v[238:239]
	v_fma_f64 v[4:5], v[52:53], v[6:7], -v[4:5]
	v_accvgpr_read_b32 v6, a110
	v_add_f64 v[0:1], v[0:1], v[248:249]
	v_accvgpr_read_b32 v8, a112
	v_accvgpr_read_b32 v9, a113
	v_add_f64 v[0:1], v[0:1], v[4:5]
	v_accvgpr_read_b32 v7, a111
	v_mul_f64 v[4:5], v[110:111], v[8:9]
	v_fma_f64 v[4:5], v[108:109], v[6:7], -v[4:5]
	v_accvgpr_read_b32 v6, a114
	v_accvgpr_read_b32 v8, a116
	;; [unrolled: 1-line block ×3, first 2 shown]
	v_add_f64 v[0:1], v[0:1], v[4:5]
	v_accvgpr_read_b32 v7, a115
	v_mul_f64 v[4:5], v[114:115], v[8:9]
	v_fma_f64 v[4:5], v[112:113], v[6:7], -v[4:5]
	v_accvgpr_read_b32 v6, a118
	v_accvgpr_read_b32 v8, a120
	;; [unrolled: 1-line block ×3, first 2 shown]
	v_add_f64 v[0:1], v[0:1], v[4:5]
	v_accvgpr_read_b32 v7, a119
	v_mul_f64 v[4:5], v[118:119], v[8:9]
	v_fma_f64 v[4:5], v[116:117], v[6:7], -v[4:5]
	v_add_f64 v[0:1], v[0:1], v[4:5]
	v_mul_f64 v[4:5], v[122:123], v[236:237]
	v_fma_f64 v[4:5], v[120:121], v[234:235], -v[4:5]
	v_add_f64 v[0:1], v[0:1], v[4:5]
	;; [unrolled: 3-line block ×25, first 2 shown]
	s_waitcnt vmcnt(0)
	v_add_f64 v[4:5], v[228:229], -v[0:1]
	v_accvgpr_read_b32 v0, a104
	v_add_f64 v[6:7], v[230:231], -v[252:253]
	v_cmp_lt_u32_e32 vcc, 5, v0
	scratch_store_dwordx4 off, v[4:7], off offset:112
	s_and_saveexec_b64 s[0:1], vcc
	s_cbranch_execz .LBB51_315
; %bb.314:
	scratch_load_dwordx4 v[6:9], off, s64
	v_mov_b32_e32 v3, v2
	v_mov_b32_e32 v4, v2
	;; [unrolled: 1-line block ×3, first 2 shown]
	v_accvgpr_read_b32 v0, a105
	scratch_store_dwordx4 off, v[2:5], off offset:96
	s_waitcnt vmcnt(1)
	ds_write_b128 v0, v[6:9]
.LBB51_315:
	s_or_b64 exec, exec, s[0:1]
	s_waitcnt lgkmcnt(0)
	; wave barrier
	scratch_load_dwordx4 v[80:83], off, off offset:112
	scratch_load_dwordx4 v[84:87], off, off offset:128
	scratch_load_dwordx4 v[88:91], off, off offset:144
	scratch_load_dwordx4 v[92:95], off, off offset:160
	scratch_load_dwordx4 v[96:99], off, off offset:176
	scratch_load_dwordx4 v[100:103], off, off offset:192
	scratch_load_dwordx4 v[104:107], off, off offset:208
	scratch_load_dwordx4 v[144:147], off, off offset:224
	scratch_load_dwordx4 v[152:155], off, off offset:240
	scratch_load_dwordx4 v[156:159], off, off offset:256
	scratch_load_dwordx4 v[164:167], off, off offset:272
	scratch_load_dwordx4 v[168:171], off, off offset:288
	scratch_load_dwordx4 v[176:179], off, off offset:304
	scratch_load_dwordx4 v[180:183], off, off offset:320
	scratch_load_dwordx4 v[188:191], off, off offset:336
	scratch_load_dwordx4 v[192:195], off, off offset:352
	scratch_load_dwordx4 v[200:203], off, off offset:368
	ds_read_b128 v[136:139], v2 offset:928
	ds_read_b128 v[132:135], v2 offset:944
	scratch_load_dwordx4 v[4:7], off, off offset:384
	ds_read_b128 v[236:239], v2 offset:960
	ds_read_b128 v[228:231], v2 offset:976
	;; [unrolled: 1-line block ×5, first 2 shown]
	scratch_load_dwordx4 v[8:11], off, off offset:400
	ds_read_b128 v[232:235], v2 offset:1040
	ds_read_b128 v[216:219], v2 offset:1056
	;; [unrolled: 1-line block ×3, first 2 shown]
	scratch_load_dwordx4 v[12:15], off, off offset:416
	ds_read_b128 v[220:223], v2 offset:1088
	ds_read_b128 v[172:175], v2 offset:1104
	;; [unrolled: 1-line block ×5, first 2 shown]
	scratch_load_dwordx4 v[16:19], off, off offset:432
	ds_read_b128 v[208:211], v2 offset:1168
	ds_read_b128 v[204:207], v2 offset:1184
	;; [unrolled: 1-line block ×3, first 2 shown]
	scratch_load_dwordx4 v[24:27], off, off offset:448
	scratch_load_dwordx4 v[28:31], off, off offset:464
	;; [unrolled: 1-line block ×8, first 2 shown]
	ds_read_b128 v[116:119], v2 offset:1248
	ds_read_b128 v[120:123], v2 offset:1264
	;; [unrolled: 1-line block ×4, first 2 shown]
	s_waitcnt vmcnt(28) lgkmcnt(14)
	v_mul_f64 v[0:1], v[136:137], v[82:83]
	s_waitcnt vmcnt(27)
	v_mul_f64 v[56:57], v[132:133], v[86:87]
	v_fmac_f64_e32 v[0:1], v[138:139], v[80:81]
	s_waitcnt vmcnt(26)
	v_mul_f64 v[58:59], v[236:237], v[90:91]
	v_fmac_f64_e32 v[56:57], v[134:135], v[84:85]
	v_add_f64 v[0:1], v[0:1], 0
	s_waitcnt vmcnt(25)
	v_mul_f64 v[60:61], v[228:229], v[94:95]
	v_fmac_f64_e32 v[58:59], v[238:239], v[88:89]
	v_add_f64 v[0:1], v[0:1], v[56:57]
	;; [unrolled: 4-line block ×6, first 2 shown]
	s_waitcnt vmcnt(20) lgkmcnt(13)
	v_mul_f64 v[70:71], v[216:217], v[154:155]
	v_fmac_f64_e32 v[68:69], v[234:235], v[144:145]
	v_add_f64 v[0:1], v[0:1], v[66:67]
	s_waitcnt vmcnt(19) lgkmcnt(12)
	v_mul_f64 v[72:73], v[160:161], v[158:159]
	v_fmac_f64_e32 v[70:71], v[218:219], v[152:153]
	v_add_f64 v[0:1], v[0:1], v[68:69]
	;; [unrolled: 4-line block ×7, first 2 shown]
	v_fmac_f64_e32 v[110:111], v[198:199], v[188:189]
	v_add_f64 v[0:1], v[0:1], v[108:109]
	s_waitcnt vmcnt(13) lgkmcnt(6)
	v_mul_f64 v[112:113], v[208:209], v[194:195]
	v_add_f64 v[0:1], v[0:1], v[110:111]
	scratch_load_dwordx4 v[56:59], off, off offset:576
	scratch_load_dwordx4 v[60:63], off, off offset:592
	ds_read_b128 v[108:111], v2 offset:1216
	s_waitcnt vmcnt(14) lgkmcnt(6)
	v_mul_f64 v[114:115], v[204:205], v[202:203]
	v_fmac_f64_e32 v[112:113], v[210:211], v[192:193]
	v_add_f64 v[0:1], v[0:1], v[112:113]
	v_fmac_f64_e32 v[114:115], v[206:207], v[200:201]
	s_waitcnt vmcnt(13) lgkmcnt(5)
	v_mul_f64 v[64:65], v[20:21], v[6:7]
	v_accvgpr_write_b32 a109, v7
	v_add_f64 v[0:1], v[0:1], v[114:115]
	v_fmac_f64_e32 v[64:65], v[22:23], v[4:5]
	v_accvgpr_write_b32 a108, v6
	v_accvgpr_write_b32 a107, v5
	;; [unrolled: 1-line block ×3, first 2 shown]
	ds_read_b128 v[112:115], v2 offset:1232
	s_waitcnt vmcnt(12)
	v_mov_b64_e32 v[4:5], v[8:9]
	v_mov_b64_e32 v[6:7], v[10:11]
	s_waitcnt lgkmcnt(1)
	v_mul_f64 v[68:69], v[108:109], v[6:7]
	v_fmac_f64_e32 v[68:69], v[110:111], v[4:5]
	s_waitcnt vmcnt(11)
	v_mov_b64_e32 v[4:5], v[12:13]
	v_add_f64 v[0:1], v[0:1], v[64:65]
	v_mov_b64_e32 v[6:7], v[14:15]
	v_add_f64 v[0:1], v[0:1], v[68:69]
	s_waitcnt lgkmcnt(0)
	v_mul_f64 v[68:69], v[112:113], v[6:7]
	scratch_load_dwordx4 v[64:67], off, off offset:608
	v_fmac_f64_e32 v[68:69], v[114:115], v[4:5]
	v_add_f64 v[0:1], v[0:1], v[68:69]
	scratch_load_dwordx4 v[68:71], off, off offset:624
	scratch_load_dwordx4 v[72:75], off, off offset:640
	s_waitcnt vmcnt(13)
	v_mul_f64 v[76:77], v[116:117], v[18:19]
	v_fmac_f64_e32 v[76:77], v[118:119], v[16:17]
	v_add_f64 v[0:1], v[0:1], v[76:77]
	s_waitcnt vmcnt(12)
	v_mul_f64 v[76:77], v[120:121], v[26:27]
	v_fmac_f64_e32 v[76:77], v[122:123], v[24:25]
	v_add_f64 v[0:1], v[0:1], v[76:77]
	scratch_load_dwordx4 v[76:79], off, off offset:656
	v_mul_f64 v[82:83], v[138:139], v[82:83]
	v_fma_f64 v[240:241], v[136:137], v[80:81], -v[82:83]
	scratch_load_dwordx4 v[80:83], off, off offset:672
	v_mul_f64 v[86:87], v[134:135], v[86:87]
	v_fma_f64 v[242:243], v[132:133], v[84:85], -v[86:87]
	scratch_load_dwordx4 v[84:87], off, off offset:688
	s_waitcnt vmcnt(14)
	v_mul_f64 v[136:137], v[124:125], v[30:31]
	v_mul_f64 v[90:91], v[238:239], v[90:91]
	v_fmac_f64_e32 v[136:137], v[126:127], v[28:29]
	v_fma_f64 v[236:237], v[236:237], v[88:89], -v[90:91]
	scratch_load_dwordx4 v[88:91], off, off offset:704
	v_add_f64 v[0:1], v[0:1], v[136:137]
	s_waitcnt vmcnt(14)
	v_mul_f64 v[136:137], v[128:129], v[34:35]
	v_mul_f64 v[94:95], v[230:231], v[94:95]
	v_fmac_f64_e32 v[136:137], v[130:131], v[32:33]
	v_fma_f64 v[238:239], v[228:229], v[92:93], -v[94:95]
	v_mul_f64 v[92:93], v[226:227], v[98:99]
	ds_read_b128 v[132:135], v2 offset:1312
	v_add_f64 v[0:1], v[0:1], v[136:137]
	ds_read_b128 v[136:139], v2 offset:1328
	v_fma_f64 v[244:245], v[224:225], v[96:97], -v[92:93]
	scratch_load_dwordx4 v[96:99], off, off offset:720
	scratch_load_dwordx4 v[92:95], off, off offset:736
	v_mul_f64 v[102:103], v[150:151], v[102:103]
	v_fma_f64 v[246:247], v[148:149], v[100:101], -v[102:103]
	scratch_load_dwordx4 v[100:103], off, off offset:752
	v_mul_f64 v[106:107], v[142:143], v[106:107]
	v_fma_f64 v[252:253], v[140:141], v[104:105], -v[106:107]
	v_mul_f64 v[104:105], v[234:235], v[146:147]
	v_fma_f64 v[254:255], v[232:233], v[144:145], -v[104:105]
	scratch_load_dwordx4 v[104:107], off, off offset:768
	ds_read_b128 v[140:143], v2 offset:1344
	ds_read_b128 v[144:147], v2 offset:1360
	s_waitcnt vmcnt(17) lgkmcnt(3)
	v_mul_f64 v[228:229], v[132:133], v[38:39]
	v_fmac_f64_e32 v[228:229], v[134:135], v[36:37]
	s_waitcnt vmcnt(16) lgkmcnt(2)
	v_mul_f64 v[224:225], v[136:137], v[42:43]
	v_add_f64 v[0:1], v[0:1], v[228:229]
	v_fmac_f64_e32 v[224:225], v[138:139], v[40:41]
	s_waitcnt vmcnt(15) lgkmcnt(1)
	v_mul_f64 v[148:149], v[140:141], v[46:47]
	v_add_f64 v[0:1], v[0:1], v[224:225]
	v_fmac_f64_e32 v[148:149], v[142:143], v[44:45]
	v_add_f64 v[0:1], v[0:1], v[148:149]
	ds_read_b128 v[148:151], v2 offset:1376
	v_mul_f64 v[154:155], v[218:219], v[154:155]
	v_fma_f64 v[248:249], v[216:217], v[152:153], -v[154:155]
	ds_read_b128 v[152:155], v2 offset:1392
	v_accvgpr_write_b32 a117, v15
	v_mul_f64 v[158:159], v[162:163], v[158:159]
	v_accvgpr_write_b32 a116, v14
	v_accvgpr_write_b32 a115, v13
	;; [unrolled: 1-line block ×3, first 2 shown]
	v_fma_f64 v[12:13], v[160:161], v[156:157], -v[158:159]
	ds_read_b128 v[156:159], v2 offset:1408
	ds_read_b128 v[160:163], v2 offset:1424
	s_waitcnt vmcnt(14) lgkmcnt(4)
	v_mul_f64 v[224:225], v[144:145], v[50:51]
	v_fmac_f64_e32 v[224:225], v[146:147], v[48:49]
	s_waitcnt vmcnt(13) lgkmcnt(3)
	v_mul_f64 v[216:217], v[148:149], v[54:55]
	v_add_f64 v[0:1], v[0:1], v[224:225]
	v_fmac_f64_e32 v[216:217], v[150:151], v[52:53]
	s_waitcnt vmcnt(12) lgkmcnt(2)
	v_mul_f64 v[6:7], v[152:153], v[58:59]
	v_add_f64 v[0:1], v[0:1], v[216:217]
	v_fmac_f64_e32 v[6:7], v[154:155], v[56:57]
	v_add_f64 v[0:1], v[0:1], v[6:7]
	s_waitcnt vmcnt(11) lgkmcnt(1)
	v_mul_f64 v[6:7], v[156:157], v[62:63]
	v_fmac_f64_e32 v[6:7], v[158:159], v[60:61]
	v_accvgpr_write_b32 a113, v11
	v_add_f64 v[0:1], v[0:1], v[6:7]
	v_mul_f64 v[6:7], v[222:223], v[166:167]
	v_accvgpr_write_b32 a112, v10
	v_accvgpr_write_b32 a111, v9
	;; [unrolled: 1-line block ×3, first 2 shown]
	v_fma_f64 v[8:9], v[220:221], v[164:165], -v[6:7]
	ds_read_b128 v[164:167], v2 offset:1440
	v_mul_f64 v[170:171], v[174:175], v[170:171]
	v_fma_f64 v[6:7], v[172:173], v[168:169], -v[170:171]
	ds_read_b128 v[168:171], v2 offset:1456
	s_waitcnt vmcnt(10) lgkmcnt(2)
	v_mul_f64 v[216:217], v[160:161], v[66:67]
	v_fmac_f64_e32 v[216:217], v[162:163], v[64:65]
	s_waitcnt vmcnt(9) lgkmcnt(1)
	v_mul_f64 v[10:11], v[164:165], v[70:71]
	v_add_f64 v[0:1], v[0:1], v[216:217]
	v_fmac_f64_e32 v[10:11], v[166:167], v[68:69]
	v_add_f64 v[0:1], v[0:1], v[10:11]
	s_waitcnt vmcnt(8) lgkmcnt(0)
	v_mul_f64 v[10:11], v[168:169], v[74:75]
	v_fmac_f64_e32 v[10:11], v[170:171], v[72:73]
	ds_read_b128 v[172:175], v2 offset:1472
	v_add_f64 v[0:1], v[0:1], v[10:11]
	v_mul_f64 v[10:11], v[214:215], v[178:179]
	v_fma_f64 v[10:11], v[212:213], v[176:177], -v[10:11]
	ds_read_b128 v[176:179], v2 offset:1488
	v_mul_f64 v[182:183], v[186:187], v[182:183]
	v_fma_f64 v[4:5], v[184:185], v[180:181], -v[182:183]
	ds_read_b128 v[180:183], v2 offset:1504
	ds_read_b128 v[184:187], v2 offset:1520
	s_waitcnt vmcnt(7) lgkmcnt(3)
	v_mul_f64 v[212:213], v[172:173], v[78:79]
	v_fmac_f64_e32 v[212:213], v[174:175], v[76:77]
	s_waitcnt vmcnt(6) lgkmcnt(2)
	v_mul_f64 v[14:15], v[176:177], v[82:83]
	v_add_f64 v[0:1], v[0:1], v[212:213]
	v_fmac_f64_e32 v[14:15], v[178:179], v[80:81]
	v_add_f64 v[0:1], v[0:1], v[14:15]
	s_waitcnt vmcnt(5) lgkmcnt(1)
	v_mul_f64 v[14:15], v[180:181], v[86:87]
	v_fmac_f64_e32 v[14:15], v[182:183], v[84:85]
	v_add_f64 v[14:15], v[0:1], v[14:15]
	v_mul_f64 v[0:1], v[198:199], v[190:191]
	v_fma_f64 v[0:1], v[196:197], v[188:189], -v[0:1]
	ds_read_b128 v[188:191], v2 offset:1536
	v_mul_f64 v[194:195], v[210:211], v[194:195]
	s_waitcnt vmcnt(4) lgkmcnt(1)
	v_mul_f64 v[196:197], v[184:185], v[90:91]
	v_fma_f64 v[192:193], v[208:209], v[192:193], -v[194:195]
	v_fmac_f64_e32 v[196:197], v[186:187], v[88:89]
	v_accvgpr_write_b32 a118, v192
	v_accvgpr_write_b32 a119, v193
	ds_read_b128 v[192:195], v2 offset:1552
	v_add_f64 v[14:15], v[14:15], v[196:197]
	s_waitcnt vmcnt(3) lgkmcnt(1)
	v_mul_f64 v[196:197], v[188:189], v[98:99]
	v_fmac_f64_e32 v[196:197], v[190:191], v[96:97]
	v_add_f64 v[14:15], v[14:15], v[196:197]
	ds_read_b128 v[196:199], v2 offset:1568
	v_mul_f64 v[202:203], v[206:207], v[202:203]
	v_fma_f64 v[250:251], v[204:205], v[200:201], -v[202:203]
	ds_read_b128 v[200:203], v2 offset:1584
	s_waitcnt vmcnt(2) lgkmcnt(2)
	v_mul_f64 v[204:205], v[192:193], v[94:95]
	v_fmac_f64_e32 v[204:205], v[194:195], v[92:93]
	v_add_f64 v[14:15], v[14:15], v[204:205]
	s_waitcnt vmcnt(1) lgkmcnt(1)
	v_mul_f64 v[204:205], v[196:197], v[102:103]
	v_fmac_f64_e32 v[204:205], v[198:199], v[100:101]
	v_add_f64 v[14:15], v[14:15], v[204:205]
	;; [unrolled: 4-line block ×3, first 2 shown]
	scratch_load_dwordx4 v[204:207], off, off offset:784
	scratch_load_dwordx4 v[232:235], off, off offset:832
	ds_read_b128 v[208:211], v2 offset:1600
	ds_read_b128 v[216:219], v2 offset:1616
	;; [unrolled: 1-line block ×3, first 2 shown]
	s_waitcnt vmcnt(1) lgkmcnt(2)
	v_mul_f64 v[212:213], v[208:209], v[206:207]
	v_fmac_f64_e32 v[212:213], v[210:211], v[204:205]
	v_add_f64 v[14:15], v[14:15], v[212:213]
	scratch_load_dwordx4 v[212:215], off, off offset:800
	s_waitcnt vmcnt(0) lgkmcnt(1)
	v_mul_f64 v[220:221], v[216:217], v[214:215]
	v_fmac_f64_e32 v[220:221], v[218:219], v[212:213]
	v_add_f64 v[14:15], v[14:15], v[220:221]
	scratch_load_dwordx4 v[220:223], off, off offset:816
	s_waitcnt vmcnt(0) lgkmcnt(0)
	v_mul_f64 v[228:229], v[224:225], v[222:223]
	v_fmac_f64_e32 v[228:229], v[226:227], v[220:221]
	v_add_f64 v[14:15], v[14:15], v[228:229]
	ds_read_b128 v[228:231], v2 offset:1648
	s_waitcnt lgkmcnt(0)
	v_mul_f64 v[2:3], v[228:229], v[234:235]
	v_fmac_f64_e32 v[2:3], v[230:231], v[232:233]
	v_add_f64 v[2:3], v[14:15], v[2:3]
	v_add_f64 v[14:15], v[240:241], 0
	;; [unrolled: 1-line block ×5, first 2 shown]
	scratch_load_dwordx4 v[236:239], off, off offset:96
	v_add_f64 v[14:15], v[14:15], v[244:245]
	v_add_f64 v[14:15], v[14:15], v[246:247]
	v_add_f64 v[14:15], v[14:15], v[252:253]
	v_add_f64 v[14:15], v[14:15], v[254:255]
	v_add_f64 v[14:15], v[14:15], v[248:249]
	v_add_f64 v[12:13], v[14:15], v[12:13]
	v_add_f64 v[8:9], v[12:13], v[8:9]
	v_add_f64 v[6:7], v[8:9], v[6:7]
	v_add_f64 v[6:7], v[6:7], v[10:11]
	v_add_f64 v[4:5], v[6:7], v[4:5]
	v_accvgpr_read_b32 v6, a106
	v_add_f64 v[252:253], v[4:5], v[0:1]
	v_accvgpr_read_b32 v0, a118
	v_accvgpr_read_b32 v8, a108
	;; [unrolled: 1-line block ×5, first 2 shown]
	v_mul_f64 v[4:5], v[22:23], v[8:9]
	v_add_f64 v[0:1], v[252:253], v[0:1]
	v_fma_f64 v[4:5], v[20:21], v[6:7], -v[4:5]
	v_accvgpr_read_b32 v6, a110
	v_add_f64 v[0:1], v[0:1], v[250:251]
	v_accvgpr_read_b32 v8, a112
	v_accvgpr_read_b32 v9, a113
	v_add_f64 v[0:1], v[0:1], v[4:5]
	v_accvgpr_read_b32 v7, a111
	v_mul_f64 v[4:5], v[110:111], v[8:9]
	v_fma_f64 v[4:5], v[108:109], v[6:7], -v[4:5]
	v_accvgpr_read_b32 v6, a114
	v_accvgpr_read_b32 v8, a116
	;; [unrolled: 1-line block ×3, first 2 shown]
	v_add_f64 v[0:1], v[0:1], v[4:5]
	v_accvgpr_read_b32 v7, a115
	v_mul_f64 v[4:5], v[114:115], v[8:9]
	v_fma_f64 v[4:5], v[112:113], v[6:7], -v[4:5]
	v_add_f64 v[0:1], v[0:1], v[4:5]
	v_mul_f64 v[4:5], v[118:119], v[18:19]
	v_fma_f64 v[4:5], v[116:117], v[16:17], -v[4:5]
	v_add_f64 v[0:1], v[0:1], v[4:5]
	;; [unrolled: 3-line block ×27, first 2 shown]
	s_waitcnt vmcnt(0)
	v_add_f64 v[4:5], v[236:237], -v[0:1]
	v_accvgpr_read_b32 v0, a104
	v_add_f64 v[6:7], v[238:239], -v[2:3]
	v_cmp_lt_u32_e32 vcc, 4, v0
	scratch_store_dwordx4 off, v[4:7], off offset:96
	s_and_saveexec_b64 s[0:1], vcc
	s_cbranch_execz .LBB51_317
; %bb.316:
	scratch_load_dwordx4 v[2:5], off, s33
	v_mov_b32_e32 v6, 0
	v_mov_b32_e32 v7, v6
	;; [unrolled: 1-line block ×4, first 2 shown]
	v_accvgpr_read_b32 v0, a105
	scratch_store_dwordx4 off, v[6:9], off offset:80
	s_waitcnt vmcnt(1)
	ds_write_b128 v0, v[2:5]
.LBB51_317:
	s_or_b64 exec, exec, s[0:1]
	s_waitcnt lgkmcnt(0)
	; wave barrier
	scratch_load_dwordx4 v[68:71], off, off offset:96
	scratch_load_dwordx4 v[72:75], off, off offset:112
	;; [unrolled: 1-line block ×28, first 2 shown]
	v_mov_b32_e32 v2, 0
	ds_read_b128 v[124:127], v2 offset:912
	ds_read_b128 v[128:131], v2 offset:928
	;; [unrolled: 1-line block ×23, first 2 shown]
	s_waitcnt vmcnt(27) lgkmcnt(14)
	v_mul_f64 v[0:1], v[124:125], v[70:71]
	s_waitcnt vmcnt(26)
	v_mul_f64 v[40:41], v[128:129], v[74:75]
	v_fmac_f64_e32 v[0:1], v[126:127], v[68:69]
	s_waitcnt vmcnt(25)
	v_mul_f64 v[42:43], v[132:133], v[78:79]
	v_fmac_f64_e32 v[40:41], v[130:131], v[72:73]
	v_add_f64 v[0:1], v[0:1], 0
	s_waitcnt vmcnt(24)
	v_mul_f64 v[44:45], v[136:137], v[82:83]
	v_fmac_f64_e32 v[42:43], v[134:135], v[76:77]
	v_add_f64 v[0:1], v[0:1], v[40:41]
	;; [unrolled: 4-line block ×7, first 2 shown]
	s_waitcnt vmcnt(18) lgkmcnt(13)
	v_mul_f64 v[56:57], v[200:201], v[146:147]
	v_fmac_f64_e32 v[54:55], v[194:195], v[112:113]
	v_add_f64 v[0:1], v[0:1], v[52:53]
	s_waitcnt vmcnt(17) lgkmcnt(12)
	v_mul_f64 v[58:59], v[204:205], v[150:151]
	v_fmac_f64_e32 v[56:57], v[202:203], v[144:145]
	v_add_f64 v[0:1], v[0:1], v[54:55]
	s_waitcnt vmcnt(16) lgkmcnt(11)
	v_mul_f64 v[60:61], v[208:209], v[154:155]
	v_fmac_f64_e32 v[58:59], v[206:207], v[148:149]
	v_add_f64 v[0:1], v[0:1], v[56:57]
	s_waitcnt vmcnt(15) lgkmcnt(10)
	v_mul_f64 v[62:63], v[212:213], v[162:163]
	v_fmac_f64_e32 v[60:61], v[210:211], v[152:153]
	v_add_f64 v[0:1], v[0:1], v[58:59]
	s_waitcnt vmcnt(14) lgkmcnt(9)
	v_mul_f64 v[64:65], v[216:217], v[166:167]
	v_fmac_f64_e32 v[62:63], v[214:215], v[160:161]
	v_add_f64 v[0:1], v[0:1], v[60:61]
	s_waitcnt vmcnt(13) lgkmcnt(8)
	v_mul_f64 v[66:67], v[220:221], v[174:175]
	v_fmac_f64_e32 v[64:65], v[218:219], v[164:165]
	v_add_f64 v[0:1], v[0:1], v[62:63]
	s_waitcnt vmcnt(12) lgkmcnt(7)
	v_mul_f64 v[100:101], v[224:225], v[178:179]
	v_fmac_f64_e32 v[66:67], v[222:223], v[172:173]
	v_add_f64 v[0:1], v[0:1], v[64:65]
	scratch_load_dwordx4 v[40:43], off, off offset:544
	scratch_load_dwordx4 v[44:47], off, off offset:560
	s_waitcnt vmcnt(13) lgkmcnt(6)
	v_mul_f64 v[102:103], v[228:229], v[186:187]
	v_fmac_f64_e32 v[100:101], v[226:227], v[176:177]
	v_add_f64 v[0:1], v[0:1], v[66:67]
	v_add_f64 v[0:1], v[0:1], v[100:101]
	v_fmac_f64_e32 v[102:103], v[230:231], v[184:185]
	v_add_f64 v[0:1], v[0:1], v[102:103]
	ds_read_b128 v[100:103], v2 offset:1216
	s_waitcnt vmcnt(12) lgkmcnt(6)
	v_mul_f64 v[48:49], v[248:249], v[190:191]
	v_fmac_f64_e32 v[48:49], v[250:251], v[188:189]
	v_add_f64 v[0:1], v[0:1], v[48:49]
	s_waitcnt vmcnt(11) lgkmcnt(5)
	v_mul_f64 v[48:49], v[252:253], v[198:199]
	v_fmac_f64_e32 v[48:49], v[254:255], v[196:197]
	v_add_f64 v[0:1], v[0:1], v[48:49]
	scratch_load_dwordx4 v[48:51], off, off offset:576
	scratch_load_dwordx4 v[52:55], off, off offset:592
	s_waitcnt vmcnt(12) lgkmcnt(0)
	v_mul_f64 v[56:57], v[100:101], v[6:7]
	v_accvgpr_write_b32 a109, v7
	v_fmac_f64_e32 v[56:57], v[102:103], v[4:5]
	v_accvgpr_write_b32 a108, v6
	v_accvgpr_write_b32 a107, v5
	;; [unrolled: 1-line block ×3, first 2 shown]
	s_waitcnt vmcnt(11)
	v_mov_b64_e32 v[4:5], v[8:9]
	v_mov_b64_e32 v[6:7], v[10:11]
	v_add_f64 v[0:1], v[0:1], v[56:57]
	v_mul_f64 v[56:57], v[104:105], v[6:7]
	v_fmac_f64_e32 v[56:57], v[106:107], v[4:5]
	v_add_f64 v[0:1], v[0:1], v[56:57]
	scratch_load_dwordx4 v[56:59], off, off offset:608
	s_waitcnt vmcnt(11)
	v_mov_b64_e32 v[4:5], v[12:13]
	v_mov_b64_e32 v[6:7], v[14:15]
	v_mul_f64 v[60:61], v[108:109], v[6:7]
	v_fmac_f64_e32 v[60:61], v[110:111], v[4:5]
	s_waitcnt vmcnt(10)
	v_mov_b64_e32 v[4:5], v[16:17]
	v_mov_b64_e32 v[6:7], v[18:19]
	v_add_f64 v[0:1], v[0:1], v[60:61]
	scratch_load_dwordx4 v[60:63], off, off offset:624
	v_mul_f64 v[64:65], v[116:117], v[6:7]
	v_fmac_f64_e32 v[64:65], v[118:119], v[4:5]
	v_add_f64 v[0:1], v[0:1], v[64:65]
	scratch_load_dwordx4 v[64:67], off, off offset:640
	v_mul_f64 v[70:71], v[126:127], v[70:71]
	s_waitcnt vmcnt(11)
	v_mov_b64_e32 v[4:5], v[20:21]
	v_fma_f64 v[240:241], v[124:125], v[68:69], -v[70:71]
	v_mov_b64_e32 v[6:7], v[22:23]
	scratch_load_dwordx4 v[68:71], off, off offset:656
	v_mul_f64 v[124:125], v[120:121], v[6:7]
	v_mul_f64 v[74:75], v[130:131], v[74:75]
	v_fmac_f64_e32 v[124:125], v[122:123], v[4:5]
	v_fma_f64 v[242:243], v[128:129], v[72:73], -v[74:75]
	scratch_load_dwordx4 v[72:75], off, off offset:672
	v_mul_f64 v[78:79], v[134:135], v[78:79]
	v_add_f64 v[0:1], v[0:1], v[124:125]
	ds_read_b128 v[124:127], v2 offset:1296
	ds_read_b128 v[128:131], v2 offset:1312
	v_fma_f64 v[244:245], v[132:133], v[76:77], -v[78:79]
	v_mul_f64 v[76:77], v[138:139], v[82:83]
	v_fma_f64 v[246:247], v[136:137], v[80:81], -v[76:77]
	scratch_load_dwordx4 v[76:79], off, off offset:688
	s_waitcnt vmcnt(13) lgkmcnt(1)
	v_mul_f64 v[132:133], v[124:125], v[236:237]
	v_fmac_f64_e32 v[132:133], v[126:127], v[234:235]
	v_add_f64 v[0:1], v[0:1], v[132:133]
	s_waitcnt vmcnt(12) lgkmcnt(0)
	v_mul_f64 v[132:133], v[128:129], v[30:31]
	scratch_load_dwordx4 v[80:83], off, off offset:704
	v_fmac_f64_e32 v[132:133], v[130:131], v[28:29]
	v_mul_f64 v[86:87], v[142:143], v[86:87]
	v_add_f64 v[0:1], v[0:1], v[132:133]
	v_fma_f64 v[232:233], v[140:141], v[84:85], -v[86:87]
	ds_read_b128 v[132:135], v2 offset:1328
	v_mul_f64 v[84:85], v[158:159], v[90:91]
	v_fma_f64 v[24:25], v[156:157], v[88:89], -v[84:85]
	scratch_load_dwordx4 v[88:91], off, off offset:720
	scratch_load_dwordx4 v[84:87], off, off offset:736
	v_accvgpr_write_b32 a125, v23
	v_mul_f64 v[6:7], v[170:171], v[94:95]
	v_accvgpr_write_b32 a124, v22
	v_accvgpr_write_b32 a123, v21
	;; [unrolled: 1-line block ×3, first 2 shown]
	v_fma_f64 v[20:21], v[168:169], v[92:93], -v[6:7]
	s_waitcnt vmcnt(14) lgkmcnt(0)
	v_mul_f64 v[6:7], v[132:133], v[34:35]
	v_fmac_f64_e32 v[6:7], v[134:135], v[32:33]
	v_accvgpr_write_b32 a121, v19
	v_add_f64 v[0:1], v[0:1], v[6:7]
	v_mul_f64 v[6:7], v[182:183], v[98:99]
	v_accvgpr_write_b32 a120, v18
	v_accvgpr_write_b32 a119, v17
	;; [unrolled: 1-line block ×3, first 2 shown]
	ds_read_b128 v[136:139], v2 offset:1344
	v_fma_f64 v[16:17], v[180:181], v[96:97], -v[6:7]
	scratch_load_dwordx4 v[96:99], off, off offset:752
	scratch_load_dwordx4 v[92:95], off, off offset:768
	v_accvgpr_write_b32 a117, v15
	v_mul_f64 v[6:7], v[194:195], v[114:115]
	v_accvgpr_write_b32 a116, v14
	v_accvgpr_write_b32 a115, v13
	;; [unrolled: 1-line block ×3, first 2 shown]
	v_fma_f64 v[12:13], v[192:193], v[112:113], -v[6:7]
	scratch_load_dwordx4 v[112:115], off, off offset:784
	ds_read_b128 v[140:143], v2 offset:1360
	s_waitcnt vmcnt(16) lgkmcnt(1)
	v_mul_f64 v[6:7], v[136:137], v[38:39]
	v_fmac_f64_e32 v[6:7], v[138:139], v[36:37]
	v_add_f64 v[0:1], v[0:1], v[6:7]
	v_mul_f64 v[6:7], v[202:203], v[146:147]
	v_fma_f64 v[14:15], v[200:201], v[144:145], -v[6:7]
	ds_read_b128 v[144:147], v2 offset:1376
	s_waitcnt vmcnt(15) lgkmcnt(1)
	v_mul_f64 v[6:7], v[140:141], v[42:43]
	v_fmac_f64_e32 v[6:7], v[142:143], v[40:41]
	v_accvgpr_write_b32 a113, v11
	v_add_f64 v[0:1], v[0:1], v[6:7]
	v_mul_f64 v[6:7], v[206:207], v[150:151]
	v_accvgpr_write_b32 a112, v10
	v_accvgpr_write_b32 a111, v9
	;; [unrolled: 1-line block ×3, first 2 shown]
	v_fma_f64 v[10:11], v[204:205], v[148:149], -v[6:7]
	ds_read_b128 v[148:151], v2 offset:1392
	v_mul_f64 v[18:19], v[210:211], v[154:155]
	v_fma_f64 v[18:19], v[208:209], v[152:153], -v[18:19]
	ds_read_b128 v[152:155], v2 offset:1408
	s_waitcnt vmcnt(14) lgkmcnt(2)
	v_mul_f64 v[6:7], v[144:145], v[46:47]
	v_fmac_f64_e32 v[6:7], v[146:147], v[44:45]
	v_add_f64 v[0:1], v[0:1], v[6:7]
	s_waitcnt vmcnt(13) lgkmcnt(1)
	v_mul_f64 v[6:7], v[148:149], v[50:51]
	ds_read_b128 v[156:159], v2 offset:1424
	v_fmac_f64_e32 v[6:7], v[150:151], v[48:49]
	v_add_f64 v[0:1], v[0:1], v[6:7]
	s_waitcnt vmcnt(12) lgkmcnt(1)
	v_mul_f64 v[6:7], v[152:153], v[54:55]
	v_fmac_f64_e32 v[6:7], v[154:155], v[52:53]
	v_add_f64 v[0:1], v[0:1], v[6:7]
	v_mul_f64 v[6:7], v[214:215], v[162:163]
	v_fma_f64 v[8:9], v[212:213], v[160:161], -v[6:7]
	ds_read_b128 v[160:163], v2 offset:1440
	s_waitcnt vmcnt(11) lgkmcnt(1)
	v_mul_f64 v[6:7], v[156:157], v[58:59]
	v_fmac_f64_e32 v[6:7], v[158:159], v[56:57]
	v_add_f64 v[0:1], v[0:1], v[6:7]
	v_mul_f64 v[6:7], v[218:219], v[166:167]
	v_fma_f64 v[22:23], v[216:217], v[164:165], -v[6:7]
	ds_read_b128 v[164:167], v2 offset:1456
	ds_read_b128 v[168:171], v2 offset:1472
	s_waitcnt vmcnt(10) lgkmcnt(2)
	v_mul_f64 v[6:7], v[160:161], v[62:63]
	v_fmac_f64_e32 v[6:7], v[162:163], v[60:61]
	v_add_f64 v[0:1], v[0:1], v[6:7]
	s_waitcnt vmcnt(9) lgkmcnt(1)
	v_mul_f64 v[6:7], v[164:165], v[66:67]
	v_fmac_f64_e32 v[6:7], v[166:167], v[64:65]
	v_add_f64 v[0:1], v[0:1], v[6:7]
	v_mul_f64 v[6:7], v[222:223], v[174:175]
	v_fma_f64 v[4:5], v[220:221], v[172:173], -v[6:7]
	ds_read_b128 v[172:175], v2 offset:1488
	v_mul_f64 v[6:7], v[226:227], v[178:179]
	v_fma_f64 v[6:7], v[224:225], v[176:177], -v[6:7]
	ds_read_b128 v[176:179], v2 offset:1504
	s_waitcnt vmcnt(8) lgkmcnt(2)
	v_mul_f64 v[26:27], v[168:169], v[70:71]
	v_fmac_f64_e32 v[26:27], v[170:171], v[68:69]
	v_add_f64 v[0:1], v[0:1], v[26:27]
	s_waitcnt vmcnt(7) lgkmcnt(1)
	v_mul_f64 v[26:27], v[172:173], v[74:75]
	v_fmac_f64_e32 v[26:27], v[174:175], v[72:73]
	v_add_f64 v[0:1], v[0:1], v[26:27]
	s_waitcnt vmcnt(6) lgkmcnt(0)
	v_mul_f64 v[26:27], v[176:177], v[78:79]
	v_fmac_f64_e32 v[26:27], v[178:179], v[76:77]
	ds_read_b128 v[180:183], v2 offset:1520
	v_add_f64 v[26:27], v[0:1], v[26:27]
	v_mul_f64 v[0:1], v[230:231], v[186:187]
	v_fma_f64 v[0:1], v[228:229], v[184:185], -v[0:1]
	ds_read_b128 v[184:187], v2 offset:1536
	s_waitcnt vmcnt(5) lgkmcnt(1)
	v_mul_f64 v[192:193], v[180:181], v[82:83]
	v_fmac_f64_e32 v[192:193], v[182:183], v[80:81]
	v_mul_f64 v[190:191], v[250:251], v[190:191]
	v_add_f64 v[26:27], v[26:27], v[192:193]
	v_fma_f64 v[238:239], v[248:249], v[188:189], -v[190:191]
	ds_read_b128 v[188:191], v2 offset:1552
	s_waitcnt vmcnt(4) lgkmcnt(1)
	v_mul_f64 v[192:193], v[184:185], v[90:91]
	v_fmac_f64_e32 v[192:193], v[186:187], v[88:89]
	v_add_f64 v[26:27], v[26:27], v[192:193]
	ds_read_b128 v[192:195], v2 offset:1568
	v_mul_f64 v[198:199], v[254:255], v[198:199]
	v_fma_f64 v[248:249], v[252:253], v[196:197], -v[198:199]
	ds_read_b128 v[196:199], v2 offset:1584
	ds_read_b128 v[208:211], v2 offset:1616
	s_waitcnt vmcnt(3) lgkmcnt(3)
	v_mul_f64 v[200:201], v[188:189], v[86:87]
	v_fmac_f64_e32 v[200:201], v[190:191], v[84:85]
	v_add_f64 v[26:27], v[26:27], v[200:201]
	s_waitcnt vmcnt(2) lgkmcnt(2)
	v_mul_f64 v[200:201], v[192:193], v[98:99]
	v_fmac_f64_e32 v[200:201], v[194:195], v[96:97]
	v_add_f64 v[26:27], v[26:27], v[200:201]
	;; [unrolled: 4-line block ×3, first 2 shown]
	ds_read_b128 v[200:203], v2 offset:1600
	ds_read_b128 v[216:219], v2 offset:1632
	;; [unrolled: 1-line block ×3, first 2 shown]
	s_waitcnt vmcnt(0) lgkmcnt(2)
	v_mul_f64 v[204:205], v[200:201], v[114:115]
	v_fmac_f64_e32 v[204:205], v[202:203], v[112:113]
	v_add_f64 v[26:27], v[26:27], v[204:205]
	scratch_load_dwordx4 v[204:207], off, off offset:800
	s_waitcnt vmcnt(0)
	v_mul_f64 v[212:213], v[208:209], v[206:207]
	v_fmac_f64_e32 v[212:213], v[210:211], v[204:205]
	v_add_f64 v[26:27], v[26:27], v[212:213]
	scratch_load_dwordx4 v[212:215], off, off offset:816
	s_waitcnt vmcnt(0) lgkmcnt(1)
	v_mul_f64 v[220:221], v[216:217], v[214:215]
	v_fmac_f64_e32 v[220:221], v[218:219], v[212:213]
	v_add_f64 v[26:27], v[26:27], v[220:221]
	scratch_load_dwordx4 v[220:223], off, off offset:832
	s_waitcnt vmcnt(0) lgkmcnt(0)
	v_mul_f64 v[228:229], v[224:225], v[222:223]
	v_fmac_f64_e32 v[228:229], v[226:227], v[220:221]
	v_add_f64 v[252:253], v[26:27], v[228:229]
	scratch_load_dwordx4 v[228:231], off, off offset:80
	v_add_f64 v[26:27], v[240:241], 0
	v_add_f64 v[26:27], v[26:27], v[242:243]
	v_add_f64 v[26:27], v[26:27], v[244:245]
	v_add_f64 v[26:27], v[26:27], v[246:247]
	v_add_f64 v[26:27], v[26:27], v[232:233]
	v_add_f64 v[24:25], v[26:27], v[24:25]
	v_add_f64 v[20:21], v[24:25], v[20:21]
	v_add_f64 v[16:17], v[20:21], v[16:17]
	v_add_f64 v[12:13], v[16:17], v[12:13]
	v_add_f64 v[12:13], v[12:13], v[14:15]
	v_add_f64 v[10:11], v[12:13], v[10:11]
	v_add_f64 v[10:11], v[10:11], v[18:19]
	v_add_f64 v[8:9], v[10:11], v[8:9]
	v_add_f64 v[8:9], v[8:9], v[22:23]
	v_add_f64 v[250:251], v[8:9], v[4:5]
	v_add_f64 v[4:5], v[250:251], v[6:7]
	v_accvgpr_read_b32 v6, a106
	v_accvgpr_read_b32 v8, a108
	;; [unrolled: 1-line block ×3, first 2 shown]
	v_add_f64 v[0:1], v[4:5], v[0:1]
	v_accvgpr_read_b32 v7, a107
	v_mul_f64 v[4:5], v[102:103], v[8:9]
	v_add_f64 v[0:1], v[0:1], v[238:239]
	v_fma_f64 v[4:5], v[100:101], v[6:7], -v[4:5]
	v_accvgpr_read_b32 v6, a110
	v_add_f64 v[0:1], v[0:1], v[248:249]
	v_accvgpr_read_b32 v8, a112
	v_accvgpr_read_b32 v9, a113
	v_add_f64 v[0:1], v[0:1], v[4:5]
	v_accvgpr_read_b32 v7, a111
	v_mul_f64 v[4:5], v[106:107], v[8:9]
	v_fma_f64 v[4:5], v[104:105], v[6:7], -v[4:5]
	v_accvgpr_read_b32 v6, a114
	v_accvgpr_read_b32 v8, a116
	v_accvgpr_read_b32 v9, a117
	v_add_f64 v[0:1], v[0:1], v[4:5]
	v_accvgpr_read_b32 v7, a115
	v_mul_f64 v[4:5], v[110:111], v[8:9]
	v_fma_f64 v[4:5], v[108:109], v[6:7], -v[4:5]
	v_accvgpr_read_b32 v6, a118
	;; [unrolled: 7-line block ×3, first 2 shown]
	v_accvgpr_read_b32 v8, a124
	v_accvgpr_read_b32 v9, a125
	v_add_f64 v[0:1], v[0:1], v[4:5]
	v_accvgpr_read_b32 v7, a123
	v_mul_f64 v[4:5], v[122:123], v[8:9]
	v_fma_f64 v[4:5], v[120:121], v[6:7], -v[4:5]
	v_add_f64 v[0:1], v[0:1], v[4:5]
	v_mul_f64 v[4:5], v[126:127], v[236:237]
	v_fma_f64 v[4:5], v[124:125], v[234:235], -v[4:5]
	v_add_f64 v[0:1], v[0:1], v[4:5]
	;; [unrolled: 3-line block ×24, first 2 shown]
	s_waitcnt vmcnt(0)
	v_add_f64 v[4:5], v[228:229], -v[0:1]
	v_accvgpr_read_b32 v0, a104
	v_add_f64 v[6:7], v[230:231], -v[252:253]
	v_cmp_lt_u32_e32 vcc, 3, v0
	scratch_store_dwordx4 off, v[4:7], off offset:80
	s_and_saveexec_b64 s[0:1], vcc
	s_cbranch_execz .LBB51_319
; %bb.318:
	scratch_load_dwordx4 v[6:9], off, s65
	v_mov_b32_e32 v3, v2
	v_mov_b32_e32 v4, v2
	;; [unrolled: 1-line block ×3, first 2 shown]
	v_accvgpr_read_b32 v0, a105
	scratch_store_dwordx4 off, v[2:5], off offset:64
	s_waitcnt vmcnt(1)
	ds_write_b128 v0, v[6:9]
.LBB51_319:
	s_or_b64 exec, exec, s[0:1]
	s_waitcnt lgkmcnt(0)
	; wave barrier
	scratch_load_dwordx4 v[40:43], off, off offset:80
	scratch_load_dwordx4 v[44:47], off, off offset:96
	scratch_load_dwordx4 v[48:51], off, off offset:112
	scratch_load_dwordx4 v[52:55], off, off offset:128
	scratch_load_dwordx4 v[56:59], off, off offset:144
	scratch_load_dwordx4 v[60:63], off, off offset:160
	scratch_load_dwordx4 v[64:67], off, off offset:176
	scratch_load_dwordx4 v[68:71], off, off offset:192
	scratch_load_dwordx4 v[76:79], off, off offset:208
	scratch_load_dwordx4 v[80:83], off, off offset:224
	scratch_load_dwordx4 v[84:87], off, off offset:240
	scratch_load_dwordx4 v[88:91], off, off offset:256
	scratch_load_dwordx4 v[92:95], off, off offset:272
	scratch_load_dwordx4 v[96:99], off, off offset:288
	scratch_load_dwordx4 v[100:103], off, off offset:304
	scratch_load_dwordx4 v[104:107], off, off offset:320
	scratch_load_dwordx4 v[112:115], off, off offset:336
	scratch_load_dwordx4 v[136:139], off, off offset:352
	ds_read_b128 v[164:167], v2 offset:896
	ds_read_b128 v[232:235], v2 offset:912
	;; [unrolled: 1-line block ×6, first 2 shown]
	scratch_load_dwordx4 v[140:143], off, off offset:368
	ds_read_b128 v[224:227], v2 offset:992
	ds_read_b128 v[212:215], v2 offset:1008
	;; [unrolled: 1-line block ×3, first 2 shown]
	scratch_load_dwordx4 v[4:7], off, off offset:384
	ds_read_b128 v[228:231], v2 offset:1040
	ds_read_b128 v[216:219], v2 offset:1056
	;; [unrolled: 1-line block ×5, first 2 shown]
	scratch_load_dwordx4 v[8:11], off, off offset:400
	ds_read_b128 v[208:211], v2 offset:1120
	ds_read_b128 v[196:199], v2 offset:1136
	;; [unrolled: 1-line block ×3, first 2 shown]
	scratch_load_dwordx4 v[12:15], off, off offset:416
	ds_read_b128 v[200:203], v2 offset:1168
	scratch_load_dwordx4 v[16:19], off, off offset:432
	scratch_load_dwordx4 v[20:23], off, off offset:448
	;; [unrolled: 1-line block ×7, first 2 shown]
	ds_read_b128 v[236:239], v2 offset:1184
	ds_read_b128 v[156:159], v2 offset:1248
	;; [unrolled: 1-line block ×4, first 2 shown]
	s_waitcnt vmcnt(28) lgkmcnt(14)
	v_mul_f64 v[0:1], v[164:165], v[42:43]
	s_waitcnt vmcnt(27)
	v_mul_f64 v[108:109], v[232:233], v[46:47]
	v_fmac_f64_e32 v[0:1], v[166:167], v[40:41]
	s_waitcnt vmcnt(26)
	v_mul_f64 v[110:111], v[168:169], v[50:51]
	v_fmac_f64_e32 v[108:109], v[234:235], v[44:45]
	v_add_f64 v[0:1], v[0:1], 0
	s_waitcnt vmcnt(25)
	v_mul_f64 v[116:117], v[220:221], v[54:55]
	v_fmac_f64_e32 v[110:111], v[170:171], v[48:49]
	v_add_f64 v[0:1], v[0:1], v[108:109]
	;; [unrolled: 4-line block ×6, first 2 shown]
	s_waitcnt vmcnt(20) lgkmcnt(13)
	v_mul_f64 v[126:127], v[180:181], v[78:79]
	v_fmac_f64_e32 v[124:125], v[214:215], v[68:69]
	v_add_f64 v[0:1], v[0:1], v[122:123]
	s_waitcnt vmcnt(19) lgkmcnt(12)
	v_mul_f64 v[128:129], v[228:229], v[82:83]
	v_fmac_f64_e32 v[126:127], v[182:183], v[76:77]
	v_add_f64 v[0:1], v[0:1], v[124:125]
	;; [unrolled: 4-line block ×9, first 2 shown]
	v_add_f64 v[0:1], v[0:1], v[148:149]
	v_fmac_f64_e32 v[150:151], v[186:187], v[112:113]
	s_waitcnt vmcnt(11) lgkmcnt(4)
	v_mul_f64 v[116:117], v[200:201], v[138:139]
	v_add_f64 v[0:1], v[0:1], v[150:151]
	v_fmac_f64_e32 v[116:117], v[202:203], v[136:137]
	v_add_f64 v[0:1], v[0:1], v[116:117]
	ds_read_b128 v[144:147], v2 offset:1200
	s_waitcnt vmcnt(10) lgkmcnt(4)
	v_mul_f64 v[116:117], v[236:237], v[142:143]
	scratch_load_dwordx4 v[108:111], off, off offset:544
	v_fmac_f64_e32 v[116:117], v[238:239], v[140:141]
	v_add_f64 v[0:1], v[0:1], v[116:117]
	scratch_load_dwordx4 v[116:119], off, off offset:560
	ds_read_b128 v[148:151], v2 offset:1216
	scratch_load_dwordx4 v[120:123], off, off offset:576
	s_waitcnt vmcnt(12) lgkmcnt(1)
	v_mul_f64 v[124:125], v[144:145], v[6:7]
	v_fmac_f64_e32 v[124:125], v[146:147], v[4:5]
	v_add_f64 v[0:1], v[0:1], v[124:125]
	s_waitcnt vmcnt(11) lgkmcnt(0)
	v_mul_f64 v[124:125], v[148:149], v[10:11]
	v_fmac_f64_e32 v[124:125], v[150:151], v[8:9]
	s_waitcnt vmcnt(10)
	v_mul_f64 v[128:129], v[152:153], v[14:15]
	v_add_f64 v[0:1], v[0:1], v[124:125]
	scratch_load_dwordx4 v[124:127], off, off offset:592
	v_fmac_f64_e32 v[128:129], v[154:155], v[12:13]
	v_add_f64 v[0:1], v[0:1], v[128:129]
	scratch_load_dwordx4 v[128:131], off, off offset:608
	s_waitcnt vmcnt(11)
	v_mul_f64 v[132:133], v[156:157], v[18:19]
	v_fmac_f64_e32 v[132:133], v[158:159], v[16:17]
	v_add_f64 v[0:1], v[0:1], v[132:133]
	scratch_load_dwordx4 v[132:135], off, off offset:624
	v_mul_f64 v[42:43], v[166:167], v[42:43]
	v_fma_f64 v[240:241], v[164:165], v[40:41], -v[42:43]
	scratch_load_dwordx4 v[40:43], off, off offset:640
	v_mul_f64 v[46:47], v[234:235], v[46:47]
	v_fma_f64 v[242:243], v[232:233], v[44:45], -v[46:47]
	;; [unrolled: 3-line block ×3, first 2 shown]
	v_mul_f64 v[48:49], v[222:223], v[54:55]
	v_fma_f64 v[246:247], v[220:221], v[52:53], -v[48:49]
	scratch_load_dwordx4 v[48:51], off, off offset:672
	scratch_load_dwordx4 v[52:55], off, off offset:688
	s_waitcnt vmcnt(15)
	v_mul_f64 v[164:165], v[160:161], v[22:23]
	v_fmac_f64_e32 v[164:165], v[162:163], v[20:21]
	v_add_f64 v[0:1], v[0:1], v[164:165]
	ds_read_b128 v[164:167], v2 offset:1280
	ds_read_b128 v[168:171], v2 offset:1296
	v_mul_f64 v[58:59], v[174:175], v[58:59]
	v_fma_f64 v[252:253], v[172:173], v[56:57], -v[58:59]
	ds_read_b128 v[172:175], v2 offset:1312
	v_mul_f64 v[56:57], v[178:179], v[62:63]
	v_fma_f64 v[254:255], v[176:177], v[60:61], -v[56:57]
	scratch_load_dwordx4 v[60:63], off, off offset:704
	scratch_load_dwordx4 v[56:59], off, off offset:720
	s_waitcnt vmcnt(16) lgkmcnt(2)
	v_mul_f64 v[232:233], v[164:165], v[34:35]
	v_fmac_f64_e32 v[232:233], v[166:167], v[32:33]
	s_waitcnt vmcnt(15) lgkmcnt(1)
	v_mul_f64 v[220:221], v[168:169], v[38:39]
	v_mul_f64 v[66:67], v[226:227], v[66:67]
	v_add_f64 v[0:1], v[0:1], v[232:233]
	v_fmac_f64_e32 v[220:221], v[170:171], v[36:37]
	v_fma_f64 v[248:249], v[224:225], v[64:65], -v[66:67]
	s_waitcnt vmcnt(14) lgkmcnt(0)
	v_mul_f64 v[64:65], v[172:173], v[30:31]
	v_add_f64 v[0:1], v[0:1], v[220:221]
	v_fmac_f64_e32 v[64:65], v[174:175], v[28:29]
	v_accvgpr_write_b32 a133, v23
	v_add_f64 v[0:1], v[0:1], v[64:65]
	v_mul_f64 v[64:65], v[214:215], v[70:71]
	v_accvgpr_write_b32 a132, v22
	v_accvgpr_write_b32 a131, v21
	;; [unrolled: 1-line block ×3, first 2 shown]
	ds_read_b128 v[176:179], v2 offset:1328
	v_fma_f64 v[20:21], v[212:213], v[68:69], -v[64:65]
	scratch_load_dwordx4 v[68:71], off, off offset:736
	scratch_load_dwordx4 v[64:67], off, off offset:752
	v_accvgpr_write_b32 a117, v7
	v_accvgpr_write_b32 a116, v6
	;; [unrolled: 1-line block ×5, first 2 shown]
	v_mul_f64 v[6:7], v[182:183], v[78:79]
	v_accvgpr_write_b32 a128, v18
	v_accvgpr_write_b32 a127, v17
	;; [unrolled: 1-line block ×3, first 2 shown]
	v_fma_f64 v[16:17], v[180:181], v[76:77], -v[6:7]
	s_waitcnt vmcnt(15) lgkmcnt(0)
	v_mul_f64 v[76:77], v[176:177], v[26:27]
	v_fmac_f64_e32 v[76:77], v[178:179], v[24:25]
	v_accvgpr_write_b32 a125, v15
	v_add_f64 v[0:1], v[0:1], v[76:77]
	v_mul_f64 v[76:77], v[230:231], v[82:83]
	v_accvgpr_write_b32 a124, v14
	v_accvgpr_write_b32 a123, v13
	;; [unrolled: 1-line block ×3, first 2 shown]
	v_fma_f64 v[12:13], v[228:229], v[80:81], -v[76:77]
	scratch_load_dwordx4 v[76:79], off, off offset:768
	scratch_load_dwordx4 v[232:235], off, off offset:832
	ds_read_b128 v[180:183], v2 offset:1344
	ds_read_b128 v[80:83], v2 offset:1360
	v_accvgpr_write_b32 a121, v11
	v_accvgpr_write_b32 a120, v10
	v_accvgpr_write_b32 a119, v9
	v_accvgpr_write_b32 a118, v8
	s_waitcnt vmcnt(16) lgkmcnt(1)
	v_mul_f64 v[10:11], v[180:181], v[74:75]
	v_fmac_f64_e32 v[10:11], v[182:183], v[72:73]
	v_add_f64 v[0:1], v[0:1], v[10:11]
	v_mul_f64 v[10:11], v[218:219], v[86:87]
	v_fma_f64 v[10:11], v[216:217], v[84:85], -v[10:11]
	ds_read_b128 v[84:87], v2 offset:1376
	v_mul_f64 v[90:91], v[190:191], v[90:91]
	v_fma_f64 v[8:9], v[188:189], v[88:89], -v[90:91]
	ds_read_b128 v[88:91], v2 offset:1392
	s_waitcnt vmcnt(15) lgkmcnt(2)
	v_mul_f64 v[212:213], v[80:81], v[110:111]
	v_fmac_f64_e32 v[212:213], v[82:83], v[108:109]
	s_waitcnt vmcnt(14) lgkmcnt(1)
	v_mul_f64 v[14:15], v[84:85], v[118:119]
	v_add_f64 v[0:1], v[0:1], v[212:213]
	v_fmac_f64_e32 v[14:15], v[86:87], v[116:117]
	v_add_f64 v[0:1], v[0:1], v[14:15]
	s_waitcnt vmcnt(13) lgkmcnt(0)
	v_mul_f64 v[14:15], v[88:89], v[122:123]
	v_fmac_f64_e32 v[14:15], v[90:91], v[120:121]
	ds_read_b128 v[188:191], v2 offset:1408
	v_add_f64 v[0:1], v[0:1], v[14:15]
	v_mul_f64 v[14:15], v[206:207], v[94:95]
	v_fma_f64 v[14:15], v[204:205], v[92:93], -v[14:15]
	ds_read_b128 v[92:95], v2 offset:1424
	v_mul_f64 v[98:99], v[194:195], v[98:99]
	v_fma_f64 v[6:7], v[192:193], v[96:97], -v[98:99]
	ds_read_b128 v[96:99], v2 offset:1440
	ds_read_b128 v[192:195], v2 offset:1456
	s_waitcnt vmcnt(12) lgkmcnt(3)
	v_mul_f64 v[204:205], v[188:189], v[126:127]
	v_fmac_f64_e32 v[204:205], v[190:191], v[124:125]
	s_waitcnt vmcnt(11) lgkmcnt(2)
	v_mul_f64 v[18:19], v[92:93], v[130:131]
	v_add_f64 v[0:1], v[0:1], v[204:205]
	v_fmac_f64_e32 v[18:19], v[94:95], v[128:129]
	v_add_f64 v[0:1], v[0:1], v[18:19]
	s_waitcnt vmcnt(10) lgkmcnt(1)
	v_mul_f64 v[18:19], v[96:97], v[134:135]
	v_fmac_f64_e32 v[18:19], v[98:99], v[132:133]
	v_add_f64 v[0:1], v[0:1], v[18:19]
	v_mul_f64 v[18:19], v[210:211], v[102:103]
	v_fma_f64 v[18:19], v[208:209], v[100:101], -v[18:19]
	ds_read_b128 v[100:103], v2 offset:1472
	v_mul_f64 v[106:107], v[198:199], v[106:107]
	v_fma_f64 v[4:5], v[196:197], v[104:105], -v[106:107]
	ds_read_b128 v[104:107], v2 offset:1488
	s_waitcnt vmcnt(9) lgkmcnt(2)
	v_mul_f64 v[204:205], v[192:193], v[42:43]
	v_fmac_f64_e32 v[204:205], v[194:195], v[40:41]
	s_waitcnt vmcnt(8) lgkmcnt(1)
	v_mul_f64 v[22:23], v[100:101], v[46:47]
	v_add_f64 v[0:1], v[0:1], v[204:205]
	v_fmac_f64_e32 v[22:23], v[102:103], v[44:45]
	v_add_f64 v[0:1], v[0:1], v[22:23]
	s_waitcnt vmcnt(7) lgkmcnt(0)
	v_mul_f64 v[22:23], v[104:105], v[50:51]
	ds_read_b128 v[196:199], v2 offset:1504
	v_fmac_f64_e32 v[22:23], v[106:107], v[48:49]
	v_add_f64 v[0:1], v[0:1], v[22:23]
	v_mul_f64 v[22:23], v[186:187], v[114:115]
	v_fma_f64 v[22:23], v[184:185], v[112:113], -v[22:23]
	ds_read_b128 v[112:115], v2 offset:1520
	s_waitcnt vmcnt(6) lgkmcnt(1)
	v_mul_f64 v[184:185], v[196:197], v[54:55]
	v_fmac_f64_e32 v[184:185], v[198:199], v[52:53]
	v_add_f64 v[184:185], v[0:1], v[184:185]
	v_mul_f64 v[0:1], v[202:203], v[138:139]
	v_fma_f64 v[0:1], v[200:201], v[136:137], -v[0:1]
	ds_read_b128 v[136:139], v2 offset:1536
	s_waitcnt vmcnt(5) lgkmcnt(1)
	v_mul_f64 v[186:187], v[112:113], v[62:63]
	v_fmac_f64_e32 v[186:187], v[114:115], v[60:61]
	v_add_f64 v[200:201], v[184:185], v[186:187]
	ds_read_b128 v[184:187], v2 offset:1552
	v_mul_f64 v[142:143], v[238:239], v[142:143]
	v_fma_f64 v[250:251], v[236:237], v[140:141], -v[142:143]
	ds_read_b128 v[140:143], v2 offset:1568
	ds_read_b128 v[208:211], v2 offset:1600
	s_waitcnt vmcnt(4) lgkmcnt(3)
	v_mul_f64 v[202:203], v[136:137], v[58:59]
	v_fmac_f64_e32 v[202:203], v[138:139], v[56:57]
	v_add_f64 v[200:201], v[200:201], v[202:203]
	s_waitcnt vmcnt(3) lgkmcnt(2)
	v_mul_f64 v[202:203], v[184:185], v[70:71]
	v_fmac_f64_e32 v[202:203], v[186:187], v[68:69]
	v_add_f64 v[200:201], v[200:201], v[202:203]
	;; [unrolled: 4-line block ×3, first 2 shown]
	ds_read_b128 v[200:203], v2 offset:1584
	ds_read_b128 v[216:219], v2 offset:1616
	;; [unrolled: 1-line block ×3, first 2 shown]
	s_waitcnt vmcnt(1) lgkmcnt(2)
	v_mul_f64 v[206:207], v[200:201], v[78:79]
	v_fmac_f64_e32 v[206:207], v[202:203], v[76:77]
	v_add_f64 v[212:213], v[204:205], v[206:207]
	scratch_load_dwordx4 v[204:207], off, off offset:784
	s_waitcnt vmcnt(0)
	v_mul_f64 v[214:215], v[208:209], v[206:207]
	v_fmac_f64_e32 v[214:215], v[210:211], v[204:205]
	v_add_f64 v[220:221], v[212:213], v[214:215]
	scratch_load_dwordx4 v[212:215], off, off offset:800
	s_waitcnt vmcnt(0) lgkmcnt(1)
	v_mul_f64 v[222:223], v[216:217], v[214:215]
	v_fmac_f64_e32 v[222:223], v[218:219], v[212:213]
	v_add_f64 v[228:229], v[220:221], v[222:223]
	scratch_load_dwordx4 v[220:223], off, off offset:816
	s_waitcnt vmcnt(0) lgkmcnt(0)
	v_mul_f64 v[230:231], v[224:225], v[222:223]
	v_fmac_f64_e32 v[230:231], v[226:227], v[220:221]
	v_add_f64 v[236:237], v[228:229], v[230:231]
	ds_read_b128 v[228:231], v2 offset:1648
	s_waitcnt lgkmcnt(0)
	v_mul_f64 v[2:3], v[228:229], v[234:235]
	v_fmac_f64_e32 v[2:3], v[230:231], v[232:233]
	v_add_f64 v[2:3], v[236:237], v[2:3]
	v_add_f64 v[236:237], v[240:241], 0
	;; [unrolled: 1-line block ×9, first 2 shown]
	scratch_load_dwordx4 v[236:239], off, off offset:64
	v_add_f64 v[16:17], v[20:21], v[16:17]
	v_add_f64 v[12:13], v[16:17], v[12:13]
	;; [unrolled: 1-line block ×8, first 2 shown]
	v_accvgpr_read_b32 v6, a114
	v_accvgpr_read_b32 v8, a116
	;; [unrolled: 1-line block ×3, first 2 shown]
	v_add_f64 v[252:253], v[4:5], v[22:23]
	v_accvgpr_read_b32 v7, a115
	v_mul_f64 v[4:5], v[146:147], v[8:9]
	v_add_f64 v[0:1], v[252:253], v[0:1]
	v_fma_f64 v[4:5], v[144:145], v[6:7], -v[4:5]
	v_accvgpr_read_b32 v6, a118
	v_add_f64 v[0:1], v[0:1], v[250:251]
	v_accvgpr_read_b32 v8, a120
	v_accvgpr_read_b32 v9, a121
	v_add_f64 v[0:1], v[0:1], v[4:5]
	v_accvgpr_read_b32 v7, a119
	v_mul_f64 v[4:5], v[150:151], v[8:9]
	v_fma_f64 v[4:5], v[148:149], v[6:7], -v[4:5]
	v_accvgpr_read_b32 v6, a122
	v_accvgpr_read_b32 v8, a124
	v_accvgpr_read_b32 v9, a125
	v_add_f64 v[0:1], v[0:1], v[4:5]
	v_accvgpr_read_b32 v7, a123
	v_mul_f64 v[4:5], v[154:155], v[8:9]
	v_fma_f64 v[4:5], v[152:153], v[6:7], -v[4:5]
	v_accvgpr_read_b32 v6, a126
	;; [unrolled: 7-line block ×3, first 2 shown]
	v_accvgpr_read_b32 v8, a132
	v_accvgpr_read_b32 v9, a133
	v_add_f64 v[0:1], v[0:1], v[4:5]
	v_accvgpr_read_b32 v7, a131
	v_mul_f64 v[4:5], v[162:163], v[8:9]
	v_fma_f64 v[4:5], v[160:161], v[6:7], -v[4:5]
	v_add_f64 v[0:1], v[0:1], v[4:5]
	v_mul_f64 v[4:5], v[166:167], v[34:35]
	v_fma_f64 v[4:5], v[164:165], v[32:33], -v[4:5]
	v_add_f64 v[0:1], v[0:1], v[4:5]
	;; [unrolled: 3-line block ×25, first 2 shown]
	s_waitcnt vmcnt(0)
	v_add_f64 v[4:5], v[236:237], -v[0:1]
	v_accvgpr_read_b32 v0, a104
	v_add_f64 v[6:7], v[238:239], -v[2:3]
	v_cmp_lt_u32_e32 vcc, 2, v0
	scratch_store_dwordx4 off, v[4:7], off offset:64
	s_and_saveexec_b64 s[0:1], vcc
	s_cbranch_execz .LBB51_321
; %bb.320:
	scratch_load_dwordx4 v[2:5], off, s66
	v_mov_b32_e32 v6, 0
	v_mov_b32_e32 v7, v6
	;; [unrolled: 1-line block ×4, first 2 shown]
	v_accvgpr_read_b32 v0, a105
	scratch_store_dwordx4 off, v[6:9], off offset:48
	s_waitcnt vmcnt(1)
	ds_write_b128 v0, v[2:5]
.LBB51_321:
	s_or_b64 exec, exec, s[0:1]
	s_waitcnt lgkmcnt(0)
	; wave barrier
	scratch_load_dwordx4 v[56:59], off, off offset:64
	scratch_load_dwordx4 v[60:63], off, off offset:80
	;; [unrolled: 1-line block ×28, first 2 shown]
	v_mov_b32_e32 v2, 0
	ds_read_b128 v[116:119], v2 offset:880
	ds_read_b128 v[120:123], v2 offset:896
	;; [unrolled: 1-line block ×22, first 2 shown]
	s_waitcnt vmcnt(27) lgkmcnt(14)
	v_mul_f64 v[0:1], v[116:117], v[58:59]
	s_waitcnt vmcnt(26)
	v_mul_f64 v[32:33], v[120:121], v[62:63]
	v_fmac_f64_e32 v[0:1], v[118:119], v[56:57]
	s_waitcnt vmcnt(25)
	v_mul_f64 v[34:35], v[124:125], v[66:67]
	v_fmac_f64_e32 v[32:33], v[122:123], v[60:61]
	v_add_f64 v[0:1], v[0:1], 0
	v_fmac_f64_e32 v[34:35], v[126:127], v[64:65]
	v_add_f64 v[0:1], v[0:1], v[32:33]
	v_add_f64 v[0:1], v[0:1], v[34:35]
	scratch_load_dwordx4 v[32:35], off, off offset:512
	s_waitcnt vmcnt(25)
	v_mul_f64 v[36:37], v[128:129], v[70:71]
	s_waitcnt vmcnt(24)
	v_mul_f64 v[38:39], v[132:133], v[74:75]
	v_fmac_f64_e32 v[36:37], v[130:131], v[68:69]
	s_waitcnt vmcnt(23)
	v_mul_f64 v[40:41], v[140:141], v[78:79]
	v_fmac_f64_e32 v[38:39], v[134:135], v[72:73]
	v_add_f64 v[0:1], v[0:1], v[36:37]
	s_waitcnt vmcnt(22)
	v_mul_f64 v[42:43], v[152:153], v[82:83]
	v_fmac_f64_e32 v[40:41], v[142:143], v[76:77]
	v_add_f64 v[0:1], v[0:1], v[38:39]
	;; [unrolled: 4-line block ×3, first 2 shown]
	s_waitcnt vmcnt(20) lgkmcnt(13)
	v_mul_f64 v[46:47], v[176:177], v[94:95]
	v_fmac_f64_e32 v[44:45], v[166:167], v[84:85]
	v_add_f64 v[0:1], v[0:1], v[42:43]
	s_waitcnt vmcnt(19) lgkmcnt(12)
	v_mul_f64 v[48:49], v[188:189], v[98:99]
	v_fmac_f64_e32 v[46:47], v[178:179], v[92:93]
	v_add_f64 v[0:1], v[0:1], v[44:45]
	s_waitcnt vmcnt(18) lgkmcnt(11)
	v_mul_f64 v[50:51], v[196:197], v[102:103]
	v_fmac_f64_e32 v[48:49], v[190:191], v[96:97]
	v_add_f64 v[0:1], v[0:1], v[46:47]
	s_waitcnt vmcnt(17) lgkmcnt(10)
	v_mul_f64 v[52:53], v[200:201], v[138:139]
	v_fmac_f64_e32 v[50:51], v[198:199], v[100:101]
	v_add_f64 v[0:1], v[0:1], v[48:49]
	s_waitcnt vmcnt(16) lgkmcnt(9)
	v_mul_f64 v[54:55], v[204:205], v[146:147]
	v_fmac_f64_e32 v[52:53], v[202:203], v[136:137]
	v_add_f64 v[0:1], v[0:1], v[50:51]
	s_waitcnt vmcnt(15) lgkmcnt(8)
	v_mul_f64 v[88:89], v[208:209], v[150:151]
	v_fmac_f64_e32 v[54:55], v[206:207], v[144:145]
	v_add_f64 v[0:1], v[0:1], v[52:53]
	s_waitcnt vmcnt(14) lgkmcnt(7)
	v_mul_f64 v[90:91], v[212:213], v[158:159]
	v_fmac_f64_e32 v[88:89], v[210:211], v[148:149]
	v_add_f64 v[0:1], v[0:1], v[54:55]
	s_waitcnt vmcnt(13) lgkmcnt(6)
	v_mul_f64 v[104:105], v[216:217], v[162:163]
	v_fmac_f64_e32 v[90:91], v[214:215], v[156:157]
	v_add_f64 v[0:1], v[0:1], v[88:89]
	s_waitcnt vmcnt(12) lgkmcnt(5)
	v_mul_f64 v[106:107], v[220:221], v[170:171]
	v_fmac_f64_e32 v[104:105], v[218:219], v[160:161]
	v_add_f64 v[0:1], v[0:1], v[90:91]
	v_add_f64 v[0:1], v[0:1], v[104:105]
	v_fmac_f64_e32 v[106:107], v[222:223], v[168:169]
	s_waitcnt vmcnt(11) lgkmcnt(4)
	v_mul_f64 v[40:41], v[224:225], v[174:175]
	v_add_f64 v[0:1], v[0:1], v[106:107]
	v_fmac_f64_e32 v[40:41], v[226:227], v[172:173]
	scratch_load_dwordx4 v[36:39], off, off offset:528
	v_add_f64 v[0:1], v[0:1], v[40:41]
	s_waitcnt vmcnt(11) lgkmcnt(3)
	v_mul_f64 v[40:41], v[228:229], v[182:183]
	v_fmac_f64_e32 v[40:41], v[230:231], v[180:181]
	s_waitcnt vmcnt(10) lgkmcnt(2)
	v_mul_f64 v[44:45], v[248:249], v[186:187]
	v_add_f64 v[0:1], v[0:1], v[40:41]
	v_fmac_f64_e32 v[44:45], v[250:251], v[184:185]
	scratch_load_dwordx4 v[40:43], off, off offset:544
	ds_read_b128 v[88:91], v2 offset:1216
	v_add_f64 v[0:1], v[0:1], v[44:45]
	s_waitcnt vmcnt(10) lgkmcnt(2)
	v_mul_f64 v[44:45], v[252:253], v[194:195]
	v_fmac_f64_e32 v[44:45], v[254:255], v[192:193]
	v_add_f64 v[0:1], v[0:1], v[44:45]
	scratch_load_dwordx4 v[44:47], off, off offset:560
	ds_read_b128 v[104:107], v2 offset:1232
	s_waitcnt vmcnt(10) lgkmcnt(1)
	v_mul_f64 v[48:49], v[88:89], v[6:7]
	v_accvgpr_write_b32 a109, v7
	v_fmac_f64_e32 v[48:49], v[90:91], v[4:5]
	v_accvgpr_write_b32 a108, v6
	v_accvgpr_write_b32 a107, v5
	;; [unrolled: 1-line block ×3, first 2 shown]
	s_waitcnt vmcnt(9)
	v_mov_b64_e32 v[4:5], v[8:9]
	v_add_f64 v[0:1], v[0:1], v[48:49]
	scratch_load_dwordx4 v[48:51], off, off offset:576
	v_mov_b64_e32 v[6:7], v[10:11]
	s_waitcnt lgkmcnt(0)
	v_mul_f64 v[52:53], v[104:105], v[6:7]
	v_fmac_f64_e32 v[52:53], v[106:107], v[4:5]
	v_add_f64 v[0:1], v[0:1], v[52:53]
	scratch_load_dwordx4 v[52:55], off, off offset:592
	v_mul_f64 v[58:59], v[118:119], v[58:59]
	s_waitcnt vmcnt(10)
	v_mov_b64_e32 v[4:5], v[12:13]
	v_fma_f64 v[240:241], v[116:117], v[56:57], -v[58:59]
	scratch_load_dwordx4 v[56:59], off, off offset:608
	v_mov_b64_e32 v[6:7], v[14:15]
	v_mul_f64 v[112:113], v[108:109], v[6:7]
	v_fmac_f64_e32 v[112:113], v[110:111], v[4:5]
	v_add_f64 v[0:1], v[0:1], v[112:113]
	ds_read_b128 v[112:115], v2 offset:1264
	ds_read_b128 v[116:119], v2 offset:1280
	v_mul_f64 v[62:63], v[122:123], v[62:63]
	v_fma_f64 v[242:243], v[120:121], v[60:61], -v[62:63]
	scratch_load_dwordx4 v[60:63], off, off offset:624
	s_waitcnt vmcnt(11)
	v_mov_b64_e32 v[4:5], v[16:17]
	v_mul_f64 v[66:67], v[126:127], v[66:67]
	v_mov_b64_e32 v[6:7], v[18:19]
	v_fma_f64 v[244:245], v[124:125], v[64:65], -v[66:67]
	scratch_load_dwordx4 v[64:67], off, off offset:640
	s_waitcnt lgkmcnt(1)
	v_mul_f64 v[120:121], v[112:113], v[6:7]
	v_fmac_f64_e32 v[120:121], v[114:115], v[4:5]
	s_waitcnt vmcnt(11)
	v_mov_b64_e32 v[4:5], v[20:21]
	v_mov_b64_e32 v[6:7], v[22:23]
	v_add_f64 v[0:1], v[0:1], v[120:121]
	s_waitcnt lgkmcnt(0)
	v_mul_f64 v[120:121], v[116:117], v[6:7]
	v_fmac_f64_e32 v[120:121], v[118:119], v[4:5]
	v_mul_f64 v[70:71], v[130:131], v[70:71]
	v_add_f64 v[0:1], v[0:1], v[120:121]
	v_fma_f64 v[246:247], v[128:129], v[68:69], -v[70:71]
	scratch_load_dwordx4 v[68:71], off, off offset:656
	ds_read_b128 v[120:123], v2 offset:1296
	ds_read_b128 v[124:127], v2 offset:1312
	v_mul_f64 v[74:75], v[134:135], v[74:75]
	v_accvgpr_write_b32 a113, v11
	v_fma_f64 v[232:233], v[132:133], v[72:73], -v[74:75]
	scratch_load_dwordx4 v[72:75], off, off offset:672
	v_accvgpr_write_b32 a112, v10
	v_accvgpr_write_b32 a111, v9
	;; [unrolled: 1-line block ×3, first 2 shown]
	v_mul_f64 v[78:79], v[142:143], v[78:79]
	s_waitcnt vmcnt(12)
	v_mov_b64_e32 v[8:9], v[24:25]
	v_fma_f64 v[28:29], v[140:141], v[76:77], -v[78:79]
	v_mov_b64_e32 v[10:11], v[26:27]
	scratch_load_dwordx4 v[76:79], off, off offset:688
	s_waitcnt lgkmcnt(1)
	v_mul_f64 v[6:7], v[120:121], v[10:11]
	v_fmac_f64_e32 v[6:7], v[122:123], v[8:9]
	v_accvgpr_write_b32 a129, v27
	v_add_f64 v[0:1], v[0:1], v[6:7]
	v_mul_f64 v[6:7], v[154:155], v[82:83]
	v_accvgpr_write_b32 a128, v26
	v_accvgpr_write_b32 a127, v25
	;; [unrolled: 1-line block ×3, first 2 shown]
	v_fma_f64 v[24:25], v[152:153], v[80:81], -v[6:7]
	s_waitcnt vmcnt(12) lgkmcnt(0)
	v_mul_f64 v[6:7], v[124:125], v[236:237]
	v_fmac_f64_e32 v[6:7], v[126:127], v[234:235]
	scratch_load_dwordx4 v[80:83], off, off offset:704
	v_accvgpr_write_b32 a125, v23
	v_add_f64 v[0:1], v[0:1], v[6:7]
	v_mul_f64 v[6:7], v[166:167], v[86:87]
	v_accvgpr_write_b32 a124, v22
	v_accvgpr_write_b32 a123, v21
	;; [unrolled: 1-line block ×3, first 2 shown]
	v_fma_f64 v[20:21], v[164:165], v[84:85], -v[6:7]
	scratch_load_dwordx4 v[84:87], off, off offset:720
	ds_read_b128 v[132:135], v2 offset:1328
	ds_read_b128 v[128:131], v2 offset:1344
	v_accvgpr_write_b32 a121, v19
	v_mul_f64 v[6:7], v[178:179], v[94:95]
	v_accvgpr_write_b32 a117, v15
	v_accvgpr_write_b32 a120, v18
	;; [unrolled: 1-line block ×4, first 2 shown]
	v_fma_f64 v[16:17], v[176:177], v[92:93], -v[6:7]
	v_mul_f64 v[6:7], v[190:191], v[98:99]
	v_accvgpr_write_b32 a116, v14
	v_accvgpr_write_b32 a115, v13
	;; [unrolled: 1-line block ×3, first 2 shown]
	v_fma_f64 v[14:15], v[188:189], v[96:97], -v[6:7]
	scratch_load_dwordx4 v[96:99], off, off offset:736
	scratch_load_dwordx4 v[92:95], off, off offset:752
	s_waitcnt vmcnt(15) lgkmcnt(1)
	v_mul_f64 v[6:7], v[132:133], v[34:35]
	v_fmac_f64_e32 v[6:7], v[134:135], v[32:33]
	v_add_f64 v[0:1], v[0:1], v[6:7]
	v_mul_f64 v[6:7], v[198:199], v[102:103]
	v_fma_f64 v[12:13], v[196:197], v[100:101], -v[6:7]
	scratch_load_dwordx4 v[100:103], off, off offset:768
	v_mul_f64 v[6:7], v[202:203], v[138:139]
	v_fma_f64 v[18:19], v[200:201], v[136:137], -v[6:7]
	ds_read_b128 v[136:139], v2 offset:1360
	ds_read_b128 v[140:143], v2 offset:1376
	s_waitcnt vmcnt(15) lgkmcnt(2)
	v_mul_f64 v[6:7], v[128:129], v[38:39]
	v_fmac_f64_e32 v[6:7], v[130:131], v[36:37]
	v_add_f64 v[0:1], v[0:1], v[6:7]
	s_waitcnt vmcnt(14) lgkmcnt(1)
	v_mul_f64 v[6:7], v[136:137], v[42:43]
	v_fmac_f64_e32 v[6:7], v[138:139], v[40:41]
	v_add_f64 v[0:1], v[0:1], v[6:7]
	v_mul_f64 v[6:7], v[206:207], v[146:147]
	v_fma_f64 v[10:11], v[204:205], v[144:145], -v[6:7]
	ds_read_b128 v[144:147], v2 offset:1392
	s_waitcnt vmcnt(13) lgkmcnt(1)
	v_mul_f64 v[6:7], v[140:141], v[46:47]
	v_fmac_f64_e32 v[6:7], v[142:143], v[44:45]
	v_add_f64 v[0:1], v[0:1], v[6:7]
	v_mul_f64 v[6:7], v[210:211], v[150:151]
	v_fma_f64 v[22:23], v[208:209], v[148:149], -v[6:7]
	ds_read_b128 v[148:151], v2 offset:1408
	s_waitcnt vmcnt(12) lgkmcnt(1)
	v_mul_f64 v[6:7], v[144:145], v[50:51]
	ds_read_b128 v[152:155], v2 offset:1424
	v_fmac_f64_e32 v[6:7], v[146:147], v[48:49]
	v_add_f64 v[0:1], v[0:1], v[6:7]
	v_mul_f64 v[6:7], v[214:215], v[158:159]
	v_fma_f64 v[8:9], v[212:213], v[156:157], -v[6:7]
	s_waitcnt vmcnt(11) lgkmcnt(1)
	v_mul_f64 v[6:7], v[148:149], v[54:55]
	v_fmac_f64_e32 v[6:7], v[150:151], v[52:53]
	ds_read_b128 v[156:159], v2 offset:1440
	v_add_f64 v[0:1], v[0:1], v[6:7]
	s_waitcnt vmcnt(10) lgkmcnt(1)
	v_mul_f64 v[6:7], v[152:153], v[58:59]
	v_fmac_f64_e32 v[6:7], v[154:155], v[56:57]
	v_add_f64 v[0:1], v[0:1], v[6:7]
	v_mul_f64 v[6:7], v[218:219], v[162:163]
	v_fma_f64 v[26:27], v[216:217], v[160:161], -v[6:7]
	ds_read_b128 v[160:163], v2 offset:1456
	ds_read_b128 v[164:167], v2 offset:1472
	s_waitcnt vmcnt(9) lgkmcnt(2)
	v_mul_f64 v[6:7], v[156:157], v[62:63]
	v_fmac_f64_e32 v[6:7], v[158:159], v[60:61]
	v_add_f64 v[0:1], v[0:1], v[6:7]
	s_waitcnt vmcnt(8) lgkmcnt(1)
	v_mul_f64 v[6:7], v[160:161], v[66:67]
	v_fmac_f64_e32 v[6:7], v[162:163], v[64:65]
	v_add_f64 v[0:1], v[0:1], v[6:7]
	v_mul_f64 v[6:7], v[222:223], v[170:171]
	v_fma_f64 v[4:5], v[220:221], v[168:169], -v[6:7]
	ds_read_b128 v[168:171], v2 offset:1488
	v_mul_f64 v[6:7], v[226:227], v[174:175]
	v_fma_f64 v[6:7], v[224:225], v[172:173], -v[6:7]
	ds_read_b128 v[172:175], v2 offset:1504
	s_waitcnt vmcnt(7) lgkmcnt(2)
	v_mul_f64 v[30:31], v[164:165], v[70:71]
	v_fmac_f64_e32 v[30:31], v[166:167], v[68:69]
	v_add_f64 v[0:1], v[0:1], v[30:31]
	s_waitcnt vmcnt(6) lgkmcnt(1)
	v_mul_f64 v[30:31], v[168:169], v[74:75]
	v_fmac_f64_e32 v[30:31], v[170:171], v[72:73]
	v_add_f64 v[0:1], v[0:1], v[30:31]
	s_waitcnt vmcnt(5) lgkmcnt(0)
	v_mul_f64 v[30:31], v[172:173], v[78:79]
	ds_read_b128 v[176:179], v2 offset:1520
	v_fmac_f64_e32 v[30:31], v[174:175], v[76:77]
	v_add_f64 v[30:31], v[0:1], v[30:31]
	v_mul_f64 v[0:1], v[230:231], v[182:183]
	v_fma_f64 v[0:1], v[228:229], v[180:181], -v[0:1]
	ds_read_b128 v[180:183], v2 offset:1536
	v_mul_f64 v[186:187], v[250:251], v[186:187]
	s_waitcnt vmcnt(4) lgkmcnt(1)
	v_mul_f64 v[188:189], v[176:177], v[82:83]
	v_fma_f64 v[238:239], v[248:249], v[184:185], -v[186:187]
	ds_read_b128 v[184:187], v2 offset:1552
	v_fmac_f64_e32 v[188:189], v[178:179], v[80:81]
	v_add_f64 v[30:31], v[30:31], v[188:189]
	ds_read_b128 v[188:191], v2 offset:1568
	s_waitcnt vmcnt(3) lgkmcnt(2)
	v_mul_f64 v[196:197], v[180:181], v[86:87]
	v_mul_f64 v[194:195], v[254:255], v[194:195]
	v_fmac_f64_e32 v[196:197], v[182:183], v[84:85]
	v_fma_f64 v[248:249], v[252:253], v[192:193], -v[194:195]
	ds_read_b128 v[192:195], v2 offset:1584
	ds_read_b128 v[200:203], v2 offset:1600
	v_add_f64 v[30:31], v[30:31], v[196:197]
	s_waitcnt vmcnt(2) lgkmcnt(3)
	v_mul_f64 v[196:197], v[184:185], v[98:99]
	v_fmac_f64_e32 v[196:197], v[186:187], v[96:97]
	v_add_f64 v[30:31], v[30:31], v[196:197]
	s_waitcnt vmcnt(1) lgkmcnt(2)
	v_mul_f64 v[196:197], v[188:189], v[94:95]
	v_fmac_f64_e32 v[196:197], v[190:191], v[92:93]
	;; [unrolled: 4-line block ×3, first 2 shown]
	v_add_f64 v[30:31], v[30:31], v[196:197]
	scratch_load_dwordx4 v[196:199], off, off offset:784
	ds_read_b128 v[208:211], v2 offset:1616
	ds_read_b128 v[216:219], v2 offset:1632
	;; [unrolled: 1-line block ×3, first 2 shown]
	s_waitcnt vmcnt(0) lgkmcnt(3)
	v_mul_f64 v[204:205], v[200:201], v[198:199]
	v_fmac_f64_e32 v[204:205], v[202:203], v[196:197]
	v_add_f64 v[30:31], v[30:31], v[204:205]
	scratch_load_dwordx4 v[204:207], off, off offset:800
	s_waitcnt vmcnt(0) lgkmcnt(2)
	v_mul_f64 v[212:213], v[208:209], v[206:207]
	v_fmac_f64_e32 v[212:213], v[210:211], v[204:205]
	v_add_f64 v[30:31], v[30:31], v[212:213]
	scratch_load_dwordx4 v[212:215], off, off offset:816
	;; [unrolled: 5-line block ×3, first 2 shown]
	s_waitcnt vmcnt(0) lgkmcnt(0)
	v_mul_f64 v[228:229], v[224:225], v[222:223]
	v_fmac_f64_e32 v[228:229], v[226:227], v[220:221]
	v_add_f64 v[252:253], v[30:31], v[228:229]
	v_add_f64 v[30:31], v[240:241], 0
	;; [unrolled: 1-line block ×3, first 2 shown]
	scratch_load_dwordx4 v[228:231], off, off offset:48
	v_add_f64 v[30:31], v[30:31], v[244:245]
	v_add_f64 v[30:31], v[30:31], v[246:247]
	;; [unrolled: 1-line block ×16, first 2 shown]
	v_accvgpr_read_b32 v6, a106
	v_accvgpr_read_b32 v8, a108
	;; [unrolled: 1-line block ×3, first 2 shown]
	v_add_f64 v[0:1], v[4:5], v[0:1]
	v_accvgpr_read_b32 v7, a107
	v_mul_f64 v[4:5], v[90:91], v[8:9]
	v_add_f64 v[0:1], v[0:1], v[238:239]
	v_fma_f64 v[4:5], v[88:89], v[6:7], -v[4:5]
	v_accvgpr_read_b32 v6, a110
	v_add_f64 v[0:1], v[0:1], v[248:249]
	v_accvgpr_read_b32 v8, a112
	v_accvgpr_read_b32 v9, a113
	v_add_f64 v[0:1], v[0:1], v[4:5]
	v_accvgpr_read_b32 v7, a111
	v_mul_f64 v[4:5], v[106:107], v[8:9]
	v_fma_f64 v[4:5], v[104:105], v[6:7], -v[4:5]
	v_accvgpr_read_b32 v6, a114
	v_accvgpr_read_b32 v8, a116
	v_accvgpr_read_b32 v9, a117
	v_add_f64 v[0:1], v[0:1], v[4:5]
	v_accvgpr_read_b32 v7, a115
	v_mul_f64 v[4:5], v[110:111], v[8:9]
	v_fma_f64 v[4:5], v[108:109], v[6:7], -v[4:5]
	v_accvgpr_read_b32 v6, a118
	;; [unrolled: 7-line block ×4, first 2 shown]
	v_accvgpr_read_b32 v8, a128
	v_accvgpr_read_b32 v9, a129
	v_add_f64 v[0:1], v[0:1], v[4:5]
	v_accvgpr_read_b32 v7, a127
	v_mul_f64 v[4:5], v[122:123], v[8:9]
	v_fma_f64 v[4:5], v[120:121], v[6:7], -v[4:5]
	v_add_f64 v[0:1], v[0:1], v[4:5]
	v_mul_f64 v[4:5], v[126:127], v[236:237]
	v_fma_f64 v[4:5], v[124:125], v[234:235], -v[4:5]
	v_add_f64 v[0:1], v[0:1], v[4:5]
	;; [unrolled: 3-line block ×23, first 2 shown]
	s_waitcnt vmcnt(0)
	v_add_f64 v[4:5], v[228:229], -v[0:1]
	v_accvgpr_read_b32 v0, a104
	v_add_f64 v[6:7], v[230:231], -v[252:253]
	v_cmp_lt_u32_e32 vcc, 1, v0
	scratch_store_dwordx4 off, v[4:7], off offset:48
	s_and_saveexec_b64 s[0:1], vcc
	s_cbranch_execz .LBB51_323
; %bb.322:
	scratch_load_dwordx4 v[6:9], off, s67
	v_mov_b32_e32 v3, v2
	v_mov_b32_e32 v4, v2
	;; [unrolled: 1-line block ×3, first 2 shown]
	v_accvgpr_read_b32 v0, a105
	scratch_store_dwordx4 off, v[2:5], off offset:32
	s_waitcnt vmcnt(1)
	ds_write_b128 v0, v[6:9]
.LBB51_323:
	s_or_b64 exec, exec, s[0:1]
	s_waitcnt lgkmcnt(0)
	; wave barrier
	scratch_load_dwordx4 v[56:59], off, off offset:48
	scratch_load_dwordx4 v[60:63], off, off offset:64
	;; [unrolled: 1-line block ×18, first 2 shown]
	ds_read_b128 v[116:119], v2 offset:864
	ds_read_b128 v[220:223], v2 offset:880
	;; [unrolled: 1-line block ×6, first 2 shown]
	scratch_load_dwordx4 v[180:183], off, off offset:336
	ds_read_b128 v[204:207], v2 offset:960
	ds_read_b128 v[132:135], v2 offset:976
	scratch_load_dwordx4 v[184:187], off, off offset:352
	ds_read_b128 v[224:227], v2 offset:992
	ds_read_b128 v[216:219], v2 offset:1008
	;; [unrolled: 1-line block ×5, first 2 shown]
	scratch_load_dwordx4 v[192:195], off, off offset:368
	ds_read_b128 v[200:203], v2 offset:1072
	ds_read_b128 v[164:167], v2 offset:1088
	scratch_load_dwordx4 v[4:7], off, off offset:384
	ds_read_b128 v[212:215], v2 offset:1104
	ds_read_b128 v[188:191], v2 offset:1120
	;; [unrolled: 1-line block ×3, first 2 shown]
	scratch_load_dwordx4 v[8:11], off, off offset:400
	scratch_load_dwordx4 v[12:15], off, off offset:416
	scratch_load_dwordx4 v[16:19], off, off offset:432
	scratch_load_dwordx4 v[20:23], off, off offset:448
	scratch_load_dwordx4 v[24:27], off, off offset:464
	scratch_load_dwordx4 v[28:31], off, off offset:480
	ds_read_b128 v[228:231], v2 offset:1152
	ds_read_b128 v[232:235], v2 offset:1168
	;; [unrolled: 1-line block ×4, first 2 shown]
	s_waitcnt vmcnt(27) lgkmcnt(14)
	v_mul_f64 v[0:1], v[116:117], v[58:59]
	s_waitcnt vmcnt(26)
	v_mul_f64 v[32:33], v[220:221], v[62:63]
	v_fmac_f64_e32 v[0:1], v[118:119], v[56:57]
	s_waitcnt vmcnt(25)
	v_mul_f64 v[34:35], v[208:209], v[66:67]
	v_fmac_f64_e32 v[32:33], v[222:223], v[60:61]
	v_add_f64 v[0:1], v[0:1], 0
	v_fmac_f64_e32 v[34:35], v[210:211], v[64:65]
	v_add_f64 v[0:1], v[0:1], v[32:33]
	v_add_f64 v[0:1], v[0:1], v[34:35]
	scratch_load_dwordx4 v[32:35], off, off offset:496
	s_waitcnt vmcnt(25)
	v_mul_f64 v[36:37], v[120:121], v[70:71]
	s_waitcnt vmcnt(24)
	v_mul_f64 v[38:39], v[128:129], v[74:75]
	v_fmac_f64_e32 v[36:37], v[122:123], v[68:69]
	s_waitcnt vmcnt(23)
	v_mul_f64 v[40:41], v[124:125], v[78:79]
	v_fmac_f64_e32 v[38:39], v[130:131], v[72:73]
	v_add_f64 v[0:1], v[0:1], v[36:37]
	s_waitcnt vmcnt(22)
	v_mul_f64 v[42:43], v[204:205], v[82:83]
	v_fmac_f64_e32 v[40:41], v[126:127], v[76:77]
	v_add_f64 v[0:1], v[0:1], v[38:39]
	s_waitcnt vmcnt(21)
	v_mul_f64 v[44:45], v[132:133], v[86:87]
	v_fmac_f64_e32 v[42:43], v[206:207], v[80:81]
	v_add_f64 v[0:1], v[0:1], v[40:41]
	s_waitcnt vmcnt(20) lgkmcnt(13)
	v_mul_f64 v[46:47], v[224:225], v[94:95]
	v_fmac_f64_e32 v[44:45], v[134:135], v[84:85]
	v_add_f64 v[0:1], v[0:1], v[42:43]
	s_waitcnt vmcnt(19) lgkmcnt(12)
	v_mul_f64 v[48:49], v[216:217], v[98:99]
	v_fmac_f64_e32 v[46:47], v[226:227], v[92:93]
	v_add_f64 v[0:1], v[0:1], v[44:45]
	;; [unrolled: 4-line block ×9, first 2 shown]
	v_fmac_f64_e32 v[106:107], v[190:191], v[168:169]
	v_add_f64 v[0:1], v[0:1], v[104:105]
	s_waitcnt vmcnt(11) lgkmcnt(4)
	v_mul_f64 v[40:41], v[176:177], v[174:175]
	v_add_f64 v[0:1], v[0:1], v[106:107]
	v_fmac_f64_e32 v[40:41], v[178:179], v[172:173]
	scratch_load_dwordx4 v[36:39], off, off offset:512
	v_add_f64 v[0:1], v[0:1], v[40:41]
	s_waitcnt vmcnt(11) lgkmcnt(3)
	v_mul_f64 v[40:41], v[228:229], v[182:183]
	v_fmac_f64_e32 v[40:41], v[230:231], v[180:181]
	v_add_f64 v[0:1], v[0:1], v[40:41]
	scratch_load_dwordx4 v[40:43], off, off offset:528
	ds_read_b128 v[88:91], v2 offset:1200
	s_waitcnt vmcnt(11) lgkmcnt(3)
	v_mul_f64 v[44:45], v[232:233], v[186:187]
	v_fmac_f64_e32 v[44:45], v[234:235], v[184:185]
	v_add_f64 v[0:1], v[0:1], v[44:45]
	s_waitcnt vmcnt(10) lgkmcnt(2)
	v_mul_f64 v[44:45], v[236:237], v[194:195]
	v_fmac_f64_e32 v[44:45], v[238:239], v[192:193]
	s_waitcnt vmcnt(9) lgkmcnt(0)
	v_mul_f64 v[48:49], v[88:89], v[6:7]
	ds_read_b128 v[104:107], v2 offset:1216
	v_add_f64 v[0:1], v[0:1], v[44:45]
	scratch_load_dwordx4 v[44:47], off, off offset:544
	v_fmac_f64_e32 v[48:49], v[90:91], v[4:5]
	v_accvgpr_write_b32 a109, v7
	v_add_f64 v[0:1], v[0:1], v[48:49]
	scratch_load_dwordx4 v[48:51], off, off offset:560
	v_accvgpr_write_b32 a108, v6
	v_accvgpr_write_b32 a107, v5
	;; [unrolled: 1-line block ×3, first 2 shown]
	s_waitcnt vmcnt(10)
	v_mov_b64_e32 v[4:5], v[8:9]
	v_mov_b64_e32 v[6:7], v[10:11]
	s_waitcnt lgkmcnt(0)
	v_mul_f64 v[52:53], v[104:105], v[6:7]
	v_fmac_f64_e32 v[52:53], v[106:107], v[4:5]
	v_add_f64 v[0:1], v[0:1], v[52:53]
	scratch_load_dwordx4 v[52:55], off, off offset:576
	v_mul_f64 v[58:59], v[118:119], v[58:59]
	v_fma_f64 v[240:241], v[116:117], v[56:57], -v[58:59]
	scratch_load_dwordx4 v[56:59], off, off offset:592
	v_mul_f64 v[62:63], v[222:223], v[62:63]
	v_fma_f64 v[242:243], v[220:221], v[60:61], -v[62:63]
	scratch_load_dwordx4 v[60:63], off, off offset:608
	s_waitcnt vmcnt(12)
	v_mov_b64_e32 v[4:5], v[12:13]
	v_mul_f64 v[66:67], v[210:211], v[66:67]
	v_mov_b64_e32 v[6:7], v[14:15]
	v_fma_f64 v[244:245], v[208:209], v[64:65], -v[66:67]
	scratch_load_dwordx4 v[64:67], off, off offset:624
	v_mul_f64 v[112:113], v[108:109], v[6:7]
	v_fmac_f64_e32 v[112:113], v[110:111], v[4:5]
	v_add_f64 v[0:1], v[0:1], v[112:113]
	ds_read_b128 v[112:115], v2 offset:1248
	ds_read_b128 v[116:119], v2 offset:1264
	s_waitcnt vmcnt(12)
	v_mov_b64_e32 v[4:5], v[16:17]
	v_mul_f64 v[70:71], v[122:123], v[70:71]
	v_mov_b64_e32 v[6:7], v[18:19]
	v_fma_f64 v[246:247], v[120:121], v[68:69], -v[70:71]
	scratch_load_dwordx4 v[68:71], off, off offset:640
	v_mul_f64 v[74:75], v[130:131], v[74:75]
	s_waitcnt lgkmcnt(1)
	v_mul_f64 v[220:221], v[112:113], v[6:7]
	v_fma_f64 v[252:253], v[128:129], v[72:73], -v[74:75]
	scratch_load_dwordx4 v[72:75], off, off offset:656
	v_fmac_f64_e32 v[220:221], v[114:115], v[4:5]
	s_waitcnt vmcnt(13)
	v_mov_b64_e32 v[4:5], v[20:21]
	ds_read_b128 v[120:123], v2 offset:1280
	v_mul_f64 v[78:79], v[126:127], v[78:79]
	v_mov_b64_e32 v[6:7], v[22:23]
	v_fma_f64 v[254:255], v[124:125], v[76:77], -v[78:79]
	scratch_load_dwordx4 v[76:79], off, off offset:672
	s_waitcnt lgkmcnt(1)
	v_mul_f64 v[208:209], v[116:117], v[6:7]
	ds_read_b128 v[124:127], v2 offset:1296
	v_fmac_f64_e32 v[208:209], v[118:119], v[4:5]
	s_waitcnt vmcnt(13)
	v_mov_b64_e32 v[4:5], v[24:25]
	v_mul_f64 v[82:83], v[206:207], v[82:83]
	v_mov_b64_e32 v[6:7], v[26:27]
	v_fma_f64 v[248:249], v[204:205], v[80:81], -v[82:83]
	scratch_load_dwordx4 v[80:83], off, off offset:688
	v_add_f64 v[0:1], v[0:1], v[220:221]
	s_waitcnt lgkmcnt(1)
	v_mul_f64 v[128:129], v[120:121], v[6:7]
	v_add_f64 v[0:1], v[0:1], v[208:209]
	v_fmac_f64_e32 v[128:129], v[122:123], v[4:5]
	v_add_f64 v[0:1], v[0:1], v[128:129]
	s_waitcnt vmcnt(13) lgkmcnt(0)
	v_mul_f64 v[128:129], v[124:125], v[30:31]
	v_accvgpr_write_b32 a129, v27
	v_fmac_f64_e32 v[128:129], v[126:127], v[28:29]
	v_mul_f64 v[86:87], v[134:135], v[86:87]
	v_accvgpr_write_b32 a128, v26
	v_accvgpr_write_b32 a127, v25
	;; [unrolled: 1-line block ×3, first 2 shown]
	v_add_f64 v[0:1], v[0:1], v[128:129]
	v_fma_f64 v[24:25], v[132:133], v[84:85], -v[86:87]
	scratch_load_dwordx4 v[84:87], off, off offset:704
	ds_read_b128 v[132:135], v2 offset:1312
	ds_read_b128 v[128:131], v2 offset:1328
	v_accvgpr_write_b32 a125, v23
	v_mul_f64 v[6:7], v[226:227], v[94:95]
	v_accvgpr_write_b32 a121, v19
	v_accvgpr_write_b32 a124, v22
	;; [unrolled: 1-line block ×4, first 2 shown]
	v_fma_f64 v[20:21], v[224:225], v[92:93], -v[6:7]
	v_mul_f64 v[92:93], v[218:219], v[98:99]
	v_accvgpr_write_b32 a113, v11
	v_accvgpr_write_b32 a120, v18
	;; [unrolled: 1-line block ×4, first 2 shown]
	v_fma_f64 v[16:17], v[216:217], v[96:97], -v[92:93]
	scratch_load_dwordx4 v[96:99], off, off offset:720
	scratch_load_dwordx4 v[92:95], off, off offset:736
	v_accvgpr_write_b32 a112, v10
	v_accvgpr_write_b32 a111, v9
	;; [unrolled: 1-line block ×3, first 2 shown]
	s_waitcnt vmcnt(15) lgkmcnt(1)
	v_mul_f64 v[10:11], v[132:133], v[34:35]
	v_fmac_f64_e32 v[10:11], v[134:135], v[32:33]
	v_accvgpr_write_b32 a117, v15
	v_add_f64 v[0:1], v[0:1], v[10:11]
	v_mul_f64 v[10:11], v[198:199], v[102:103]
	v_accvgpr_write_b32 a116, v14
	v_accvgpr_write_b32 a115, v13
	;; [unrolled: 1-line block ×3, first 2 shown]
	v_fma_f64 v[12:13], v[196:197], v[100:101], -v[10:11]
	scratch_load_dwordx4 v[100:103], off, off offset:752
	v_mul_f64 v[138:139], v[142:143], v[138:139]
	v_fma_f64 v[10:11], v[140:141], v[136:137], -v[138:139]
	ds_read_b128 v[136:139], v2 offset:1344
	ds_read_b128 v[140:143], v2 offset:1360
	s_waitcnt vmcnt(15) lgkmcnt(2)
	v_mul_f64 v[14:15], v[128:129], v[38:39]
	v_fmac_f64_e32 v[14:15], v[130:131], v[36:37]
	v_add_f64 v[0:1], v[0:1], v[14:15]
	s_waitcnt vmcnt(14) lgkmcnt(1)
	v_mul_f64 v[14:15], v[136:137], v[42:43]
	v_fmac_f64_e32 v[14:15], v[138:139], v[40:41]
	v_add_f64 v[0:1], v[0:1], v[14:15]
	v_mul_f64 v[14:15], v[154:155], v[146:147]
	v_fma_f64 v[14:15], v[152:153], v[144:145], -v[14:15]
	ds_read_b128 v[144:147], v2 offset:1376
	s_waitcnt vmcnt(13) lgkmcnt(1)
	v_mul_f64 v[152:153], v[140:141], v[46:47]
	v_mul_f64 v[150:151], v[202:203], v[150:151]
	v_fmac_f64_e32 v[152:153], v[142:143], v[44:45]
	v_fma_f64 v[8:9], v[200:201], v[148:149], -v[150:151]
	ds_read_b128 v[148:151], v2 offset:1392
	s_waitcnt vmcnt(12) lgkmcnt(1)
	v_mul_f64 v[18:19], v[144:145], v[50:51]
	v_add_f64 v[0:1], v[0:1], v[152:153]
	v_fmac_f64_e32 v[18:19], v[146:147], v[48:49]
	v_add_f64 v[0:1], v[0:1], v[18:19]
	ds_read_b128 v[152:155], v2 offset:1408
	v_mul_f64 v[18:19], v[166:167], v[158:159]
	v_fma_f64 v[18:19], v[164:165], v[156:157], -v[18:19]
	ds_read_b128 v[156:159], v2 offset:1424
	v_mul_f64 v[162:163], v[214:215], v[162:163]
	s_waitcnt vmcnt(11) lgkmcnt(2)
	v_mul_f64 v[164:165], v[148:149], v[54:55]
	v_fma_f64 v[6:7], v[212:213], v[160:161], -v[162:163]
	ds_read_b128 v[160:163], v2 offset:1440
	v_fmac_f64_e32 v[164:165], v[150:151], v[52:53]
	v_add_f64 v[0:1], v[0:1], v[164:165]
	s_waitcnt vmcnt(10) lgkmcnt(2)
	v_mul_f64 v[164:165], v[152:153], v[58:59]
	v_fmac_f64_e32 v[164:165], v[154:155], v[56:57]
	s_waitcnt vmcnt(9) lgkmcnt(1)
	v_mul_f64 v[22:23], v[156:157], v[62:63]
	v_add_f64 v[0:1], v[0:1], v[164:165]
	v_fmac_f64_e32 v[22:23], v[158:159], v[60:61]
	v_add_f64 v[0:1], v[0:1], v[22:23]
	ds_read_b128 v[164:167], v2 offset:1456
	s_waitcnt vmcnt(8) lgkmcnt(1)
	v_mul_f64 v[22:23], v[160:161], v[66:67]
	v_fmac_f64_e32 v[22:23], v[162:163], v[64:65]
	v_add_f64 v[0:1], v[0:1], v[22:23]
	v_mul_f64 v[22:23], v[190:191], v[170:171]
	v_fma_f64 v[22:23], v[188:189], v[168:169], -v[22:23]
	ds_read_b128 v[168:171], v2 offset:1472
	v_mul_f64 v[174:175], v[178:179], v[174:175]
	v_fma_f64 v[4:5], v[176:177], v[172:173], -v[174:175]
	ds_read_b128 v[172:175], v2 offset:1488
	s_waitcnt vmcnt(7) lgkmcnt(2)
	v_mul_f64 v[188:189], v[164:165], v[70:71]
	v_fmac_f64_e32 v[188:189], v[166:167], v[68:69]
	s_waitcnt vmcnt(6) lgkmcnt(1)
	v_mul_f64 v[26:27], v[168:169], v[74:75]
	ds_read_b128 v[176:179], v2 offset:1504
	v_add_f64 v[0:1], v[0:1], v[188:189]
	v_fmac_f64_e32 v[26:27], v[170:171], v[72:73]
	v_add_f64 v[0:1], v[0:1], v[26:27]
	s_waitcnt vmcnt(5) lgkmcnt(1)
	v_mul_f64 v[26:27], v[172:173], v[78:79]
	v_fmac_f64_e32 v[26:27], v[174:175], v[76:77]
	v_add_f64 v[0:1], v[0:1], v[26:27]
	v_mul_f64 v[26:27], v[230:231], v[182:183]
	v_fma_f64 v[26:27], v[228:229], v[180:181], -v[26:27]
	ds_read_b128 v[180:183], v2 offset:1520
	s_waitcnt vmcnt(4) lgkmcnt(1)
	v_mul_f64 v[188:189], v[176:177], v[82:83]
	v_fmac_f64_e32 v[188:189], v[178:179], v[80:81]
	v_add_f64 v[196:197], v[0:1], v[188:189]
	v_mul_f64 v[0:1], v[234:235], v[186:187]
	v_fma_f64 v[0:1], v[232:233], v[184:185], -v[0:1]
	ds_read_b128 v[184:187], v2 offset:1536
	ds_read_b128 v[188:191], v2 offset:1552
	s_waitcnt vmcnt(3) lgkmcnt(2)
	v_mul_f64 v[198:199], v[180:181], v[86:87]
	v_mul_f64 v[194:195], v[238:239], v[194:195]
	v_fmac_f64_e32 v[198:199], v[182:183], v[84:85]
	v_fma_f64 v[250:251], v[236:237], v[192:193], -v[194:195]
	ds_read_b128 v[192:195], v2 offset:1568
	ds_read_b128 v[200:203], v2 offset:1584
	v_add_f64 v[196:197], v[196:197], v[198:199]
	s_waitcnt vmcnt(2) lgkmcnt(3)
	v_mul_f64 v[198:199], v[184:185], v[98:99]
	v_fmac_f64_e32 v[198:199], v[186:187], v[96:97]
	v_add_f64 v[196:197], v[196:197], v[198:199]
	s_waitcnt vmcnt(1) lgkmcnt(2)
	v_mul_f64 v[198:199], v[188:189], v[94:95]
	v_fmac_f64_e32 v[198:199], v[190:191], v[92:93]
	v_add_f64 v[196:197], v[196:197], v[198:199]
	scratch_load_dwordx4 v[232:235], off, off offset:832
	s_waitcnt vmcnt(1) lgkmcnt(1)
	v_mul_f64 v[198:199], v[192:193], v[102:103]
	v_fmac_f64_e32 v[198:199], v[194:195], v[100:101]
	v_add_f64 v[204:205], v[196:197], v[198:199]
	scratch_load_dwordx4 v[196:199], off, off offset:768
	ds_read_b128 v[208:211], v2 offset:1600
	ds_read_b128 v[216:219], v2 offset:1616
	;; [unrolled: 1-line block ×3, first 2 shown]
	s_waitcnt vmcnt(0) lgkmcnt(3)
	v_mul_f64 v[206:207], v[200:201], v[198:199]
	v_fmac_f64_e32 v[206:207], v[202:203], v[196:197]
	v_add_f64 v[212:213], v[204:205], v[206:207]
	scratch_load_dwordx4 v[204:207], off, off offset:784
	s_waitcnt vmcnt(0) lgkmcnt(2)
	v_mul_f64 v[214:215], v[208:209], v[206:207]
	v_fmac_f64_e32 v[214:215], v[210:211], v[204:205]
	v_add_f64 v[220:221], v[212:213], v[214:215]
	scratch_load_dwordx4 v[212:215], off, off offset:800
	;; [unrolled: 5-line block ×3, first 2 shown]
	s_waitcnt vmcnt(0) lgkmcnt(0)
	v_mul_f64 v[230:231], v[224:225], v[222:223]
	v_fmac_f64_e32 v[230:231], v[226:227], v[220:221]
	v_add_f64 v[236:237], v[228:229], v[230:231]
	ds_read_b128 v[228:231], v2 offset:1648
	s_waitcnt lgkmcnt(0)
	v_mul_f64 v[2:3], v[228:229], v[234:235]
	v_fmac_f64_e32 v[2:3], v[230:231], v[232:233]
	v_add_f64 v[2:3], v[236:237], v[2:3]
	v_add_f64 v[236:237], v[240:241], 0
	;; [unrolled: 1-line block ×9, first 2 shown]
	scratch_load_dwordx4 v[236:239], off, off offset:32
	v_add_f64 v[20:21], v[24:25], v[20:21]
	v_add_f64 v[16:17], v[20:21], v[16:17]
	;; [unrolled: 1-line block ×10, first 2 shown]
	v_accvgpr_read_b32 v6, a106
	v_accvgpr_read_b32 v8, a108
	v_accvgpr_read_b32 v9, a109
	v_add_f64 v[252:253], v[4:5], v[26:27]
	v_accvgpr_read_b32 v7, a107
	v_mul_f64 v[4:5], v[90:91], v[8:9]
	v_add_f64 v[0:1], v[252:253], v[0:1]
	v_fma_f64 v[4:5], v[88:89], v[6:7], -v[4:5]
	v_accvgpr_read_b32 v6, a110
	v_add_f64 v[0:1], v[0:1], v[250:251]
	v_accvgpr_read_b32 v8, a112
	v_accvgpr_read_b32 v9, a113
	v_add_f64 v[0:1], v[0:1], v[4:5]
	v_accvgpr_read_b32 v7, a111
	v_mul_f64 v[4:5], v[106:107], v[8:9]
	v_fma_f64 v[4:5], v[104:105], v[6:7], -v[4:5]
	v_accvgpr_read_b32 v6, a114
	v_accvgpr_read_b32 v8, a116
	v_accvgpr_read_b32 v9, a117
	v_add_f64 v[0:1], v[0:1], v[4:5]
	v_accvgpr_read_b32 v7, a115
	v_mul_f64 v[4:5], v[110:111], v[8:9]
	v_fma_f64 v[4:5], v[108:109], v[6:7], -v[4:5]
	v_accvgpr_read_b32 v6, a118
	;; [unrolled: 7-line block ×4, first 2 shown]
	v_accvgpr_read_b32 v8, a128
	v_accvgpr_read_b32 v9, a129
	v_add_f64 v[0:1], v[0:1], v[4:5]
	v_accvgpr_read_b32 v7, a127
	v_mul_f64 v[4:5], v[122:123], v[8:9]
	v_fma_f64 v[4:5], v[120:121], v[6:7], -v[4:5]
	v_add_f64 v[0:1], v[0:1], v[4:5]
	v_mul_f64 v[4:5], v[126:127], v[30:31]
	v_fma_f64 v[4:5], v[124:125], v[28:29], -v[4:5]
	v_add_f64 v[0:1], v[0:1], v[4:5]
	;; [unrolled: 3-line block ×24, first 2 shown]
	s_waitcnt vmcnt(0)
	v_add_f64 v[4:5], v[236:237], -v[0:1]
	v_accvgpr_read_b32 v0, a104
	v_add_f64 v[6:7], v[238:239], -v[2:3]
	v_cmp_ne_u32_e32 vcc, 0, v0
	scratch_store_dwordx4 off, v[4:7], off offset:32
	s_and_saveexec_b64 s[0:1], vcc
	s_cbranch_execz .LBB51_325
; %bb.324:
	scratch_load_dwordx4 v[2:5], off, off offset:16
	v_mov_b32_e32 v6, 0
	v_mov_b32_e32 v7, v6
	;; [unrolled: 1-line block ×4, first 2 shown]
	v_accvgpr_read_b32 v0, a105
	scratch_store_dwordx4 off, v[6:9], off offset:16
	s_waitcnt vmcnt(1)
	ds_write_b128 v0, v[2:5]
.LBB51_325:
	s_or_b64 exec, exec, s[0:1]
	s_waitcnt lgkmcnt(0)
	; wave barrier
	scratch_load_dwordx4 v[52:55], off, off offset:32
	scratch_load_dwordx4 v[56:59], off, off offset:48
	;; [unrolled: 1-line block ×28, first 2 shown]
	v_mov_b32_e32 v90, 0
	ds_read_b128 v[108:111], v90 offset:848
	ds_read_b128 v[116:119], v90 offset:864
	;; [unrolled: 1-line block ×18, first 2 shown]
	scratch_load_dwordx4 a[104:107], off, off offset:480
	ds_read_b128 v[224:227], v90 offset:1136
	ds_read_b128 v[228:231], v90 offset:1152
	;; [unrolled: 1-line block ×5, first 2 shown]
	s_and_b64 vcc, exec, s[18:19]
	s_waitcnt vmcnt(28) lgkmcnt(14)
	v_mul_f64 v[24:25], v[108:109], v[54:55]
	s_waitcnt vmcnt(27)
	v_mul_f64 v[26:27], v[116:117], v[58:59]
	v_fmac_f64_e32 v[24:25], v[110:111], v[52:53]
	s_waitcnt vmcnt(26)
	v_mul_f64 v[28:29], v[120:121], v[62:63]
	v_fmac_f64_e32 v[26:27], v[118:119], v[56:57]
	v_add_f64 v[24:25], v[24:25], 0
	s_waitcnt vmcnt(25)
	v_mul_f64 v[30:31], v[124:125], v[66:67]
	v_fmac_f64_e32 v[28:29], v[122:123], v[60:61]
	v_add_f64 v[24:25], v[24:25], v[26:27]
	;; [unrolled: 4-line block ×7, first 2 shown]
	s_waitcnt vmcnt(19) lgkmcnt(13)
	v_mul_f64 v[42:43], v[180:181], v[98:99]
	v_fmac_f64_e32 v[40:41], v[170:171], v[92:93]
	v_add_f64 v[24:25], v[24:25], v[38:39]
	s_waitcnt vmcnt(18) lgkmcnt(12)
	v_mul_f64 v[44:45], v[192:193], v[102:103]
	v_fmac_f64_e32 v[42:43], v[182:183], v[96:97]
	v_add_f64 v[24:25], v[24:25], v[40:41]
	;; [unrolled: 4-line block ×8, first 2 shown]
	v_add_f64 v[28:29], v[24:25], v[86:87]
	v_fmac_f64_e32 v[88:89], v[218:219], v[160:161]
	s_waitcnt vmcnt(11) lgkmcnt(5)
	v_mul_f64 v[34:35], v[220:221], v[166:167]
	v_add_f64 v[32:33], v[28:29], v[88:89]
	v_fmac_f64_e32 v[34:35], v[222:223], v[164:165]
	scratch_load_dwordx4 v[28:31], off, off offset:496
	v_add_f64 v[32:33], v[32:33], v[34:35]
	s_waitcnt vmcnt(11) lgkmcnt(4)
	v_mul_f64 v[34:35], v[224:225], v[174:175]
	v_fmac_f64_e32 v[34:35], v[226:227], v[172:173]
	v_add_f64 v[36:37], v[32:33], v[34:35]
	scratch_load_dwordx4 v[32:35], off, off offset:512
	s_waitcnt vmcnt(11) lgkmcnt(3)
	v_mul_f64 v[38:39], v[228:229], v[178:179]
	v_fmac_f64_e32 v[38:39], v[230:231], v[176:177]
	s_waitcnt vmcnt(10) lgkmcnt(2)
	v_mul_f64 v[42:43], v[232:233], v[186:187]
	v_add_f64 v[40:41], v[36:37], v[38:39]
	v_fmac_f64_e32 v[42:43], v[234:235], v[184:185]
	scratch_load_dwordx4 v[36:39], off, off offset:528
	v_add_f64 v[40:41], v[40:41], v[42:43]
	s_waitcnt vmcnt(10) lgkmcnt(1)
	v_mul_f64 v[42:43], v[248:249], v[190:191]
	ds_read_b128 v[84:87], v90 offset:1200
	ds_read_b128 v[24:27], v90 offset:1216
	v_fmac_f64_e32 v[42:43], v[250:251], v[188:189]
	v_add_f64 v[48:49], v[40:41], v[42:43]
	scratch_load_dwordx4 v[40:43], off, off offset:544
	scratch_load_dwordx4 v[44:47], off, off offset:560
	s_waitcnt vmcnt(11) lgkmcnt(1)
	v_mul_f64 v[50:51], v[84:85], v[2:3]
	v_accvgpr_write_b32 a111, v3
	v_fmac_f64_e32 v[50:51], v[86:87], v[0:1]
	v_accvgpr_write_b32 a110, v2
	v_accvgpr_write_b32 a109, v1
	;; [unrolled: 1-line block ×3, first 2 shown]
	s_waitcnt vmcnt(10)
	v_mov_b64_e32 v[0:1], v[4:5]
	v_mov_b64_e32 v[2:3], v[6:7]
	v_add_f64 v[48:49], v[48:49], v[50:51]
	s_waitcnt lgkmcnt(0)
	v_mul_f64 v[50:51], v[24:25], v[2:3]
	v_fmac_f64_e32 v[50:51], v[26:27], v[0:1]
	v_add_f64 v[236:237], v[48:49], v[50:51]
	scratch_load_dwordx4 v[48:51], off, off offset:576
	s_waitcnt vmcnt(10)
	v_mov_b64_e32 v[0:1], v[8:9]
	v_mul_f64 v[54:55], v[110:111], v[54:55]
	v_mov_b64_e32 v[2:3], v[10:11]
	v_fma_f64 v[240:241], v[108:109], v[52:53], -v[54:55]
	ds_read_b128 v[108:111], v90 offset:1248
	v_mul_f64 v[52:53], v[104:105], v[2:3]
	v_mul_f64 v[54:55], v[118:119], v[58:59]
	v_fmac_f64_e32 v[52:53], v[106:107], v[0:1]
	v_fma_f64 v[242:243], v[116:117], v[56:57], -v[54:55]
	scratch_load_dwordx4 v[56:59], off, off offset:592
	v_add_f64 v[116:117], v[236:237], v[52:53]
	scratch_load_dwordx4 v[52:55], off, off offset:608
	v_mul_f64 v[62:63], v[122:123], v[62:63]
	s_waitcnt vmcnt(11)
	v_mov_b64_e32 v[0:1], v[12:13]
	v_fma_f64 v[244:245], v[120:121], v[60:61], -v[62:63]
	v_mov_b64_e32 v[2:3], v[14:15]
	scratch_load_dwordx4 v[60:63], off, off offset:624
	s_waitcnt lgkmcnt(0)
	v_mul_f64 v[118:119], v[108:109], v[2:3]
	v_mul_f64 v[66:67], v[126:127], v[66:67]
	;; [unrolled: 1-line block ×3, first 2 shown]
	v_fmac_f64_e32 v[118:119], v[110:111], v[0:1]
	v_fma_f64 v[246:247], v[124:125], v[64:65], -v[66:67]
	scratch_load_dwordx4 v[64:67], off, off offset:640
	v_fma_f64 v[254:255], v[128:129], v[68:69], -v[70:71]
	s_waitcnt vmcnt(12)
	v_mov_b64_e32 v[0:1], v[16:17]
	v_mul_f64 v[68:69], v[134:135], v[74:75]
	v_add_f64 v[236:237], v[116:117], v[118:119]
	ds_read_b128 v[116:119], v90 offset:1264
	ds_read_b128 v[120:123], v90 offset:1280
	v_mov_b64_e32 v[2:3], v[18:19]
	v_fma_f64 v[16:17], v[132:133], v[72:73], -v[68:69]
	scratch_load_dwordx4 v[68:71], off, off offset:656
	s_waitcnt lgkmcnt(1)
	v_mul_f64 v[124:125], v[116:117], v[2:3]
	v_fmac_f64_e32 v[124:125], v[118:119], v[0:1]
	v_accvgpr_write_b32 a127, v3
	v_mul_f64 v[72:73], v[138:139], v[78:79]
	v_accvgpr_write_b32 a115, v7
	v_accvgpr_write_b32 a126, v2
	;; [unrolled: 1-line block ×4, first 2 shown]
	v_add_f64 v[2:3], v[236:237], v[124:125]
	v_fma_f64 v[236:237], v[136:137], v[76:77], -v[72:73]
	scratch_load_dwordx4 v[76:79], off, off offset:672
	scratch_load_dwordx4 v[72:75], off, off offset:688
	v_accvgpr_write_b32 a114, v6
	v_accvgpr_write_b32 a113, v5
	;; [unrolled: 1-line block ×3, first 2 shown]
	s_waitcnt vmcnt(14)
	v_mov_b64_e32 v[4:5], v[20:21]
	ds_read_b128 v[124:127], v90 offset:1296
	ds_read_b128 v[128:131], v90 offset:1312
	v_mov_b64_e32 v[6:7], v[22:23]
	v_accvgpr_write_b32 a119, v11
	s_waitcnt lgkmcnt(2)
	v_mul_f64 v[132:133], v[120:121], v[6:7]
	v_mul_f64 v[6:7], v[170:171], v[94:95]
	v_accvgpr_write_b32 a118, v10
	v_accvgpr_write_b32 a117, v9
	;; [unrolled: 1-line block ×3, first 2 shown]
	v_fmac_f64_e32 v[132:133], v[122:123], v[4:5]
	v_fma_f64 v[8:9], v[168:169], v[92:93], -v[6:7]
	s_waitcnt vmcnt(13)
	v_accvgpr_read_b32 v4, a104
	v_accvgpr_write_b32 a123, v15
	v_mul_f64 v[82:83], v[158:159], v[82:83]
	v_accvgpr_read_b32 v6, a106
	v_accvgpr_read_b32 v7, a107
	v_accvgpr_write_b32 a122, v14
	v_accvgpr_write_b32 a121, v13
	;; [unrolled: 1-line block ×3, first 2 shown]
	v_fma_f64 v[12:13], v[156:157], v[80:81], -v[82:83]
	scratch_load_dwordx4 v[80:83], off, off offset:704
	v_accvgpr_read_b32 v5, a105
	s_waitcnt lgkmcnt(1)
	v_mul_f64 v[92:93], v[124:125], v[6:7]
	v_add_f64 v[2:3], v[2:3], v[132:133]
	v_fmac_f64_e32 v[92:93], v[126:127], v[4:5]
	v_add_f64 v[2:3], v[2:3], v[92:93]
	v_mul_f64 v[92:93], v[182:183], v[98:99]
	v_fma_f64 v[6:7], v[180:181], v[96:97], -v[92:93]
	scratch_load_dwordx4 v[92:95], off, off offset:720
	v_mul_f64 v[10:11], v[194:195], v[102:103]
	scratch_load_dwordx4 v[96:99], off, off offset:736
	v_fma_f64 v[10:11], v[192:193], v[100:101], -v[10:11]
	v_mul_f64 v[100:101], v[198:199], v[114:115]
	v_fma_f64 v[4:5], v[196:197], v[112:113], -v[100:101]
	scratch_load_dwordx4 v[100:103], off, off offset:752
	v_mul_f64 v[112:113], v[206:207], v[146:147]
	v_fma_f64 v[0:1], v[204:205], v[144:145], -v[112:113]
	scratch_load_dwordx4 v[112:115], off, off offset:768
	ds_read_b128 v[132:135], v90 offset:1328
	s_waitcnt vmcnt(17) lgkmcnt(1)
	v_mul_f64 v[136:137], v[128:129], v[30:31]
	v_fmac_f64_e32 v[136:137], v[130:131], v[28:29]
	v_add_f64 v[2:3], v[2:3], v[136:137]
	ds_read_b128 v[136:139], v90 offset:1344
	s_waitcnt vmcnt(16) lgkmcnt(1)
	v_mul_f64 v[14:15], v[132:133], v[34:35]
	v_fmac_f64_e32 v[14:15], v[134:135], v[32:33]
	v_add_f64 v[2:3], v[2:3], v[14:15]
	v_mul_f64 v[14:15], v[202:203], v[142:143]
	v_fma_f64 v[14:15], v[200:201], v[140:141], -v[14:15]
	ds_read_b128 v[140:143], v90 offset:1360
	ds_read_b128 v[144:147], v90 offset:1376
	s_waitcnt vmcnt(15) lgkmcnt(2)
	v_mul_f64 v[18:19], v[136:137], v[38:39]
	v_fmac_f64_e32 v[18:19], v[138:139], v[36:37]
	v_add_f64 v[2:3], v[2:3], v[18:19]
	s_waitcnt vmcnt(14) lgkmcnt(1)
	v_mul_f64 v[18:19], v[140:141], v[42:43]
	v_fmac_f64_e32 v[18:19], v[142:143], v[40:41]
	v_add_f64 v[2:3], v[2:3], v[18:19]
	v_mul_f64 v[18:19], v[210:211], v[150:151]
	v_fma_f64 v[18:19], v[208:209], v[148:149], -v[18:19]
	ds_read_b128 v[148:151], v90 offset:1392
	s_waitcnt vmcnt(13) lgkmcnt(1)
	v_mul_f64 v[156:157], v[144:145], v[46:47]
	v_fmac_f64_e32 v[156:157], v[146:147], v[44:45]
	v_mul_f64 v[154:155], v[214:215], v[154:155]
	v_add_f64 v[2:3], v[2:3], v[156:157]
	v_fma_f64 v[252:253], v[212:213], v[152:153], -v[154:155]
	ds_read_b128 v[152:155], v90 offset:1408
	s_waitcnt vmcnt(12) lgkmcnt(1)
	v_mul_f64 v[156:157], v[148:149], v[50:51]
	v_fmac_f64_e32 v[156:157], v[150:151], v[48:49]
	v_add_f64 v[2:3], v[2:3], v[156:157]
	ds_read_b128 v[156:159], v90 offset:1424
	v_accvgpr_write_b32 a131, v23
	s_waitcnt vmcnt(11) lgkmcnt(1)
	v_mul_f64 v[168:169], v[152:153], v[58:59]
	v_mul_f64 v[162:163], v[218:219], v[162:163]
	v_accvgpr_write_b32 a130, v22
	v_accvgpr_write_b32 a129, v21
	;; [unrolled: 1-line block ×3, first 2 shown]
	v_fmac_f64_e32 v[168:169], v[154:155], v[56:57]
	v_fma_f64 v[238:239], v[216:217], v[160:161], -v[162:163]
	ds_read_b128 v[160:163], v90 offset:1440
	s_waitcnt vmcnt(10) lgkmcnt(1)
	v_mul_f64 v[22:23], v[156:157], v[54:55]
	v_add_f64 v[2:3], v[2:3], v[168:169]
	v_fmac_f64_e32 v[22:23], v[158:159], v[52:53]
	v_add_f64 v[2:3], v[2:3], v[22:23]
	v_mul_f64 v[22:23], v[222:223], v[166:167]
	v_fma_f64 v[22:23], v[220:221], v[164:165], -v[22:23]
	ds_read_b128 v[164:167], v90 offset:1456
	ds_read_b128 v[168:171], v90 offset:1472
	s_waitcnt vmcnt(9) lgkmcnt(2)
	v_mul_f64 v[180:181], v[160:161], v[62:63]
	v_fmac_f64_e32 v[180:181], v[162:163], v[60:61]
	v_add_f64 v[2:3], v[2:3], v[180:181]
	s_waitcnt vmcnt(8) lgkmcnt(1)
	v_mul_f64 v[180:181], v[164:165], v[66:67]
	v_fmac_f64_e32 v[180:181], v[166:167], v[64:65]
	v_mul_f64 v[174:175], v[226:227], v[174:175]
	s_waitcnt vmcnt(7) lgkmcnt(0)
	v_mul_f64 v[88:89], v[168:169], v[70:71]
	v_add_f64 v[2:3], v[2:3], v[180:181]
	v_fma_f64 v[20:21], v[224:225], v[172:173], -v[174:175]
	v_fmac_f64_e32 v[88:89], v[170:171], v[68:69]
	ds_read_b128 v[172:175], v90 offset:1488
	v_add_f64 v[2:3], v[2:3], v[88:89]
	v_mul_f64 v[88:89], v[230:231], v[178:179]
	v_fma_f64 v[88:89], v[228:229], v[176:177], -v[88:89]
	ds_read_b128 v[176:179], v90 offset:1504
	s_waitcnt vmcnt(6) lgkmcnt(1)
	v_mul_f64 v[180:181], v[172:173], v[78:79]
	v_fmac_f64_e32 v[180:181], v[174:175], v[76:77]
	v_add_f64 v[2:3], v[2:3], v[180:181]
	ds_read_b128 v[180:183], v90 offset:1520
	s_waitcnt vmcnt(5) lgkmcnt(1)
	v_mul_f64 v[192:193], v[176:177], v[74:75]
	v_fmac_f64_e32 v[192:193], v[178:179], v[72:73]
	v_add_f64 v[192:193], v[2:3], v[192:193]
	v_mul_f64 v[2:3], v[234:235], v[186:187]
	v_fma_f64 v[2:3], v[232:233], v[184:185], -v[2:3]
	ds_read_b128 v[184:187], v90 offset:1536
	v_mul_f64 v[190:191], v[250:251], v[190:191]
	s_waitcnt vmcnt(4) lgkmcnt(1)
	v_mul_f64 v[194:195], v[180:181], v[82:83]
	v_fma_f64 v[248:249], v[248:249], v[188:189], -v[190:191]
	ds_read_b128 v[188:191], v90 offset:1552
	v_fmac_f64_e32 v[194:195], v[182:183], v[80:81]
	v_add_f64 v[196:197], v[192:193], v[194:195]
	ds_read_b128 v[192:195], v90 offset:1568
	s_waitcnt vmcnt(3) lgkmcnt(2)
	v_mul_f64 v[198:199], v[184:185], v[94:95]
	v_fmac_f64_e32 v[198:199], v[186:187], v[92:93]
	v_add_f64 v[196:197], v[196:197], v[198:199]
	s_waitcnt vmcnt(2) lgkmcnt(1)
	v_mul_f64 v[198:199], v[188:189], v[98:99]
	v_fmac_f64_e32 v[198:199], v[190:191], v[96:97]
	v_add_f64 v[196:197], v[196:197], v[198:199]
	;; [unrolled: 4-line block ×3, first 2 shown]
	ds_read_b128 v[196:199], v90 offset:1584
	ds_read_b128 v[204:207], v90 offset:1600
	;; [unrolled: 1-line block ×5, first 2 shown]
	s_waitcnt vmcnt(0) lgkmcnt(4)
	v_mul_f64 v[202:203], v[196:197], v[114:115]
	v_fmac_f64_e32 v[202:203], v[198:199], v[112:113]
	v_add_f64 v[208:209], v[200:201], v[202:203]
	scratch_load_dwordx4 v[200:203], off, off offset:784
	s_waitcnt vmcnt(0) lgkmcnt(3)
	v_mul_f64 v[210:211], v[204:205], v[202:203]
	v_fmac_f64_e32 v[210:211], v[206:207], v[200:201]
	v_add_f64 v[216:217], v[208:209], v[210:211]
	scratch_load_dwordx4 v[208:211], off, off offset:800
	;; [unrolled: 5-line block ×4, first 2 shown]
	s_waitcnt vmcnt(0) lgkmcnt(0)
	v_mul_f64 v[234:235], v[228:229], v[226:227]
	v_fmac_f64_e32 v[234:235], v[230:231], v[224:225]
	v_add_f64 v[232:233], v[232:233], v[234:235]
	v_accvgpr_write_b32 a132, v232
	v_accvgpr_write_b32 a133, v233
	v_add_f64 v[232:233], v[240:241], 0
	v_add_f64 v[232:233], v[232:233], v[242:243]
	;; [unrolled: 1-line block ×7, first 2 shown]
	scratch_load_dwordx4 v[232:235], off, off offset:16
	v_add_f64 v[12:13], v[16:17], v[12:13]
	v_add_f64 v[8:9], v[12:13], v[8:9]
	;; [unrolled: 1-line block ×12, first 2 shown]
	v_accvgpr_read_b32 v4, a108
	v_add_f64 v[250:251], v[0:1], v[88:89]
	v_accvgpr_read_b32 v6, a110
	v_accvgpr_read_b32 v7, a111
	v_add_f64 v[0:1], v[250:251], v[2:3]
	v_accvgpr_read_b32 v5, a109
	v_mul_f64 v[2:3], v[86:87], v[6:7]
	v_fma_f64 v[2:3], v[84:85], v[4:5], -v[2:3]
	v_accvgpr_read_b32 v4, a112
	v_add_f64 v[0:1], v[0:1], v[248:249]
	v_accvgpr_read_b32 v6, a114
	v_accvgpr_read_b32 v7, a115
	v_add_f64 v[0:1], v[0:1], v[2:3]
	v_accvgpr_read_b32 v5, a113
	v_mul_f64 v[2:3], v[26:27], v[6:7]
	v_fma_f64 v[2:3], v[24:25], v[4:5], -v[2:3]
	v_accvgpr_read_b32 v4, a116
	v_accvgpr_read_b32 v6, a118
	v_accvgpr_read_b32 v7, a119
	v_add_f64 v[0:1], v[0:1], v[2:3]
	v_accvgpr_read_b32 v5, a117
	v_mul_f64 v[2:3], v[106:107], v[6:7]
	v_fma_f64 v[2:3], v[104:105], v[4:5], -v[2:3]
	v_accvgpr_read_b32 v4, a120
	;; [unrolled: 7-line block ×5, first 2 shown]
	v_accvgpr_read_b32 v6, a106
	v_accvgpr_read_b32 v7, a107
	v_add_f64 v[0:1], v[0:1], v[2:3]
	v_accvgpr_read_b32 v5, a105
	v_mul_f64 v[2:3], v[126:127], v[6:7]
	v_fma_f64 v[2:3], v[124:125], v[4:5], -v[2:3]
	v_add_f64 v[0:1], v[0:1], v[2:3]
	v_mul_f64 v[2:3], v[130:131], v[30:31]
	v_fma_f64 v[2:3], v[128:129], v[28:29], -v[2:3]
	v_add_f64 v[0:1], v[0:1], v[2:3]
	;; [unrolled: 3-line block ×23, first 2 shown]
	v_accvgpr_read_b32 v2, a132
	v_accvgpr_read_b32 v3, a133
	s_waitcnt vmcnt(0)
	v_add_f64 v[0:1], v[232:233], -v[0:1]
	v_add_f64 v[2:3], v[234:235], -v[2:3]
	scratch_store_dwordx4 off, v[0:3], off offset:16
	s_cbranch_vccz .LBB51_428
; %bb.326:
	global_load_dword v0, v90, s[16:17] offset:200
	s_waitcnt vmcnt(0)
	v_readfirstlane_b32 s0, v0
	s_add_i32 s0, s0, -1
	s_cmp_lg_u32 s0, 50
	s_cbranch_scc0 .LBB51_328
; %bb.327:
	s_lshl_b32 s0, s0, 4
	s_add_i32 s0, s0, 16
	scratch_load_dwordx4 v[0:3], off, s0
	scratch_load_dwordx4 v[4:7], off, s31
	s_waitcnt vmcnt(1)
	scratch_store_dwordx4 off, v[0:3], s31
	s_waitcnt vmcnt(1)
	scratch_store_dwordx4 off, v[4:7], s0
.LBB51_328:
	v_mov_b32_e32 v0, 0
	global_load_dword v1, v0, s[16:17] offset:196
	s_waitcnt vmcnt(0)
	v_readfirstlane_b32 s0, v1
	s_add_i32 s0, s0, -1
	s_cmp_eq_u32 s0, 49
	s_cbranch_scc1 .LBB51_330
; %bb.329:
	s_lshl_b32 s0, s0, 4
	s_add_i32 s0, s0, 16
	scratch_load_dwordx4 v[2:5], off, s0
	scratch_load_dwordx4 v[6:9], off, s30
	s_waitcnt vmcnt(1)
	scratch_store_dwordx4 off, v[2:5], s30
	s_waitcnt vmcnt(1)
	scratch_store_dwordx4 off, v[6:9], s0
.LBB51_330:
	global_load_dword v0, v0, s[16:17] offset:192
	s_waitcnt vmcnt(0)
	v_readfirstlane_b32 s0, v0
	s_add_i32 s0, s0, -1
	s_cmp_eq_u32 s0, 48
	s_cbranch_scc1 .LBB51_332
; %bb.331:
	s_lshl_b32 s0, s0, 4
	s_add_i32 s0, s0, 16
	scratch_load_dwordx4 v[0:3], off, s0
	scratch_load_dwordx4 v[4:7], off, s29
	s_waitcnt vmcnt(1)
	scratch_store_dwordx4 off, v[0:3], s29
	s_waitcnt vmcnt(1)
	scratch_store_dwordx4 off, v[4:7], s0
.LBB51_332:
	v_mov_b32_e32 v0, 0
	global_load_dword v1, v0, s[16:17] offset:188
	s_waitcnt vmcnt(0)
	v_readfirstlane_b32 s0, v1
	s_add_i32 s0, s0, -1
	s_cmp_eq_u32 s0, 47
	s_cbranch_scc1 .LBB51_334
; %bb.333:
	s_lshl_b32 s0, s0, 4
	s_add_i32 s0, s0, 16
	scratch_load_dwordx4 v[2:5], off, s0
	scratch_load_dwordx4 v[6:9], off, s28
	s_waitcnt vmcnt(1)
	scratch_store_dwordx4 off, v[2:5], s28
	s_waitcnt vmcnt(1)
	scratch_store_dwordx4 off, v[6:9], s0
.LBB51_334:
	global_load_dword v0, v0, s[16:17] offset:184
	s_waitcnt vmcnt(0)
	v_readfirstlane_b32 s0, v0
	s_add_i32 s0, s0, -1
	s_cmp_eq_u32 s0, 46
	s_cbranch_scc1 .LBB51_336
; %bb.335:
	s_lshl_b32 s0, s0, 4
	s_add_i32 s0, s0, 16
	scratch_load_dwordx4 v[0:3], off, s0
	scratch_load_dwordx4 v[4:7], off, s27
	s_waitcnt vmcnt(1)
	scratch_store_dwordx4 off, v[0:3], s27
	s_waitcnt vmcnt(1)
	scratch_store_dwordx4 off, v[4:7], s0
.LBB51_336:
	;; [unrolled: 33-line block ×24, first 2 shown]
	v_mov_b32_e32 v0, 0
	global_load_dword v1, v0, s[16:17] offset:4
	s_waitcnt vmcnt(0)
	v_readfirstlane_b32 s0, v1
	s_add_i32 s0, s0, -1
	s_cmp_eq_u32 s0, 1
	s_cbranch_scc1 .LBB51_426
; %bb.425:
	s_lshl_b32 s0, s0, 4
	s_add_i32 s0, s0, 16
	scratch_load_dwordx4 v[2:5], off, s0
	scratch_load_dwordx4 v[6:9], off, s67
	s_waitcnt vmcnt(1)
	scratch_store_dwordx4 off, v[2:5], s67
	s_waitcnt vmcnt(1)
	scratch_store_dwordx4 off, v[6:9], s0
.LBB51_426:
	global_load_dword v0, v0, s[16:17]
	s_waitcnt vmcnt(0)
	v_readfirstlane_b32 s0, v0
	s_add_i32 s0, s0, -1
	s_cmp_eq_u32 s0, 0
	s_cbranch_scc1 .LBB51_428
; %bb.427:
	s_lshl_b32 s0, s0, 4
	s_add_i32 s0, s0, 16
	scratch_load_dwordx4 v[0:3], off, s0
	scratch_load_dwordx4 v[4:7], off, off offset:16
	s_waitcnt vmcnt(1)
	scratch_store_dwordx4 off, v[0:3], off offset:16
	s_waitcnt vmcnt(1)
	scratch_store_dwordx4 off, v[4:7], s0
.LBB51_428:
	scratch_load_dwordx4 v[0:3], off, off offset:16
	s_nop 0
	scratch_load_dwordx4 v[4:7], off, s67
	scratch_load_dwordx4 v[8:11], off, s66
	;; [unrolled: 1-line block ×5, first 2 shown]
                                        ; kill: killed $sgpr64
                                        ; kill: killed $sgpr33
	scratch_load_dwordx4 v[24:27], off, s34
	scratch_load_dwordx4 v[28:31], off, s35
	scratch_load_dwordx4 v[32:35], off, s36
	scratch_load_dwordx4 v[36:39], off, s37
	scratch_load_dwordx4 v[40:43], off, s38
	scratch_load_dwordx4 v[44:47], off, s39
	scratch_load_dwordx4 v[48:51], off, s40
	scratch_load_dwordx4 v[52:55], off, s41
	scratch_load_dwordx4 v[56:59], off, s42
	scratch_load_dwordx4 v[60:63], off, s43
	scratch_load_dwordx4 v[64:67], off, s44
	scratch_load_dwordx4 v[68:71], off, s45
	scratch_load_dwordx4 v[72:75], off, s46
	scratch_load_dwordx4 v[76:79], off, s47
	scratch_load_dwordx4 v[80:83], off, s48
	scratch_load_dwordx4 v[84:87], off, s49
	scratch_load_dwordx4 v[88:91], off, s50
	scratch_load_dwordx4 v[92:95], off, s51
	scratch_load_dwordx4 v[96:99], off, s52
	scratch_load_dwordx4 v[100:103], off, s53
	scratch_load_dwordx4 v[104:107], off, s54
	scratch_load_dwordx4 v[108:111], off, s55
	scratch_load_dwordx4 v[112:115], off, s56
	scratch_load_dwordx4 v[116:119], off, s57
	scratch_load_dwordx4 v[120:123], off, s58
	scratch_load_dwordx4 v[124:127], off, s59
	scratch_load_dwordx4 v[128:131], off, s60
	scratch_load_dwordx4 v[132:135], off, s61
	scratch_load_dwordx4 v[136:139], off, s62
	scratch_load_dwordx4 v[140:143], off, s63
	v_accvgpr_read_b32 v145, a1
	v_accvgpr_read_b32 v144, a0
	;; [unrolled: 1-line block ×14, first 2 shown]
	s_waitcnt vmcnt(35)
	global_store_dwordx4 v[144:145], v[0:3], off
	scratch_load_dwordx4 v[0:3], off, s12
	s_nop 0
	scratch_load_dwordx4 v[144:147], off, s13
	s_waitcnt vmcnt(37)
	global_store_dwordx4 v[148:149], v[4:7], off
	scratch_load_dwordx4 v[4:7], off, s14
	s_nop 0
	scratch_load_dwordx4 v[148:151], off, s20
	s_waitcnt vmcnt(39)
	global_store_dwordx4 v[152:153], v[8:11], off
	v_accvgpr_read_b32 v153, a9
	v_accvgpr_read_b32 v152, a8
	;; [unrolled: 1-line block ×4, first 2 shown]
	s_waitcnt vmcnt(39)
	global_store_dwordx4 v[8:9], v[12:15], off
	scratch_load_dwordx4 v[8:11], off, s15
	s_nop 0
	scratch_load_dwordx4 v[12:15], off, s21
	s_waitcnt vmcnt(41)
	global_store_dwordx4 v[152:153], v[16:19], off
	scratch_load_dwordx4 v[16:19], off, s22
	s_nop 0
	scratch_load_dwordx4 v[152:155], off, s23
	;; [unrolled: 5-line block ×3, first 2 shown]
	s_waitcnt vmcnt(45)
	global_store_dwordx4 v[160:161], v[24:27], off
	v_accvgpr_read_b32 v161, a17
	v_accvgpr_read_b32 v160, a16
	;; [unrolled: 1-line block ×4, first 2 shown]
	s_waitcnt vmcnt(45)
	global_store_dwordx4 v[24:25], v[28:31], off
	scratch_load_dwordx4 v[24:27], off, s25
	s_nop 0
	scratch_load_dwordx4 v[28:31], off, s27
	s_waitcnt vmcnt(47)
	global_store_dwordx4 v[160:161], v[32:35], off
	scratch_load_dwordx4 v[32:35], off, s28
	s_nop 0
	scratch_load_dwordx4 v[160:163], off, s29
	;; [unrolled: 5-line block ×3, first 2 shown]
	s_waitcnt vmcnt(51)
	global_store_dwordx4 v[168:169], v[40:43], off
	s_nop 1
	v_accvgpr_read_b32 v41, a23
	v_accvgpr_read_b32 v40, a22
	s_waitcnt vmcnt(51)
	global_store_dwordx4 v[40:41], v[44:47], off
	v_accvgpr_read_b32 v41, a25
	v_accvgpr_read_b32 v40, a24
	s_waitcnt vmcnt(51)
	global_store_dwordx4 v[40:41], v[48:51], off
	;; [unrolled: 4-line block ×25, first 2 shown]
	s_nop 1
	v_accvgpr_read_b32 v0, a72
	v_accvgpr_read_b32 v1, a73
	s_waitcnt vmcnt(49)
	global_store_dwordx4 v[0:1], v[144:147], off
	v_accvgpr_read_b32 v0, a74
	v_accvgpr_read_b32 v1, a75
	s_waitcnt vmcnt(48)
	global_store_dwordx4 v[0:1], v[4:7], off
	;; [unrolled: 4-line block ×15, first 2 shown]
	v_accvgpr_read_b32 v0, a102
	v_accvgpr_read_b32 v1, a103
	global_store_dwordx4 v[0:1], v[140:143], off
	s_endpgm
	.section	.rodata,"a",@progbits
	.p2align	6, 0x0
	.amdhsa_kernel _ZN9rocsolver6v33100L18getri_kernel_smallILi52E19rocblas_complex_numIdEPS3_EEvT1_iilPiilS6_bb
		.amdhsa_group_segment_fixed_size 1672
		.amdhsa_private_segment_fixed_size 864
		.amdhsa_kernarg_size 60
		.amdhsa_user_sgpr_count 2
		.amdhsa_user_sgpr_dispatch_ptr 0
		.amdhsa_user_sgpr_queue_ptr 0
		.amdhsa_user_sgpr_kernarg_segment_ptr 1
		.amdhsa_user_sgpr_dispatch_id 0
		.amdhsa_user_sgpr_kernarg_preload_length 0
		.amdhsa_user_sgpr_kernarg_preload_offset 0
		.amdhsa_user_sgpr_private_segment_size 0
		.amdhsa_uses_dynamic_stack 0
		.amdhsa_enable_private_segment 1
		.amdhsa_system_sgpr_workgroup_id_x 1
		.amdhsa_system_sgpr_workgroup_id_y 0
		.amdhsa_system_sgpr_workgroup_id_z 0
		.amdhsa_system_sgpr_workgroup_info 0
		.amdhsa_system_vgpr_workitem_id 0
		.amdhsa_next_free_vgpr 390
		.amdhsa_next_free_sgpr 68
		.amdhsa_accum_offset 256
		.amdhsa_reserve_vcc 1
		.amdhsa_float_round_mode_32 0
		.amdhsa_float_round_mode_16_64 0
		.amdhsa_float_denorm_mode_32 3
		.amdhsa_float_denorm_mode_16_64 3
		.amdhsa_dx10_clamp 1
		.amdhsa_ieee_mode 1
		.amdhsa_fp16_overflow 0
		.amdhsa_tg_split 0
		.amdhsa_exception_fp_ieee_invalid_op 0
		.amdhsa_exception_fp_denorm_src 0
		.amdhsa_exception_fp_ieee_div_zero 0
		.amdhsa_exception_fp_ieee_overflow 0
		.amdhsa_exception_fp_ieee_underflow 0
		.amdhsa_exception_fp_ieee_inexact 0
		.amdhsa_exception_int_div_zero 0
	.end_amdhsa_kernel
	.section	.text._ZN9rocsolver6v33100L18getri_kernel_smallILi52E19rocblas_complex_numIdEPS3_EEvT1_iilPiilS6_bb,"axG",@progbits,_ZN9rocsolver6v33100L18getri_kernel_smallILi52E19rocblas_complex_numIdEPS3_EEvT1_iilPiilS6_bb,comdat
.Lfunc_end51:
	.size	_ZN9rocsolver6v33100L18getri_kernel_smallILi52E19rocblas_complex_numIdEPS3_EEvT1_iilPiilS6_bb, .Lfunc_end51-_ZN9rocsolver6v33100L18getri_kernel_smallILi52E19rocblas_complex_numIdEPS3_EEvT1_iilPiilS6_bb
                                        ; -- End function
	.set _ZN9rocsolver6v33100L18getri_kernel_smallILi52E19rocblas_complex_numIdEPS3_EEvT1_iilPiilS6_bb.num_vgpr, 256
	.set _ZN9rocsolver6v33100L18getri_kernel_smallILi52E19rocblas_complex_numIdEPS3_EEvT1_iilPiilS6_bb.num_agpr, 134
	.set _ZN9rocsolver6v33100L18getri_kernel_smallILi52E19rocblas_complex_numIdEPS3_EEvT1_iilPiilS6_bb.numbered_sgpr, 68
	.set _ZN9rocsolver6v33100L18getri_kernel_smallILi52E19rocblas_complex_numIdEPS3_EEvT1_iilPiilS6_bb.num_named_barrier, 0
	.set _ZN9rocsolver6v33100L18getri_kernel_smallILi52E19rocblas_complex_numIdEPS3_EEvT1_iilPiilS6_bb.private_seg_size, 864
	.set _ZN9rocsolver6v33100L18getri_kernel_smallILi52E19rocblas_complex_numIdEPS3_EEvT1_iilPiilS6_bb.uses_vcc, 1
	.set _ZN9rocsolver6v33100L18getri_kernel_smallILi52E19rocblas_complex_numIdEPS3_EEvT1_iilPiilS6_bb.uses_flat_scratch, 0
	.set _ZN9rocsolver6v33100L18getri_kernel_smallILi52E19rocblas_complex_numIdEPS3_EEvT1_iilPiilS6_bb.has_dyn_sized_stack, 0
	.set _ZN9rocsolver6v33100L18getri_kernel_smallILi52E19rocblas_complex_numIdEPS3_EEvT1_iilPiilS6_bb.has_recursion, 0
	.set _ZN9rocsolver6v33100L18getri_kernel_smallILi52E19rocblas_complex_numIdEPS3_EEvT1_iilPiilS6_bb.has_indirect_call, 0
	.section	.AMDGPU.csdata,"",@progbits
; Kernel info:
; codeLenInByte = 114680
; TotalNumSgprs: 74
; NumVgprs: 256
; NumAgprs: 134
; TotalNumVgprs: 390
; ScratchSize: 864
; MemoryBound: 0
; FloatMode: 240
; IeeeMode: 1
; LDSByteSize: 1672 bytes/workgroup (compile time only)
; SGPRBlocks: 9
; VGPRBlocks: 48
; NumSGPRsForWavesPerEU: 74
; NumVGPRsForWavesPerEU: 390
; AccumOffset: 256
; Occupancy: 1
; WaveLimiterHint : 1
; COMPUTE_PGM_RSRC2:SCRATCH_EN: 1
; COMPUTE_PGM_RSRC2:USER_SGPR: 2
; COMPUTE_PGM_RSRC2:TRAP_HANDLER: 0
; COMPUTE_PGM_RSRC2:TGID_X_EN: 1
; COMPUTE_PGM_RSRC2:TGID_Y_EN: 0
; COMPUTE_PGM_RSRC2:TGID_Z_EN: 0
; COMPUTE_PGM_RSRC2:TIDIG_COMP_CNT: 0
; COMPUTE_PGM_RSRC3_GFX90A:ACCUM_OFFSET: 63
; COMPUTE_PGM_RSRC3_GFX90A:TG_SPLIT: 0
	.section	.text._ZN9rocsolver6v33100L18getri_kernel_smallILi53E19rocblas_complex_numIdEPS3_EEvT1_iilPiilS6_bb,"axG",@progbits,_ZN9rocsolver6v33100L18getri_kernel_smallILi53E19rocblas_complex_numIdEPS3_EEvT1_iilPiilS6_bb,comdat
	.globl	_ZN9rocsolver6v33100L18getri_kernel_smallILi53E19rocblas_complex_numIdEPS3_EEvT1_iilPiilS6_bb ; -- Begin function _ZN9rocsolver6v33100L18getri_kernel_smallILi53E19rocblas_complex_numIdEPS3_EEvT1_iilPiilS6_bb
	.p2align	8
	.type	_ZN9rocsolver6v33100L18getri_kernel_smallILi53E19rocblas_complex_numIdEPS3_EEvT1_iilPiilS6_bb,@function
_ZN9rocsolver6v33100L18getri_kernel_smallILi53E19rocblas_complex_numIdEPS3_EEvT1_iilPiilS6_bb: ; @_ZN9rocsolver6v33100L18getri_kernel_smallILi53E19rocblas_complex_numIdEPS3_EEvT1_iilPiilS6_bb
; %bb.0:
	v_mov_b32_e32 v246, v0
	v_cmp_gt_u32_e32 vcc, 53, v246
	s_and_saveexec_b64 s[4:5], vcc
	s_cbranch_execz .LBB52_226
; %bb.1:
	s_load_dword s8, s[0:1], 0x38
	s_load_dwordx4 s[12:15], s[0:1], 0x10
	s_load_dwordx4 s[4:7], s[0:1], 0x28
                                        ; implicit-def: $sgpr16_sgpr17
	s_waitcnt lgkmcnt(0)
	s_bitcmp1_b32 s8, 8
	s_cselect_b64 s[18:19], -1, 0
	s_ashr_i32 s3, s2, 31
	s_bfe_u32 s8, s8, 0x10008
	s_cmp_eq_u32 s8, 0
	s_cbranch_scc1 .LBB52_3
; %bb.2:
	s_load_dword s8, s[0:1], 0x20
	s_mul_i32 s9, s4, s3
	s_mul_hi_u32 s10, s4, s2
	s_mul_i32 s5, s5, s2
	s_add_i32 s10, s10, s9
	s_add_i32 s5, s10, s5
	s_mul_i32 s4, s4, s2
	s_waitcnt lgkmcnt(0)
	s_ashr_i32 s9, s8, 31
	s_lshl_b64 s[4:5], s[4:5], 2
	s_add_u32 s10, s14, s4
	s_addc_u32 s11, s15, s5
	s_lshl_b64 s[4:5], s[8:9], 2
	s_add_u32 s16, s10, s4
	s_addc_u32 s17, s11, s5
.LBB52_3:
	s_load_dwordx4 s[8:11], s[0:1], 0x0
	s_load_dword s4, s[0:1], 0x38
	s_mul_i32 s5, s12, s3
	s_mul_hi_u32 s14, s12, s2
	s_add_i32 s5, s14, s5
	s_waitcnt lgkmcnt(0)
	s_ashr_i32 s1, s10, 31
	s_mov_b32 s0, s10
	s_mul_i32 s10, s13, s2
	s_add_i32 s13, s5, s10
	s_mul_i32 s12, s12, s2
	s_lshl_b64 s[12:13], s[12:13], 4
	s_add_u32 s5, s8, s12
	s_addc_u32 s8, s9, s13
	s_lshl_b64 s[0:1], s[0:1], 4
	s_add_u32 s0, s5, s0
	s_addc_u32 s1, s8, s1
	s_add_i32 s5, s11, s11
	v_add_u32_e32 v14, s5, v246
	v_lshlrev_b32_e32 v38, 4, v246
	v_mov_b32_e32 v39, 0
	v_ashrrev_i32_e32 v15, 31, v14
	v_lshl_add_u64 v[0:1], s[0:1], 0, v[38:39]
	v_lshl_add_u64 v[10:11], v[14:15], 4, s[0:1]
	v_add_u32_e32 v14, s11, v14
	s_ashr_i32 s9, s11, 31
	s_mov_b32 s8, s11
	v_accvgpr_write_b32 a0, v0
	v_add_u32_e32 v22, s11, v14
	v_accvgpr_write_b32 a1, v1
	v_lshl_add_u64 v[0:1], s[8:9], 4, v[0:1]
	v_ashrrev_i32_e32 v23, 31, v22
	v_accvgpr_write_b32 a3, v1
	v_ashrrev_i32_e32 v15, 31, v14
	v_lshl_add_u64 v[18:19], v[22:23], 4, s[0:1]
	v_add_u32_e32 v22, s11, v22
	global_load_dwordx4 v[2:5], v38, s[0:1]
	global_load_dwordx4 v[6:9], v[0:1], off
	v_accvgpr_write_b32 a2, v0
	v_lshl_add_u64 v[0:1], v[14:15], 4, s[0:1]
	v_add_u32_e32 v30, s11, v22
	v_accvgpr_write_b32 a4, v10
	v_accvgpr_write_b32 a7, v1
	v_ashrrev_i32_e32 v23, 31, v22
	v_ashrrev_i32_e32 v31, 31, v30
	v_accvgpr_write_b32 a5, v11
	global_load_dwordx4 v[10:13], v[10:11], off
	v_accvgpr_write_b32 a6, v0
	global_load_dwordx4 v[14:17], v[0:1], off
	v_lshl_add_u64 v[0:1], v[22:23], 4, s[0:1]
	v_lshl_add_u64 v[26:27], v[30:31], 4, s[0:1]
	v_add_u32_e32 v30, s11, v30
	v_accvgpr_write_b32 a8, v18
	v_accvgpr_write_b32 a11, v1
	v_ashrrev_i32_e32 v31, 31, v30
	v_accvgpr_write_b32 a9, v19
	global_load_dwordx4 v[18:21], v[18:19], off
	v_accvgpr_write_b32 a10, v0
	global_load_dwordx4 v[22:25], v[0:1], off
	v_lshl_add_u64 v[0:1], v[30:31], 4, s[0:1]
	v_add_u32_e32 v30, s11, v30
	v_add_u32_e32 v40, s11, v30
	v_accvgpr_write_b32 a12, v26
	v_ashrrev_i32_e32 v31, 31, v30
	v_ashrrev_i32_e32 v41, 31, v40
	v_add_u32_e32 v42, s11, v40
	v_accvgpr_write_b32 a15, v1
	v_accvgpr_write_b32 a13, v27
	global_load_dwordx4 v[26:29], v[26:27], off
	v_lshl_add_u64 v[34:35], v[30:31], 4, s[0:1]
	v_accvgpr_write_b32 a14, v0
	global_load_dwordx4 v[30:33], v[0:1], off
	v_lshl_add_u64 v[0:1], v[40:41], 4, s[0:1]
	v_add_u32_e32 v48, s11, v42
	v_accvgpr_write_b32 a16, v34
	v_ashrrev_i32_e32 v43, 31, v42
	v_ashrrev_i32_e32 v49, 31, v48
	v_add_u32_e32 v50, s11, v48
	v_accvgpr_write_b32 a19, v1
	v_accvgpr_write_b32 a17, v35
	global_load_dwordx4 v[34:37], v[34:35], off
	v_lshl_add_u64 v[44:45], v[42:43], 4, s[0:1]
	v_accvgpr_write_b32 a18, v0
	global_load_dwordx4 v[40:43], v[0:1], off
	v_lshl_add_u64 v[0:1], v[48:49], 4, s[0:1]
	v_add_u32_e32 v56, s11, v50
	v_accvgpr_write_b32 a20, v44
	v_ashrrev_i32_e32 v51, 31, v50
	v_ashrrev_i32_e32 v57, 31, v56
	v_accvgpr_write_b32 a23, v1
	v_accvgpr_write_b32 a21, v45
	global_load_dwordx4 v[44:47], v[44:45], off
	v_lshl_add_u64 v[52:53], v[50:51], 4, s[0:1]
	v_accvgpr_write_b32 a22, v0
	global_load_dwordx4 v[48:51], v[0:1], off
	v_lshl_add_u64 v[0:1], v[56:57], 4, s[0:1]
	v_add_u32_e32 v56, s11, v56
	v_accvgpr_write_b32 a24, v52
	v_ashrrev_i32_e32 v57, 31, v56
	v_add_u32_e32 v64, s11, v56
	v_accvgpr_write_b32 a25, v53
	global_load_dwordx4 v[52:55], v[52:53], off
	v_lshl_add_u64 v[60:61], v[56:57], 4, s[0:1]
	v_add_u32_e32 v66, s11, v64
	v_ashrrev_i32_e32 v65, 31, v64
	v_accvgpr_write_b32 a27, v1
	global_load_dwordx4 v[56:59], v[0:1], off
	v_accvgpr_write_b32 a28, v60
	v_ashrrev_i32_e32 v67, 31, v66
	v_accvgpr_write_b32 a26, v0
	v_accvgpr_write_b32 a29, v61
	global_load_dwordx4 v[60:63], v[60:61], off
	v_lshl_add_u64 v[0:1], v[64:65], 4, s[0:1]
	v_lshl_add_u64 v[68:69], v[66:67], 4, s[0:1]
	v_add_u32_e32 v76, s11, v66
	global_load_dwordx4 v[64:67], v[0:1], off
	v_accvgpr_write_b32 a32, v68
	v_accvgpr_write_b32 a33, v69
	global_load_dwordx4 v[68:71], v[68:69], off
	v_accvgpr_write_b32 a31, v1
	v_ashrrev_i32_e32 v77, 31, v76
	v_accvgpr_write_b32 a30, v0
	v_lshl_add_u64 v[0:1], v[76:77], 4, s[0:1]
	global_load_dwordx4 v[72:75], v[0:1], off
	v_add_u32_e32 v76, s11, v76
	s_waitcnt vmcnt(17)
	scratch_store_dwordx4 off, v[2:5], off offset:16
	s_waitcnt vmcnt(17)
	scratch_store_dwordx4 off, v[6:9], off offset:32
	s_waitcnt vmcnt(17)
	scratch_store_dwordx4 off, v[10:13], off offset:48
	s_waitcnt vmcnt(17)
	scratch_store_dwordx4 off, v[14:17], off offset:64
	s_waitcnt vmcnt(17)
	scratch_store_dwordx4 off, v[18:21], off offset:80
	s_waitcnt vmcnt(17)
	scratch_store_dwordx4 off, v[22:25], off offset:96
	s_waitcnt vmcnt(17)
	scratch_store_dwordx4 off, v[26:29], off offset:112
	s_waitcnt vmcnt(17)
	scratch_store_dwordx4 off, v[30:33], off offset:128
	s_waitcnt vmcnt(17)
	scratch_store_dwordx4 off, v[34:37], off offset:144
	s_waitcnt vmcnt(17)
	scratch_store_dwordx4 off, v[40:43], off offset:160
	s_waitcnt vmcnt(17)
	scratch_store_dwordx4 off, v[44:47], off offset:176
	s_waitcnt vmcnt(17)
	scratch_store_dwordx4 off, v[48:51], off offset:192
	s_waitcnt vmcnt(17)
	scratch_store_dwordx4 off, v[52:55], off offset:208
	s_waitcnt vmcnt(17)
	scratch_store_dwordx4 off, v[56:59], off offset:224
	s_waitcnt vmcnt(17)
	scratch_store_dwordx4 off, v[60:63], off offset:240
	s_waitcnt vmcnt(17)
	scratch_store_dwordx4 off, v[64:67], off offset:256
	s_waitcnt vmcnt(17)
	scratch_store_dwordx4 off, v[68:71], off offset:272
	v_add_u32_e32 v6, s11, v76
	v_add_u32_e32 v14, s11, v6
	v_ashrrev_i32_e32 v15, 31, v14
	v_lshl_add_u64 v[10:11], v[14:15], 4, s[0:1]
	v_add_u32_e32 v14, s11, v14
	v_add_u32_e32 v22, s11, v14
	v_ashrrev_i32_e32 v23, 31, v22
	v_lshl_add_u64 v[18:19], v[22:23], 4, s[0:1]
	;; [unrolled: 4-line block ×5, first 2 shown]
	v_add_u32_e32 v48, s11, v48
	v_add_u32_e32 v56, s11, v48
	v_accvgpr_write_b32 a35, v1
	v_ashrrev_i32_e32 v77, 31, v76
	v_ashrrev_i32_e32 v57, 31, v56
	v_accvgpr_write_b32 a34, v0
	v_lshl_add_u64 v[0:1], v[76:77], 4, s[0:1]
	v_lshl_add_u64 v[52:53], v[56:57], 4, s[0:1]
	v_add_u32_e32 v56, s11, v56
	v_accvgpr_write_b32 a37, v1
	v_ashrrev_i32_e32 v7, 31, v6
	v_accvgpr_write_b32 a41, v11
	v_add_u32_e32 v64, s11, v56
	v_accvgpr_write_b32 a36, v0
	global_load_dwordx4 v[2:5], v[0:1], off
	v_accvgpr_write_b32 a40, v10
	global_load_dwordx4 v[10:13], v[10:11], off
	v_lshl_add_u64 v[0:1], v[6:7], 4, s[0:1]
	v_ashrrev_i32_e32 v65, 31, v64
	v_accvgpr_write_b32 a39, v1
	v_ashrrev_i32_e32 v15, 31, v14
	v_accvgpr_write_b32 a45, v19
	v_lshl_add_u64 v[60:61], v[64:65], 4, s[0:1]
	v_add_u32_e32 v64, s11, v64
	s_waitcnt vmcnt(19)
	scratch_store_dwordx4 off, v[72:75], off offset:288
	v_accvgpr_write_b32 a38, v0
	global_load_dwordx4 v[6:9], v[0:1], off
	v_accvgpr_write_b32 a44, v18
	global_load_dwordx4 v[18:21], v[18:19], off
	v_lshl_add_u64 v[0:1], v[14:15], 4, s[0:1]
	v_add_u32_e32 v72, s11, v64
	v_accvgpr_write_b32 a43, v1
	v_ashrrev_i32_e32 v23, 31, v22
	v_accvgpr_write_b32 a49, v27
	v_ashrrev_i32_e32 v73, 31, v72
	v_accvgpr_write_b32 a42, v0
	global_load_dwordx4 v[14:17], v[0:1], off
	v_accvgpr_write_b32 a48, v26
	global_load_dwordx4 v[26:29], v[26:27], off
	v_lshl_add_u64 v[0:1], v[22:23], 4, s[0:1]
	v_lshl_add_u64 v[68:69], v[72:73], 4, s[0:1]
	v_add_u32_e32 v72, s11, v72
	v_accvgpr_write_b32 a47, v1
	v_ashrrev_i32_e32 v31, 31, v30
	v_accvgpr_write_b32 a53, v35
	v_add_u32_e32 v80, s11, v72
	v_accvgpr_write_b32 a46, v0
	global_load_dwordx4 v[22:25], v[0:1], off
	v_accvgpr_write_b32 a52, v34
	global_load_dwordx4 v[34:37], v[34:35], off
	v_lshl_add_u64 v[0:1], v[30:31], 4, s[0:1]
	v_ashrrev_i32_e32 v81, 31, v80
	v_accvgpr_write_b32 a51, v1
	v_ashrrev_i32_e32 v41, 31, v40
	v_accvgpr_write_b32 a57, v45
	v_lshl_add_u64 v[76:77], v[80:81], 4, s[0:1]
	v_add_u32_e32 v80, s11, v80
	v_accvgpr_write_b32 a50, v0
	global_load_dwordx4 v[30:33], v[0:1], off
	v_accvgpr_write_b32 a56, v44
	global_load_dwordx4 v[44:47], v[44:45], off
	v_lshl_add_u64 v[0:1], v[40:41], 4, s[0:1]
	v_add_u32_e32 v88, s11, v80
	v_accvgpr_write_b32 a55, v1
	v_ashrrev_i32_e32 v49, 31, v48
	v_accvgpr_write_b32 a61, v53
	v_ashrrev_i32_e32 v89, 31, v88
	v_accvgpr_write_b32 a54, v0
	global_load_dwordx4 v[40:43], v[0:1], off
	v_accvgpr_write_b32 a60, v52
	global_load_dwordx4 v[52:55], v[52:53], off
	v_lshl_add_u64 v[0:1], v[48:49], 4, s[0:1]
	v_lshl_add_u64 v[84:85], v[88:89], 4, s[0:1]
	v_add_u32_e32 v88, s11, v88
	v_accvgpr_write_b32 a59, v1
	v_ashrrev_i32_e32 v57, 31, v56
	v_accvgpr_write_b32 a65, v61
	v_add_u32_e32 v96, s11, v88
	v_accvgpr_write_b32 a58, v0
	global_load_dwordx4 v[48:51], v[0:1], off
	v_accvgpr_write_b32 a64, v60
	global_load_dwordx4 v[60:63], v[60:61], off
	v_lshl_add_u64 v[0:1], v[56:57], 4, s[0:1]
	v_ashrrev_i32_e32 v97, 31, v96
	v_accvgpr_write_b32 a63, v1
	v_ashrrev_i32_e32 v65, 31, v64
	v_accvgpr_write_b32 a68, v68
	v_lshl_add_u64 v[92:93], v[96:97], 4, s[0:1]
	v_add_u32_e32 v96, s11, v96
	;; [unrolled: 32-line block ×4, first 2 shown]
	v_accvgpr_write_b32 a86, v0
	global_load_dwordx4 v[104:107], v[0:1], off
	v_accvgpr_write_b32 a93, v117
	global_load_dwordx4 v[116:119], v[116:117], off
	v_lshl_add_u64 v[0:1], v[112:113], 4, s[0:1]
	v_add_u32_e32 v136, s11, v128
	v_accvgpr_write_b32 a91, v1
	v_ashrrev_i32_e32 v121, 31, v120
	v_accvgpr_write_b32 a96, v124
	v_ashrrev_i32_e32 v137, 31, v136
	v_accvgpr_write_b32 a90, v0
	global_load_dwordx4 v[112:115], v[0:1], off
	v_accvgpr_write_b32 a97, v125
	global_load_dwordx4 v[124:127], v[124:125], off
	v_lshl_add_u64 v[0:1], v[120:121], 4, s[0:1]
	v_lshl_add_u64 v[132:133], v[136:137], 4, s[0:1]
	v_accvgpr_write_b32 a95, v1
	v_ashrrev_i32_e32 v129, 31, v128
	v_accvgpr_write_b32 a100, v132
	v_accvgpr_write_b32 a94, v0
	global_load_dwordx4 v[120:123], v[0:1], off
	v_accvgpr_write_b32 a101, v133
	global_load_dwordx4 v[132:135], v[132:133], off
	v_lshl_add_u64 v[0:1], v[128:129], 4, s[0:1]
	v_add_u32_e32 v136, s11, v136
	v_accvgpr_write_b32 a99, v1
	v_ashrrev_i32_e32 v137, 31, v136
	v_accvgpr_write_b32 a98, v0
	global_load_dwordx4 v[128:131], v[0:1], off
	v_lshl_add_u64 v[0:1], v[136:137], 4, s[0:1]
	v_add_u32_e32 v136, s11, v136
	v_ashrrev_i32_e32 v137, 31, v136
	v_lshl_add_u64 v[140:141], v[136:137], 4, s[0:1]
	s_movk_i32 s0, 0x50
	s_add_i32 s36, s0, 16
	s_movk_i32 s0, 0x60
	s_add_i32 s37, s0, 16
	s_movk_i32 s0, 0x70
	global_load_dwordx4 v[136:139], v[0:1], off
	v_accvgpr_write_b32 a104, v140
	s_add_i32 s38, s0, 16
	s_movk_i32 s0, 0x80
	v_accvgpr_write_b32 a105, v141
	global_load_dwordx4 v[140:143], v[140:141], off
	s_add_i32 s39, s0, 16
	s_movk_i32 s0, 0x90
	s_add_i32 s40, s0, 16
	s_movk_i32 s0, 0xa0
	;; [unrolled: 2-line block ×44, first 2 shown]
	v_accvgpr_write_b32 a103, v1
	s_add_i32 s13, s0, 16
	v_accvgpr_write_b32 a102, v0
	s_mov_b32 s68, 32
	s_mov_b32 s67, 48
	;; [unrolled: 1-line block ×3, first 2 shown]
	s_movk_i32 s35, 0x50
	s_bitcmp0_b32 s4, 0
	s_mov_b64 s[4:5], -1
	s_waitcnt vmcnt(35)
	scratch_store_dwordx4 off, v[2:5], off offset:304
	s_waitcnt vmcnt(33)
	scratch_store_dwordx4 off, v[6:9], off offset:320
	scratch_store_dwordx4 off, v[10:13], off offset:336
	s_waitcnt vmcnt(33)
	scratch_store_dwordx4 off, v[14:17], off offset:352
	;; [unrolled: 3-line block ×17, first 2 shown]
	s_waitcnt vmcnt(34)
	scratch_store_dwordx4 off, v[140:143], off offset:848
	s_cbranch_scc1 .LBB52_224
; %bb.4:
	v_cmp_eq_u32_e64 s[0:1], 0, v246
	s_and_saveexec_b64 s[4:5], s[0:1]
; %bb.5:
	v_mov_b32_e32 v0, 0
	ds_write_b32 v0, v0 offset:1696
; %bb.6:
	s_or_b64 exec, exec, s[4:5]
	s_waitcnt lgkmcnt(0)
	; wave barrier
	scratch_load_dwordx4 v[2:5], v38, off offset:16
	s_waitcnt vmcnt(0)
	v_cmp_eq_f64_e32 vcc, 0, v[2:3]
	v_cmp_eq_f64_e64 s[4:5], 0, v[4:5]
	s_and_b64 s[4:5], vcc, s[4:5]
	s_and_saveexec_b64 s[8:9], s[4:5]
	s_cbranch_execz .LBB52_10
; %bb.7:
	v_mov_b32_e32 v1, 0
	ds_read_b32 v0, v1 offset:1696
	v_add_u32_e32 v2, 1, v246
	s_waitcnt lgkmcnt(0)
	v_readfirstlane_b32 s4, v0
	s_cmp_eq_u32 s4, 0
	s_cselect_b64 s[10:11], -1, 0
	v_cmp_gt_i32_e32 vcc, s4, v2
	s_or_b64 s[10:11], s[10:11], vcc
	s_and_b64 exec, exec, s[10:11]
	s_cbranch_execz .LBB52_10
; %bb.8:
	s_mov_b64 s[10:11], 0
	v_mov_b32_e32 v3, s4
.LBB52_9:                               ; =>This Inner Loop Header: Depth=1
	ds_cmpst_rtn_b32 v3, v1, v3, v2 offset:1696
	s_waitcnt lgkmcnt(0)
	v_cmp_ne_u32_e32 vcc, 0, v3
	v_cmp_le_i32_e64 s[4:5], v3, v2
	s_and_b64 s[4:5], vcc, s[4:5]
	s_and_b64 s[4:5], exec, s[4:5]
	s_or_b64 s[10:11], s[4:5], s[10:11]
	s_andn2_b64 exec, exec, s[10:11]
	s_cbranch_execnz .LBB52_9
.LBB52_10:
	s_or_b64 exec, exec, s[8:9]
	v_mov_b32_e32 v2, 0
	; wave barrier
	ds_read_b32 v1, v2 offset:1696
	s_and_saveexec_b64 s[4:5], s[0:1]
	s_cbranch_execz .LBB52_12
; %bb.11:
	s_lshl_b64 s[8:9], s[2:3], 2
	s_add_u32 s8, s6, s8
	s_addc_u32 s9, s7, s9
	s_waitcnt lgkmcnt(0)
	global_store_dword v2, v1, s[8:9]
.LBB52_12:
	s_or_b64 exec, exec, s[4:5]
	s_waitcnt lgkmcnt(0)
	v_cmp_ne_u32_e32 vcc, 0, v1
	s_mov_b64 s[4:5], 0
	s_cbranch_vccnz .LBB52_224
; %bb.13:
	v_add_u32_e32 v14, 16, v38
	scratch_load_dwordx4 v[2:5], v14, off
                                        ; implicit-def: $vgpr6_vgpr7
                                        ; implicit-def: $vgpr10_vgpr11
	s_waitcnt vmcnt(0)
	v_cmp_ngt_f64_e64 s[4:5], |v[2:3]|, |v[4:5]|
	s_and_saveexec_b64 s[8:9], s[4:5]
	s_xor_b64 s[4:5], exec, s[8:9]
	s_cbranch_execz .LBB52_15
; %bb.14:
	v_div_scale_f64 v[6:7], s[8:9], v[4:5], v[4:5], v[2:3]
	v_rcp_f64_e32 v[8:9], v[6:7]
	v_div_scale_f64 v[10:11], vcc, v[2:3], v[4:5], v[2:3]
	v_fma_f64 v[12:13], -v[6:7], v[8:9], 1.0
	v_fmac_f64_e32 v[8:9], v[8:9], v[12:13]
	v_fma_f64 v[12:13], -v[6:7], v[8:9], 1.0
	v_fmac_f64_e32 v[8:9], v[8:9], v[12:13]
	v_mul_f64 v[12:13], v[10:11], v[8:9]
	v_fma_f64 v[6:7], -v[6:7], v[12:13], v[10:11]
	v_div_fmas_f64 v[6:7], v[6:7], v[8:9], v[12:13]
	v_div_fixup_f64 v[6:7], v[6:7], v[4:5], v[2:3]
	v_fmac_f64_e32 v[4:5], v[2:3], v[6:7]
	v_div_scale_f64 v[2:3], s[8:9], v[4:5], v[4:5], 1.0
	v_rcp_f64_e32 v[8:9], v[2:3]
	s_nop 0
	v_fma_f64 v[10:11], -v[2:3], v[8:9], 1.0
	v_fmac_f64_e32 v[8:9], v[8:9], v[10:11]
	v_fma_f64 v[10:11], -v[2:3], v[8:9], 1.0
	v_fmac_f64_e32 v[8:9], v[8:9], v[10:11]
	v_div_scale_f64 v[10:11], vcc, 1.0, v[4:5], 1.0
	v_mul_f64 v[12:13], v[10:11], v[8:9]
	v_fma_f64 v[2:3], -v[2:3], v[12:13], v[10:11]
	s_nop 1
	v_div_fmas_f64 v[2:3], v[2:3], v[8:9], v[12:13]
	v_div_fixup_f64 v[8:9], v[2:3], v[4:5], 1.0
	v_mul_f64 v[6:7], v[6:7], v[8:9]
	v_xor_b32_e32 v9, 0x80000000, v9
	v_xor_b32_e32 v11, 0x80000000, v7
	v_mov_b32_e32 v10, v6
                                        ; implicit-def: $vgpr2_vgpr3
.LBB52_15:
	s_andn2_saveexec_b64 s[4:5], s[4:5]
	s_cbranch_execz .LBB52_17
; %bb.16:
	v_div_scale_f64 v[6:7], s[8:9], v[2:3], v[2:3], v[4:5]
	v_rcp_f64_e32 v[8:9], v[6:7]
	v_div_scale_f64 v[10:11], vcc, v[4:5], v[2:3], v[4:5]
	v_fma_f64 v[12:13], -v[6:7], v[8:9], 1.0
	v_fmac_f64_e32 v[8:9], v[8:9], v[12:13]
	v_fma_f64 v[12:13], -v[6:7], v[8:9], 1.0
	v_fmac_f64_e32 v[8:9], v[8:9], v[12:13]
	v_mul_f64 v[12:13], v[10:11], v[8:9]
	v_fma_f64 v[6:7], -v[6:7], v[12:13], v[10:11]
	v_div_fmas_f64 v[6:7], v[6:7], v[8:9], v[12:13]
	v_div_fixup_f64 v[8:9], v[6:7], v[2:3], v[4:5]
	v_fmac_f64_e32 v[2:3], v[4:5], v[8:9]
	v_div_scale_f64 v[4:5], s[8:9], v[2:3], v[2:3], 1.0
	v_rcp_f64_e32 v[6:7], v[4:5]
	s_nop 0
	v_fma_f64 v[10:11], -v[4:5], v[6:7], 1.0
	v_fmac_f64_e32 v[6:7], v[6:7], v[10:11]
	v_fma_f64 v[10:11], -v[4:5], v[6:7], 1.0
	v_fmac_f64_e32 v[6:7], v[6:7], v[10:11]
	v_div_scale_f64 v[10:11], vcc, 1.0, v[2:3], 1.0
	v_mul_f64 v[12:13], v[10:11], v[6:7]
	v_fma_f64 v[4:5], -v[4:5], v[12:13], v[10:11]
	s_nop 1
	v_div_fmas_f64 v[4:5], v[4:5], v[6:7], v[12:13]
	v_div_fixup_f64 v[6:7], v[4:5], v[2:3], 1.0
	v_xor_b32_e32 v11, 0x80000000, v7
	v_mov_b32_e32 v10, v6
	v_mul_f64 v[8:9], v[8:9], -v[6:7]
.LBB52_17:
	s_or_b64 exec, exec, s[4:5]
	scratch_store_dwordx4 v14, v[6:9], off
	scratch_load_dwordx4 v[2:5], off, s68
	v_xor_b32_e32 v13, 0x80000000, v9
	v_mov_b32_e32 v12, v8
	v_add_u32_e32 v1, 0x350, v38
	ds_write_b128 v38, v[10:13]
	s_waitcnt vmcnt(0)
	ds_write_b128 v38, v[2:5] offset:848
	s_waitcnt lgkmcnt(0)
	; wave barrier
	s_and_saveexec_b64 s[4:5], s[0:1]
	s_cbranch_execz .LBB52_19
; %bb.18:
	scratch_load_dwordx4 v[2:5], v14, off
	ds_read_b128 v[6:9], v1
	v_mov_b32_e32 v0, 0
	ds_read_b128 v[10:13], v0 offset:16
	s_waitcnt vmcnt(0) lgkmcnt(1)
	v_mul_f64 v[16:17], v[8:9], v[4:5]
	v_mul_f64 v[4:5], v[6:7], v[4:5]
	v_fma_f64 v[6:7], v[6:7], v[2:3], -v[16:17]
	v_fmac_f64_e32 v[4:5], v[8:9], v[2:3]
	v_add_f64 v[2:3], v[6:7], 0
	v_add_f64 v[6:7], v[4:5], 0
	s_waitcnt lgkmcnt(0)
	v_mul_f64 v[8:9], v[6:7], v[12:13]
	v_mul_f64 v[4:5], v[2:3], v[12:13]
	v_fma_f64 v[2:3], v[2:3], v[10:11], -v[8:9]
	v_fmac_f64_e32 v[4:5], v[6:7], v[10:11]
	scratch_store_dwordx4 off, v[2:5], off offset:32
.LBB52_19:
	s_or_b64 exec, exec, s[4:5]
	; wave barrier
	scratch_load_dwordx4 v[2:5], off, s67
	v_cmp_gt_u32_e32 vcc, 2, v246
	s_waitcnt vmcnt(0)
	ds_write_b128 v1, v[2:5]
	s_waitcnt lgkmcnt(0)
	; wave barrier
	s_and_saveexec_b64 s[4:5], vcc
	s_cbranch_execz .LBB52_23
; %bb.20:
	scratch_load_dwordx4 v[2:5], v14, off
	ds_read_b128 v[6:9], v1
	s_waitcnt vmcnt(0) lgkmcnt(0)
	v_mul_f64 v[10:11], v[8:9], v[4:5]
	v_mul_f64 v[12:13], v[6:7], v[4:5]
	v_fma_f64 v[4:5], v[6:7], v[2:3], -v[10:11]
	v_fmac_f64_e32 v[12:13], v[8:9], v[2:3]
	v_add_f64 v[4:5], v[4:5], 0
	v_add_f64 v[2:3], v[12:13], 0
	s_and_saveexec_b64 s[8:9], s[0:1]
	s_cbranch_execz .LBB52_22
; %bb.21:
	scratch_load_dwordx4 v[6:9], off, off offset:32
	v_mov_b32_e32 v0, 0
	ds_read_b128 v[10:13], v0 offset:864
	s_waitcnt vmcnt(0) lgkmcnt(0)
	v_mul_f64 v[14:15], v[10:11], v[8:9]
	v_mul_f64 v[8:9], v[12:13], v[8:9]
	v_fmac_f64_e32 v[14:15], v[12:13], v[6:7]
	v_fma_f64 v[6:7], v[10:11], v[6:7], -v[8:9]
	v_add_f64 v[2:3], v[2:3], v[14:15]
	v_add_f64 v[4:5], v[4:5], v[6:7]
.LBB52_22:
	s_or_b64 exec, exec, s[8:9]
	v_mov_b32_e32 v0, 0
	ds_read_b128 v[6:9], v0 offset:32
	s_waitcnt lgkmcnt(0)
	v_mul_f64 v[12:13], v[2:3], v[8:9]
	v_mul_f64 v[10:11], v[4:5], v[8:9]
	v_fma_f64 v[8:9], v[4:5], v[6:7], -v[12:13]
	v_fmac_f64_e32 v[10:11], v[2:3], v[6:7]
	scratch_store_dwordx4 off, v[8:11], off offset:48
.LBB52_23:
	s_or_b64 exec, exec, s[4:5]
	; wave barrier
	scratch_load_dwordx4 v[2:5], off, s66
	v_cmp_gt_u32_e32 vcc, 3, v246
	v_add_u32_e32 v6, -1, v246
	s_waitcnt vmcnt(0)
	ds_write_b128 v1, v[2:5]
	s_waitcnt lgkmcnt(0)
	; wave barrier
	s_and_saveexec_b64 s[0:1], vcc
	s_cbranch_execz .LBB52_27
; %bb.24:
	v_add_u32_e32 v7, -1, v246
	v_add_u32_e32 v8, 0x350, v38
	v_add_u32_e32 v9, 16, v38
	v_mov_b64_e32 v[2:3], 0
	s_mov_b64 s[4:5], 0
	v_mov_b64_e32 v[4:5], 0
.LBB52_25:                              ; =>This Inner Loop Header: Depth=1
	scratch_load_dwordx4 v[10:13], v9, off
	ds_read_b128 v[14:17], v8
	v_add_u32_e32 v7, 1, v7
	v_cmp_lt_u32_e32 vcc, 1, v7
	v_add_u32_e32 v8, 16, v8
	v_add_u32_e32 v9, 16, v9
	s_or_b64 s[4:5], vcc, s[4:5]
	s_waitcnt vmcnt(0) lgkmcnt(0)
	v_mul_f64 v[18:19], v[16:17], v[12:13]
	v_mul_f64 v[12:13], v[14:15], v[12:13]
	v_fma_f64 v[14:15], v[14:15], v[10:11], -v[18:19]
	v_fmac_f64_e32 v[12:13], v[16:17], v[10:11]
	v_add_f64 v[4:5], v[4:5], v[14:15]
	v_add_f64 v[2:3], v[2:3], v[12:13]
	s_andn2_b64 exec, exec, s[4:5]
	s_cbranch_execnz .LBB52_25
; %bb.26:
	s_or_b64 exec, exec, s[4:5]
	v_mov_b32_e32 v0, 0
	ds_read_b128 v[8:11], v0 offset:48
	s_waitcnt lgkmcnt(0)
	v_mul_f64 v[14:15], v[2:3], v[10:11]
	v_mul_f64 v[12:13], v[4:5], v[10:11]
	v_fma_f64 v[10:11], v[4:5], v[8:9], -v[14:15]
	v_fmac_f64_e32 v[12:13], v[2:3], v[8:9]
	scratch_store_dwordx4 off, v[10:13], off offset:64
.LBB52_27:
	s_or_b64 exec, exec, s[0:1]
	; wave barrier
	scratch_load_dwordx4 v[2:5], off, s35
	v_cmp_gt_u32_e32 vcc, 4, v246
	s_waitcnt vmcnt(0)
	ds_write_b128 v1, v[2:5]
	s_waitcnt lgkmcnt(0)
	; wave barrier
	s_and_saveexec_b64 s[0:1], vcc
	s_cbranch_execz .LBB52_31
; %bb.28:
	v_add_u32_e32 v7, -1, v246
	v_add_u32_e32 v8, 0x350, v38
	v_add_u32_e32 v9, 16, v38
	v_mov_b64_e32 v[2:3], 0
	s_mov_b64 s[4:5], 0
	v_mov_b64_e32 v[4:5], 0
.LBB52_29:                              ; =>This Inner Loop Header: Depth=1
	scratch_load_dwordx4 v[10:13], v9, off
	ds_read_b128 v[14:17], v8
	v_add_u32_e32 v7, 1, v7
	v_cmp_lt_u32_e32 vcc, 2, v7
	v_add_u32_e32 v8, 16, v8
	v_add_u32_e32 v9, 16, v9
	s_or_b64 s[4:5], vcc, s[4:5]
	s_waitcnt vmcnt(0) lgkmcnt(0)
	v_mul_f64 v[18:19], v[16:17], v[12:13]
	v_mul_f64 v[12:13], v[14:15], v[12:13]
	v_fma_f64 v[14:15], v[14:15], v[10:11], -v[18:19]
	v_fmac_f64_e32 v[12:13], v[16:17], v[10:11]
	v_add_f64 v[4:5], v[4:5], v[14:15]
	v_add_f64 v[2:3], v[2:3], v[12:13]
	s_andn2_b64 exec, exec, s[4:5]
	s_cbranch_execnz .LBB52_29
; %bb.30:
	s_or_b64 exec, exec, s[4:5]
	v_mov_b32_e32 v0, 0
	ds_read_b128 v[8:11], v0 offset:64
	s_waitcnt lgkmcnt(0)
	v_mul_f64 v[14:15], v[2:3], v[10:11]
	v_mul_f64 v[12:13], v[4:5], v[10:11]
	v_fma_f64 v[10:11], v[4:5], v[8:9], -v[14:15]
	v_fmac_f64_e32 v[12:13], v[2:3], v[8:9]
	scratch_store_dwordx4 off, v[10:13], off offset:80
.LBB52_31:
	s_or_b64 exec, exec, s[0:1]
	; wave barrier
	scratch_load_dwordx4 v[2:5], off, s36
	v_cmp_gt_u32_e32 vcc, 5, v246
	;; [unrolled: 45-line block ×19, first 2 shown]
	s_waitcnt vmcnt(0)
	ds_write_b128 v1, v[2:5]
	s_waitcnt lgkmcnt(0)
	; wave barrier
	s_and_saveexec_b64 s[0:1], vcc
	s_cbranch_execz .LBB52_103
; %bb.100:
	v_add_u32_e32 v7, -1, v246
	v_add_u32_e32 v8, 0x350, v38
	v_add_u32_e32 v9, 16, v38
	v_mov_b64_e32 v[2:3], 0
	s_mov_b64 s[4:5], 0
	v_mov_b64_e32 v[4:5], 0
.LBB52_101:                             ; =>This Inner Loop Header: Depth=1
	scratch_load_dwordx4 v[10:13], v9, off
	ds_read_b128 v[14:17], v8
	v_add_u32_e32 v7, 1, v7
	v_cmp_lt_u32_e32 vcc, 20, v7
	v_add_u32_e32 v8, 16, v8
	v_add_u32_e32 v9, 16, v9
	s_or_b64 s[4:5], vcc, s[4:5]
	s_waitcnt vmcnt(0) lgkmcnt(0)
	v_mul_f64 v[18:19], v[16:17], v[12:13]
	v_mul_f64 v[12:13], v[14:15], v[12:13]
	v_fma_f64 v[14:15], v[14:15], v[10:11], -v[18:19]
	v_fmac_f64_e32 v[12:13], v[16:17], v[10:11]
	v_add_f64 v[4:5], v[4:5], v[14:15]
	v_add_f64 v[2:3], v[2:3], v[12:13]
	s_andn2_b64 exec, exec, s[4:5]
	s_cbranch_execnz .LBB52_101
; %bb.102:
	s_or_b64 exec, exec, s[4:5]
	v_mov_b32_e32 v0, 0
	ds_read_b128 v[8:11], v0 offset:352
	s_waitcnt lgkmcnt(0)
	v_mul_f64 v[14:15], v[2:3], v[10:11]
	v_mul_f64 v[12:13], v[4:5], v[10:11]
	v_fma_f64 v[10:11], v[4:5], v[8:9], -v[14:15]
	v_fmac_f64_e32 v[12:13], v[2:3], v[8:9]
	scratch_store_dwordx4 off, v[10:13], off offset:368
.LBB52_103:
	s_or_b64 exec, exec, s[0:1]
	; wave barrier
	scratch_load_dwordx4 v[2:5], off, s54
	v_cmp_gt_u32_e32 vcc, 23, v246
	s_waitcnt vmcnt(0)
	ds_write_b128 v1, v[2:5]
	s_waitcnt lgkmcnt(0)
	; wave barrier
	s_and_saveexec_b64 s[0:1], vcc
	s_cbranch_execz .LBB52_107
; %bb.104:
	v_add_u32_e32 v7, -1, v246
	v_add_u32_e32 v8, 0x350, v38
	v_add_u32_e32 v9, 16, v38
	v_mov_b64_e32 v[2:3], 0
	s_mov_b64 s[4:5], 0
	v_mov_b64_e32 v[4:5], 0
.LBB52_105:                             ; =>This Inner Loop Header: Depth=1
	scratch_load_dwordx4 v[10:13], v9, off
	ds_read_b128 v[14:17], v8
	v_add_u32_e32 v7, 1, v7
	v_cmp_lt_u32_e32 vcc, 21, v7
	v_add_u32_e32 v8, 16, v8
	v_add_u32_e32 v9, 16, v9
	s_or_b64 s[4:5], vcc, s[4:5]
	s_waitcnt vmcnt(0) lgkmcnt(0)
	v_mul_f64 v[18:19], v[16:17], v[12:13]
	v_mul_f64 v[12:13], v[14:15], v[12:13]
	v_fma_f64 v[14:15], v[14:15], v[10:11], -v[18:19]
	v_fmac_f64_e32 v[12:13], v[16:17], v[10:11]
	v_add_f64 v[4:5], v[4:5], v[14:15]
	v_add_f64 v[2:3], v[2:3], v[12:13]
	s_andn2_b64 exec, exec, s[4:5]
	s_cbranch_execnz .LBB52_105
; %bb.106:
	s_or_b64 exec, exec, s[4:5]
	v_mov_b32_e32 v0, 0
	ds_read_b128 v[8:11], v0 offset:368
	s_waitcnt lgkmcnt(0)
	v_mul_f64 v[14:15], v[2:3], v[10:11]
	v_mul_f64 v[12:13], v[4:5], v[10:11]
	v_fma_f64 v[10:11], v[4:5], v[8:9], -v[14:15]
	v_fmac_f64_e32 v[12:13], v[2:3], v[8:9]
	scratch_store_dwordx4 off, v[10:13], off offset:384
.LBB52_107:
	s_or_b64 exec, exec, s[0:1]
	; wave barrier
	scratch_load_dwordx4 v[2:5], off, s55
	v_cmp_gt_u32_e32 vcc, 24, v246
	;; [unrolled: 45-line block ×29, first 2 shown]
	s_waitcnt vmcnt(0)
	ds_write_b128 v1, v[2:5]
	s_waitcnt lgkmcnt(0)
	; wave barrier
	s_and_saveexec_b64 s[0:1], vcc
	s_cbranch_execz .LBB52_219
; %bb.216:
	v_add_u32_e32 v7, -1, v246
	v_add_u32_e32 v8, 0x350, v38
	v_add_u32_e32 v9, 16, v38
	v_mov_b64_e32 v[2:3], 0
	s_mov_b64 s[4:5], 0
	v_mov_b64_e32 v[4:5], 0
.LBB52_217:                             ; =>This Inner Loop Header: Depth=1
	scratch_load_dwordx4 v[10:13], v9, off
	ds_read_b128 v[14:17], v8
	v_add_u32_e32 v7, 1, v7
	v_cmp_lt_u32_e32 vcc, 49, v7
	v_add_u32_e32 v8, 16, v8
	v_add_u32_e32 v9, 16, v9
	s_or_b64 s[4:5], vcc, s[4:5]
	s_waitcnt vmcnt(0) lgkmcnt(0)
	v_mul_f64 v[18:19], v[16:17], v[12:13]
	v_mul_f64 v[12:13], v[14:15], v[12:13]
	v_fma_f64 v[14:15], v[14:15], v[10:11], -v[18:19]
	v_fmac_f64_e32 v[12:13], v[16:17], v[10:11]
	v_add_f64 v[4:5], v[4:5], v[14:15]
	v_add_f64 v[2:3], v[2:3], v[12:13]
	s_andn2_b64 exec, exec, s[4:5]
	s_cbranch_execnz .LBB52_217
; %bb.218:
	s_or_b64 exec, exec, s[4:5]
	v_mov_b32_e32 v0, 0
	ds_read_b128 v[8:11], v0 offset:816
	s_waitcnt lgkmcnt(0)
	v_mul_f64 v[14:15], v[2:3], v[10:11]
	v_mul_f64 v[12:13], v[4:5], v[10:11]
	v_fma_f64 v[10:11], v[4:5], v[8:9], -v[14:15]
	v_fmac_f64_e32 v[12:13], v[2:3], v[8:9]
	scratch_store_dwordx4 off, v[10:13], off offset:832
.LBB52_219:
	s_or_b64 exec, exec, s[0:1]
	; wave barrier
	scratch_load_dwordx4 v[2:5], off, s13
	v_cmp_ne_u32_e32 vcc, 52, v246
	s_waitcnt vmcnt(0)
	ds_write_b128 v1, v[2:5]
	s_waitcnt lgkmcnt(0)
	; wave barrier
	s_and_saveexec_b64 s[0:1], vcc
	s_cbranch_execz .LBB52_223
; %bb.220:
	v_add_u32_e32 v1, 0x350, v38
	v_add_u32_e32 v7, 16, v38
	v_mov_b64_e32 v[2:3], 0
	s_mov_b64 s[4:5], 0
	v_mov_b64_e32 v[4:5], 0
.LBB52_221:                             ; =>This Inner Loop Header: Depth=1
	scratch_load_dwordx4 v[8:11], v7, off
	ds_read_b128 v[12:15], v1
	v_add_u32_e32 v6, 1, v6
	v_cmp_lt_u32_e32 vcc, 50, v6
	v_add_u32_e32 v1, 16, v1
	v_add_u32_e32 v7, 16, v7
	s_or_b64 s[4:5], vcc, s[4:5]
	s_waitcnt vmcnt(0) lgkmcnt(0)
	v_mul_f64 v[16:17], v[14:15], v[10:11]
	v_mul_f64 v[10:11], v[12:13], v[10:11]
	v_fma_f64 v[12:13], v[12:13], v[8:9], -v[16:17]
	v_fmac_f64_e32 v[10:11], v[14:15], v[8:9]
	v_add_f64 v[4:5], v[4:5], v[12:13]
	v_add_f64 v[2:3], v[2:3], v[10:11]
	s_andn2_b64 exec, exec, s[4:5]
	s_cbranch_execnz .LBB52_221
; %bb.222:
	s_or_b64 exec, exec, s[4:5]
	v_mov_b32_e32 v0, 0
	ds_read_b128 v[6:9], v0 offset:832
	s_waitcnt lgkmcnt(0)
	v_mul_f64 v[12:13], v[2:3], v[8:9]
	v_mul_f64 v[10:11], v[4:5], v[8:9]
	v_fma_f64 v[8:9], v[4:5], v[6:7], -v[12:13]
	v_fmac_f64_e32 v[10:11], v[2:3], v[6:7]
	scratch_store_dwordx4 off, v[8:11], off offset:848
.LBB52_223:
	s_or_b64 exec, exec, s[0:1]
	s_mov_b64 s[4:5], -1
	; wave barrier
.LBB52_224:
	s_and_b64 vcc, exec, s[4:5]
	s_cbranch_vccz .LBB52_226
; %bb.225:
	s_lshl_b64 s[0:1], s[2:3], 2
	s_add_u32 s0, s6, s0
	s_addc_u32 s1, s7, s1
	v_mov_b32_e32 v0, 0
	global_load_dword v0, v0, s[0:1]
	s_waitcnt vmcnt(0)
	v_cmp_ne_u32_e32 vcc, 0, v0
	s_cbranch_vccz .LBB52_227
.LBB52_226:
	s_endpgm
.LBB52_227:
	v_mov_b32_e32 v0, 0x350
	v_lshl_add_u32 v0, v246, 4, v0
	v_accvgpr_write_b32 a107, v0
	v_cmp_eq_u32_e32 vcc, 52, v246
	s_and_saveexec_b64 s[0:1], vcc
	s_cbranch_execz .LBB52_229
; %bb.228:
	scratch_load_dwordx4 v[2:5], off, s12
	v_mov_b32_e32 v6, 0
	v_mov_b32_e32 v7, v6
	;; [unrolled: 1-line block ×4, first 2 shown]
	v_accvgpr_read_b32 v0, a107
	scratch_store_dwordx4 off, v[6:9], off offset:832
	s_waitcnt vmcnt(1)
	ds_write_b128 v0, v[2:5]
.LBB52_229:
	s_or_b64 exec, exec, s[0:1]
	s_waitcnt lgkmcnt(0)
	; wave barrier
	scratch_load_dwordx4 v[4:7], off, off offset:848
	scratch_load_dwordx4 v[8:11], off, off offset:832
	v_mov_b32_e32 v2, 0
	ds_read_b128 v[12:15], v2 offset:1680
	v_cmp_lt_u32_e32 vcc, 50, v246
	s_waitcnt vmcnt(1) lgkmcnt(0)
	v_mul_f64 v[16:17], v[12:13], v[6:7]
	v_mul_f64 v[6:7], v[14:15], v[6:7]
	v_fmac_f64_e32 v[16:17], v[14:15], v[4:5]
	v_fma_f64 v[4:5], v[12:13], v[4:5], -v[6:7]
	v_add_f64 v[6:7], v[16:17], 0
	v_add_f64 v[4:5], v[4:5], 0
	s_waitcnt vmcnt(0)
	v_add_f64 v[4:5], v[8:9], -v[4:5]
	v_add_f64 v[6:7], v[10:11], -v[6:7]
	scratch_store_dwordx4 off, v[4:7], off offset:832
	s_and_saveexec_b64 s[0:1], vcc
	s_cbranch_execz .LBB52_231
; %bb.230:
	scratch_load_dwordx4 v[6:9], off, s15
	v_mov_b32_e32 v3, v2
	v_mov_b32_e32 v4, v2
	;; [unrolled: 1-line block ×3, first 2 shown]
	v_accvgpr_read_b32 v0, a107
	scratch_store_dwordx4 off, v[2:5], off offset:816
	s_waitcnt vmcnt(1)
	ds_write_b128 v0, v[6:9]
.LBB52_231:
	s_or_b64 exec, exec, s[0:1]
	s_waitcnt lgkmcnt(0)
	; wave barrier
	scratch_load_dwordx4 v[4:7], off, off offset:832
	scratch_load_dwordx4 v[8:11], off, off offset:848
	;; [unrolled: 1-line block ×3, first 2 shown]
	ds_read_b128 v[16:19], v2 offset:1664
	ds_read_b128 v[20:23], v2 offset:1680
	v_cmp_lt_u32_e32 vcc, 49, v246
	s_waitcnt vmcnt(2) lgkmcnt(1)
	v_mul_f64 v[2:3], v[16:17], v[6:7]
	v_mul_f64 v[6:7], v[18:19], v[6:7]
	s_waitcnt vmcnt(1) lgkmcnt(0)
	v_mul_f64 v[24:25], v[20:21], v[10:11]
	v_mul_f64 v[10:11], v[22:23], v[10:11]
	v_fmac_f64_e32 v[2:3], v[18:19], v[4:5]
	v_fma_f64 v[4:5], v[16:17], v[4:5], -v[6:7]
	v_fmac_f64_e32 v[24:25], v[22:23], v[8:9]
	v_fma_f64 v[6:7], v[20:21], v[8:9], -v[10:11]
	v_add_f64 v[2:3], v[2:3], 0
	v_add_f64 v[4:5], v[4:5], 0
	;; [unrolled: 1-line block ×4, first 2 shown]
	s_waitcnt vmcnt(0)
	v_add_f64 v[2:3], v[12:13], -v[2:3]
	v_add_f64 v[4:5], v[14:15], -v[8:9]
	scratch_store_dwordx4 off, v[2:5], off offset:816
	s_and_saveexec_b64 s[0:1], vcc
	s_cbranch_execz .LBB52_233
; %bb.232:
	scratch_load_dwordx4 v[2:5], off, s14
	v_mov_b32_e32 v6, 0
	v_mov_b32_e32 v7, v6
	;; [unrolled: 1-line block ×4, first 2 shown]
	v_accvgpr_read_b32 v0, a107
	scratch_store_dwordx4 off, v[6:9], off offset:800
	s_waitcnt vmcnt(1)
	ds_write_b128 v0, v[2:5]
.LBB52_233:
	s_or_b64 exec, exec, s[0:1]
	s_waitcnt lgkmcnt(0)
	; wave barrier
	scratch_load_dwordx4 v[4:7], off, off offset:816
	scratch_load_dwordx4 v[8:11], off, off offset:832
	;; [unrolled: 1-line block ×4, first 2 shown]
	v_mov_b32_e32 v2, 0
	ds_read_b128 v[20:23], v2 offset:1648
	ds_read_b128 v[24:27], v2 offset:1664
	;; [unrolled: 1-line block ×3, first 2 shown]
	v_cmp_lt_u32_e32 vcc, 48, v246
	s_waitcnt vmcnt(3) lgkmcnt(2)
	v_mul_f64 v[32:33], v[20:21], v[6:7]
	v_mul_f64 v[6:7], v[22:23], v[6:7]
	s_waitcnt vmcnt(2) lgkmcnt(1)
	v_mul_f64 v[34:35], v[24:25], v[10:11]
	v_mul_f64 v[10:11], v[26:27], v[10:11]
	v_fmac_f64_e32 v[32:33], v[22:23], v[4:5]
	v_fma_f64 v[4:5], v[20:21], v[4:5], -v[6:7]
	s_waitcnt vmcnt(1) lgkmcnt(0)
	v_mul_f64 v[36:37], v[28:29], v[14:15]
	v_mul_f64 v[14:15], v[30:31], v[14:15]
	v_fmac_f64_e32 v[34:35], v[26:27], v[8:9]
	v_fma_f64 v[6:7], v[24:25], v[8:9], -v[10:11]
	v_add_f64 v[10:11], v[32:33], 0
	v_add_f64 v[4:5], v[4:5], 0
	v_fmac_f64_e32 v[36:37], v[30:31], v[12:13]
	v_fma_f64 v[8:9], v[28:29], v[12:13], -v[14:15]
	v_add_f64 v[10:11], v[10:11], v[34:35]
	v_add_f64 v[4:5], v[4:5], v[6:7]
	;; [unrolled: 1-line block ×4, first 2 shown]
	s_waitcnt vmcnt(0)
	v_add_f64 v[4:5], v[16:17], -v[4:5]
	v_add_f64 v[6:7], v[18:19], -v[6:7]
	scratch_store_dwordx4 off, v[4:7], off offset:800
	s_and_saveexec_b64 s[0:1], vcc
	s_cbranch_execz .LBB52_235
; %bb.234:
	scratch_load_dwordx4 v[6:9], off, s21
	v_mov_b32_e32 v3, v2
	v_mov_b32_e32 v4, v2
	;; [unrolled: 1-line block ×3, first 2 shown]
	v_accvgpr_read_b32 v0, a107
	scratch_store_dwordx4 off, v[2:5], off offset:784
	s_waitcnt vmcnt(1)
	ds_write_b128 v0, v[6:9]
.LBB52_235:
	s_or_b64 exec, exec, s[0:1]
	s_waitcnt lgkmcnt(0)
	; wave barrier
	scratch_load_dwordx4 v[4:7], off, off offset:800
	scratch_load_dwordx4 v[8:11], off, off offset:816
	;; [unrolled: 1-line block ×5, first 2 shown]
	ds_read_b128 v[24:27], v2 offset:1632
	ds_read_b128 v[28:31], v2 offset:1648
	;; [unrolled: 1-line block ×4, first 2 shown]
	v_cmp_lt_u32_e32 vcc, 47, v246
	s_waitcnt vmcnt(4) lgkmcnt(3)
	v_mul_f64 v[2:3], v[24:25], v[6:7]
	v_mul_f64 v[6:7], v[26:27], v[6:7]
	s_waitcnt vmcnt(3) lgkmcnt(2)
	v_mul_f64 v[40:41], v[28:29], v[10:11]
	v_mul_f64 v[10:11], v[30:31], v[10:11]
	v_fmac_f64_e32 v[2:3], v[26:27], v[4:5]
	v_fma_f64 v[4:5], v[24:25], v[4:5], -v[6:7]
	s_waitcnt vmcnt(2) lgkmcnt(1)
	v_mul_f64 v[42:43], v[32:33], v[14:15]
	v_mul_f64 v[14:15], v[34:35], v[14:15]
	v_fmac_f64_e32 v[40:41], v[30:31], v[8:9]
	v_fma_f64 v[6:7], v[28:29], v[8:9], -v[10:11]
	v_add_f64 v[2:3], v[2:3], 0
	v_add_f64 v[4:5], v[4:5], 0
	s_waitcnt vmcnt(1) lgkmcnt(0)
	v_mul_f64 v[44:45], v[36:37], v[18:19]
	v_mul_f64 v[18:19], v[38:39], v[18:19]
	v_fmac_f64_e32 v[42:43], v[34:35], v[12:13]
	v_fma_f64 v[8:9], v[32:33], v[12:13], -v[14:15]
	v_add_f64 v[2:3], v[2:3], v[40:41]
	v_add_f64 v[4:5], v[4:5], v[6:7]
	v_fmac_f64_e32 v[44:45], v[38:39], v[16:17]
	v_fma_f64 v[10:11], v[36:37], v[16:17], -v[18:19]
	v_add_f64 v[2:3], v[2:3], v[42:43]
	v_add_f64 v[4:5], v[4:5], v[8:9]
	;; [unrolled: 1-line block ×4, first 2 shown]
	s_waitcnt vmcnt(0)
	v_add_f64 v[2:3], v[20:21], -v[2:3]
	v_add_f64 v[4:5], v[22:23], -v[6:7]
	scratch_store_dwordx4 off, v[2:5], off offset:784
	s_and_saveexec_b64 s[0:1], vcc
	s_cbranch_execz .LBB52_237
; %bb.236:
	scratch_load_dwordx4 v[2:5], off, s20
	v_mov_b32_e32 v6, 0
	v_mov_b32_e32 v7, v6
	;; [unrolled: 1-line block ×4, first 2 shown]
	v_accvgpr_read_b32 v0, a107
	scratch_store_dwordx4 off, v[6:9], off offset:768
	s_waitcnt vmcnt(1)
	ds_write_b128 v0, v[2:5]
.LBB52_237:
	s_or_b64 exec, exec, s[0:1]
	s_waitcnt lgkmcnt(0)
	; wave barrier
	scratch_load_dwordx4 v[4:7], off, off offset:784
	scratch_load_dwordx4 v[8:11], off, off offset:800
	;; [unrolled: 1-line block ×6, first 2 shown]
	v_mov_b32_e32 v2, 0
	ds_read_b128 v[28:31], v2 offset:1616
	ds_read_b128 v[32:35], v2 offset:1632
	;; [unrolled: 1-line block ×5, first 2 shown]
	v_cmp_lt_u32_e32 vcc, 46, v246
	s_waitcnt vmcnt(5) lgkmcnt(4)
	v_mul_f64 v[48:49], v[28:29], v[6:7]
	v_mul_f64 v[6:7], v[30:31], v[6:7]
	s_waitcnt vmcnt(4) lgkmcnt(3)
	v_mul_f64 v[50:51], v[32:33], v[10:11]
	s_waitcnt vmcnt(3) lgkmcnt(2)
	v_mul_f64 v[52:53], v[36:37], v[14:15]
	v_mul_f64 v[10:11], v[34:35], v[10:11]
	;; [unrolled: 1-line block ×3, first 2 shown]
	v_fmac_f64_e32 v[48:49], v[30:31], v[4:5]
	v_fma_f64 v[4:5], v[28:29], v[4:5], -v[6:7]
	v_fmac_f64_e32 v[50:51], v[34:35], v[8:9]
	v_fma_f64 v[6:7], v[32:33], v[8:9], -v[10:11]
	v_fma_f64 v[8:9], v[36:37], v[12:13], -v[14:15]
	v_add_f64 v[14:15], v[48:49], 0
	v_add_f64 v[4:5], v[4:5], 0
	s_waitcnt vmcnt(2) lgkmcnt(1)
	v_mul_f64 v[54:55], v[40:41], v[18:19]
	v_mul_f64 v[18:19], v[42:43], v[18:19]
	v_fmac_f64_e32 v[52:53], v[38:39], v[12:13]
	v_add_f64 v[14:15], v[14:15], v[50:51]
	v_add_f64 v[4:5], v[4:5], v[6:7]
	s_waitcnt vmcnt(1) lgkmcnt(0)
	v_mul_f64 v[56:57], v[44:45], v[22:23]
	v_mul_f64 v[22:23], v[46:47], v[22:23]
	v_fmac_f64_e32 v[54:55], v[42:43], v[16:17]
	v_fma_f64 v[10:11], v[40:41], v[16:17], -v[18:19]
	v_add_f64 v[6:7], v[14:15], v[52:53]
	v_add_f64 v[4:5], v[4:5], v[8:9]
	v_fmac_f64_e32 v[56:57], v[46:47], v[20:21]
	v_fma_f64 v[12:13], v[44:45], v[20:21], -v[22:23]
	v_add_f64 v[6:7], v[6:7], v[54:55]
	v_add_f64 v[4:5], v[4:5], v[10:11]
	;; [unrolled: 1-line block ×4, first 2 shown]
	s_waitcnt vmcnt(0)
	v_add_f64 v[4:5], v[24:25], -v[4:5]
	v_add_f64 v[6:7], v[26:27], -v[6:7]
	scratch_store_dwordx4 off, v[4:7], off offset:768
	s_and_saveexec_b64 s[0:1], vcc
	s_cbranch_execz .LBB52_239
; %bb.238:
	scratch_load_dwordx4 v[6:9], off, s23
	v_mov_b32_e32 v3, v2
	v_mov_b32_e32 v4, v2
	;; [unrolled: 1-line block ×3, first 2 shown]
	v_accvgpr_read_b32 v0, a107
	scratch_store_dwordx4 off, v[2:5], off offset:752
	s_waitcnt vmcnt(1)
	ds_write_b128 v0, v[6:9]
.LBB52_239:
	s_or_b64 exec, exec, s[0:1]
	s_waitcnt lgkmcnt(0)
	; wave barrier
	ds_read_b128 v[4:7], v2 offset:1600
	ds_read_b128 v[8:11], v2 offset:1616
	;; [unrolled: 1-line block ×4, first 2 shown]
	scratch_load_dwordx4 v[20:23], off, off offset:768
	scratch_load_dwordx4 v[40:43], off, off offset:832
	v_cmp_lt_u32_e32 vcc, 45, v246
	scratch_load_dwordx4 v[48:51], off, off offset:848
	s_waitcnt vmcnt(2) lgkmcnt(3)
	v_mul_f64 v[24:25], v[4:5], v[22:23]
	v_fmac_f64_e32 v[24:25], v[6:7], v[20:21]
	v_add_f64 v[28:29], v[24:25], 0
	scratch_load_dwordx4 v[24:27], off, off offset:784
	s_waitcnt vmcnt(0) lgkmcnt(2)
	v_mul_f64 v[30:31], v[8:9], v[26:27]
	v_fmac_f64_e32 v[30:31], v[10:11], v[24:25]
	v_add_f64 v[32:33], v[28:29], v[30:31]
	;; [unrolled: 5-line block ×4, first 2 shown]
	ds_read_b128 v[36:39], v2 offset:1664
	s_waitcnt lgkmcnt(0)
	v_mul_f64 v[46:47], v[36:37], v[42:43]
	v_fmac_f64_e32 v[46:47], v[38:39], v[40:41]
	v_add_f64 v[52:53], v[44:45], v[46:47]
	ds_read_b128 v[44:47], v2 offset:1680
	s_waitcnt lgkmcnt(0)
	v_mul_f64 v[2:3], v[44:45], v[50:51]
	v_fmac_f64_e32 v[2:3], v[46:47], v[48:49]
	v_add_f64 v[52:53], v[52:53], v[2:3]
	v_mul_f64 v[2:3], v[6:7], v[22:23]
	v_fma_f64 v[2:3], v[4:5], v[20:21], -v[2:3]
	v_mul_f64 v[4:5], v[10:11], v[26:27]
	v_add_f64 v[2:3], v[2:3], 0
	v_fma_f64 v[4:5], v[8:9], v[24:25], -v[4:5]
	v_add_f64 v[2:3], v[2:3], v[4:5]
	v_mul_f64 v[4:5], v[14:15], v[30:31]
	v_fma_f64 v[4:5], v[12:13], v[28:29], -v[4:5]
	v_add_f64 v[2:3], v[2:3], v[4:5]
	v_mul_f64 v[4:5], v[18:19], v[34:35]
	;; [unrolled: 3-line block ×4, first 2 shown]
	v_fma_f64 v[4:5], v[44:45], v[48:49], -v[4:5]
	v_add_f64 v[6:7], v[2:3], v[4:5]
	scratch_load_dwordx4 v[2:5], off, off offset:752
	s_waitcnt vmcnt(0)
	v_add_f64 v[2:3], v[2:3], -v[6:7]
	v_add_f64 v[4:5], v[4:5], -v[52:53]
	scratch_store_dwordx4 off, v[2:5], off offset:752
	s_and_saveexec_b64 s[0:1], vcc
	s_cbranch_execz .LBB52_241
; %bb.240:
	scratch_load_dwordx4 v[2:5], off, s22
	v_mov_b32_e32 v6, 0
	v_mov_b32_e32 v7, v6
	;; [unrolled: 1-line block ×4, first 2 shown]
	v_accvgpr_read_b32 v0, a107
	scratch_store_dwordx4 off, v[6:9], off offset:736
	s_waitcnt vmcnt(1)
	ds_write_b128 v0, v[2:5]
.LBB52_241:
	s_or_b64 exec, exec, s[0:1]
	s_waitcnt lgkmcnt(0)
	; wave barrier
	scratch_load_dwordx4 v[4:7], off, off offset:752
	scratch_load_dwordx4 v[8:11], off, off offset:768
	;; [unrolled: 1-line block ×8, first 2 shown]
	v_mov_b32_e32 v2, 0
	ds_read_b128 v[36:39], v2 offset:1584
	ds_read_b128 v[40:43], v2 offset:1600
	;; [unrolled: 1-line block ×7, first 2 shown]
	v_cmp_lt_u32_e32 vcc, 44, v246
	s_waitcnt vmcnt(7) lgkmcnt(6)
	v_mul_f64 v[64:65], v[36:37], v[6:7]
	v_mul_f64 v[6:7], v[38:39], v[6:7]
	s_waitcnt vmcnt(6) lgkmcnt(5)
	v_mul_f64 v[66:67], v[40:41], v[10:11]
	s_waitcnt vmcnt(4) lgkmcnt(3)
	v_mul_f64 v[70:71], v[48:49], v[18:19]
	v_mul_f64 v[10:11], v[42:43], v[10:11]
	;; [unrolled: 1-line block ×3, first 2 shown]
	v_fmac_f64_e32 v[64:65], v[38:39], v[4:5]
	v_fma_f64 v[4:5], v[36:37], v[4:5], -v[6:7]
	v_mul_f64 v[68:69], v[44:45], v[14:15]
	v_mul_f64 v[14:15], v[46:47], v[14:15]
	v_fmac_f64_e32 v[66:67], v[42:43], v[8:9]
	v_fma_f64 v[6:7], v[40:41], v[8:9], -v[10:11]
	v_fma_f64 v[10:11], v[48:49], v[16:17], -v[18:19]
	v_add_f64 v[18:19], v[64:65], 0
	v_add_f64 v[4:5], v[4:5], 0
	v_fmac_f64_e32 v[68:69], v[46:47], v[12:13]
	v_fma_f64 v[8:9], v[44:45], v[12:13], -v[14:15]
	v_add_f64 v[18:19], v[18:19], v[66:67]
	v_add_f64 v[4:5], v[4:5], v[6:7]
	s_waitcnt vmcnt(3) lgkmcnt(2)
	v_mul_f64 v[72:73], v[52:53], v[22:23]
	v_mul_f64 v[22:23], v[54:55], v[22:23]
	v_fmac_f64_e32 v[70:71], v[50:51], v[16:17]
	v_add_f64 v[6:7], v[18:19], v[68:69]
	v_add_f64 v[4:5], v[4:5], v[8:9]
	s_waitcnt vmcnt(2) lgkmcnt(1)
	v_mul_f64 v[74:75], v[56:57], v[26:27]
	v_mul_f64 v[26:27], v[58:59], v[26:27]
	v_fmac_f64_e32 v[72:73], v[54:55], v[20:21]
	v_fma_f64 v[12:13], v[52:53], v[20:21], -v[22:23]
	v_add_f64 v[6:7], v[6:7], v[70:71]
	v_add_f64 v[4:5], v[4:5], v[10:11]
	s_waitcnt vmcnt(1) lgkmcnt(0)
	v_mul_f64 v[76:77], v[60:61], v[30:31]
	v_mul_f64 v[30:31], v[62:63], v[30:31]
	v_fmac_f64_e32 v[74:75], v[58:59], v[24:25]
	v_fma_f64 v[14:15], v[56:57], v[24:25], -v[26:27]
	v_add_f64 v[6:7], v[6:7], v[72:73]
	v_add_f64 v[4:5], v[4:5], v[12:13]
	v_fmac_f64_e32 v[76:77], v[62:63], v[28:29]
	v_fma_f64 v[16:17], v[60:61], v[28:29], -v[30:31]
	v_add_f64 v[6:7], v[6:7], v[74:75]
	v_add_f64 v[4:5], v[4:5], v[14:15]
	;; [unrolled: 1-line block ×4, first 2 shown]
	s_waitcnt vmcnt(0)
	v_add_f64 v[4:5], v[32:33], -v[4:5]
	v_add_f64 v[6:7], v[34:35], -v[6:7]
	scratch_store_dwordx4 off, v[4:7], off offset:736
	s_and_saveexec_b64 s[0:1], vcc
	s_cbranch_execz .LBB52_243
; %bb.242:
	scratch_load_dwordx4 v[6:9], off, s25
	v_mov_b32_e32 v3, v2
	v_mov_b32_e32 v4, v2
	;; [unrolled: 1-line block ×3, first 2 shown]
	v_accvgpr_read_b32 v0, a107
	scratch_store_dwordx4 off, v[2:5], off offset:720
	s_waitcnt vmcnt(1)
	ds_write_b128 v0, v[6:9]
.LBB52_243:
	s_or_b64 exec, exec, s[0:1]
	s_waitcnt lgkmcnt(0)
	; wave barrier
	scratch_load_dwordx4 v[4:7], off, off offset:736
	scratch_load_dwordx4 v[8:11], off, off offset:752
	;; [unrolled: 1-line block ×9, first 2 shown]
	ds_read_b128 v[40:43], v2 offset:1568
	ds_read_b128 v[44:47], v2 offset:1584
	;; [unrolled: 1-line block ×8, first 2 shown]
	v_cmp_lt_u32_e32 vcc, 43, v246
	s_waitcnt vmcnt(8) lgkmcnt(7)
	v_mul_f64 v[2:3], v[40:41], v[6:7]
	v_mul_f64 v[6:7], v[42:43], v[6:7]
	s_waitcnt vmcnt(7) lgkmcnt(6)
	v_mul_f64 v[72:73], v[44:45], v[10:11]
	v_mul_f64 v[10:11], v[46:47], v[10:11]
	v_fmac_f64_e32 v[2:3], v[42:43], v[4:5]
	v_fma_f64 v[4:5], v[40:41], v[4:5], -v[6:7]
	s_waitcnt vmcnt(6) lgkmcnt(5)
	v_mul_f64 v[74:75], v[48:49], v[14:15]
	v_mul_f64 v[14:15], v[50:51], v[14:15]
	v_fmac_f64_e32 v[72:73], v[46:47], v[8:9]
	v_fma_f64 v[6:7], v[44:45], v[8:9], -v[10:11]
	v_add_f64 v[2:3], v[2:3], 0
	v_add_f64 v[4:5], v[4:5], 0
	s_waitcnt vmcnt(5) lgkmcnt(4)
	v_mul_f64 v[76:77], v[52:53], v[18:19]
	v_mul_f64 v[18:19], v[54:55], v[18:19]
	v_fmac_f64_e32 v[74:75], v[50:51], v[12:13]
	v_fma_f64 v[8:9], v[48:49], v[12:13], -v[14:15]
	v_add_f64 v[2:3], v[2:3], v[72:73]
	v_add_f64 v[4:5], v[4:5], v[6:7]
	;; [unrolled: 7-line block ×6, first 2 shown]
	v_fmac_f64_e32 v[84:85], v[70:71], v[32:33]
	v_fma_f64 v[18:19], v[68:69], v[32:33], -v[34:35]
	v_add_f64 v[2:3], v[2:3], v[82:83]
	v_add_f64 v[4:5], v[4:5], v[16:17]
	;; [unrolled: 1-line block ×4, first 2 shown]
	s_waitcnt vmcnt(0)
	v_add_f64 v[2:3], v[36:37], -v[2:3]
	v_add_f64 v[4:5], v[38:39], -v[6:7]
	scratch_store_dwordx4 off, v[2:5], off offset:720
	s_and_saveexec_b64 s[0:1], vcc
	s_cbranch_execz .LBB52_245
; %bb.244:
	scratch_load_dwordx4 v[2:5], off, s24
	v_mov_b32_e32 v6, 0
	v_mov_b32_e32 v7, v6
	;; [unrolled: 1-line block ×4, first 2 shown]
	v_accvgpr_read_b32 v0, a107
	scratch_store_dwordx4 off, v[6:9], off offset:704
	s_waitcnt vmcnt(1)
	ds_write_b128 v0, v[2:5]
.LBB52_245:
	s_or_b64 exec, exec, s[0:1]
	s_waitcnt lgkmcnt(0)
	; wave barrier
	scratch_load_dwordx4 v[4:7], off, off offset:720
	scratch_load_dwordx4 v[8:11], off, off offset:736
	;; [unrolled: 1-line block ×10, first 2 shown]
	v_mov_b32_e32 v2, 0
	ds_read_b128 v[44:47], v2 offset:1552
	ds_read_b128 v[48:51], v2 offset:1568
	;; [unrolled: 1-line block ×9, first 2 shown]
	v_cmp_lt_u32_e32 vcc, 42, v246
	s_waitcnt vmcnt(9) lgkmcnt(8)
	v_mul_f64 v[80:81], v[44:45], v[6:7]
	v_mul_f64 v[6:7], v[46:47], v[6:7]
	s_waitcnt vmcnt(8) lgkmcnt(7)
	v_mul_f64 v[82:83], v[48:49], v[10:11]
	s_waitcnt vmcnt(7) lgkmcnt(6)
	;; [unrolled: 2-line block ×3, first 2 shown]
	v_mul_f64 v[88:89], v[60:61], v[22:23]
	v_mul_f64 v[10:11], v[50:51], v[10:11]
	;; [unrolled: 1-line block ×4, first 2 shown]
	v_fmac_f64_e32 v[80:81], v[46:47], v[4:5]
	v_fma_f64 v[4:5], v[44:45], v[4:5], -v[6:7]
	v_fmac_f64_e32 v[82:83], v[50:51], v[8:9]
	v_fmac_f64_e32 v[84:85], v[54:55], v[12:13]
	v_fma_f64 v[6:7], v[48:49], v[8:9], -v[10:11]
	v_fma_f64 v[8:9], v[52:53], v[12:13], -v[14:15]
	;; [unrolled: 1-line block ×3, first 2 shown]
	v_add_f64 v[22:23], v[80:81], 0
	v_add_f64 v[4:5], v[4:5], 0
	v_mul_f64 v[86:87], v[56:57], v[18:19]
	v_mul_f64 v[18:19], v[58:59], v[18:19]
	v_add_f64 v[22:23], v[22:23], v[82:83]
	v_add_f64 v[4:5], v[4:5], v[6:7]
	v_fmac_f64_e32 v[86:87], v[58:59], v[16:17]
	v_fma_f64 v[10:11], v[56:57], v[16:17], -v[18:19]
	v_add_f64 v[6:7], v[22:23], v[84:85]
	v_add_f64 v[4:5], v[4:5], v[8:9]
	s_waitcnt vmcnt(4) lgkmcnt(3)
	v_mul_f64 v[90:91], v[64:65], v[26:27]
	v_mul_f64 v[26:27], v[66:67], v[26:27]
	v_fmac_f64_e32 v[88:89], v[62:63], v[20:21]
	v_add_f64 v[6:7], v[6:7], v[86:87]
	v_add_f64 v[4:5], v[4:5], v[10:11]
	s_waitcnt vmcnt(3) lgkmcnt(2)
	v_mul_f64 v[92:93], v[68:69], v[30:31]
	v_mul_f64 v[30:31], v[70:71], v[30:31]
	v_fmac_f64_e32 v[90:91], v[66:67], v[24:25]
	v_fma_f64 v[14:15], v[64:65], v[24:25], -v[26:27]
	v_add_f64 v[6:7], v[6:7], v[88:89]
	v_add_f64 v[4:5], v[4:5], v[12:13]
	s_waitcnt vmcnt(2) lgkmcnt(1)
	v_mul_f64 v[94:95], v[72:73], v[34:35]
	v_mul_f64 v[34:35], v[74:75], v[34:35]
	v_fmac_f64_e32 v[92:93], v[70:71], v[28:29]
	v_fma_f64 v[16:17], v[68:69], v[28:29], -v[30:31]
	;; [unrolled: 7-line block ×3, first 2 shown]
	v_add_f64 v[6:7], v[6:7], v[92:93]
	v_add_f64 v[4:5], v[4:5], v[16:17]
	v_fmac_f64_e32 v[96:97], v[78:79], v[36:37]
	v_fma_f64 v[20:21], v[76:77], v[36:37], -v[38:39]
	v_add_f64 v[6:7], v[6:7], v[94:95]
	v_add_f64 v[4:5], v[4:5], v[18:19]
	;; [unrolled: 1-line block ×4, first 2 shown]
	s_waitcnt vmcnt(0)
	v_add_f64 v[4:5], v[40:41], -v[4:5]
	v_add_f64 v[6:7], v[42:43], -v[6:7]
	scratch_store_dwordx4 off, v[4:7], off offset:704
	s_and_saveexec_b64 s[0:1], vcc
	s_cbranch_execz .LBB52_247
; %bb.246:
	scratch_load_dwordx4 v[6:9], off, s27
	v_mov_b32_e32 v3, v2
	v_mov_b32_e32 v4, v2
	v_mov_b32_e32 v5, v2
	v_accvgpr_read_b32 v0, a107
	scratch_store_dwordx4 off, v[2:5], off offset:688
	s_waitcnt vmcnt(1)
	ds_write_b128 v0, v[6:9]
.LBB52_247:
	s_or_b64 exec, exec, s[0:1]
	s_waitcnt lgkmcnt(0)
	; wave barrier
	scratch_load_dwordx4 v[4:7], off, off offset:704
	scratch_load_dwordx4 v[8:11], off, off offset:720
	;; [unrolled: 1-line block ×11, first 2 shown]
	ds_read_b128 v[48:51], v2 offset:1536
	ds_read_b128 v[52:55], v2 offset:1552
	;; [unrolled: 1-line block ×10, first 2 shown]
	v_cmp_lt_u32_e32 vcc, 41, v246
	s_waitcnt vmcnt(10) lgkmcnt(9)
	v_mul_f64 v[2:3], v[48:49], v[6:7]
	v_mul_f64 v[6:7], v[50:51], v[6:7]
	s_waitcnt vmcnt(9) lgkmcnt(8)
	v_mul_f64 v[88:89], v[52:53], v[10:11]
	v_mul_f64 v[10:11], v[54:55], v[10:11]
	v_fmac_f64_e32 v[2:3], v[50:51], v[4:5]
	v_fma_f64 v[4:5], v[48:49], v[4:5], -v[6:7]
	s_waitcnt vmcnt(8) lgkmcnt(7)
	v_mul_f64 v[90:91], v[56:57], v[14:15]
	v_mul_f64 v[14:15], v[58:59], v[14:15]
	v_fmac_f64_e32 v[88:89], v[54:55], v[8:9]
	v_fma_f64 v[6:7], v[52:53], v[8:9], -v[10:11]
	v_add_f64 v[2:3], v[2:3], 0
	v_add_f64 v[4:5], v[4:5], 0
	s_waitcnt vmcnt(7) lgkmcnt(6)
	v_mul_f64 v[92:93], v[60:61], v[18:19]
	v_mul_f64 v[18:19], v[62:63], v[18:19]
	v_fmac_f64_e32 v[90:91], v[58:59], v[12:13]
	v_fma_f64 v[8:9], v[56:57], v[12:13], -v[14:15]
	v_add_f64 v[2:3], v[2:3], v[88:89]
	v_add_f64 v[4:5], v[4:5], v[6:7]
	;; [unrolled: 7-line block ×8, first 2 shown]
	v_fmac_f64_e32 v[104:105], v[86:87], v[40:41]
	v_fma_f64 v[22:23], v[84:85], v[40:41], -v[42:43]
	v_add_f64 v[2:3], v[2:3], v[102:103]
	v_add_f64 v[4:5], v[4:5], v[20:21]
	;; [unrolled: 1-line block ×4, first 2 shown]
	s_waitcnt vmcnt(0)
	v_add_f64 v[2:3], v[44:45], -v[2:3]
	v_add_f64 v[4:5], v[46:47], -v[6:7]
	scratch_store_dwordx4 off, v[2:5], off offset:688
	s_and_saveexec_b64 s[0:1], vcc
	s_cbranch_execz .LBB52_249
; %bb.248:
	scratch_load_dwordx4 v[2:5], off, s26
	v_mov_b32_e32 v6, 0
	v_mov_b32_e32 v7, v6
	v_mov_b32_e32 v8, v6
	v_mov_b32_e32 v9, v6
	v_accvgpr_read_b32 v0, a107
	scratch_store_dwordx4 off, v[6:9], off offset:672
	s_waitcnt vmcnt(1)
	ds_write_b128 v0, v[2:5]
.LBB52_249:
	s_or_b64 exec, exec, s[0:1]
	s_waitcnt lgkmcnt(0)
	; wave barrier
	scratch_load_dwordx4 v[4:7], off, off offset:688
	scratch_load_dwordx4 v[8:11], off, off offset:704
	;; [unrolled: 1-line block ×12, first 2 shown]
	v_mov_b32_e32 v2, 0
	ds_read_b128 v[52:55], v2 offset:1520
	ds_read_b128 v[56:59], v2 offset:1536
	;; [unrolled: 1-line block ×11, first 2 shown]
	v_cmp_lt_u32_e32 vcc, 40, v246
	s_waitcnt vmcnt(11) lgkmcnt(10)
	v_mul_f64 v[96:97], v[52:53], v[6:7]
	v_mul_f64 v[6:7], v[54:55], v[6:7]
	s_waitcnt vmcnt(10) lgkmcnt(9)
	v_mul_f64 v[98:99], v[56:57], v[10:11]
	s_waitcnt vmcnt(9) lgkmcnt(8)
	v_mul_f64 v[100:101], v[60:61], v[14:15]
	v_mul_f64 v[10:11], v[58:59], v[10:11]
	s_waitcnt vmcnt(6) lgkmcnt(5)
	v_mul_f64 v[106:107], v[72:73], v[26:27]
	v_mul_f64 v[14:15], v[62:63], v[14:15]
	;; [unrolled: 1-line block ×3, first 2 shown]
	v_fmac_f64_e32 v[96:97], v[54:55], v[4:5]
	v_fma_f64 v[4:5], v[52:53], v[4:5], -v[6:7]
	v_fmac_f64_e32 v[98:99], v[58:59], v[8:9]
	v_fma_f64 v[6:7], v[56:57], v[8:9], -v[10:11]
	v_fma_f64 v[8:9], v[60:61], v[12:13], -v[14:15]
	;; [unrolled: 1-line block ×3, first 2 shown]
	v_add_f64 v[26:27], v[96:97], 0
	v_add_f64 v[4:5], v[4:5], 0
	v_mul_f64 v[102:103], v[64:65], v[18:19]
	v_mul_f64 v[18:19], v[66:67], v[18:19]
	v_fmac_f64_e32 v[100:101], v[62:63], v[12:13]
	v_add_f64 v[26:27], v[26:27], v[98:99]
	v_add_f64 v[4:5], v[4:5], v[6:7]
	v_mul_f64 v[104:105], v[68:69], v[22:23]
	v_mul_f64 v[22:23], v[70:71], v[22:23]
	v_fmac_f64_e32 v[102:103], v[66:67], v[16:17]
	v_fma_f64 v[10:11], v[64:65], v[16:17], -v[18:19]
	v_add_f64 v[6:7], v[26:27], v[100:101]
	v_add_f64 v[4:5], v[4:5], v[8:9]
	v_fmac_f64_e32 v[104:105], v[70:71], v[20:21]
	v_fma_f64 v[12:13], v[68:69], v[20:21], -v[22:23]
	v_add_f64 v[6:7], v[6:7], v[102:103]
	v_add_f64 v[4:5], v[4:5], v[10:11]
	s_waitcnt vmcnt(5) lgkmcnt(4)
	v_mul_f64 v[108:109], v[76:77], v[30:31]
	v_mul_f64 v[30:31], v[78:79], v[30:31]
	v_fmac_f64_e32 v[106:107], v[74:75], v[24:25]
	v_add_f64 v[6:7], v[6:7], v[104:105]
	v_add_f64 v[4:5], v[4:5], v[12:13]
	s_waitcnt vmcnt(4) lgkmcnt(3)
	v_mul_f64 v[110:111], v[80:81], v[34:35]
	v_mul_f64 v[34:35], v[82:83], v[34:35]
	v_fmac_f64_e32 v[108:109], v[78:79], v[28:29]
	v_fma_f64 v[16:17], v[76:77], v[28:29], -v[30:31]
	v_add_f64 v[6:7], v[6:7], v[106:107]
	v_add_f64 v[4:5], v[4:5], v[14:15]
	s_waitcnt vmcnt(3) lgkmcnt(2)
	v_mul_f64 v[112:113], v[84:85], v[38:39]
	v_mul_f64 v[38:39], v[86:87], v[38:39]
	v_fmac_f64_e32 v[110:111], v[82:83], v[32:33]
	v_fma_f64 v[18:19], v[80:81], v[32:33], -v[34:35]
	;; [unrolled: 7-line block ×4, first 2 shown]
	v_add_f64 v[6:7], v[6:7], v[112:113]
	v_add_f64 v[4:5], v[4:5], v[20:21]
	v_fmac_f64_e32 v[116:117], v[94:95], v[44:45]
	v_fma_f64 v[24:25], v[92:93], v[44:45], -v[46:47]
	v_add_f64 v[6:7], v[6:7], v[114:115]
	v_add_f64 v[4:5], v[4:5], v[22:23]
	;; [unrolled: 1-line block ×4, first 2 shown]
	s_waitcnt vmcnt(0)
	v_add_f64 v[4:5], v[48:49], -v[4:5]
	v_add_f64 v[6:7], v[50:51], -v[6:7]
	scratch_store_dwordx4 off, v[4:7], off offset:672
	s_and_saveexec_b64 s[0:1], vcc
	s_cbranch_execz .LBB52_251
; %bb.250:
	scratch_load_dwordx4 v[6:9], off, s29
	v_mov_b32_e32 v3, v2
	v_mov_b32_e32 v4, v2
	;; [unrolled: 1-line block ×3, first 2 shown]
	v_accvgpr_read_b32 v0, a107
	scratch_store_dwordx4 off, v[2:5], off offset:656
	s_waitcnt vmcnt(1)
	ds_write_b128 v0, v[6:9]
.LBB52_251:
	s_or_b64 exec, exec, s[0:1]
	s_waitcnt lgkmcnt(0)
	; wave barrier
	scratch_load_dwordx4 v[4:7], off, off offset:672
	scratch_load_dwordx4 v[8:11], off, off offset:688
	;; [unrolled: 1-line block ×12, first 2 shown]
	ds_read_b128 v[52:55], v2 offset:1504
	ds_read_b128 v[56:59], v2 offset:1520
	;; [unrolled: 1-line block ×4, first 2 shown]
	scratch_load_dwordx4 v[68:71], off, off offset:656
	ds_read_b128 v[72:75], v2 offset:1568
	ds_read_b128 v[76:79], v2 offset:1584
	;; [unrolled: 1-line block ×8, first 2 shown]
	v_cmp_lt_u32_e32 vcc, 39, v246
	s_waitcnt vmcnt(12) lgkmcnt(11)
	v_mul_f64 v[2:3], v[52:53], v[6:7]
	s_waitcnt vmcnt(11) lgkmcnt(10)
	v_mul_f64 v[104:105], v[56:57], v[10:11]
	v_fmac_f64_e32 v[2:3], v[54:55], v[4:5]
	s_waitcnt vmcnt(10) lgkmcnt(9)
	v_mul_f64 v[106:107], v[60:61], v[14:15]
	v_mul_f64 v[6:7], v[54:55], v[6:7]
	v_fmac_f64_e32 v[104:105], v[58:59], v[8:9]
	v_add_f64 v[2:3], v[2:3], 0
	s_waitcnt vmcnt(9) lgkmcnt(8)
	v_mul_f64 v[108:109], v[64:65], v[18:19]
	v_mul_f64 v[10:11], v[58:59], v[10:11]
	v_fmac_f64_e32 v[106:107], v[62:63], v[12:13]
	v_fma_f64 v[4:5], v[52:53], v[4:5], -v[6:7]
	v_add_f64 v[2:3], v[2:3], v[104:105]
	s_waitcnt vmcnt(8) lgkmcnt(7)
	v_mul_f64 v[110:111], v[72:73], v[22:23]
	v_mul_f64 v[14:15], v[62:63], v[14:15]
	v_fmac_f64_e32 v[108:109], v[66:67], v[16:17]
	v_fma_f64 v[6:7], v[56:57], v[8:9], -v[10:11]
	v_add_f64 v[4:5], v[4:5], 0
	v_add_f64 v[2:3], v[2:3], v[106:107]
	s_waitcnt vmcnt(7) lgkmcnt(6)
	v_mul_f64 v[112:113], v[76:77], v[26:27]
	v_mul_f64 v[18:19], v[66:67], v[18:19]
	v_fmac_f64_e32 v[110:111], v[74:75], v[20:21]
	v_fma_f64 v[8:9], v[60:61], v[12:13], -v[14:15]
	v_add_f64 v[4:5], v[4:5], v[6:7]
	;; [unrolled: 7-line block ×8, first 2 shown]
	v_add_f64 v[2:3], v[2:3], v[120:121]
	v_mul_f64 v[46:47], v[98:99], v[46:47]
	v_fmac_f64_e32 v[124:125], v[102:103], v[48:49]
	v_fma_f64 v[22:23], v[92:93], v[40:41], -v[42:43]
	v_add_f64 v[4:5], v[4:5], v[20:21]
	v_add_f64 v[2:3], v[2:3], v[122:123]
	;; [unrolled: 1-line block ×4, first 2 shown]
	v_fma_f64 v[2:3], v[96:97], v[44:45], -v[46:47]
	v_add_f64 v[2:3], v[4:5], v[2:3]
	v_mul_f64 v[4:5], v[102:103], v[50:51]
	v_fma_f64 v[4:5], v[100:101], v[48:49], -v[4:5]
	v_add_f64 v[2:3], v[2:3], v[4:5]
	s_waitcnt vmcnt(0)
	v_add_f64 v[2:3], v[68:69], -v[2:3]
	v_add_f64 v[4:5], v[70:71], -v[6:7]
	scratch_store_dwordx4 off, v[2:5], off offset:656
	s_and_saveexec_b64 s[0:1], vcc
	s_cbranch_execz .LBB52_253
; %bb.252:
	scratch_load_dwordx4 v[2:5], off, s28
	v_mov_b32_e32 v6, 0
	v_mov_b32_e32 v7, v6
	;; [unrolled: 1-line block ×4, first 2 shown]
	v_accvgpr_read_b32 v0, a107
	scratch_store_dwordx4 off, v[6:9], off offset:640
	s_waitcnt vmcnt(1)
	ds_write_b128 v0, v[2:5]
.LBB52_253:
	s_or_b64 exec, exec, s[0:1]
	s_waitcnt lgkmcnt(0)
	; wave barrier
	scratch_load_dwordx4 v[4:7], off, off offset:656
	scratch_load_dwordx4 v[8:11], off, off offset:672
	;; [unrolled: 1-line block ×14, first 2 shown]
	v_mov_b32_e32 v2, 0
	ds_read_b128 v[60:63], v2 offset:1488
	ds_read_b128 v[64:67], v2 offset:1504
	;; [unrolled: 1-line block ×13, first 2 shown]
	v_cmp_lt_u32_e32 vcc, 38, v246
	s_waitcnt vmcnt(13) lgkmcnt(12)
	v_mul_f64 v[112:113], v[60:61], v[6:7]
	v_mul_f64 v[6:7], v[62:63], v[6:7]
	s_waitcnt vmcnt(12) lgkmcnt(11)
	v_mul_f64 v[114:115], v[64:65], v[10:11]
	v_mul_f64 v[10:11], v[66:67], v[10:11]
	v_fmac_f64_e32 v[112:113], v[62:63], v[4:5]
	v_fma_f64 v[4:5], v[60:61], v[4:5], -v[6:7]
	s_waitcnt vmcnt(11) lgkmcnt(10)
	v_mul_f64 v[116:117], v[68:69], v[14:15]
	v_mul_f64 v[14:15], v[70:71], v[14:15]
	v_fma_f64 v[6:7], v[64:65], v[8:9], -v[10:11]
	v_add_f64 v[4:5], v[4:5], 0
	s_waitcnt vmcnt(10) lgkmcnt(9)
	v_mul_f64 v[118:119], v[72:73], v[18:19]
	v_mul_f64 v[18:19], v[74:75], v[18:19]
	v_fmac_f64_e32 v[114:115], v[66:67], v[8:9]
	v_fma_f64 v[8:9], v[68:69], v[12:13], -v[14:15]
	v_add_f64 v[4:5], v[4:5], v[6:7]
	s_waitcnt vmcnt(9) lgkmcnt(8)
	v_mul_f64 v[120:121], v[76:77], v[22:23]
	v_mul_f64 v[22:23], v[78:79], v[22:23]
	v_fma_f64 v[10:11], v[72:73], v[16:17], -v[18:19]
	v_add_f64 v[4:5], v[4:5], v[8:9]
	s_waitcnt vmcnt(8) lgkmcnt(7)
	v_mul_f64 v[122:123], v[80:81], v[26:27]
	v_mul_f64 v[26:27], v[82:83], v[26:27]
	v_fmac_f64_e32 v[116:117], v[70:71], v[12:13]
	v_fma_f64 v[12:13], v[76:77], v[20:21], -v[22:23]
	v_add_f64 v[22:23], v[112:113], 0
	v_add_f64 v[4:5], v[4:5], v[10:11]
	s_waitcnt vmcnt(7) lgkmcnt(6)
	v_mul_f64 v[124:125], v[84:85], v[30:31]
	v_mul_f64 v[30:31], v[86:87], v[30:31]
	v_fma_f64 v[14:15], v[80:81], v[24:25], -v[26:27]
	v_add_f64 v[22:23], v[22:23], v[114:115]
	v_add_f64 v[4:5], v[4:5], v[12:13]
	s_waitcnt vmcnt(6) lgkmcnt(5)
	v_mul_f64 v[126:127], v[88:89], v[34:35]
	v_mul_f64 v[34:35], v[90:91], v[34:35]
	v_fmac_f64_e32 v[118:119], v[74:75], v[16:17]
	v_fma_f64 v[16:17], v[84:85], v[28:29], -v[30:31]
	v_add_f64 v[6:7], v[22:23], v[116:117]
	v_add_f64 v[4:5], v[4:5], v[14:15]
	s_waitcnt vmcnt(5) lgkmcnt(4)
	v_mul_f64 v[128:129], v[92:93], v[38:39]
	v_mul_f64 v[38:39], v[94:95], v[38:39]
	v_fmac_f64_e32 v[120:121], v[78:79], v[20:21]
	v_fma_f64 v[18:19], v[88:89], v[32:33], -v[34:35]
	v_add_f64 v[6:7], v[6:7], v[118:119]
	v_add_f64 v[4:5], v[4:5], v[16:17]
	v_fmac_f64_e32 v[122:123], v[82:83], v[24:25]
	v_fma_f64 v[20:21], v[92:93], v[36:37], -v[38:39]
	v_add_f64 v[6:7], v[6:7], v[120:121]
	v_add_f64 v[4:5], v[4:5], v[18:19]
	s_waitcnt vmcnt(4) lgkmcnt(3)
	v_mul_f64 v[8:9], v[98:99], v[42:43]
	v_fmac_f64_e32 v[124:125], v[86:87], v[28:29]
	v_add_f64 v[6:7], v[6:7], v[122:123]
	v_add_f64 v[4:5], v[4:5], v[20:21]
	v_fma_f64 v[8:9], v[96:97], v[40:41], -v[8:9]
	v_fmac_f64_e32 v[126:127], v[90:91], v[32:33]
	v_add_f64 v[6:7], v[6:7], v[124:125]
	v_add_f64 v[4:5], v[4:5], v[8:9]
	s_waitcnt vmcnt(3) lgkmcnt(2)
	v_mul_f64 v[8:9], v[102:103], v[46:47]
	v_mul_f64 v[130:131], v[96:97], v[42:43]
	v_fmac_f64_e32 v[128:129], v[94:95], v[36:37]
	v_add_f64 v[6:7], v[6:7], v[126:127]
	v_fma_f64 v[8:9], v[100:101], v[44:45], -v[8:9]
	v_mul_f64 v[132:133], v[100:101], v[46:47]
	v_fmac_f64_e32 v[130:131], v[98:99], v[40:41]
	v_add_f64 v[6:7], v[6:7], v[128:129]
	v_add_f64 v[4:5], v[4:5], v[8:9]
	s_waitcnt vmcnt(2) lgkmcnt(1)
	v_mul_f64 v[8:9], v[106:107], v[50:51]
	v_mul_f64 v[134:135], v[104:105], v[50:51]
	v_fmac_f64_e32 v[132:133], v[102:103], v[44:45]
	v_add_f64 v[6:7], v[6:7], v[130:131]
	v_fma_f64 v[8:9], v[104:105], v[48:49], -v[8:9]
	s_waitcnt vmcnt(1) lgkmcnt(0)
	v_mul_f64 v[136:137], v[108:109], v[54:55]
	v_fmac_f64_e32 v[134:135], v[106:107], v[48:49]
	v_add_f64 v[6:7], v[6:7], v[132:133]
	v_add_f64 v[4:5], v[4:5], v[8:9]
	v_mul_f64 v[8:9], v[110:111], v[54:55]
	v_fmac_f64_e32 v[136:137], v[110:111], v[52:53]
	v_add_f64 v[6:7], v[6:7], v[134:135]
	v_fma_f64 v[8:9], v[108:109], v[52:53], -v[8:9]
	v_add_f64 v[6:7], v[6:7], v[136:137]
	v_add_f64 v[4:5], v[4:5], v[8:9]
	s_waitcnt vmcnt(0)
	v_add_f64 v[4:5], v[56:57], -v[4:5]
	v_add_f64 v[6:7], v[58:59], -v[6:7]
	scratch_store_dwordx4 off, v[4:7], off offset:640
	s_and_saveexec_b64 s[0:1], vcc
	s_cbranch_execz .LBB52_255
; %bb.254:
	scratch_load_dwordx4 v[6:9], off, s31
	v_mov_b32_e32 v3, v2
	v_mov_b32_e32 v4, v2
	;; [unrolled: 1-line block ×3, first 2 shown]
	v_accvgpr_read_b32 v0, a107
	scratch_store_dwordx4 off, v[2:5], off offset:624
	s_waitcnt vmcnt(1)
	ds_write_b128 v0, v[6:9]
.LBB52_255:
	s_or_b64 exec, exec, s[0:1]
	s_waitcnt lgkmcnt(0)
	; wave barrier
	scratch_load_dwordx4 v[4:7], off, off offset:640
	scratch_load_dwordx4 v[8:11], off, off offset:656
	scratch_load_dwordx4 v[12:15], off, off offset:672
	scratch_load_dwordx4 v[16:19], off, off offset:688
	scratch_load_dwordx4 v[20:23], off, off offset:704
	scratch_load_dwordx4 v[24:27], off, off offset:720
	scratch_load_dwordx4 v[28:31], off, off offset:736
	scratch_load_dwordx4 v[32:35], off, off offset:752
	scratch_load_dwordx4 v[36:39], off, off offset:768
	scratch_load_dwordx4 v[40:43], off, off offset:784
	scratch_load_dwordx4 v[44:47], off, off offset:800
	scratch_load_dwordx4 v[48:51], off, off offset:816
	scratch_load_dwordx4 v[52:55], off, off offset:832
	scratch_load_dwordx4 v[56:59], off, off offset:848
	ds_read_b128 v[60:63], v2 offset:1472
	ds_read_b128 v[64:67], v2 offset:1488
	;; [unrolled: 1-line block ×14, first 2 shown]
	scratch_load_dwordx4 v[116:119], off, off offset:624
	v_cmp_lt_u32_e32 vcc, 37, v246
	s_waitcnt vmcnt(14) lgkmcnt(13)
	v_mul_f64 v[2:3], v[60:61], v[6:7]
	s_waitcnt vmcnt(13) lgkmcnt(12)
	v_mul_f64 v[120:121], v[64:65], v[10:11]
	v_fmac_f64_e32 v[2:3], v[62:63], v[4:5]
	s_waitcnt vmcnt(12) lgkmcnt(11)
	v_mul_f64 v[122:123], v[68:69], v[14:15]
	v_fmac_f64_e32 v[120:121], v[66:67], v[8:9]
	v_add_f64 v[2:3], v[2:3], 0
	s_waitcnt vmcnt(11) lgkmcnt(10)
	v_mul_f64 v[124:125], v[72:73], v[18:19]
	v_fmac_f64_e32 v[122:123], v[70:71], v[12:13]
	v_add_f64 v[2:3], v[2:3], v[120:121]
	;; [unrolled: 4-line block ×4, first 2 shown]
	s_waitcnt vmcnt(8) lgkmcnt(7)
	v_mul_f64 v[130:131], v[84:85], v[30:31]
	v_mul_f64 v[6:7], v[62:63], v[6:7]
	v_fmac_f64_e32 v[128:129], v[82:83], v[24:25]
	v_add_f64 v[2:3], v[2:3], v[126:127]
	s_waitcnt vmcnt(7) lgkmcnt(6)
	v_mul_f64 v[132:133], v[88:89], v[34:35]
	v_mul_f64 v[10:11], v[66:67], v[10:11]
	v_fmac_f64_e32 v[130:131], v[86:87], v[28:29]
	v_fma_f64 v[4:5], v[60:61], v[4:5], -v[6:7]
	v_add_f64 v[2:3], v[2:3], v[128:129]
	s_waitcnt vmcnt(6) lgkmcnt(5)
	v_mul_f64 v[134:135], v[92:93], v[38:39]
	v_mul_f64 v[14:15], v[70:71], v[14:15]
	v_fmac_f64_e32 v[132:133], v[90:91], v[32:33]
	v_fma_f64 v[6:7], v[64:65], v[8:9], -v[10:11]
	v_add_f64 v[4:5], v[4:5], 0
	v_add_f64 v[2:3], v[2:3], v[130:131]
	s_waitcnt vmcnt(5) lgkmcnt(4)
	v_mul_f64 v[136:137], v[96:97], v[42:43]
	v_mul_f64 v[18:19], v[74:75], v[18:19]
	v_fmac_f64_e32 v[134:135], v[94:95], v[36:37]
	v_fma_f64 v[8:9], v[68:69], v[12:13], -v[14:15]
	v_add_f64 v[4:5], v[4:5], v[6:7]
	;; [unrolled: 7-line block ×6, first 2 shown]
	v_add_f64 v[2:3], v[2:3], v[140:141]
	v_fmac_f64_e32 v[144:145], v[114:115], v[56:57]
	v_fma_f64 v[18:19], v[88:89], v[32:33], -v[34:35]
	v_add_f64 v[4:5], v[4:5], v[16:17]
	v_add_f64 v[2:3], v[2:3], v[142:143]
	;; [unrolled: 1-line block ×4, first 2 shown]
	v_mul_f64 v[4:5], v[94:95], v[38:39]
	v_fma_f64 v[4:5], v[92:93], v[36:37], -v[4:5]
	v_add_f64 v[2:3], v[2:3], v[4:5]
	v_mul_f64 v[4:5], v[98:99], v[42:43]
	v_fma_f64 v[4:5], v[96:97], v[40:41], -v[4:5]
	v_add_f64 v[2:3], v[2:3], v[4:5]
	;; [unrolled: 3-line block ×6, first 2 shown]
	s_waitcnt vmcnt(0)
	v_add_f64 v[2:3], v[116:117], -v[2:3]
	v_add_f64 v[4:5], v[118:119], -v[6:7]
	scratch_store_dwordx4 off, v[2:5], off offset:624
	s_and_saveexec_b64 s[0:1], vcc
	s_cbranch_execz .LBB52_257
; %bb.256:
	scratch_load_dwordx4 v[2:5], off, s30
	v_mov_b32_e32 v6, 0
	v_mov_b32_e32 v7, v6
	;; [unrolled: 1-line block ×4, first 2 shown]
	v_accvgpr_read_b32 v0, a107
	scratch_store_dwordx4 off, v[6:9], off offset:608
	s_waitcnt vmcnt(1)
	ds_write_b128 v0, v[2:5]
.LBB52_257:
	s_or_b64 exec, exec, s[0:1]
	v_mov_b32_e32 v2, 0
	s_waitcnt lgkmcnt(0)
	; wave barrier
	ds_read_b128 v[16:19], v2 offset:1456
	ds_read_b128 v[12:15], v2 offset:1472
	;; [unrolled: 1-line block ×4, first 2 shown]
	scratch_load_dwordx4 v[20:23], off, off offset:624
	scratch_load_dwordx4 v[40:43], off, off offset:688
	;; [unrolled: 1-line block ×9, first 2 shown]
	v_cmp_lt_u32_e32 vcc, 36, v246
	scratch_load_dwordx4 v[50:53], off, off offset:704
	scratch_load_dwordx4 v[58:61], off, off offset:720
	;; [unrolled: 1-line block ×3, first 2 shown]
	s_waitcnt vmcnt(11) lgkmcnt(3)
	v_mul_f64 v[24:25], v[16:17], v[22:23]
	v_fmac_f64_e32 v[24:25], v[18:19], v[20:21]
	v_add_f64 v[28:29], v[24:25], 0
	scratch_load_dwordx4 v[24:27], off, off offset:640
	v_mul_f64 v[18:19], v[18:19], v[22:23]
	v_fma_f64 v[16:17], v[16:17], v[20:21], -v[18:19]
	v_add_f64 v[16:17], v[16:17], 0
	s_waitcnt vmcnt(0) lgkmcnt(2)
	v_mul_f64 v[30:31], v[12:13], v[26:27]
	v_fmac_f64_e32 v[30:31], v[14:15], v[24:25]
	v_add_f64 v[32:33], v[28:29], v[30:31]
	scratch_load_dwordx4 v[28:31], off, off offset:656
	v_mul_f64 v[14:15], v[14:15], v[26:27]
	v_fma_f64 v[12:13], v[12:13], v[24:25], -v[14:15]
	v_add_f64 v[12:13], v[16:17], v[12:13]
	;; [unrolled: 8-line block ×3, first 2 shown]
	s_waitcnt vmcnt(0) lgkmcnt(0)
	v_mul_f64 v[38:39], v[4:5], v[34:35]
	v_fmac_f64_e32 v[38:39], v[6:7], v[32:33]
	v_add_f64 v[44:45], v[36:37], v[38:39]
	ds_read_b128 v[36:39], v2 offset:1520
	v_mul_f64 v[6:7], v[6:7], v[34:35]
	v_fma_f64 v[4:5], v[4:5], v[32:33], -v[6:7]
	v_add_f64 v[4:5], v[8:9], v[4:5]
	s_waitcnt lgkmcnt(0)
	v_mul_f64 v[46:47], v[36:37], v[42:43]
	v_fmac_f64_e32 v[46:47], v[38:39], v[40:41]
	v_add_f64 v[48:49], v[44:45], v[46:47]
	ds_read_b128 v[44:47], v2 offset:1536
	v_mul_f64 v[6:7], v[38:39], v[42:43]
	v_fma_f64 v[6:7], v[36:37], v[40:41], -v[6:7]
	v_add_f64 v[4:5], v[4:5], v[6:7]
	s_waitcnt lgkmcnt(0)
	v_mul_f64 v[54:55], v[44:45], v[52:53]
	v_fmac_f64_e32 v[54:55], v[46:47], v[50:51]
	v_add_f64 v[48:49], v[48:49], v[54:55]
	ds_read_b128 v[54:57], v2 offset:1552
	v_mul_f64 v[6:7], v[46:47], v[52:53]
	v_fma_f64 v[6:7], v[44:45], v[50:51], -v[6:7]
	v_add_f64 v[4:5], v[4:5], v[6:7]
	s_waitcnt lgkmcnt(0)
	v_mul_f64 v[62:63], v[54:55], v[60:61]
	v_fmac_f64_e32 v[62:63], v[56:57], v[58:59]
	v_add_f64 v[48:49], v[48:49], v[62:63]
	ds_read_b128 v[62:65], v2 offset:1568
	v_mul_f64 v[6:7], v[56:57], v[60:61]
	v_fma_f64 v[6:7], v[54:55], v[58:59], -v[6:7]
	v_add_f64 v[4:5], v[4:5], v[6:7]
	s_waitcnt lgkmcnt(0)
	v_mul_f64 v[70:71], v[62:63], v[68:69]
	v_fmac_f64_e32 v[70:71], v[64:65], v[66:67]
	v_add_f64 v[48:49], v[48:49], v[70:71]
	ds_read_b128 v[70:73], v2 offset:1584
	v_mul_f64 v[6:7], v[64:65], v[68:69]
	v_fma_f64 v[6:7], v[62:63], v[66:67], -v[6:7]
	v_add_f64 v[4:5], v[4:5], v[6:7]
	s_waitcnt lgkmcnt(0)
	v_mul_f64 v[78:79], v[70:71], v[76:77]
	v_fmac_f64_e32 v[78:79], v[72:73], v[74:75]
	v_add_f64 v[48:49], v[48:49], v[78:79]
	ds_read_b128 v[78:81], v2 offset:1600
	v_mul_f64 v[6:7], v[72:73], v[76:77]
	v_fma_f64 v[6:7], v[70:71], v[74:75], -v[6:7]
	v_add_f64 v[4:5], v[4:5], v[6:7]
	s_waitcnt lgkmcnt(0)
	v_mul_f64 v[86:87], v[78:79], v[84:85]
	v_fmac_f64_e32 v[86:87], v[80:81], v[82:83]
	v_add_f64 v[48:49], v[48:49], v[86:87]
	ds_read_b128 v[86:89], v2 offset:1616
	v_mul_f64 v[6:7], v[80:81], v[84:85]
	v_fma_f64 v[6:7], v[78:79], v[82:83], -v[6:7]
	v_add_f64 v[4:5], v[4:5], v[6:7]
	s_waitcnt lgkmcnt(0)
	v_mul_f64 v[94:95], v[86:87], v[92:93]
	v_fmac_f64_e32 v[94:95], v[88:89], v[90:91]
	v_add_f64 v[48:49], v[48:49], v[94:95]
	ds_read_b128 v[94:97], v2 offset:1632
	v_mul_f64 v[6:7], v[88:89], v[92:93]
	v_fma_f64 v[6:7], v[86:87], v[90:91], -v[6:7]
	v_add_f64 v[4:5], v[4:5], v[6:7]
	s_waitcnt lgkmcnt(0)
	v_mul_f64 v[102:103], v[94:95], v[100:101]
	v_fmac_f64_e32 v[102:103], v[96:97], v[98:99]
	v_add_f64 v[48:49], v[48:49], v[102:103]
	ds_read_b128 v[102:105], v2 offset:1648
	v_mul_f64 v[6:7], v[96:97], v[100:101]
	v_fma_f64 v[6:7], v[94:95], v[98:99], -v[6:7]
	v_add_f64 v[4:5], v[4:5], v[6:7]
	s_waitcnt lgkmcnt(0)
	v_mul_f64 v[110:111], v[102:103], v[108:109]
	v_fmac_f64_e32 v[110:111], v[104:105], v[106:107]
	v_add_f64 v[48:49], v[48:49], v[110:111]
	ds_read_b128 v[110:113], v2 offset:1664
	v_mul_f64 v[6:7], v[104:105], v[108:109]
	v_fma_f64 v[6:7], v[102:103], v[106:107], -v[6:7]
	v_add_f64 v[4:5], v[4:5], v[6:7]
	s_waitcnt lgkmcnt(0)
	v_mul_f64 v[118:119], v[110:111], v[116:117]
	v_fmac_f64_e32 v[118:119], v[112:113], v[114:115]
	v_add_f64 v[48:49], v[48:49], v[118:119]
	ds_read_b128 v[118:121], v2 offset:1680
	v_mul_f64 v[6:7], v[112:113], v[116:117]
	v_fma_f64 v[6:7], v[110:111], v[114:115], -v[6:7]
	v_add_f64 v[4:5], v[4:5], v[6:7]
	s_waitcnt lgkmcnt(0)
	v_mul_f64 v[6:7], v[120:121], v[124:125]
	v_fma_f64 v[6:7], v[118:119], v[122:123], -v[6:7]
	v_add_f64 v[8:9], v[4:5], v[6:7]
	scratch_load_dwordx4 v[4:7], off, off offset:608
	v_mul_f64 v[126:127], v[118:119], v[124:125]
	v_fmac_f64_e32 v[126:127], v[120:121], v[122:123]
	v_add_f64 v[48:49], v[48:49], v[126:127]
	s_waitcnt vmcnt(0)
	v_add_f64 v[4:5], v[4:5], -v[8:9]
	v_add_f64 v[6:7], v[6:7], -v[48:49]
	scratch_store_dwordx4 off, v[4:7], off offset:608
	s_and_saveexec_b64 s[0:1], vcc
	s_cbranch_execz .LBB52_259
; %bb.258:
	scratch_load_dwordx4 v[6:9], off, s34
	v_mov_b32_e32 v3, v2
	v_mov_b32_e32 v4, v2
	;; [unrolled: 1-line block ×3, first 2 shown]
	v_accvgpr_read_b32 v0, a107
	scratch_store_dwordx4 off, v[2:5], off offset:592
	s_waitcnt vmcnt(1)
	ds_write_b128 v0, v[6:9]
.LBB52_259:
	s_or_b64 exec, exec, s[0:1]
	s_waitcnt lgkmcnt(0)
	; wave barrier
	ds_read_b128 v[16:19], v2 offset:1440
	ds_read_b128 v[12:15], v2 offset:1456
	;; [unrolled: 1-line block ×4, first 2 shown]
	scratch_load_dwordx4 v[20:23], off, off offset:608
	scratch_load_dwordx4 v[40:43], off, off offset:672
	;; [unrolled: 1-line block ×10, first 2 shown]
	v_cmp_lt_u32_e32 vcc, 35, v246
	scratch_load_dwordx4 v[48:51], off, off offset:688
	scratch_load_dwordx4 v[56:59], off, off offset:704
	;; [unrolled: 1-line block ×3, first 2 shown]
	s_waitcnt vmcnt(12) lgkmcnt(3)
	v_mul_f64 v[24:25], v[16:17], v[22:23]
	v_fmac_f64_e32 v[24:25], v[18:19], v[20:21]
	v_add_f64 v[28:29], v[24:25], 0
	scratch_load_dwordx4 v[24:27], off, off offset:624
	s_waitcnt vmcnt(0) lgkmcnt(2)
	v_mul_f64 v[30:31], v[12:13], v[26:27]
	v_fmac_f64_e32 v[30:31], v[14:15], v[24:25]
	v_add_f64 v[32:33], v[28:29], v[30:31]
	scratch_load_dwordx4 v[28:31], off, off offset:640
	v_mul_f64 v[14:15], v[14:15], v[26:27]
	v_fma_f64 v[12:13], v[12:13], v[24:25], -v[14:15]
	s_waitcnt vmcnt(0) lgkmcnt(1)
	v_mul_f64 v[34:35], v[8:9], v[30:31]
	v_fmac_f64_e32 v[34:35], v[10:11], v[28:29]
	v_add_f64 v[36:37], v[32:33], v[34:35]
	scratch_load_dwordx4 v[32:35], off, off offset:656
	v_mul_f64 v[10:11], v[10:11], v[30:31]
	v_fma_f64 v[8:9], v[8:9], v[28:29], -v[10:11]
	s_waitcnt vmcnt(0) lgkmcnt(0)
	v_mul_f64 v[38:39], v[4:5], v[34:35]
	v_fmac_f64_e32 v[38:39], v[6:7], v[32:33]
	v_add_f64 v[44:45], v[36:37], v[38:39]
	ds_read_b128 v[36:39], v2 offset:1504
	v_mul_f64 v[6:7], v[6:7], v[34:35]
	v_fma_f64 v[4:5], v[4:5], v[32:33], -v[6:7]
	s_waitcnt lgkmcnt(0)
	v_mul_f64 v[46:47], v[36:37], v[42:43]
	v_fmac_f64_e32 v[46:47], v[38:39], v[40:41]
	v_add_f64 v[52:53], v[44:45], v[46:47]
	ds_read_b128 v[44:47], v2 offset:1520
	s_waitcnt lgkmcnt(0)
	v_mul_f64 v[54:55], v[44:45], v[50:51]
	v_fmac_f64_e32 v[54:55], v[46:47], v[48:49]
	v_add_f64 v[60:61], v[52:53], v[54:55]
	ds_read_b128 v[52:55], v2 offset:1536
	;; [unrolled: 5-line block ×11, first 2 shown]
	s_waitcnt lgkmcnt(0)
	v_mul_f64 v[2:3], v[126:127], v[132:133]
	v_fmac_f64_e32 v[2:3], v[128:129], v[130:131]
	v_add_f64 v[64:65], v[64:65], v[2:3]
	v_mul_f64 v[2:3], v[18:19], v[22:23]
	v_fma_f64 v[2:3], v[16:17], v[20:21], -v[2:3]
	v_add_f64 v[2:3], v[2:3], 0
	v_add_f64 v[2:3], v[2:3], v[12:13]
	;; [unrolled: 1-line block ×4, first 2 shown]
	v_mul_f64 v[4:5], v[38:39], v[42:43]
	v_fma_f64 v[4:5], v[36:37], v[40:41], -v[4:5]
	v_add_f64 v[2:3], v[2:3], v[4:5]
	v_mul_f64 v[4:5], v[46:47], v[50:51]
	v_fma_f64 v[4:5], v[44:45], v[48:49], -v[4:5]
	v_add_f64 v[2:3], v[2:3], v[4:5]
	;; [unrolled: 3-line block ×12, first 2 shown]
	scratch_load_dwordx4 v[2:5], off, off offset:592
	s_waitcnt vmcnt(0)
	v_add_f64 v[2:3], v[2:3], -v[6:7]
	v_add_f64 v[4:5], v[4:5], -v[64:65]
	scratch_store_dwordx4 off, v[2:5], off offset:592
	s_and_saveexec_b64 s[0:1], vcc
	s_cbranch_execz .LBB52_261
; %bb.260:
	scratch_load_dwordx4 v[2:5], off, s33
	v_mov_b32_e32 v6, 0
	v_mov_b32_e32 v7, v6
	;; [unrolled: 1-line block ×4, first 2 shown]
	v_accvgpr_read_b32 v0, a107
	scratch_store_dwordx4 off, v[6:9], off offset:576
	s_waitcnt vmcnt(1)
	ds_write_b128 v0, v[2:5]
.LBB52_261:
	s_or_b64 exec, exec, s[0:1]
	v_mov_b32_e32 v2, 0
	s_waitcnt lgkmcnt(0)
	; wave barrier
	ds_read_b128 v[16:19], v2 offset:1424
	ds_read_b128 v[12:15], v2 offset:1440
	;; [unrolled: 1-line block ×4, first 2 shown]
	scratch_load_dwordx4 v[20:23], off, off offset:592
	scratch_load_dwordx4 v[40:43], off, off offset:656
	;; [unrolled: 1-line block ×11, first 2 shown]
	v_cmp_lt_u32_e32 vcc, 34, v246
	scratch_load_dwordx4 v[48:51], off, off offset:672
	scratch_load_dwordx4 v[56:59], off, off offset:688
	;; [unrolled: 1-line block ×3, first 2 shown]
	s_waitcnt vmcnt(13) lgkmcnt(3)
	v_mul_f64 v[24:25], v[16:17], v[22:23]
	v_fmac_f64_e32 v[24:25], v[18:19], v[20:21]
	v_add_f64 v[28:29], v[24:25], 0
	scratch_load_dwordx4 v[24:27], off, off offset:608
	v_mul_f64 v[18:19], v[18:19], v[22:23]
	v_fma_f64 v[16:17], v[16:17], v[20:21], -v[18:19]
	v_add_f64 v[16:17], v[16:17], 0
	s_waitcnt vmcnt(0) lgkmcnt(2)
	v_mul_f64 v[30:31], v[12:13], v[26:27]
	v_fmac_f64_e32 v[30:31], v[14:15], v[24:25]
	v_add_f64 v[32:33], v[28:29], v[30:31]
	scratch_load_dwordx4 v[28:31], off, off offset:624
	v_mul_f64 v[14:15], v[14:15], v[26:27]
	v_fma_f64 v[12:13], v[12:13], v[24:25], -v[14:15]
	v_add_f64 v[12:13], v[16:17], v[12:13]
	;; [unrolled: 8-line block ×3, first 2 shown]
	s_waitcnt vmcnt(0) lgkmcnt(0)
	v_mul_f64 v[38:39], v[4:5], v[34:35]
	v_fmac_f64_e32 v[38:39], v[6:7], v[32:33]
	v_add_f64 v[44:45], v[36:37], v[38:39]
	ds_read_b128 v[36:39], v2 offset:1488
	v_mul_f64 v[6:7], v[6:7], v[34:35]
	v_fma_f64 v[4:5], v[4:5], v[32:33], -v[6:7]
	v_add_f64 v[4:5], v[8:9], v[4:5]
	s_waitcnt lgkmcnt(0)
	v_mul_f64 v[46:47], v[36:37], v[42:43]
	v_fmac_f64_e32 v[46:47], v[38:39], v[40:41]
	v_add_f64 v[52:53], v[44:45], v[46:47]
	ds_read_b128 v[44:47], v2 offset:1504
	v_mul_f64 v[6:7], v[38:39], v[42:43]
	v_fma_f64 v[6:7], v[36:37], v[40:41], -v[6:7]
	v_add_f64 v[4:5], v[4:5], v[6:7]
	s_waitcnt lgkmcnt(0)
	;; [unrolled: 8-line block ×13, first 2 shown]
	v_mul_f64 v[6:7], v[136:137], v[140:141]
	v_fma_f64 v[6:7], v[134:135], v[138:139], -v[6:7]
	v_add_f64 v[8:9], v[4:5], v[6:7]
	scratch_load_dwordx4 v[4:7], off, off offset:576
	v_mul_f64 v[142:143], v[134:135], v[140:141]
	v_fmac_f64_e32 v[142:143], v[136:137], v[138:139]
	v_add_f64 v[72:73], v[72:73], v[142:143]
	s_waitcnt vmcnt(0)
	v_add_f64 v[4:5], v[4:5], -v[8:9]
	v_add_f64 v[6:7], v[6:7], -v[72:73]
	scratch_store_dwordx4 off, v[4:7], off offset:576
	s_and_saveexec_b64 s[0:1], vcc
	s_cbranch_execz .LBB52_263
; %bb.262:
	scratch_load_dwordx4 v[6:9], off, s65
	v_mov_b32_e32 v3, v2
	v_mov_b32_e32 v4, v2
	;; [unrolled: 1-line block ×3, first 2 shown]
	v_accvgpr_read_b32 v0, a107
	scratch_store_dwordx4 off, v[2:5], off offset:560
	s_waitcnt vmcnt(1)
	ds_write_b128 v0, v[6:9]
.LBB52_263:
	s_or_b64 exec, exec, s[0:1]
	s_waitcnt lgkmcnt(0)
	; wave barrier
	ds_read_b128 v[16:19], v2 offset:1408
	ds_read_b128 v[12:15], v2 offset:1424
	;; [unrolled: 1-line block ×4, first 2 shown]
	scratch_load_dwordx4 v[20:23], off, off offset:576
	scratch_load_dwordx4 v[40:43], off, off offset:640
	;; [unrolled: 1-line block ×12, first 2 shown]
	v_cmp_lt_u32_e32 vcc, 33, v246
	scratch_load_dwordx4 v[48:51], off, off offset:656
	scratch_load_dwordx4 v[56:59], off, off offset:672
	;; [unrolled: 1-line block ×3, first 2 shown]
	s_waitcnt vmcnt(14) lgkmcnt(3)
	v_mul_f64 v[24:25], v[16:17], v[22:23]
	v_fmac_f64_e32 v[24:25], v[18:19], v[20:21]
	v_add_f64 v[28:29], v[24:25], 0
	scratch_load_dwordx4 v[24:27], off, off offset:592
	s_waitcnt vmcnt(0) lgkmcnt(2)
	v_mul_f64 v[30:31], v[12:13], v[26:27]
	v_fmac_f64_e32 v[30:31], v[14:15], v[24:25]
	v_add_f64 v[32:33], v[28:29], v[30:31]
	scratch_load_dwordx4 v[28:31], off, off offset:608
	v_mul_f64 v[14:15], v[14:15], v[26:27]
	v_fma_f64 v[12:13], v[12:13], v[24:25], -v[14:15]
	s_waitcnt vmcnt(0) lgkmcnt(1)
	v_mul_f64 v[34:35], v[8:9], v[30:31]
	v_fmac_f64_e32 v[34:35], v[10:11], v[28:29]
	v_add_f64 v[36:37], v[32:33], v[34:35]
	scratch_load_dwordx4 v[32:35], off, off offset:624
	v_mul_f64 v[10:11], v[10:11], v[30:31]
	v_fma_f64 v[8:9], v[8:9], v[28:29], -v[10:11]
	s_waitcnt vmcnt(0) lgkmcnt(0)
	v_mul_f64 v[38:39], v[4:5], v[34:35]
	v_fmac_f64_e32 v[38:39], v[6:7], v[32:33]
	v_add_f64 v[44:45], v[36:37], v[38:39]
	ds_read_b128 v[36:39], v2 offset:1472
	v_mul_f64 v[6:7], v[6:7], v[34:35]
	v_fma_f64 v[4:5], v[4:5], v[32:33], -v[6:7]
	s_waitcnt lgkmcnt(0)
	v_mul_f64 v[46:47], v[36:37], v[42:43]
	v_fmac_f64_e32 v[46:47], v[38:39], v[40:41]
	v_add_f64 v[52:53], v[44:45], v[46:47]
	ds_read_b128 v[44:47], v2 offset:1488
	s_waitcnt lgkmcnt(0)
	v_mul_f64 v[54:55], v[44:45], v[50:51]
	v_fmac_f64_e32 v[54:55], v[46:47], v[48:49]
	v_add_f64 v[60:61], v[52:53], v[54:55]
	ds_read_b128 v[52:55], v2 offset:1504
	;; [unrolled: 5-line block ×13, first 2 shown]
	s_waitcnt lgkmcnt(0)
	v_mul_f64 v[2:3], v[142:143], v[148:149]
	v_fmac_f64_e32 v[2:3], v[144:145], v[146:147]
	v_add_f64 v[80:81], v[80:81], v[2:3]
	v_mul_f64 v[2:3], v[18:19], v[22:23]
	v_fma_f64 v[2:3], v[16:17], v[20:21], -v[2:3]
	v_add_f64 v[2:3], v[2:3], 0
	v_add_f64 v[2:3], v[2:3], v[12:13]
	;; [unrolled: 1-line block ×4, first 2 shown]
	v_mul_f64 v[4:5], v[38:39], v[42:43]
	v_fma_f64 v[4:5], v[36:37], v[40:41], -v[4:5]
	v_add_f64 v[2:3], v[2:3], v[4:5]
	v_mul_f64 v[4:5], v[46:47], v[50:51]
	v_fma_f64 v[4:5], v[44:45], v[48:49], -v[4:5]
	v_add_f64 v[2:3], v[2:3], v[4:5]
	;; [unrolled: 3-line block ×14, first 2 shown]
	scratch_load_dwordx4 v[2:5], off, off offset:560
	s_waitcnt vmcnt(0)
	v_add_f64 v[2:3], v[2:3], -v[6:7]
	v_add_f64 v[4:5], v[4:5], -v[80:81]
	scratch_store_dwordx4 off, v[2:5], off offset:560
	s_and_saveexec_b64 s[0:1], vcc
	s_cbranch_execz .LBB52_265
; %bb.264:
	scratch_load_dwordx4 v[2:5], off, s64
	v_mov_b32_e32 v6, 0
	v_mov_b32_e32 v7, v6
	;; [unrolled: 1-line block ×4, first 2 shown]
	v_accvgpr_read_b32 v0, a107
	scratch_store_dwordx4 off, v[6:9], off offset:544
	s_waitcnt vmcnt(1)
	ds_write_b128 v0, v[2:5]
.LBB52_265:
	s_or_b64 exec, exec, s[0:1]
	v_mov_b32_e32 v2, 0
	s_waitcnt lgkmcnt(0)
	; wave barrier
	ds_read_b128 v[16:19], v2 offset:1392
	ds_read_b128 v[12:15], v2 offset:1408
	;; [unrolled: 1-line block ×4, first 2 shown]
	scratch_load_dwordx4 v[20:23], off, off offset:560
	scratch_load_dwordx4 v[40:43], off, off offset:624
	;; [unrolled: 1-line block ×13, first 2 shown]
	v_cmp_lt_u32_e32 vcc, 32, v246
	scratch_load_dwordx4 v[48:51], off, off offset:640
	scratch_load_dwordx4 v[56:59], off, off offset:656
	;; [unrolled: 1-line block ×3, first 2 shown]
	s_waitcnt vmcnt(15) lgkmcnt(3)
	v_mul_f64 v[24:25], v[16:17], v[22:23]
	v_fmac_f64_e32 v[24:25], v[18:19], v[20:21]
	v_add_f64 v[28:29], v[24:25], 0
	scratch_load_dwordx4 v[24:27], off, off offset:576
	v_mul_f64 v[18:19], v[18:19], v[22:23]
	v_fma_f64 v[16:17], v[16:17], v[20:21], -v[18:19]
	v_add_f64 v[16:17], v[16:17], 0
	s_waitcnt vmcnt(0) lgkmcnt(2)
	v_mul_f64 v[30:31], v[12:13], v[26:27]
	v_fmac_f64_e32 v[30:31], v[14:15], v[24:25]
	v_add_f64 v[32:33], v[28:29], v[30:31]
	scratch_load_dwordx4 v[28:31], off, off offset:592
	v_mul_f64 v[14:15], v[14:15], v[26:27]
	v_fma_f64 v[12:13], v[12:13], v[24:25], -v[14:15]
	v_add_f64 v[12:13], v[16:17], v[12:13]
	;; [unrolled: 8-line block ×3, first 2 shown]
	s_waitcnt vmcnt(0) lgkmcnt(0)
	v_mul_f64 v[38:39], v[4:5], v[34:35]
	v_fmac_f64_e32 v[38:39], v[6:7], v[32:33]
	v_add_f64 v[44:45], v[36:37], v[38:39]
	ds_read_b128 v[36:39], v2 offset:1456
	v_mul_f64 v[6:7], v[6:7], v[34:35]
	v_fma_f64 v[4:5], v[4:5], v[32:33], -v[6:7]
	v_add_f64 v[4:5], v[8:9], v[4:5]
	s_waitcnt lgkmcnt(0)
	v_mul_f64 v[46:47], v[36:37], v[42:43]
	v_fmac_f64_e32 v[46:47], v[38:39], v[40:41]
	v_add_f64 v[52:53], v[44:45], v[46:47]
	ds_read_b128 v[44:47], v2 offset:1472
	v_mul_f64 v[6:7], v[38:39], v[42:43]
	v_fma_f64 v[6:7], v[36:37], v[40:41], -v[6:7]
	v_add_f64 v[4:5], v[4:5], v[6:7]
	s_waitcnt lgkmcnt(0)
	;; [unrolled: 8-line block ×15, first 2 shown]
	v_mul_f64 v[6:7], v[152:153], v[156:157]
	v_fma_f64 v[6:7], v[150:151], v[154:155], -v[6:7]
	v_add_f64 v[8:9], v[4:5], v[6:7]
	scratch_load_dwordx4 v[4:7], off, off offset:544
	v_mul_f64 v[158:159], v[150:151], v[156:157]
	v_fmac_f64_e32 v[158:159], v[152:153], v[154:155]
	v_add_f64 v[88:89], v[88:89], v[158:159]
	s_waitcnt vmcnt(0)
	v_add_f64 v[4:5], v[4:5], -v[8:9]
	v_add_f64 v[6:7], v[6:7], -v[88:89]
	scratch_store_dwordx4 off, v[4:7], off offset:544
	s_and_saveexec_b64 s[0:1], vcc
	s_cbranch_execz .LBB52_267
; %bb.266:
	scratch_load_dwordx4 v[6:9], off, s63
	v_mov_b32_e32 v3, v2
	v_mov_b32_e32 v4, v2
	;; [unrolled: 1-line block ×3, first 2 shown]
	v_accvgpr_read_b32 v0, a107
	scratch_store_dwordx4 off, v[2:5], off offset:528
	s_waitcnt vmcnt(1)
	ds_write_b128 v0, v[6:9]
.LBB52_267:
	s_or_b64 exec, exec, s[0:1]
	s_waitcnt lgkmcnt(0)
	; wave barrier
	ds_read_b128 v[16:19], v2 offset:1376
	ds_read_b128 v[12:15], v2 offset:1392
	;; [unrolled: 1-line block ×4, first 2 shown]
	scratch_load_dwordx4 v[20:23], off, off offset:544
	scratch_load_dwordx4 v[40:43], off, off offset:608
	;; [unrolled: 1-line block ×14, first 2 shown]
	v_cmp_lt_u32_e32 vcc, 31, v246
	scratch_load_dwordx4 v[48:51], off, off offset:624
	scratch_load_dwordx4 v[56:59], off, off offset:640
	;; [unrolled: 1-line block ×3, first 2 shown]
	s_waitcnt vmcnt(16) lgkmcnt(3)
	v_mul_f64 v[24:25], v[16:17], v[22:23]
	v_fmac_f64_e32 v[24:25], v[18:19], v[20:21]
	v_add_f64 v[28:29], v[24:25], 0
	scratch_load_dwordx4 v[24:27], off, off offset:560
	s_waitcnt vmcnt(0) lgkmcnt(2)
	v_mul_f64 v[30:31], v[12:13], v[26:27]
	v_fmac_f64_e32 v[30:31], v[14:15], v[24:25]
	v_add_f64 v[32:33], v[28:29], v[30:31]
	scratch_load_dwordx4 v[28:31], off, off offset:576
	v_mul_f64 v[14:15], v[14:15], v[26:27]
	v_fma_f64 v[12:13], v[12:13], v[24:25], -v[14:15]
	s_waitcnt vmcnt(0) lgkmcnt(1)
	v_mul_f64 v[34:35], v[8:9], v[30:31]
	v_fmac_f64_e32 v[34:35], v[10:11], v[28:29]
	v_add_f64 v[36:37], v[32:33], v[34:35]
	scratch_load_dwordx4 v[32:35], off, off offset:592
	v_mul_f64 v[10:11], v[10:11], v[30:31]
	v_fma_f64 v[8:9], v[8:9], v[28:29], -v[10:11]
	s_waitcnt vmcnt(0) lgkmcnt(0)
	v_mul_f64 v[38:39], v[4:5], v[34:35]
	v_fmac_f64_e32 v[38:39], v[6:7], v[32:33]
	v_add_f64 v[44:45], v[36:37], v[38:39]
	ds_read_b128 v[36:39], v2 offset:1440
	v_mul_f64 v[6:7], v[6:7], v[34:35]
	v_fma_f64 v[4:5], v[4:5], v[32:33], -v[6:7]
	s_waitcnt lgkmcnt(0)
	v_mul_f64 v[46:47], v[36:37], v[42:43]
	v_fmac_f64_e32 v[46:47], v[38:39], v[40:41]
	v_add_f64 v[52:53], v[44:45], v[46:47]
	ds_read_b128 v[44:47], v2 offset:1456
	s_waitcnt lgkmcnt(0)
	v_mul_f64 v[54:55], v[44:45], v[50:51]
	v_fmac_f64_e32 v[54:55], v[46:47], v[48:49]
	v_add_f64 v[60:61], v[52:53], v[54:55]
	ds_read_b128 v[52:55], v2 offset:1472
	;; [unrolled: 5-line block ×15, first 2 shown]
	s_waitcnt lgkmcnt(0)
	v_mul_f64 v[2:3], v[158:159], v[164:165]
	v_fmac_f64_e32 v[2:3], v[160:161], v[162:163]
	v_add_f64 v[96:97], v[96:97], v[2:3]
	v_mul_f64 v[2:3], v[18:19], v[22:23]
	v_fma_f64 v[2:3], v[16:17], v[20:21], -v[2:3]
	v_add_f64 v[2:3], v[2:3], 0
	v_add_f64 v[2:3], v[2:3], v[12:13]
	;; [unrolled: 1-line block ×4, first 2 shown]
	v_mul_f64 v[4:5], v[38:39], v[42:43]
	v_fma_f64 v[4:5], v[36:37], v[40:41], -v[4:5]
	v_add_f64 v[2:3], v[2:3], v[4:5]
	v_mul_f64 v[4:5], v[46:47], v[50:51]
	v_fma_f64 v[4:5], v[44:45], v[48:49], -v[4:5]
	v_add_f64 v[2:3], v[2:3], v[4:5]
	v_mul_f64 v[4:5], v[54:55], v[58:59]
	v_fma_f64 v[4:5], v[52:53], v[56:57], -v[4:5]
	v_add_f64 v[2:3], v[2:3], v[4:5]
	v_mul_f64 v[4:5], v[62:63], v[66:67]
	v_fma_f64 v[4:5], v[60:61], v[64:65], -v[4:5]
	v_add_f64 v[2:3], v[2:3], v[4:5]
	v_mul_f64 v[4:5], v[70:71], v[74:75]
	v_fma_f64 v[4:5], v[68:69], v[72:73], -v[4:5]
	v_add_f64 v[2:3], v[2:3], v[4:5]
	v_mul_f64 v[4:5], v[78:79], v[82:83]
	v_fma_f64 v[4:5], v[76:77], v[80:81], -v[4:5]
	v_add_f64 v[2:3], v[2:3], v[4:5]
	v_mul_f64 v[4:5], v[86:87], v[90:91]
	v_fma_f64 v[4:5], v[84:85], v[88:89], -v[4:5]
	v_add_f64 v[2:3], v[2:3], v[4:5]
	v_mul_f64 v[4:5], v[94:95], v[100:101]
	v_fma_f64 v[4:5], v[92:93], v[98:99], -v[4:5]
	v_add_f64 v[2:3], v[2:3], v[4:5]
	v_mul_f64 v[4:5], v[104:105], v[108:109]
	v_fma_f64 v[4:5], v[102:103], v[106:107], -v[4:5]
	v_add_f64 v[2:3], v[2:3], v[4:5]
	v_mul_f64 v[4:5], v[112:113], v[116:117]
	v_fma_f64 v[4:5], v[110:111], v[114:115], -v[4:5]
	v_add_f64 v[2:3], v[2:3], v[4:5]
	v_mul_f64 v[4:5], v[120:121], v[124:125]
	v_fma_f64 v[4:5], v[118:119], v[122:123], -v[4:5]
	v_add_f64 v[2:3], v[2:3], v[4:5]
	v_mul_f64 v[4:5], v[128:129], v[132:133]
	v_fma_f64 v[4:5], v[126:127], v[130:131], -v[4:5]
	v_add_f64 v[2:3], v[2:3], v[4:5]
	v_mul_f64 v[4:5], v[136:137], v[140:141]
	v_fma_f64 v[4:5], v[134:135], v[138:139], -v[4:5]
	v_add_f64 v[2:3], v[2:3], v[4:5]
	v_mul_f64 v[4:5], v[144:145], v[148:149]
	v_fma_f64 v[4:5], v[142:143], v[146:147], -v[4:5]
	v_add_f64 v[2:3], v[2:3], v[4:5]
	v_mul_f64 v[4:5], v[152:153], v[156:157]
	v_fma_f64 v[4:5], v[150:151], v[154:155], -v[4:5]
	v_add_f64 v[2:3], v[2:3], v[4:5]
	v_mul_f64 v[4:5], v[160:161], v[164:165]
	v_fma_f64 v[4:5], v[158:159], v[162:163], -v[4:5]
	v_add_f64 v[6:7], v[2:3], v[4:5]
	scratch_load_dwordx4 v[2:5], off, off offset:528
	s_waitcnt vmcnt(0)
	v_add_f64 v[2:3], v[2:3], -v[6:7]
	v_add_f64 v[4:5], v[4:5], -v[96:97]
	scratch_store_dwordx4 off, v[2:5], off offset:528
	s_and_saveexec_b64 s[0:1], vcc
	s_cbranch_execz .LBB52_269
; %bb.268:
	scratch_load_dwordx4 v[2:5], off, s62
	v_mov_b32_e32 v6, 0
	v_mov_b32_e32 v7, v6
	;; [unrolled: 1-line block ×4, first 2 shown]
	v_accvgpr_read_b32 v0, a107
	scratch_store_dwordx4 off, v[6:9], off offset:512
	s_waitcnt vmcnt(1)
	ds_write_b128 v0, v[2:5]
.LBB52_269:
	s_or_b64 exec, exec, s[0:1]
	v_mov_b32_e32 v2, 0
	s_waitcnt lgkmcnt(0)
	; wave barrier
	ds_read_b128 v[16:19], v2 offset:1360
	ds_read_b128 v[12:15], v2 offset:1376
	;; [unrolled: 1-line block ×4, first 2 shown]
	scratch_load_dwordx4 v[20:23], off, off offset:528
	scratch_load_dwordx4 v[40:43], off, off offset:592
	;; [unrolled: 1-line block ×15, first 2 shown]
	v_cmp_lt_u32_e32 vcc, 30, v246
	scratch_load_dwordx4 v[48:51], off, off offset:608
	scratch_load_dwordx4 v[56:59], off, off offset:624
	;; [unrolled: 1-line block ×3, first 2 shown]
	s_waitcnt vmcnt(17) lgkmcnt(3)
	v_mul_f64 v[24:25], v[16:17], v[22:23]
	v_fmac_f64_e32 v[24:25], v[18:19], v[20:21]
	v_add_f64 v[28:29], v[24:25], 0
	scratch_load_dwordx4 v[24:27], off, off offset:544
	v_mul_f64 v[18:19], v[18:19], v[22:23]
	v_fma_f64 v[16:17], v[16:17], v[20:21], -v[18:19]
	v_add_f64 v[16:17], v[16:17], 0
	s_waitcnt vmcnt(0) lgkmcnt(2)
	v_mul_f64 v[30:31], v[12:13], v[26:27]
	v_fmac_f64_e32 v[30:31], v[14:15], v[24:25]
	v_add_f64 v[32:33], v[28:29], v[30:31]
	scratch_load_dwordx4 v[28:31], off, off offset:560
	v_mul_f64 v[14:15], v[14:15], v[26:27]
	v_fma_f64 v[12:13], v[12:13], v[24:25], -v[14:15]
	v_add_f64 v[12:13], v[16:17], v[12:13]
	s_waitcnt vmcnt(0) lgkmcnt(1)
	v_mul_f64 v[34:35], v[8:9], v[30:31]
	v_fmac_f64_e32 v[34:35], v[10:11], v[28:29]
	v_add_f64 v[36:37], v[32:33], v[34:35]
	scratch_load_dwordx4 v[32:35], off, off offset:576
	v_mul_f64 v[10:11], v[10:11], v[30:31]
	v_fma_f64 v[8:9], v[8:9], v[28:29], -v[10:11]
	v_add_f64 v[8:9], v[12:13], v[8:9]
	s_waitcnt vmcnt(0) lgkmcnt(0)
	v_mul_f64 v[38:39], v[4:5], v[34:35]
	v_fmac_f64_e32 v[38:39], v[6:7], v[32:33]
	v_add_f64 v[44:45], v[36:37], v[38:39]
	ds_read_b128 v[36:39], v2 offset:1424
	v_mul_f64 v[6:7], v[6:7], v[34:35]
	v_fma_f64 v[4:5], v[4:5], v[32:33], -v[6:7]
	v_add_f64 v[4:5], v[8:9], v[4:5]
	s_waitcnt lgkmcnt(0)
	v_mul_f64 v[46:47], v[36:37], v[42:43]
	v_fmac_f64_e32 v[46:47], v[38:39], v[40:41]
	v_add_f64 v[52:53], v[44:45], v[46:47]
	ds_read_b128 v[44:47], v2 offset:1440
	v_mul_f64 v[6:7], v[38:39], v[42:43]
	v_fma_f64 v[6:7], v[36:37], v[40:41], -v[6:7]
	v_add_f64 v[4:5], v[4:5], v[6:7]
	s_waitcnt lgkmcnt(0)
	;; [unrolled: 8-line block ×17, first 2 shown]
	v_mul_f64 v[6:7], v[168:169], v[172:173]
	v_fma_f64 v[6:7], v[166:167], v[170:171], -v[6:7]
	v_add_f64 v[8:9], v[4:5], v[6:7]
	scratch_load_dwordx4 v[4:7], off, off offset:512
	v_mul_f64 v[174:175], v[166:167], v[172:173]
	v_fmac_f64_e32 v[174:175], v[168:169], v[170:171]
	v_add_f64 v[104:105], v[104:105], v[174:175]
	s_waitcnt vmcnt(0)
	v_add_f64 v[4:5], v[4:5], -v[8:9]
	v_add_f64 v[6:7], v[6:7], -v[104:105]
	scratch_store_dwordx4 off, v[4:7], off offset:512
	s_and_saveexec_b64 s[0:1], vcc
	s_cbranch_execz .LBB52_271
; %bb.270:
	scratch_load_dwordx4 v[6:9], off, s61
	v_mov_b32_e32 v3, v2
	v_mov_b32_e32 v4, v2
	;; [unrolled: 1-line block ×3, first 2 shown]
	v_accvgpr_read_b32 v0, a107
	scratch_store_dwordx4 off, v[2:5], off offset:496
	s_waitcnt vmcnt(1)
	ds_write_b128 v0, v[6:9]
.LBB52_271:
	s_or_b64 exec, exec, s[0:1]
	s_waitcnt lgkmcnt(0)
	; wave barrier
	ds_read_b128 v[16:19], v2 offset:1344
	ds_read_b128 v[12:15], v2 offset:1360
	;; [unrolled: 1-line block ×4, first 2 shown]
	scratch_load_dwordx4 v[20:23], off, off offset:512
	scratch_load_dwordx4 v[40:43], off, off offset:576
	;; [unrolled: 1-line block ×16, first 2 shown]
	v_cmp_lt_u32_e32 vcc, 29, v246
	scratch_load_dwordx4 v[48:51], off, off offset:592
	scratch_load_dwordx4 v[56:59], off, off offset:608
	;; [unrolled: 1-line block ×3, first 2 shown]
	s_waitcnt vmcnt(18) lgkmcnt(3)
	v_mul_f64 v[24:25], v[16:17], v[22:23]
	v_fmac_f64_e32 v[24:25], v[18:19], v[20:21]
	v_add_f64 v[28:29], v[24:25], 0
	scratch_load_dwordx4 v[24:27], off, off offset:528
	s_waitcnt vmcnt(0) lgkmcnt(2)
	v_mul_f64 v[30:31], v[12:13], v[26:27]
	v_fmac_f64_e32 v[30:31], v[14:15], v[24:25]
	v_add_f64 v[32:33], v[28:29], v[30:31]
	scratch_load_dwordx4 v[28:31], off, off offset:544
	v_mul_f64 v[14:15], v[14:15], v[26:27]
	v_fma_f64 v[12:13], v[12:13], v[24:25], -v[14:15]
	s_waitcnt vmcnt(0) lgkmcnt(1)
	v_mul_f64 v[34:35], v[8:9], v[30:31]
	v_fmac_f64_e32 v[34:35], v[10:11], v[28:29]
	v_add_f64 v[36:37], v[32:33], v[34:35]
	scratch_load_dwordx4 v[32:35], off, off offset:560
	v_mul_f64 v[10:11], v[10:11], v[30:31]
	v_fma_f64 v[8:9], v[8:9], v[28:29], -v[10:11]
	s_waitcnt vmcnt(0) lgkmcnt(0)
	v_mul_f64 v[38:39], v[4:5], v[34:35]
	v_fmac_f64_e32 v[38:39], v[6:7], v[32:33]
	v_add_f64 v[44:45], v[36:37], v[38:39]
	ds_read_b128 v[36:39], v2 offset:1408
	v_mul_f64 v[6:7], v[6:7], v[34:35]
	v_fma_f64 v[4:5], v[4:5], v[32:33], -v[6:7]
	s_waitcnt lgkmcnt(0)
	v_mul_f64 v[46:47], v[36:37], v[42:43]
	v_fmac_f64_e32 v[46:47], v[38:39], v[40:41]
	v_add_f64 v[52:53], v[44:45], v[46:47]
	ds_read_b128 v[44:47], v2 offset:1424
	s_waitcnt lgkmcnt(0)
	v_mul_f64 v[54:55], v[44:45], v[50:51]
	v_fmac_f64_e32 v[54:55], v[46:47], v[48:49]
	v_add_f64 v[60:61], v[52:53], v[54:55]
	ds_read_b128 v[52:55], v2 offset:1440
	;; [unrolled: 5-line block ×17, first 2 shown]
	s_waitcnt lgkmcnt(0)
	v_mul_f64 v[2:3], v[174:175], v[180:181]
	v_fmac_f64_e32 v[2:3], v[176:177], v[178:179]
	v_add_f64 v[120:121], v[120:121], v[2:3]
	v_mul_f64 v[2:3], v[18:19], v[22:23]
	v_fma_f64 v[2:3], v[16:17], v[20:21], -v[2:3]
	v_add_f64 v[2:3], v[2:3], 0
	v_add_f64 v[2:3], v[2:3], v[12:13]
	;; [unrolled: 1-line block ×4, first 2 shown]
	v_mul_f64 v[4:5], v[38:39], v[42:43]
	v_fma_f64 v[4:5], v[36:37], v[40:41], -v[4:5]
	v_add_f64 v[2:3], v[2:3], v[4:5]
	v_mul_f64 v[4:5], v[46:47], v[50:51]
	v_fma_f64 v[4:5], v[44:45], v[48:49], -v[4:5]
	v_add_f64 v[2:3], v[2:3], v[4:5]
	;; [unrolled: 3-line block ×18, first 2 shown]
	scratch_load_dwordx4 v[2:5], off, off offset:496
	s_waitcnt vmcnt(0)
	v_add_f64 v[2:3], v[2:3], -v[6:7]
	v_add_f64 v[4:5], v[4:5], -v[120:121]
	scratch_store_dwordx4 off, v[2:5], off offset:496
	s_and_saveexec_b64 s[0:1], vcc
	s_cbranch_execz .LBB52_273
; %bb.272:
	scratch_load_dwordx4 v[2:5], off, s60
	v_mov_b32_e32 v6, 0
	v_mov_b32_e32 v7, v6
	v_mov_b32_e32 v8, v6
	v_mov_b32_e32 v9, v6
	v_accvgpr_read_b32 v0, a107
	scratch_store_dwordx4 off, v[6:9], off offset:480
	s_waitcnt vmcnt(1)
	ds_write_b128 v0, v[2:5]
.LBB52_273:
	s_or_b64 exec, exec, s[0:1]
	v_mov_b32_e32 v2, 0
	s_waitcnt lgkmcnt(0)
	; wave barrier
	ds_read_b128 v[16:19], v2 offset:1328
	ds_read_b128 v[12:15], v2 offset:1344
	;; [unrolled: 1-line block ×4, first 2 shown]
	scratch_load_dwordx4 v[20:23], off, off offset:496
	scratch_load_dwordx4 v[40:43], off, off offset:560
	;; [unrolled: 1-line block ×17, first 2 shown]
	v_cmp_lt_u32_e32 vcc, 28, v246
	scratch_load_dwordx4 v[48:51], off, off offset:576
	scratch_load_dwordx4 v[56:59], off, off offset:592
	;; [unrolled: 1-line block ×3, first 2 shown]
	s_waitcnt vmcnt(19) lgkmcnt(3)
	v_mul_f64 v[24:25], v[16:17], v[22:23]
	v_fmac_f64_e32 v[24:25], v[18:19], v[20:21]
	v_add_f64 v[28:29], v[24:25], 0
	scratch_load_dwordx4 v[24:27], off, off offset:512
	v_mul_f64 v[18:19], v[18:19], v[22:23]
	v_fma_f64 v[16:17], v[16:17], v[20:21], -v[18:19]
	v_add_f64 v[16:17], v[16:17], 0
	s_waitcnt vmcnt(0) lgkmcnt(2)
	v_mul_f64 v[30:31], v[12:13], v[26:27]
	v_fmac_f64_e32 v[30:31], v[14:15], v[24:25]
	v_add_f64 v[32:33], v[28:29], v[30:31]
	scratch_load_dwordx4 v[28:31], off, off offset:528
	v_mul_f64 v[14:15], v[14:15], v[26:27]
	v_fma_f64 v[12:13], v[12:13], v[24:25], -v[14:15]
	v_add_f64 v[12:13], v[16:17], v[12:13]
	;; [unrolled: 8-line block ×3, first 2 shown]
	s_waitcnt vmcnt(0) lgkmcnt(0)
	v_mul_f64 v[38:39], v[4:5], v[34:35]
	v_fmac_f64_e32 v[38:39], v[6:7], v[32:33]
	v_add_f64 v[44:45], v[36:37], v[38:39]
	ds_read_b128 v[36:39], v2 offset:1392
	v_mul_f64 v[6:7], v[6:7], v[34:35]
	v_fma_f64 v[4:5], v[4:5], v[32:33], -v[6:7]
	v_add_f64 v[4:5], v[8:9], v[4:5]
	s_waitcnt lgkmcnt(0)
	v_mul_f64 v[46:47], v[36:37], v[42:43]
	v_fmac_f64_e32 v[46:47], v[38:39], v[40:41]
	v_add_f64 v[52:53], v[44:45], v[46:47]
	ds_read_b128 v[44:47], v2 offset:1408
	v_mul_f64 v[6:7], v[38:39], v[42:43]
	v_fma_f64 v[6:7], v[36:37], v[40:41], -v[6:7]
	v_add_f64 v[4:5], v[4:5], v[6:7]
	s_waitcnt lgkmcnt(0)
	;; [unrolled: 8-line block ×19, first 2 shown]
	v_mul_f64 v[6:7], v[184:185], v[188:189]
	v_fma_f64 v[6:7], v[182:183], v[186:187], -v[6:7]
	v_add_f64 v[8:9], v[4:5], v[6:7]
	scratch_load_dwordx4 v[4:7], off, off offset:480
	v_mul_f64 v[190:191], v[182:183], v[188:189]
	v_fmac_f64_e32 v[190:191], v[184:185], v[186:187]
	v_add_f64 v[128:129], v[128:129], v[190:191]
	s_waitcnt vmcnt(0)
	v_add_f64 v[4:5], v[4:5], -v[8:9]
	v_add_f64 v[6:7], v[6:7], -v[128:129]
	scratch_store_dwordx4 off, v[4:7], off offset:480
	s_and_saveexec_b64 s[0:1], vcc
	s_cbranch_execz .LBB52_275
; %bb.274:
	scratch_load_dwordx4 v[6:9], off, s59
	v_mov_b32_e32 v3, v2
	v_mov_b32_e32 v4, v2
	;; [unrolled: 1-line block ×3, first 2 shown]
	v_accvgpr_read_b32 v0, a107
	scratch_store_dwordx4 off, v[2:5], off offset:464
	s_waitcnt vmcnt(1)
	ds_write_b128 v0, v[6:9]
.LBB52_275:
	s_or_b64 exec, exec, s[0:1]
	s_waitcnt lgkmcnt(0)
	; wave barrier
	ds_read_b128 v[16:19], v2 offset:1312
	ds_read_b128 v[12:15], v2 offset:1328
	;; [unrolled: 1-line block ×4, first 2 shown]
	scratch_load_dwordx4 v[20:23], off, off offset:480
	scratch_load_dwordx4 v[40:43], off, off offset:544
	;; [unrolled: 1-line block ×18, first 2 shown]
	v_cmp_lt_u32_e32 vcc, 27, v246
	scratch_load_dwordx4 v[48:51], off, off offset:560
	scratch_load_dwordx4 v[56:59], off, off offset:576
	;; [unrolled: 1-line block ×3, first 2 shown]
	s_waitcnt vmcnt(20) lgkmcnt(3)
	v_mul_f64 v[24:25], v[16:17], v[22:23]
	v_fmac_f64_e32 v[24:25], v[18:19], v[20:21]
	v_add_f64 v[28:29], v[24:25], 0
	scratch_load_dwordx4 v[24:27], off, off offset:496
	s_waitcnt vmcnt(0) lgkmcnt(2)
	v_mul_f64 v[30:31], v[12:13], v[26:27]
	v_fmac_f64_e32 v[30:31], v[14:15], v[24:25]
	v_add_f64 v[32:33], v[28:29], v[30:31]
	scratch_load_dwordx4 v[28:31], off, off offset:512
	v_mul_f64 v[14:15], v[14:15], v[26:27]
	v_fma_f64 v[12:13], v[12:13], v[24:25], -v[14:15]
	s_waitcnt vmcnt(0) lgkmcnt(1)
	v_mul_f64 v[34:35], v[8:9], v[30:31]
	v_fmac_f64_e32 v[34:35], v[10:11], v[28:29]
	v_add_f64 v[36:37], v[32:33], v[34:35]
	scratch_load_dwordx4 v[32:35], off, off offset:528
	v_mul_f64 v[10:11], v[10:11], v[30:31]
	v_fma_f64 v[8:9], v[8:9], v[28:29], -v[10:11]
	s_waitcnt vmcnt(0) lgkmcnt(0)
	v_mul_f64 v[38:39], v[4:5], v[34:35]
	v_fmac_f64_e32 v[38:39], v[6:7], v[32:33]
	v_add_f64 v[44:45], v[36:37], v[38:39]
	ds_read_b128 v[36:39], v2 offset:1376
	v_mul_f64 v[6:7], v[6:7], v[34:35]
	v_fma_f64 v[4:5], v[4:5], v[32:33], -v[6:7]
	s_waitcnt lgkmcnt(0)
	v_mul_f64 v[46:47], v[36:37], v[42:43]
	v_fmac_f64_e32 v[46:47], v[38:39], v[40:41]
	v_add_f64 v[52:53], v[44:45], v[46:47]
	ds_read_b128 v[44:47], v2 offset:1392
	s_waitcnt lgkmcnt(0)
	v_mul_f64 v[54:55], v[44:45], v[50:51]
	v_fmac_f64_e32 v[54:55], v[46:47], v[48:49]
	v_add_f64 v[60:61], v[52:53], v[54:55]
	ds_read_b128 v[52:55], v2 offset:1408
	;; [unrolled: 5-line block ×19, first 2 shown]
	s_waitcnt lgkmcnt(0)
	v_mul_f64 v[2:3], v[190:191], v[196:197]
	v_fmac_f64_e32 v[2:3], v[192:193], v[194:195]
	v_add_f64 v[148:149], v[148:149], v[2:3]
	v_mul_f64 v[2:3], v[18:19], v[22:23]
	v_fma_f64 v[2:3], v[16:17], v[20:21], -v[2:3]
	v_add_f64 v[2:3], v[2:3], 0
	v_add_f64 v[2:3], v[2:3], v[12:13]
	;; [unrolled: 1-line block ×4, first 2 shown]
	v_mul_f64 v[4:5], v[38:39], v[42:43]
	v_fma_f64 v[4:5], v[36:37], v[40:41], -v[4:5]
	v_add_f64 v[2:3], v[2:3], v[4:5]
	v_mul_f64 v[4:5], v[46:47], v[50:51]
	v_fma_f64 v[4:5], v[44:45], v[48:49], -v[4:5]
	v_add_f64 v[2:3], v[2:3], v[4:5]
	;; [unrolled: 3-line block ×20, first 2 shown]
	scratch_load_dwordx4 v[2:5], off, off offset:464
	s_waitcnt vmcnt(0)
	v_add_f64 v[2:3], v[2:3], -v[6:7]
	v_add_f64 v[4:5], v[4:5], -v[148:149]
	scratch_store_dwordx4 off, v[2:5], off offset:464
	s_and_saveexec_b64 s[0:1], vcc
	s_cbranch_execz .LBB52_277
; %bb.276:
	scratch_load_dwordx4 v[2:5], off, s58
	v_mov_b32_e32 v6, 0
	v_mov_b32_e32 v7, v6
	;; [unrolled: 1-line block ×4, first 2 shown]
	v_accvgpr_read_b32 v0, a107
	scratch_store_dwordx4 off, v[6:9], off offset:448
	s_waitcnt vmcnt(1)
	ds_write_b128 v0, v[2:5]
.LBB52_277:
	s_or_b64 exec, exec, s[0:1]
	v_mov_b32_e32 v2, 0
	s_waitcnt lgkmcnt(0)
	; wave barrier
	ds_read_b128 v[16:19], v2 offset:1296
	ds_read_b128 v[12:15], v2 offset:1312
	;; [unrolled: 1-line block ×4, first 2 shown]
	scratch_load_dwordx4 v[20:23], off, off offset:464
	scratch_load_dwordx4 v[40:43], off, off offset:528
	;; [unrolled: 1-line block ×19, first 2 shown]
	v_cmp_lt_u32_e32 vcc, 26, v246
	scratch_load_dwordx4 v[48:51], off, off offset:544
	scratch_load_dwordx4 v[56:59], off, off offset:560
	scratch_load_dwordx4 v[64:67], off, off offset:576
	s_waitcnt vmcnt(21) lgkmcnt(3)
	v_mul_f64 v[24:25], v[16:17], v[22:23]
	v_fmac_f64_e32 v[24:25], v[18:19], v[20:21]
	v_add_f64 v[28:29], v[24:25], 0
	scratch_load_dwordx4 v[24:27], off, off offset:480
	v_mul_f64 v[18:19], v[18:19], v[22:23]
	v_fma_f64 v[16:17], v[16:17], v[20:21], -v[18:19]
	v_add_f64 v[16:17], v[16:17], 0
	s_waitcnt vmcnt(0) lgkmcnt(2)
	v_mul_f64 v[30:31], v[12:13], v[26:27]
	v_fmac_f64_e32 v[30:31], v[14:15], v[24:25]
	v_add_f64 v[32:33], v[28:29], v[30:31]
	scratch_load_dwordx4 v[28:31], off, off offset:496
	v_mul_f64 v[14:15], v[14:15], v[26:27]
	v_fma_f64 v[12:13], v[12:13], v[24:25], -v[14:15]
	v_add_f64 v[12:13], v[16:17], v[12:13]
	;; [unrolled: 8-line block ×3, first 2 shown]
	s_waitcnt vmcnt(0) lgkmcnt(0)
	v_mul_f64 v[38:39], v[4:5], v[34:35]
	v_fmac_f64_e32 v[38:39], v[6:7], v[32:33]
	v_add_f64 v[44:45], v[36:37], v[38:39]
	ds_read_b128 v[36:39], v2 offset:1360
	v_mul_f64 v[6:7], v[6:7], v[34:35]
	v_fma_f64 v[4:5], v[4:5], v[32:33], -v[6:7]
	v_add_f64 v[4:5], v[8:9], v[4:5]
	s_waitcnt lgkmcnt(0)
	v_mul_f64 v[46:47], v[36:37], v[42:43]
	v_fmac_f64_e32 v[46:47], v[38:39], v[40:41]
	v_add_f64 v[52:53], v[44:45], v[46:47]
	ds_read_b128 v[44:47], v2 offset:1376
	v_mul_f64 v[6:7], v[38:39], v[42:43]
	v_fma_f64 v[6:7], v[36:37], v[40:41], -v[6:7]
	v_add_f64 v[4:5], v[4:5], v[6:7]
	s_waitcnt lgkmcnt(0)
	;; [unrolled: 8-line block ×21, first 2 shown]
	v_mul_f64 v[6:7], v[200:201], v[204:205]
	v_fma_f64 v[6:7], v[198:199], v[202:203], -v[6:7]
	v_add_f64 v[8:9], v[4:5], v[6:7]
	scratch_load_dwordx4 v[4:7], off, off offset:448
	v_mul_f64 v[206:207], v[198:199], v[204:205]
	v_fmac_f64_e32 v[206:207], v[200:201], v[202:203]
	v_add_f64 v[144:145], v[144:145], v[206:207]
	s_waitcnt vmcnt(0)
	v_add_f64 v[4:5], v[4:5], -v[8:9]
	v_add_f64 v[6:7], v[6:7], -v[144:145]
	scratch_store_dwordx4 off, v[4:7], off offset:448
	s_and_saveexec_b64 s[0:1], vcc
	s_cbranch_execz .LBB52_279
; %bb.278:
	scratch_load_dwordx4 v[6:9], off, s57
	v_mov_b32_e32 v3, v2
	v_mov_b32_e32 v4, v2
	;; [unrolled: 1-line block ×3, first 2 shown]
	v_accvgpr_read_b32 v0, a107
	scratch_store_dwordx4 off, v[2:5], off offset:432
	s_waitcnt vmcnt(1)
	ds_write_b128 v0, v[6:9]
.LBB52_279:
	s_or_b64 exec, exec, s[0:1]
	s_waitcnt lgkmcnt(0)
	; wave barrier
	ds_read_b128 v[16:19], v2 offset:1280
	ds_read_b128 v[12:15], v2 offset:1296
	;; [unrolled: 1-line block ×4, first 2 shown]
	scratch_load_dwordx4 v[20:23], off, off offset:448
	scratch_load_dwordx4 v[40:43], off, off offset:512
	;; [unrolled: 1-line block ×20, first 2 shown]
	v_cmp_lt_u32_e32 vcc, 25, v246
	scratch_load_dwordx4 v[48:51], off, off offset:528
	scratch_load_dwordx4 v[56:59], off, off offset:544
	;; [unrolled: 1-line block ×3, first 2 shown]
	s_waitcnt vmcnt(22) lgkmcnt(3)
	v_mul_f64 v[24:25], v[16:17], v[22:23]
	v_fmac_f64_e32 v[24:25], v[18:19], v[20:21]
	v_add_f64 v[28:29], v[24:25], 0
	scratch_load_dwordx4 v[24:27], off, off offset:464
	s_waitcnt vmcnt(0) lgkmcnt(2)
	v_mul_f64 v[30:31], v[12:13], v[26:27]
	v_fmac_f64_e32 v[30:31], v[14:15], v[24:25]
	v_add_f64 v[32:33], v[28:29], v[30:31]
	scratch_load_dwordx4 v[28:31], off, off offset:480
	v_mul_f64 v[14:15], v[14:15], v[26:27]
	v_fma_f64 v[12:13], v[12:13], v[24:25], -v[14:15]
	s_waitcnt vmcnt(0) lgkmcnt(1)
	v_mul_f64 v[34:35], v[8:9], v[30:31]
	v_fmac_f64_e32 v[34:35], v[10:11], v[28:29]
	v_add_f64 v[36:37], v[32:33], v[34:35]
	scratch_load_dwordx4 v[32:35], off, off offset:496
	v_mul_f64 v[10:11], v[10:11], v[30:31]
	v_fma_f64 v[8:9], v[8:9], v[28:29], -v[10:11]
	s_waitcnt vmcnt(0) lgkmcnt(0)
	v_mul_f64 v[38:39], v[4:5], v[34:35]
	v_fmac_f64_e32 v[38:39], v[6:7], v[32:33]
	v_add_f64 v[44:45], v[36:37], v[38:39]
	ds_read_b128 v[36:39], v2 offset:1344
	v_mul_f64 v[6:7], v[6:7], v[34:35]
	v_fma_f64 v[4:5], v[4:5], v[32:33], -v[6:7]
	s_waitcnt lgkmcnt(0)
	v_mul_f64 v[46:47], v[36:37], v[42:43]
	v_fmac_f64_e32 v[46:47], v[38:39], v[40:41]
	v_add_f64 v[52:53], v[44:45], v[46:47]
	ds_read_b128 v[44:47], v2 offset:1360
	s_waitcnt lgkmcnt(0)
	v_mul_f64 v[54:55], v[44:45], v[50:51]
	v_fmac_f64_e32 v[54:55], v[46:47], v[48:49]
	v_add_f64 v[60:61], v[52:53], v[54:55]
	ds_read_b128 v[52:55], v2 offset:1376
	;; [unrolled: 5-line block ×21, first 2 shown]
	s_waitcnt lgkmcnt(0)
	v_mul_f64 v[2:3], v[206:207], v[212:213]
	v_fmac_f64_e32 v[2:3], v[208:209], v[210:211]
	v_add_f64 v[168:169], v[168:169], v[2:3]
	v_mul_f64 v[2:3], v[18:19], v[22:23]
	v_fma_f64 v[2:3], v[16:17], v[20:21], -v[2:3]
	v_add_f64 v[2:3], v[2:3], 0
	v_add_f64 v[2:3], v[2:3], v[12:13]
	;; [unrolled: 1-line block ×4, first 2 shown]
	v_mul_f64 v[4:5], v[38:39], v[42:43]
	v_fma_f64 v[4:5], v[36:37], v[40:41], -v[4:5]
	v_add_f64 v[2:3], v[2:3], v[4:5]
	v_mul_f64 v[4:5], v[46:47], v[50:51]
	v_fma_f64 v[4:5], v[44:45], v[48:49], -v[4:5]
	v_add_f64 v[2:3], v[2:3], v[4:5]
	v_mul_f64 v[4:5], v[54:55], v[58:59]
	v_fma_f64 v[4:5], v[52:53], v[56:57], -v[4:5]
	v_add_f64 v[2:3], v[2:3], v[4:5]
	v_mul_f64 v[4:5], v[62:63], v[66:67]
	v_fma_f64 v[4:5], v[60:61], v[64:65], -v[4:5]
	v_add_f64 v[2:3], v[2:3], v[4:5]
	v_mul_f64 v[4:5], v[70:71], v[74:75]
	v_fma_f64 v[4:5], v[68:69], v[72:73], -v[4:5]
	v_add_f64 v[2:3], v[2:3], v[4:5]
	v_mul_f64 v[4:5], v[78:79], v[82:83]
	v_fma_f64 v[4:5], v[76:77], v[80:81], -v[4:5]
	v_add_f64 v[2:3], v[2:3], v[4:5]
	v_mul_f64 v[4:5], v[86:87], v[90:91]
	v_fma_f64 v[4:5], v[84:85], v[88:89], -v[4:5]
	v_add_f64 v[2:3], v[2:3], v[4:5]
	v_mul_f64 v[4:5], v[94:95], v[98:99]
	v_fma_f64 v[4:5], v[92:93], v[96:97], -v[4:5]
	v_add_f64 v[2:3], v[2:3], v[4:5]
	v_mul_f64 v[4:5], v[102:103], v[106:107]
	v_fma_f64 v[4:5], v[100:101], v[104:105], -v[4:5]
	v_add_f64 v[2:3], v[2:3], v[4:5]
	v_mul_f64 v[4:5], v[110:111], v[114:115]
	v_fma_f64 v[4:5], v[108:109], v[112:113], -v[4:5]
	v_add_f64 v[2:3], v[2:3], v[4:5]
	v_mul_f64 v[4:5], v[118:119], v[122:123]
	v_fma_f64 v[4:5], v[116:117], v[120:121], -v[4:5]
	v_add_f64 v[2:3], v[2:3], v[4:5]
	v_mul_f64 v[4:5], v[126:127], v[130:131]
	v_fma_f64 v[4:5], v[124:125], v[128:129], -v[4:5]
	v_add_f64 v[2:3], v[2:3], v[4:5]
	v_mul_f64 v[4:5], v[134:135], v[138:139]
	v_fma_f64 v[4:5], v[132:133], v[136:137], -v[4:5]
	v_add_f64 v[2:3], v[2:3], v[4:5]
	v_mul_f64 v[4:5], v[142:143], v[146:147]
	v_fma_f64 v[4:5], v[140:141], v[144:145], -v[4:5]
	v_add_f64 v[2:3], v[2:3], v[4:5]
	v_mul_f64 v[4:5], v[150:151], v[154:155]
	v_fma_f64 v[4:5], v[148:149], v[152:153], -v[4:5]
	v_add_f64 v[2:3], v[2:3], v[4:5]
	v_mul_f64 v[4:5], v[158:159], v[162:163]
	v_fma_f64 v[4:5], v[156:157], v[160:161], -v[4:5]
	v_add_f64 v[2:3], v[2:3], v[4:5]
	v_mul_f64 v[4:5], v[166:167], v[172:173]
	v_fma_f64 v[4:5], v[164:165], v[170:171], -v[4:5]
	v_add_f64 v[2:3], v[2:3], v[4:5]
	v_mul_f64 v[4:5], v[176:177], v[180:181]
	v_fma_f64 v[4:5], v[174:175], v[178:179], -v[4:5]
	v_add_f64 v[2:3], v[2:3], v[4:5]
	v_mul_f64 v[4:5], v[184:185], v[188:189]
	v_fma_f64 v[4:5], v[182:183], v[186:187], -v[4:5]
	v_add_f64 v[2:3], v[2:3], v[4:5]
	v_mul_f64 v[4:5], v[192:193], v[196:197]
	v_fma_f64 v[4:5], v[190:191], v[194:195], -v[4:5]
	v_add_f64 v[2:3], v[2:3], v[4:5]
	v_mul_f64 v[4:5], v[200:201], v[204:205]
	v_fma_f64 v[4:5], v[198:199], v[202:203], -v[4:5]
	v_add_f64 v[2:3], v[2:3], v[4:5]
	v_mul_f64 v[4:5], v[208:209], v[212:213]
	v_fma_f64 v[4:5], v[206:207], v[210:211], -v[4:5]
	v_add_f64 v[6:7], v[2:3], v[4:5]
	scratch_load_dwordx4 v[2:5], off, off offset:432
	s_waitcnt vmcnt(0)
	v_add_f64 v[2:3], v[2:3], -v[6:7]
	v_add_f64 v[4:5], v[4:5], -v[168:169]
	scratch_store_dwordx4 off, v[2:5], off offset:432
	s_and_saveexec_b64 s[0:1], vcc
	s_cbranch_execz .LBB52_281
; %bb.280:
	scratch_load_dwordx4 v[2:5], off, s56
	v_mov_b32_e32 v6, 0
	v_mov_b32_e32 v7, v6
	;; [unrolled: 1-line block ×4, first 2 shown]
	v_accvgpr_read_b32 v0, a107
	scratch_store_dwordx4 off, v[6:9], off offset:416
	s_waitcnt vmcnt(1)
	ds_write_b128 v0, v[2:5]
.LBB52_281:
	s_or_b64 exec, exec, s[0:1]
	v_mov_b32_e32 v2, 0
	s_waitcnt lgkmcnt(0)
	; wave barrier
	ds_read_b128 v[16:19], v2 offset:1264
	ds_read_b128 v[12:15], v2 offset:1280
	;; [unrolled: 1-line block ×4, first 2 shown]
	scratch_load_dwordx4 v[20:23], off, off offset:432
	scratch_load_dwordx4 v[40:43], off, off offset:496
	;; [unrolled: 1-line block ×21, first 2 shown]
	v_cmp_lt_u32_e32 vcc, 24, v246
	scratch_load_dwordx4 v[48:51], off, off offset:512
	scratch_load_dwordx4 v[56:59], off, off offset:528
	;; [unrolled: 1-line block ×3, first 2 shown]
	s_waitcnt vmcnt(23) lgkmcnt(3)
	v_mul_f64 v[24:25], v[16:17], v[22:23]
	v_fmac_f64_e32 v[24:25], v[18:19], v[20:21]
	v_add_f64 v[28:29], v[24:25], 0
	scratch_load_dwordx4 v[24:27], off, off offset:448
	v_mul_f64 v[18:19], v[18:19], v[22:23]
	v_fma_f64 v[16:17], v[16:17], v[20:21], -v[18:19]
	v_add_f64 v[16:17], v[16:17], 0
	s_waitcnt vmcnt(0) lgkmcnt(2)
	v_mul_f64 v[30:31], v[12:13], v[26:27]
	v_fmac_f64_e32 v[30:31], v[14:15], v[24:25]
	v_add_f64 v[32:33], v[28:29], v[30:31]
	scratch_load_dwordx4 v[28:31], off, off offset:464
	v_mul_f64 v[14:15], v[14:15], v[26:27]
	v_fma_f64 v[12:13], v[12:13], v[24:25], -v[14:15]
	v_add_f64 v[12:13], v[16:17], v[12:13]
	;; [unrolled: 8-line block ×3, first 2 shown]
	s_waitcnt vmcnt(0) lgkmcnt(0)
	v_mul_f64 v[38:39], v[4:5], v[34:35]
	v_fmac_f64_e32 v[38:39], v[6:7], v[32:33]
	v_add_f64 v[44:45], v[36:37], v[38:39]
	ds_read_b128 v[36:39], v2 offset:1328
	v_mul_f64 v[6:7], v[6:7], v[34:35]
	v_fma_f64 v[4:5], v[4:5], v[32:33], -v[6:7]
	v_add_f64 v[4:5], v[8:9], v[4:5]
	s_waitcnt lgkmcnt(0)
	v_mul_f64 v[46:47], v[36:37], v[42:43]
	v_fmac_f64_e32 v[46:47], v[38:39], v[40:41]
	v_add_f64 v[52:53], v[44:45], v[46:47]
	ds_read_b128 v[44:47], v2 offset:1344
	v_mul_f64 v[6:7], v[38:39], v[42:43]
	v_fma_f64 v[6:7], v[36:37], v[40:41], -v[6:7]
	v_add_f64 v[4:5], v[4:5], v[6:7]
	s_waitcnt lgkmcnt(0)
	;; [unrolled: 8-line block ×23, first 2 shown]
	v_mul_f64 v[6:7], v[216:217], v[220:221]
	v_fma_f64 v[6:7], v[214:215], v[218:219], -v[6:7]
	v_add_f64 v[8:9], v[4:5], v[6:7]
	scratch_load_dwordx4 v[4:7], off, off offset:416
	v_mul_f64 v[222:223], v[214:215], v[220:221]
	v_fmac_f64_e32 v[222:223], v[216:217], v[218:219]
	v_add_f64 v[160:161], v[160:161], v[222:223]
	s_waitcnt vmcnt(0)
	v_add_f64 v[4:5], v[4:5], -v[8:9]
	v_add_f64 v[6:7], v[6:7], -v[160:161]
	scratch_store_dwordx4 off, v[4:7], off offset:416
	s_and_saveexec_b64 s[0:1], vcc
	s_cbranch_execz .LBB52_283
; %bb.282:
	scratch_load_dwordx4 v[6:9], off, s55
	v_mov_b32_e32 v3, v2
	v_mov_b32_e32 v4, v2
	;; [unrolled: 1-line block ×3, first 2 shown]
	v_accvgpr_read_b32 v0, a107
	scratch_store_dwordx4 off, v[2:5], off offset:400
	s_waitcnt vmcnt(1)
	ds_write_b128 v0, v[6:9]
.LBB52_283:
	s_or_b64 exec, exec, s[0:1]
	s_waitcnt lgkmcnt(0)
	; wave barrier
	ds_read_b128 v[16:19], v2 offset:1248
	ds_read_b128 v[12:15], v2 offset:1264
	;; [unrolled: 1-line block ×4, first 2 shown]
	scratch_load_dwordx4 v[20:23], off, off offset:416
	scratch_load_dwordx4 v[40:43], off, off offset:480
	scratch_load_dwordx4 v[72:75], off, off offset:544
	scratch_load_dwordx4 v[80:83], off, off offset:560
	scratch_load_dwordx4 v[88:91], off, off offset:576
	scratch_load_dwordx4 v[96:99], off, off offset:592
	scratch_load_dwordx4 v[104:107], off, off offset:608
	scratch_load_dwordx4 v[112:115], off, off offset:624
	scratch_load_dwordx4 v[120:123], off, off offset:640
	scratch_load_dwordx4 v[128:131], off, off offset:656
	scratch_load_dwordx4 v[136:139], off, off offset:672
	scratch_load_dwordx4 v[144:147], off, off offset:688
	scratch_load_dwordx4 v[152:155], off, off offset:704
	scratch_load_dwordx4 v[160:163], off, off offset:720
	scratch_load_dwordx4 v[168:171], off, off offset:736
	scratch_load_dwordx4 v[178:181], off, off offset:752
	scratch_load_dwordx4 v[186:189], off, off offset:768
	scratch_load_dwordx4 v[194:197], off, off offset:784
	scratch_load_dwordx4 v[202:205], off, off offset:800
	scratch_load_dwordx4 v[210:213], off, off offset:816
	scratch_load_dwordx4 v[218:221], off, off offset:832
	scratch_load_dwordx4 v[226:229], off, off offset:848
	v_cmp_lt_u32_e32 vcc, 23, v246
	scratch_load_dwordx4 v[48:51], off, off offset:496
	scratch_load_dwordx4 v[56:59], off, off offset:512
	;; [unrolled: 1-line block ×3, first 2 shown]
	s_waitcnt vmcnt(24) lgkmcnt(3)
	v_mul_f64 v[24:25], v[16:17], v[22:23]
	v_fmac_f64_e32 v[24:25], v[18:19], v[20:21]
	v_add_f64 v[28:29], v[24:25], 0
	scratch_load_dwordx4 v[24:27], off, off offset:432
	s_waitcnt vmcnt(0) lgkmcnt(2)
	v_mul_f64 v[30:31], v[12:13], v[26:27]
	v_fmac_f64_e32 v[30:31], v[14:15], v[24:25]
	v_add_f64 v[32:33], v[28:29], v[30:31]
	scratch_load_dwordx4 v[28:31], off, off offset:448
	v_mul_f64 v[14:15], v[14:15], v[26:27]
	v_fma_f64 v[12:13], v[12:13], v[24:25], -v[14:15]
	s_waitcnt vmcnt(0) lgkmcnt(1)
	v_mul_f64 v[34:35], v[8:9], v[30:31]
	v_fmac_f64_e32 v[34:35], v[10:11], v[28:29]
	v_add_f64 v[36:37], v[32:33], v[34:35]
	scratch_load_dwordx4 v[32:35], off, off offset:464
	v_mul_f64 v[10:11], v[10:11], v[30:31]
	v_fma_f64 v[8:9], v[8:9], v[28:29], -v[10:11]
	s_waitcnt vmcnt(0) lgkmcnt(0)
	v_mul_f64 v[38:39], v[4:5], v[34:35]
	v_fmac_f64_e32 v[38:39], v[6:7], v[32:33]
	v_add_f64 v[44:45], v[36:37], v[38:39]
	ds_read_b128 v[36:39], v2 offset:1312
	v_mul_f64 v[6:7], v[6:7], v[34:35]
	v_fma_f64 v[4:5], v[4:5], v[32:33], -v[6:7]
	s_waitcnt lgkmcnt(0)
	v_mul_f64 v[46:47], v[36:37], v[42:43]
	v_fmac_f64_e32 v[46:47], v[38:39], v[40:41]
	v_add_f64 v[52:53], v[44:45], v[46:47]
	ds_read_b128 v[44:47], v2 offset:1328
	s_waitcnt lgkmcnt(0)
	v_mul_f64 v[54:55], v[44:45], v[50:51]
	v_fmac_f64_e32 v[54:55], v[46:47], v[48:49]
	v_add_f64 v[60:61], v[52:53], v[54:55]
	ds_read_b128 v[52:55], v2 offset:1344
	;; [unrolled: 5-line block ×23, first 2 shown]
	s_waitcnt lgkmcnt(0)
	v_mul_f64 v[2:3], v[222:223], v[228:229]
	v_fmac_f64_e32 v[2:3], v[224:225], v[226:227]
	v_add_f64 v[176:177], v[176:177], v[2:3]
	v_mul_f64 v[2:3], v[18:19], v[22:23]
	v_fma_f64 v[2:3], v[16:17], v[20:21], -v[2:3]
	v_add_f64 v[2:3], v[2:3], 0
	v_add_f64 v[2:3], v[2:3], v[12:13]
	;; [unrolled: 1-line block ×4, first 2 shown]
	v_mul_f64 v[4:5], v[38:39], v[42:43]
	v_fma_f64 v[4:5], v[36:37], v[40:41], -v[4:5]
	v_add_f64 v[2:3], v[2:3], v[4:5]
	v_mul_f64 v[4:5], v[46:47], v[50:51]
	v_fma_f64 v[4:5], v[44:45], v[48:49], -v[4:5]
	v_add_f64 v[2:3], v[2:3], v[4:5]
	;; [unrolled: 3-line block ×24, first 2 shown]
	scratch_load_dwordx4 v[2:5], off, off offset:400
	s_waitcnt vmcnt(0)
	v_add_f64 v[2:3], v[2:3], -v[6:7]
	v_add_f64 v[4:5], v[4:5], -v[176:177]
	scratch_store_dwordx4 off, v[2:5], off offset:400
	s_and_saveexec_b64 s[0:1], vcc
	s_cbranch_execz .LBB52_285
; %bb.284:
	scratch_load_dwordx4 v[2:5], off, s54
	v_mov_b32_e32 v6, 0
	v_mov_b32_e32 v7, v6
	;; [unrolled: 1-line block ×4, first 2 shown]
	v_accvgpr_read_b32 v0, a107
	scratch_store_dwordx4 off, v[6:9], off offset:384
	s_waitcnt vmcnt(1)
	ds_write_b128 v0, v[2:5]
.LBB52_285:
	s_or_b64 exec, exec, s[0:1]
	v_mov_b32_e32 v2, 0
	s_waitcnt lgkmcnt(0)
	; wave barrier
	ds_read_b128 v[16:19], v2 offset:1232
	ds_read_b128 v[12:15], v2 offset:1248
	;; [unrolled: 1-line block ×4, first 2 shown]
	scratch_load_dwordx4 v[20:23], off, off offset:400
	scratch_load_dwordx4 v[40:43], off, off offset:464
	;; [unrolled: 1-line block ×23, first 2 shown]
	v_cmp_lt_u32_e32 vcc, 22, v246
	scratch_load_dwordx4 v[48:51], off, off offset:480
	scratch_load_dwordx4 v[56:59], off, off offset:496
	;; [unrolled: 1-line block ×3, first 2 shown]
	s_waitcnt vmcnt(25) lgkmcnt(3)
	v_mul_f64 v[24:25], v[16:17], v[22:23]
	v_fmac_f64_e32 v[24:25], v[18:19], v[20:21]
	v_add_f64 v[28:29], v[24:25], 0
	scratch_load_dwordx4 v[24:27], off, off offset:416
	v_mul_f64 v[18:19], v[18:19], v[22:23]
	v_fma_f64 v[16:17], v[16:17], v[20:21], -v[18:19]
	v_add_f64 v[16:17], v[16:17], 0
	s_waitcnt vmcnt(0) lgkmcnt(2)
	v_mul_f64 v[30:31], v[12:13], v[26:27]
	v_fmac_f64_e32 v[30:31], v[14:15], v[24:25]
	v_add_f64 v[32:33], v[28:29], v[30:31]
	scratch_load_dwordx4 v[28:31], off, off offset:432
	v_mul_f64 v[14:15], v[14:15], v[26:27]
	v_fma_f64 v[12:13], v[12:13], v[24:25], -v[14:15]
	v_add_f64 v[12:13], v[16:17], v[12:13]
	;; [unrolled: 8-line block ×3, first 2 shown]
	s_waitcnt vmcnt(0) lgkmcnt(0)
	v_mul_f64 v[38:39], v[4:5], v[34:35]
	v_fmac_f64_e32 v[38:39], v[6:7], v[32:33]
	v_add_f64 v[44:45], v[36:37], v[38:39]
	ds_read_b128 v[36:39], v2 offset:1296
	v_mul_f64 v[6:7], v[6:7], v[34:35]
	v_fma_f64 v[4:5], v[4:5], v[32:33], -v[6:7]
	v_add_f64 v[4:5], v[8:9], v[4:5]
	s_waitcnt lgkmcnt(0)
	v_mul_f64 v[46:47], v[36:37], v[42:43]
	v_fmac_f64_e32 v[46:47], v[38:39], v[40:41]
	v_add_f64 v[52:53], v[44:45], v[46:47]
	ds_read_b128 v[44:47], v2 offset:1312
	v_mul_f64 v[6:7], v[38:39], v[42:43]
	v_fma_f64 v[6:7], v[36:37], v[40:41], -v[6:7]
	v_add_f64 v[4:5], v[4:5], v[6:7]
	s_waitcnt lgkmcnt(0)
	;; [unrolled: 8-line block ×25, first 2 shown]
	v_mul_f64 v[6:7], v[232:233], v[236:237]
	v_fma_f64 v[6:7], v[230:231], v[234:235], -v[6:7]
	v_add_f64 v[8:9], v[4:5], v[6:7]
	scratch_load_dwordx4 v[4:7], off, off offset:384
	v_mul_f64 v[238:239], v[230:231], v[236:237]
	v_fmac_f64_e32 v[238:239], v[232:233], v[234:235]
	v_add_f64 v[176:177], v[176:177], v[238:239]
	s_waitcnt vmcnt(0)
	v_add_f64 v[4:5], v[4:5], -v[8:9]
	v_add_f64 v[6:7], v[6:7], -v[176:177]
	scratch_store_dwordx4 off, v[4:7], off offset:384
	s_and_saveexec_b64 s[0:1], vcc
	s_cbranch_execz .LBB52_287
; %bb.286:
	scratch_load_dwordx4 v[6:9], off, s53
	v_mov_b32_e32 v3, v2
	v_mov_b32_e32 v4, v2
	;; [unrolled: 1-line block ×3, first 2 shown]
	v_accvgpr_read_b32 v0, a107
	scratch_store_dwordx4 off, v[2:5], off offset:368
	s_waitcnt vmcnt(1)
	ds_write_b128 v0, v[6:9]
.LBB52_287:
	s_or_b64 exec, exec, s[0:1]
	s_waitcnt lgkmcnt(0)
	; wave barrier
	ds_read_b128 v[16:19], v2 offset:1216
	ds_read_b128 v[12:15], v2 offset:1232
	;; [unrolled: 1-line block ×4, first 2 shown]
	scratch_load_dwordx4 v[20:23], off, off offset:384
	scratch_load_dwordx4 v[40:43], off, off offset:448
	;; [unrolled: 1-line block ×23, first 2 shown]
	v_cmp_lt_u32_e32 vcc, 21, v246
	scratch_load_dwordx4 v[48:51], off, off offset:464
	scratch_load_dwordx4 v[56:59], off, off offset:480
	;; [unrolled: 1-line block ×3, first 2 shown]
	ds_read_b128 v[250:253], v2 offset:1680
	s_waitcnt vmcnt(25) lgkmcnt(4)
	v_mul_f64 v[24:25], v[16:17], v[22:23]
	v_fmac_f64_e32 v[24:25], v[18:19], v[20:21]
	v_add_f64 v[28:29], v[24:25], 0
	scratch_load_dwordx4 v[24:27], off, off offset:400
	s_waitcnt vmcnt(0) lgkmcnt(3)
	v_mul_f64 v[30:31], v[12:13], v[26:27]
	v_fmac_f64_e32 v[30:31], v[14:15], v[24:25]
	v_add_f64 v[32:33], v[28:29], v[30:31]
	scratch_load_dwordx4 v[28:31], off, off offset:416
	v_mul_f64 v[14:15], v[14:15], v[26:27]
	v_fma_f64 v[12:13], v[12:13], v[24:25], -v[14:15]
	s_waitcnt vmcnt(0) lgkmcnt(2)
	v_mul_f64 v[34:35], v[8:9], v[30:31]
	v_fmac_f64_e32 v[34:35], v[10:11], v[28:29]
	v_add_f64 v[36:37], v[32:33], v[34:35]
	scratch_load_dwordx4 v[32:35], off, off offset:432
	v_mul_f64 v[10:11], v[10:11], v[30:31]
	v_fma_f64 v[8:9], v[8:9], v[28:29], -v[10:11]
	s_waitcnt vmcnt(0) lgkmcnt(1)
	v_mul_f64 v[38:39], v[4:5], v[34:35]
	v_fmac_f64_e32 v[38:39], v[6:7], v[32:33]
	v_add_f64 v[44:45], v[36:37], v[38:39]
	ds_read_b128 v[36:39], v2 offset:1280
	v_mul_f64 v[6:7], v[6:7], v[34:35]
	v_fma_f64 v[4:5], v[4:5], v[32:33], -v[6:7]
	s_waitcnt lgkmcnt(0)
	v_mul_f64 v[46:47], v[36:37], v[42:43]
	v_fmac_f64_e32 v[46:47], v[38:39], v[40:41]
	v_add_f64 v[52:53], v[44:45], v[46:47]
	ds_read_b128 v[44:47], v2 offset:1296
	s_waitcnt lgkmcnt(0)
	v_mul_f64 v[54:55], v[44:45], v[50:51]
	v_fmac_f64_e32 v[54:55], v[46:47], v[48:49]
	v_add_f64 v[60:61], v[52:53], v[54:55]
	ds_read_b128 v[52:55], v2 offset:1312
	;; [unrolled: 5-line block ×24, first 2 shown]
	s_waitcnt lgkmcnt(0)
	v_mul_f64 v[238:239], v[230:231], v[236:237]
	v_fmac_f64_e32 v[238:239], v[232:233], v[234:235]
	v_add_f64 v[184:185], v[184:185], v[238:239]
	scratch_load_dwordx4 v[238:241], off, off offset:848
	s_waitcnt vmcnt(0)
	v_mul_f64 v[2:3], v[250:251], v[240:241]
	v_fmac_f64_e32 v[2:3], v[252:253], v[238:239]
	v_add_f64 v[184:185], v[184:185], v[2:3]
	v_mul_f64 v[2:3], v[18:19], v[22:23]
	v_fma_f64 v[2:3], v[16:17], v[20:21], -v[2:3]
	v_add_f64 v[2:3], v[2:3], 0
	v_add_f64 v[2:3], v[2:3], v[12:13]
	;; [unrolled: 1-line block ×4, first 2 shown]
	v_mul_f64 v[4:5], v[38:39], v[42:43]
	v_fma_f64 v[4:5], v[36:37], v[40:41], -v[4:5]
	v_add_f64 v[2:3], v[2:3], v[4:5]
	v_mul_f64 v[4:5], v[46:47], v[50:51]
	v_fma_f64 v[4:5], v[44:45], v[48:49], -v[4:5]
	v_add_f64 v[2:3], v[2:3], v[4:5]
	;; [unrolled: 3-line block ×26, first 2 shown]
	scratch_load_dwordx4 v[2:5], off, off offset:368
	s_waitcnt vmcnt(0)
	v_add_f64 v[2:3], v[2:3], -v[6:7]
	v_add_f64 v[4:5], v[4:5], -v[184:185]
	scratch_store_dwordx4 off, v[2:5], off offset:368
	s_and_saveexec_b64 s[0:1], vcc
	s_cbranch_execz .LBB52_289
; %bb.288:
	scratch_load_dwordx4 v[2:5], off, s52
	v_mov_b32_e32 v6, 0
	v_mov_b32_e32 v7, v6
	;; [unrolled: 1-line block ×4, first 2 shown]
	v_accvgpr_read_b32 v0, a107
	scratch_store_dwordx4 off, v[6:9], off offset:352
	s_waitcnt vmcnt(1)
	ds_write_b128 v0, v[2:5]
.LBB52_289:
	s_or_b64 exec, exec, s[0:1]
	s_waitcnt lgkmcnt(0)
	; wave barrier
	scratch_load_dwordx4 v[16:19], off, off offset:368
	scratch_load_dwordx4 v[12:15], off, off offset:384
	;; [unrolled: 1-line block ×32, first 2 shown]
	v_mov_b32_e32 v2, 0
	ds_read_b128 v[132:135], v2 offset:1200
	ds_read_b128 v[136:139], v2 offset:1216
	;; [unrolled: 1-line block ×17, first 2 shown]
	v_cmp_lt_u32_e32 vcc, 20, v246
	s_waitcnt vmcnt(31) lgkmcnt(14)
	v_mul_f64 v[200:201], v[132:133], v[18:19]
	s_waitcnt vmcnt(30)
	v_mul_f64 v[202:203], v[136:137], v[14:15]
	v_fmac_f64_e32 v[200:201], v[134:135], v[16:17]
	s_waitcnt vmcnt(29)
	v_mul_f64 v[204:205], v[140:141], v[10:11]
	v_fmac_f64_e32 v[202:203], v[138:139], v[12:13]
	v_add_f64 v[200:201], v[200:201], 0
	s_waitcnt vmcnt(28) lgkmcnt(13)
	v_mul_f64 v[206:207], v[144:145], v[6:7]
	v_fmac_f64_e32 v[204:205], v[142:143], v[8:9]
	v_add_f64 v[200:201], v[200:201], v[202:203]
	s_waitcnt vmcnt(27) lgkmcnt(12)
	;; [unrolled: 4-line block ×12, first 2 shown]
	v_mul_f64 v[228:229], v[188:189], v[62:63]
	v_fmac_f64_e32 v[226:227], v[186:187], v[56:57]
	v_add_f64 v[200:201], v[200:201], v[224:225]
	v_fmac_f64_e32 v[228:229], v[190:191], v[60:61]
	v_add_f64 v[200:201], v[200:201], v[226:227]
	s_waitcnt vmcnt(16) lgkmcnt(1)
	v_mul_f64 v[202:203], v[192:193], v[66:67]
	v_add_f64 v[200:201], v[200:201], v[228:229]
	v_fmac_f64_e32 v[202:203], v[194:195], v[64:65]
	s_waitcnt vmcnt(15) lgkmcnt(0)
	v_mul_f64 v[206:207], v[196:197], v[70:71]
	v_add_f64 v[204:205], v[200:201], v[202:203]
	ds_read_b128 v[200:203], v2 offset:1472
	v_fmac_f64_e32 v[206:207], v[198:199], v[68:69]
	v_add_f64 v[208:209], v[204:205], v[206:207]
	ds_read_b128 v[204:207], v2 offset:1488
	v_mul_f64 v[18:19], v[134:135], v[18:19]
	s_waitcnt vmcnt(14) lgkmcnt(1)
	v_mul_f64 v[210:211], v[200:201], v[74:75]
	v_fmac_f64_e32 v[210:211], v[202:203], v[72:73]
	v_add_f64 v[212:213], v[208:209], v[210:211]
	s_waitcnt vmcnt(13) lgkmcnt(0)
	v_mul_f64 v[214:215], v[204:205], v[78:79]
	ds_read_b128 v[208:211], v2 offset:1504
	v_fmac_f64_e32 v[214:215], v[206:207], v[76:77]
	v_add_f64 v[216:217], v[212:213], v[214:215]
	ds_read_b128 v[212:215], v2 offset:1520
	v_fma_f64 v[250:251], v[132:133], v[16:17], -v[18:19]
	s_waitcnt vmcnt(12) lgkmcnt(1)
	v_mul_f64 v[218:219], v[208:209], v[82:83]
	v_fmac_f64_e32 v[218:219], v[210:211], v[80:81]
	v_add_f64 v[220:221], v[216:217], v[218:219]
	s_waitcnt vmcnt(11) lgkmcnt(0)
	v_mul_f64 v[222:223], v[212:213], v[86:87]
	ds_read_b128 v[216:219], v2 offset:1536
	v_fmac_f64_e32 v[222:223], v[214:215], v[84:85]
	v_add_f64 v[224:225], v[220:221], v[222:223]
	ds_read_b128 v[220:223], v2 offset:1552
	ds_read_b128 v[16:19], v2 offset:1632
	s_waitcnt vmcnt(10) lgkmcnt(2)
	v_mul_f64 v[226:227], v[216:217], v[90:91]
	v_fmac_f64_e32 v[226:227], v[218:219], v[88:89]
	v_add_f64 v[228:229], v[224:225], v[226:227]
	s_waitcnt vmcnt(9) lgkmcnt(1)
	v_mul_f64 v[230:231], v[220:221], v[94:95]
	ds_read_b128 v[224:227], v2 offset:1568
	v_fmac_f64_e32 v[230:231], v[222:223], v[92:93]
	v_add_f64 v[232:233], v[228:229], v[230:231]
	ds_read_b128 v[228:231], v2 offset:1584
	v_mul_f64 v[14:15], v[138:139], v[14:15]
	s_waitcnt vmcnt(8) lgkmcnt(1)
	v_mul_f64 v[234:235], v[224:225], v[98:99]
	v_fmac_f64_e32 v[234:235], v[226:227], v[96:97]
	v_add_f64 v[236:237], v[232:233], v[234:235]
	s_waitcnt vmcnt(7) lgkmcnt(0)
	v_mul_f64 v[238:239], v[228:229], v[102:103]
	ds_read_b128 v[232:235], v2 offset:1600
	v_fmac_f64_e32 v[238:239], v[230:231], v[100:101]
	v_add_f64 v[240:241], v[236:237], v[238:239]
	ds_read_b128 v[236:239], v2 offset:1616
	v_fma_f64 v[136:137], v[136:137], v[12:13], -v[14:15]
	s_waitcnt vmcnt(6) lgkmcnt(1)
	v_mul_f64 v[132:133], v[232:233], v[106:107]
	v_fmac_f64_e32 v[132:133], v[234:235], v[104:105]
	v_add_f64 v[132:133], v[240:241], v[132:133]
	s_waitcnt vmcnt(5) lgkmcnt(0)
	v_mul_f64 v[134:135], v[236:237], v[110:111]
	v_fmac_f64_e32 v[134:135], v[238:239], v[108:109]
	v_add_f64 v[132:133], v[132:133], v[134:135]
	ds_read_b128 v[12:15], v2 offset:1648
	s_waitcnt vmcnt(4)
	v_mul_f64 v[134:135], v[16:17], v[114:115]
	v_fmac_f64_e32 v[134:135], v[18:19], v[112:113]
	v_add_f64 v[138:139], v[132:133], v[134:135]
	ds_read_b128 v[132:135], v2 offset:1664
	v_mul_f64 v[10:11], v[142:143], v[10:11]
	v_fma_f64 v[140:141], v[140:141], v[8:9], -v[10:11]
	ds_read_b128 v[8:11], v2 offset:1680
	s_waitcnt vmcnt(3) lgkmcnt(2)
	v_mul_f64 v[142:143], v[12:13], v[118:119]
	v_fmac_f64_e32 v[142:143], v[14:15], v[116:117]
	v_add_f64 v[138:139], v[138:139], v[142:143]
	s_waitcnt vmcnt(2) lgkmcnt(1)
	v_mul_f64 v[142:143], v[132:133], v[122:123]
	v_fmac_f64_e32 v[142:143], v[134:135], v[120:121]
	v_add_f64 v[138:139], v[138:139], v[142:143]
	s_waitcnt vmcnt(1) lgkmcnt(0)
	v_mul_f64 v[142:143], v[8:9], v[126:127]
	v_fmac_f64_e32 v[142:143], v[10:11], v[124:125]
	v_add_f64 v[138:139], v[138:139], v[142:143]
	v_add_f64 v[142:143], v[250:251], 0
	v_add_f64 v[136:137], v[142:143], v[136:137]
	v_mul_f64 v[6:7], v[146:147], v[6:7]
	v_add_f64 v[136:137], v[136:137], v[140:141]
	v_fma_f64 v[4:5], v[144:145], v[4:5], -v[6:7]
	v_mul_f64 v[6:7], v[150:151], v[22:23]
	v_add_f64 v[4:5], v[136:137], v[4:5]
	v_fma_f64 v[6:7], v[148:149], v[20:21], -v[6:7]
	v_add_f64 v[4:5], v[4:5], v[6:7]
	v_mul_f64 v[6:7], v[154:155], v[26:27]
	v_fma_f64 v[6:7], v[152:153], v[24:25], -v[6:7]
	v_add_f64 v[4:5], v[4:5], v[6:7]
	v_mul_f64 v[6:7], v[158:159], v[30:31]
	;; [unrolled: 3-line block ×26, first 2 shown]
	v_fma_f64 v[6:7], v[8:9], v[124:125], -v[6:7]
	v_add_f64 v[4:5], v[4:5], v[6:7]
	s_waitcnt vmcnt(0)
	v_add_f64 v[4:5], v[128:129], -v[4:5]
	v_add_f64 v[6:7], v[130:131], -v[138:139]
	scratch_store_dwordx4 off, v[4:7], off offset:352
	s_and_saveexec_b64 s[0:1], vcc
	s_cbranch_execz .LBB52_291
; %bb.290:
	scratch_load_dwordx4 v[6:9], off, s51
	v_mov_b32_e32 v3, v2
	v_mov_b32_e32 v4, v2
	;; [unrolled: 1-line block ×3, first 2 shown]
	v_accvgpr_read_b32 v0, a107
	scratch_store_dwordx4 off, v[2:5], off offset:336
	s_waitcnt vmcnt(1)
	ds_write_b128 v0, v[6:9]
.LBB52_291:
	s_or_b64 exec, exec, s[0:1]
	s_waitcnt lgkmcnt(0)
	; wave barrier
	scratch_load_dwordx4 v[140:143], off, off offset:352
	scratch_load_dwordx4 v[148:151], off, off offset:368
	;; [unrolled: 1-line block ×16, first 2 shown]
	ds_read_b128 v[188:191], v2 offset:1184
	ds_read_b128 v[184:187], v2 offset:1200
	scratch_load_dwordx4 v[56:59], off, off offset:608
	ds_read_b128 v[192:195], v2 offset:1216
	ds_read_b128 v[68:71], v2 offset:1232
	scratch_load_dwordx4 v[60:63], off, off offset:624
	ds_read_b128 v[88:91], v2 offset:1248
	ds_read_b128 v[84:87], v2 offset:1264
	;; [unrolled: 1-line block ×4, first 2 shown]
	scratch_load_dwordx4 v[64:67], off, off offset:640
	ds_read_b128 v[100:103], v2 offset:1312
	ds_read_b128 v[96:99], v2 offset:1328
	scratch_load_dwordx4 v[72:75], off, off offset:656
	ds_read_b128 v[116:119], v2 offset:1344
	ds_read_b128 v[112:115], v2 offset:1360
	;; [unrolled: 1-line block ×4, first 2 shown]
	scratch_load_dwordx4 v[92:95], off, off offset:672
	ds_read_b128 v[132:135], v2 offset:1408
	ds_read_b128 v[128:131], v2 offset:1424
	;; [unrolled: 1-line block ×3, first 2 shown]
	scratch_load_dwordx4 v[120:123], off, off offset:688
	scratch_load_dwordx4 v[136:139], off, off offset:704
	;; [unrolled: 1-line block ×11, first 2 shown]
	v_cmp_lt_u32_e32 vcc, 19, v246
	s_waitcnt vmcnt(31) lgkmcnt(14)
	v_mul_f64 v[200:201], v[188:189], v[142:143]
	s_waitcnt vmcnt(30)
	v_mul_f64 v[202:203], v[184:185], v[150:151]
	v_fmac_f64_e32 v[200:201], v[190:191], v[140:141]
	s_waitcnt vmcnt(29)
	v_mul_f64 v[204:205], v[192:193], v[154:155]
	v_fmac_f64_e32 v[202:203], v[186:187], v[148:149]
	v_add_f64 v[200:201], v[200:201], 0
	s_waitcnt vmcnt(28) lgkmcnt(13)
	v_mul_f64 v[206:207], v[68:69], v[6:7]
	v_fmac_f64_e32 v[204:205], v[194:195], v[152:153]
	v_add_f64 v[200:201], v[200:201], v[202:203]
	s_waitcnt vmcnt(27) lgkmcnt(12)
	;; [unrolled: 4-line block ×13, first 2 shown]
	v_mul_f64 v[230:231], v[128:129], v[54:55]
	v_fmac_f64_e32 v[228:229], v[134:135], v[48:49]
	v_add_f64 v[200:201], v[200:201], v[226:227]
	v_add_f64 v[200:201], v[200:201], v[228:229]
	v_fmac_f64_e32 v[230:231], v[130:131], v[52:53]
	v_add_f64 v[204:205], v[200:201], v[230:231]
	ds_read_b128 v[200:203], v2 offset:1456
	s_waitcnt vmcnt(15) lgkmcnt(1)
	v_mul_f64 v[206:207], v[124:125], v[58:59]
	v_fmac_f64_e32 v[206:207], v[126:127], v[56:57]
	v_add_f64 v[208:209], v[204:205], v[206:207]
	ds_read_b128 v[204:207], v2 offset:1472
	s_waitcnt vmcnt(14) lgkmcnt(1)
	v_mul_f64 v[210:211], v[200:201], v[62:63]
	;; [unrolled: 5-line block ×10, first 2 shown]
	v_fmac_f64_e32 v[250:251], v[234:235], v[160:161]
	v_mul_f64 v[142:143], v[190:191], v[142:143]
	v_add_f64 v[240:241], v[240:241], v[250:251]
	v_fma_f64 v[250:251], v[188:189], v[140:141], -v[142:143]
	ds_read_b128 v[140:143], v2 offset:1616
	v_mul_f64 v[150:151], v[186:187], v[150:151]
	s_waitcnt vmcnt(5) lgkmcnt(1)
	v_mul_f64 v[188:189], v[236:237], v[166:167]
	v_fma_f64 v[252:253], v[184:185], v[148:149], -v[150:151]
	ds_read_b128 v[148:151], v2 offset:1632
	v_fmac_f64_e32 v[188:189], v[238:239], v[164:165]
	s_waitcnt vmcnt(4) lgkmcnt(1)
	v_mul_f64 v[184:185], v[140:141], v[170:171]
	v_add_f64 v[188:189], v[240:241], v[188:189]
	v_fmac_f64_e32 v[184:185], v[142:143], v[168:169]
	v_add_f64 v[188:189], v[188:189], v[184:185]
	ds_read_b128 v[184:187], v2 offset:1648
	v_mul_f64 v[154:155], v[194:195], v[154:155]
	s_waitcnt vmcnt(3) lgkmcnt(1)
	v_mul_f64 v[190:191], v[148:149], v[174:175]
	v_fma_f64 v[254:255], v[192:193], v[152:153], -v[154:155]
	ds_read_b128 v[152:155], v2 offset:1664
	v_fmac_f64_e32 v[190:191], v[150:151], v[172:173]
	v_add_f64 v[240:241], v[188:189], v[190:191]
	ds_read_b128 v[188:191], v2 offset:1680
	s_waitcnt vmcnt(2) lgkmcnt(2)
	v_mul_f64 v[192:193], v[184:185], v[178:179]
	v_fmac_f64_e32 v[192:193], v[186:187], v[176:177]
	v_add_f64 v[2:3], v[240:241], v[192:193]
	s_waitcnt vmcnt(1) lgkmcnt(1)
	v_mul_f64 v[192:193], v[152:153], v[182:183]
	v_fmac_f64_e32 v[192:193], v[154:155], v[180:181]
	v_add_f64 v[2:3], v[2:3], v[192:193]
	;; [unrolled: 4-line block ×3, first 2 shown]
	scratch_load_dwordx4 v[192:195], off, off offset:336
	v_add_f64 v[240:241], v[250:251], 0
	v_add_f64 v[240:241], v[240:241], v[252:253]
	v_mul_f64 v[6:7], v[70:71], v[6:7]
	v_add_f64 v[240:241], v[240:241], v[254:255]
	v_fma_f64 v[4:5], v[68:69], v[4:5], -v[6:7]
	v_mul_f64 v[6:7], v[90:91], v[10:11]
	v_add_f64 v[4:5], v[240:241], v[4:5]
	v_fma_f64 v[6:7], v[88:89], v[8:9], -v[6:7]
	v_add_f64 v[4:5], v[4:5], v[6:7]
	v_mul_f64 v[6:7], v[86:87], v[14:15]
	v_fma_f64 v[6:7], v[84:85], v[12:13], -v[6:7]
	v_add_f64 v[4:5], v[4:5], v[6:7]
	v_mul_f64 v[6:7], v[82:83], v[18:19]
	;; [unrolled: 3-line block ×27, first 2 shown]
	v_fma_f64 v[6:7], v[188:189], v[196:197], -v[6:7]
	v_add_f64 v[4:5], v[4:5], v[6:7]
	s_waitcnt vmcnt(0)
	v_add_f64 v[4:5], v[192:193], -v[4:5]
	v_add_f64 v[6:7], v[194:195], -v[2:3]
	scratch_store_dwordx4 off, v[4:7], off offset:336
	s_and_saveexec_b64 s[0:1], vcc
	s_cbranch_execz .LBB52_293
; %bb.292:
	scratch_load_dwordx4 v[2:5], off, s50
	v_mov_b32_e32 v6, 0
	v_mov_b32_e32 v7, v6
	;; [unrolled: 1-line block ×4, first 2 shown]
	v_accvgpr_read_b32 v0, a107
	scratch_store_dwordx4 off, v[6:9], off offset:320
	s_waitcnt vmcnt(1)
	ds_write_b128 v0, v[2:5]
.LBB52_293:
	s_or_b64 exec, exec, s[0:1]
	s_waitcnt lgkmcnt(0)
	; wave barrier
	scratch_load_dwordx4 v[108:111], off, off offset:336
	scratch_load_dwordx4 v[116:119], off, off offset:352
	;; [unrolled: 1-line block ×33, first 2 shown]
	v_mov_b32_e32 v2, 0
	ds_read_b128 v[220:223], v2 offset:1168
	ds_read_b128 v[224:227], v2 offset:1184
	;; [unrolled: 1-line block ×16, first 2 shown]
	v_cmp_lt_u32_e32 vcc, 18, v246
	s_waitcnt vmcnt(32) lgkmcnt(14)
	v_mul_f64 v[180:181], v[220:221], v[110:111]
	s_waitcnt vmcnt(31)
	v_mul_f64 v[182:183], v[224:225], v[118:119]
	v_fmac_f64_e32 v[180:181], v[222:223], v[108:109]
	s_waitcnt vmcnt(30) lgkmcnt(13)
	v_mul_f64 v[184:185], v[234:235], v[122:123]
	v_fmac_f64_e32 v[182:183], v[226:227], v[116:117]
	v_add_f64 v[180:181], v[180:181], 0
	s_waitcnt vmcnt(29) lgkmcnt(12)
	v_mul_f64 v[186:187], v[238:239], v[126:127]
	v_fmac_f64_e32 v[184:185], v[236:237], v[120:121]
	v_add_f64 v[180:181], v[180:181], v[182:183]
	;; [unrolled: 4-line block ×13, first 2 shown]
	v_fmac_f64_e32 v[208:209], v[142:143], v[40:41]
	v_add_f64 v[180:181], v[180:181], v[206:207]
	v_add_f64 v[184:185], v[180:181], v[208:209]
	ds_read_b128 v[180:183], v2 offset:1424
	s_waitcnt vmcnt(17) lgkmcnt(1)
	v_mul_f64 v[186:187], v[136:137], v[46:47]
	v_fmac_f64_e32 v[186:187], v[138:139], v[44:45]
	v_add_f64 v[188:189], v[184:185], v[186:187]
	ds_read_b128 v[184:187], v2 offset:1440
	s_waitcnt vmcnt(16) lgkmcnt(1)
	v_mul_f64 v[190:191], v[180:181], v[50:51]
	v_fmac_f64_e32 v[190:191], v[182:183], v[48:49]
	;; [unrolled: 5-line block ×10, first 2 shown]
	v_mul_f64 v[110:111], v[222:223], v[110:111]
	v_add_f64 v[228:229], v[228:229], v[230:231]
	v_fma_f64 v[230:231], v[220:221], v[108:109], -v[110:111]
	ds_read_b128 v[108:111], v2 offset:1584
	s_waitcnt vmcnt(7) lgkmcnt(1)
	v_mul_f64 v[220:221], v[216:217], v[86:87]
	v_mul_f64 v[118:119], v[226:227], v[118:119]
	v_fmac_f64_e32 v[220:221], v[218:219], v[84:85]
	v_fma_f64 v[232:233], v[224:225], v[116:117], -v[118:119]
	ds_read_b128 v[116:119], v2 offset:1600
	s_waitcnt vmcnt(6) lgkmcnt(1)
	v_mul_f64 v[222:223], v[108:109], v[90:91]
	v_add_f64 v[220:221], v[228:229], v[220:221]
	v_fmac_f64_e32 v[222:223], v[110:111], v[88:89]
	v_add_f64 v[224:225], v[220:221], v[222:223]
	ds_read_b128 v[220:223], v2 offset:1616
	v_mul_f64 v[122:123], v[236:237], v[122:123]
	v_fma_f64 v[234:235], v[234:235], v[120:121], -v[122:123]
	ds_read_b128 v[120:123], v2 offset:1632
	s_waitcnt vmcnt(5) lgkmcnt(2)
	v_mul_f64 v[226:227], v[116:117], v[94:95]
	v_fmac_f64_e32 v[226:227], v[118:119], v[92:93]
	v_add_f64 v[224:225], v[224:225], v[226:227]
	s_waitcnt vmcnt(4) lgkmcnt(1)
	v_mul_f64 v[226:227], v[220:221], v[98:99]
	v_mul_f64 v[126:127], v[240:241], v[126:127]
	v_fmac_f64_e32 v[226:227], v[222:223], v[96:97]
	v_fma_f64 v[236:237], v[238:239], v[124:125], -v[126:127]
	s_waitcnt vmcnt(3) lgkmcnt(0)
	v_mul_f64 v[238:239], v[120:121], v[102:103]
	v_add_f64 v[228:229], v[224:225], v[226:227]
	v_fmac_f64_e32 v[238:239], v[122:123], v[100:101]
	v_mul_f64 v[130:131], v[252:253], v[130:131]
	v_add_f64 v[228:229], v[228:229], v[238:239]
	v_fma_f64 v[238:239], v[250:251], v[128:129], -v[130:131]
	scratch_load_dwordx4 v[250:253], off, off offset:320
	v_add_f64 v[230:231], v[230:231], 0
	v_add_f64 v[230:231], v[230:231], v[232:233]
	;; [unrolled: 1-line block ×4, first 2 shown]
	v_mul_f64 v[6:7], v[178:179], v[6:7]
	v_add_f64 v[230:231], v[230:231], v[238:239]
	v_fma_f64 v[4:5], v[176:177], v[4:5], -v[6:7]
	v_mul_f64 v[6:7], v[174:175], v[10:11]
	v_add_f64 v[4:5], v[230:231], v[4:5]
	v_fma_f64 v[6:7], v[172:173], v[8:9], -v[6:7]
	v_add_f64 v[4:5], v[4:5], v[6:7]
	v_mul_f64 v[6:7], v[170:171], v[14:15]
	v_fma_f64 v[6:7], v[168:169], v[12:13], -v[6:7]
	v_add_f64 v[4:5], v[4:5], v[6:7]
	v_mul_f64 v[6:7], v[166:167], v[18:19]
	;; [unrolled: 3-line block ×21, first 2 shown]
	ds_read_b128 v[124:127], v2 offset:1648
	ds_read_b128 v[224:227], v2 offset:1664
	v_fma_f64 v[6:7], v[116:117], v[92:93], -v[6:7]
	v_add_f64 v[4:5], v[4:5], v[6:7]
	v_mul_f64 v[6:7], v[222:223], v[98:99]
	v_fma_f64 v[6:7], v[220:221], v[96:97], -v[6:7]
	v_add_f64 v[4:5], v[4:5], v[6:7]
	v_mul_f64 v[6:7], v[122:123], v[102:103]
	ds_read_b128 v[128:131], v2 offset:1680
	v_fma_f64 v[6:7], v[120:121], v[100:101], -v[6:7]
	s_waitcnt vmcnt(3) lgkmcnt(2)
	v_mul_f64 v[240:241], v[124:125], v[106:107]
	v_add_f64 v[4:5], v[4:5], v[6:7]
	v_mul_f64 v[6:7], v[126:127], v[106:107]
	v_fmac_f64_e32 v[240:241], v[126:127], v[104:105]
	v_fma_f64 v[6:7], v[124:125], v[104:105], -v[6:7]
	v_add_f64 v[228:229], v[228:229], v[240:241]
	s_waitcnt vmcnt(2) lgkmcnt(1)
	v_mul_f64 v[240:241], v[224:225], v[114:115]
	v_add_f64 v[4:5], v[4:5], v[6:7]
	v_mul_f64 v[6:7], v[226:227], v[114:115]
	v_fmac_f64_e32 v[240:241], v[226:227], v[112:113]
	v_fma_f64 v[6:7], v[224:225], v[112:113], -v[6:7]
	v_add_f64 v[228:229], v[228:229], v[240:241]
	;; [unrolled: 7-line block ×3, first 2 shown]
	v_add_f64 v[4:5], v[4:5], v[6:7]
	s_waitcnt vmcnt(0)
	v_add_f64 v[4:5], v[250:251], -v[4:5]
	v_add_f64 v[6:7], v[252:253], -v[228:229]
	scratch_store_dwordx4 off, v[4:7], off offset:320
	s_and_saveexec_b64 s[0:1], vcc
	s_cbranch_execz .LBB52_295
; %bb.294:
	scratch_load_dwordx4 v[6:9], off, s49
	v_mov_b32_e32 v3, v2
	v_mov_b32_e32 v4, v2
	;; [unrolled: 1-line block ×3, first 2 shown]
	v_accvgpr_read_b32 v0, a107
	scratch_store_dwordx4 off, v[2:5], off offset:304
	s_waitcnt vmcnt(1)
	ds_write_b128 v0, v[6:9]
.LBB52_295:
	s_or_b64 exec, exec, s[0:1]
	s_waitcnt lgkmcnt(0)
	; wave barrier
	scratch_load_dwordx4 v[144:147], off, off offset:320
	scratch_load_dwordx4 v[152:155], off, off offset:336
	;; [unrolled: 1-line block ×16, first 2 shown]
	ds_read_b128 v[196:199], v2 offset:1152
	ds_read_b128 v[188:191], v2 offset:1168
	ds_read_b128 v[180:183], v2 offset:1184
	scratch_load_dwordx4 v[48:51], off, off offset:576
	ds_read_b128 v[192:195], v2 offset:1200
	ds_read_b128 v[184:187], v2 offset:1216
	ds_read_b128 v[64:67], v2 offset:1232
	scratch_load_dwordx4 v[52:55], off, off offset:592
	;; [unrolled: 4-line block ×5, first 2 shown]
	ds_read_b128 v[116:119], v2 offset:1392
	ds_read_b128 v[112:115], v2 offset:1408
	scratch_load_dwordx4 v[108:111], off, off offset:656
	scratch_load_dwordx4 v[120:123], off, off offset:672
	;; [unrolled: 1-line block ×12, first 2 shown]
	v_cmp_lt_u32_e32 vcc, 17, v246
	s_waitcnt vmcnt(32) lgkmcnt(14)
	v_mul_f64 v[204:205], v[196:197], v[146:147]
	s_waitcnt vmcnt(31)
	v_mul_f64 v[206:207], v[188:189], v[154:155]
	v_fmac_f64_e32 v[204:205], v[198:199], v[144:145]
	s_waitcnt vmcnt(30)
	v_mul_f64 v[208:209], v[180:181], v[158:159]
	v_fmac_f64_e32 v[206:207], v[190:191], v[152:153]
	v_add_f64 v[204:205], v[204:205], 0
	s_waitcnt vmcnt(29) lgkmcnt(13)
	v_mul_f64 v[210:211], v[192:193], v[162:163]
	v_fmac_f64_e32 v[208:209], v[182:183], v[156:157]
	v_add_f64 v[204:205], v[204:205], v[206:207]
	s_waitcnt vmcnt(28) lgkmcnt(12)
	;; [unrolled: 4-line block ×12, first 2 shown]
	v_mul_f64 v[232:233], v[96:97], v[42:43]
	v_fmac_f64_e32 v[230:231], v[102:103], v[36:37]
	v_add_f64 v[204:205], v[204:205], v[228:229]
	v_fmac_f64_e32 v[232:233], v[98:99], v[40:41]
	v_add_f64 v[204:205], v[204:205], v[230:231]
	s_waitcnt vmcnt(17) lgkmcnt(1)
	v_mul_f64 v[206:207], v[116:117], v[46:47]
	v_add_f64 v[204:205], v[204:205], v[232:233]
	v_fmac_f64_e32 v[206:207], v[118:119], v[44:45]
	s_waitcnt vmcnt(16) lgkmcnt(0)
	v_mul_f64 v[210:211], v[112:113], v[50:51]
	v_add_f64 v[208:209], v[204:205], v[206:207]
	ds_read_b128 v[204:207], v2 offset:1424
	v_fmac_f64_e32 v[210:211], v[114:115], v[48:49]
	v_add_f64 v[212:213], v[208:209], v[210:211]
	ds_read_b128 v[208:211], v2 offset:1440
	v_mul_f64 v[146:147], v[198:199], v[146:147]
	s_waitcnt vmcnt(15) lgkmcnt(1)
	v_mul_f64 v[214:215], v[204:205], v[54:55]
	v_fmac_f64_e32 v[214:215], v[206:207], v[52:53]
	v_add_f64 v[216:217], v[212:213], v[214:215]
	s_waitcnt vmcnt(14) lgkmcnt(0)
	v_mul_f64 v[218:219], v[208:209], v[58:59]
	ds_read_b128 v[212:215], v2 offset:1456
	v_fmac_f64_e32 v[218:219], v[210:211], v[56:57]
	v_add_f64 v[220:221], v[216:217], v[218:219]
	ds_read_b128 v[216:219], v2 offset:1472
	v_mul_f64 v[154:155], v[190:191], v[154:155]
	s_waitcnt vmcnt(13) lgkmcnt(1)
	v_mul_f64 v[222:223], v[212:213], v[62:63]
	v_fmac_f64_e32 v[222:223], v[214:215], v[60:61]
	v_add_f64 v[224:225], v[220:221], v[222:223]
	s_waitcnt vmcnt(12) lgkmcnt(0)
	v_mul_f64 v[226:227], v[216:217], v[94:95]
	ds_read_b128 v[220:223], v2 offset:1488
	v_fmac_f64_e32 v[226:227], v[218:219], v[92:93]
	v_add_f64 v[228:229], v[224:225], v[226:227]
	ds_read_b128 v[224:227], v2 offset:1504
	v_fma_f64 v[252:253], v[188:189], v[152:153], -v[154:155]
	s_waitcnt vmcnt(11) lgkmcnt(1)
	v_mul_f64 v[230:231], v[220:221], v[110:111]
	v_fmac_f64_e32 v[230:231], v[222:223], v[108:109]
	v_add_f64 v[232:233], v[228:229], v[230:231]
	s_waitcnt vmcnt(10) lgkmcnt(0)
	v_mul_f64 v[234:235], v[224:225], v[122:123]
	ds_read_b128 v[228:231], v2 offset:1520
	v_fmac_f64_e32 v[234:235], v[226:227], v[120:121]
	v_add_f64 v[236:237], v[232:233], v[234:235]
	ds_read_b128 v[232:235], v2 offset:1536
	ds_read_b128 v[152:155], v2 offset:1584
	s_waitcnt vmcnt(9) lgkmcnt(2)
	v_mul_f64 v[238:239], v[228:229], v[126:127]
	v_fmac_f64_e32 v[238:239], v[230:231], v[124:125]
	v_add_f64 v[240:241], v[236:237], v[238:239]
	s_waitcnt vmcnt(8) lgkmcnt(1)
	v_mul_f64 v[250:251], v[232:233], v[130:131]
	ds_read_b128 v[236:239], v2 offset:1552
	v_fmac_f64_e32 v[250:251], v[234:235], v[128:129]
	v_add_f64 v[240:241], v[240:241], v[250:251]
	v_fma_f64 v[250:251], v[196:197], v[144:145], -v[146:147]
	ds_read_b128 v[144:147], v2 offset:1568
	s_waitcnt vmcnt(7) lgkmcnt(1)
	v_mul_f64 v[196:197], v[236:237], v[134:135]
	v_fmac_f64_e32 v[196:197], v[238:239], v[132:133]
	v_add_f64 v[188:189], v[240:241], v[196:197]
	v_mul_f64 v[158:159], v[182:183], v[158:159]
	s_waitcnt vmcnt(6) lgkmcnt(0)
	v_mul_f64 v[190:191], v[144:145], v[138:139]
	v_fmac_f64_e32 v[190:191], v[146:147], v[136:137]
	v_add_f64 v[196:197], v[188:189], v[190:191]
	ds_read_b128 v[188:191], v2 offset:1600
	v_fma_f64 v[240:241], v[180:181], v[156:157], -v[158:159]
	ds_read_b128 v[156:159], v2 offset:1616
	s_waitcnt vmcnt(5)
	v_mul_f64 v[198:199], v[152:153], v[142:143]
	v_fmac_f64_e32 v[198:199], v[154:155], v[140:141]
	s_waitcnt vmcnt(4) lgkmcnt(1)
	v_mul_f64 v[180:181], v[188:189], v[150:151]
	v_add_f64 v[196:197], v[196:197], v[198:199]
	v_fmac_f64_e32 v[180:181], v[190:191], v[148:149]
	v_mul_f64 v[162:163], v[194:195], v[162:163]
	v_add_f64 v[198:199], v[196:197], v[180:181]
	v_fma_f64 v[196:197], v[192:193], v[160:161], -v[162:163]
	ds_read_b128 v[160:163], v2 offset:1632
	s_waitcnt vmcnt(3) lgkmcnt(1)
	v_mul_f64 v[192:193], v[156:157], v[166:167]
	ds_read_b128 v[180:183], v2 offset:1648
	v_fmac_f64_e32 v[192:193], v[158:159], v[164:165]
	v_mul_f64 v[170:171], v[186:187], v[170:171]
	v_add_f64 v[192:193], v[198:199], v[192:193]
	v_fma_f64 v[198:199], v[184:185], v[168:169], -v[170:171]
	ds_read_b128 v[168:171], v2 offset:1664
	s_waitcnt vmcnt(2) lgkmcnt(2)
	v_mul_f64 v[184:185], v[160:161], v[174:175]
	v_fmac_f64_e32 v[184:185], v[162:163], v[172:173]
	s_waitcnt vmcnt(1) lgkmcnt(1)
	v_mul_f64 v[186:187], v[180:181], v[178:179]
	v_add_f64 v[184:185], v[192:193], v[184:185]
	v_fmac_f64_e32 v[186:187], v[182:183], v[176:177]
	v_add_f64 v[184:185], v[184:185], v[186:187]
	s_waitcnt vmcnt(0) lgkmcnt(0)
	v_mul_f64 v[186:187], v[168:169], v[202:203]
	v_fmac_f64_e32 v[186:187], v[170:171], v[200:201]
	v_add_f64 v[254:255], v[184:185], v[186:187]
	scratch_load_dwordx4 v[184:187], off, off offset:848
	ds_read_b128 v[192:195], v2 offset:1680
	v_add_f64 v[250:251], v[250:251], 0
	v_add_f64 v[250:251], v[250:251], v[252:253]
	;; [unrolled: 1-line block ×4, first 2 shown]
	v_mul_f64 v[6:7], v[66:67], v[6:7]
	v_add_f64 v[196:197], v[196:197], v[198:199]
	v_fma_f64 v[4:5], v[64:65], v[4:5], -v[6:7]
	v_mul_f64 v[6:7], v[78:79], v[10:11]
	v_add_f64 v[4:5], v[196:197], v[4:5]
	v_fma_f64 v[6:7], v[76:77], v[8:9], -v[6:7]
	v_add_f64 v[4:5], v[4:5], v[6:7]
	v_mul_f64 v[6:7], v[74:75], v[14:15]
	v_fma_f64 v[6:7], v[72:73], v[12:13], -v[6:7]
	v_add_f64 v[4:5], v[4:5], v[6:7]
	v_mul_f64 v[6:7], v[70:71], v[18:19]
	v_fma_f64 v[6:7], v[68:69], v[16:17], -v[6:7]
	v_add_f64 v[4:5], v[4:5], v[6:7]
	v_mul_f64 v[6:7], v[90:91], v[22:23]
	v_fma_f64 v[6:7], v[88:89], v[20:21], -v[6:7]
	v_add_f64 v[4:5], v[4:5], v[6:7]
	v_mul_f64 v[6:7], v[86:87], v[26:27]
	v_fma_f64 v[6:7], v[84:85], v[24:25], -v[6:7]
	v_add_f64 v[4:5], v[4:5], v[6:7]
	v_mul_f64 v[6:7], v[82:83], v[30:31]
	v_fma_f64 v[6:7], v[80:81], v[28:29], -v[6:7]
	v_add_f64 v[4:5], v[4:5], v[6:7]
	v_mul_f64 v[6:7], v[106:107], v[34:35]
	v_fma_f64 v[6:7], v[104:105], v[32:33], -v[6:7]
	v_add_f64 v[4:5], v[4:5], v[6:7]
	v_mul_f64 v[6:7], v[102:103], v[38:39]
	v_fma_f64 v[6:7], v[100:101], v[36:37], -v[6:7]
	v_add_f64 v[4:5], v[4:5], v[6:7]
	v_mul_f64 v[6:7], v[98:99], v[42:43]
	v_fma_f64 v[6:7], v[96:97], v[40:41], -v[6:7]
	v_add_f64 v[4:5], v[4:5], v[6:7]
	v_mul_f64 v[6:7], v[118:119], v[46:47]
	v_fma_f64 v[6:7], v[116:117], v[44:45], -v[6:7]
	v_add_f64 v[4:5], v[4:5], v[6:7]
	v_mul_f64 v[6:7], v[114:115], v[50:51]
	v_fma_f64 v[6:7], v[112:113], v[48:49], -v[6:7]
	v_add_f64 v[4:5], v[4:5], v[6:7]
	v_mul_f64 v[6:7], v[206:207], v[54:55]
	v_fma_f64 v[6:7], v[204:205], v[52:53], -v[6:7]
	v_add_f64 v[4:5], v[4:5], v[6:7]
	v_mul_f64 v[6:7], v[210:211], v[58:59]
	v_fma_f64 v[6:7], v[208:209], v[56:57], -v[6:7]
	v_add_f64 v[4:5], v[4:5], v[6:7]
	v_mul_f64 v[6:7], v[214:215], v[62:63]
	v_fma_f64 v[6:7], v[212:213], v[60:61], -v[6:7]
	v_add_f64 v[4:5], v[4:5], v[6:7]
	v_mul_f64 v[6:7], v[218:219], v[94:95]
	v_fma_f64 v[6:7], v[216:217], v[92:93], -v[6:7]
	v_add_f64 v[4:5], v[4:5], v[6:7]
	v_mul_f64 v[6:7], v[222:223], v[110:111]
	v_fma_f64 v[6:7], v[220:221], v[108:109], -v[6:7]
	v_add_f64 v[4:5], v[4:5], v[6:7]
	v_mul_f64 v[6:7], v[226:227], v[122:123]
	v_fma_f64 v[6:7], v[224:225], v[120:121], -v[6:7]
	v_add_f64 v[4:5], v[4:5], v[6:7]
	v_mul_f64 v[6:7], v[230:231], v[126:127]
	v_fma_f64 v[6:7], v[228:229], v[124:125], -v[6:7]
	v_add_f64 v[4:5], v[4:5], v[6:7]
	v_mul_f64 v[6:7], v[234:235], v[130:131]
	v_fma_f64 v[6:7], v[232:233], v[128:129], -v[6:7]
	v_add_f64 v[4:5], v[4:5], v[6:7]
	v_mul_f64 v[6:7], v[238:239], v[134:135]
	v_fma_f64 v[6:7], v[236:237], v[132:133], -v[6:7]
	v_add_f64 v[4:5], v[4:5], v[6:7]
	v_mul_f64 v[6:7], v[146:147], v[138:139]
	v_fma_f64 v[6:7], v[144:145], v[136:137], -v[6:7]
	v_add_f64 v[4:5], v[4:5], v[6:7]
	v_mul_f64 v[6:7], v[154:155], v[142:143]
	v_fma_f64 v[6:7], v[152:153], v[140:141], -v[6:7]
	v_add_f64 v[4:5], v[4:5], v[6:7]
	v_mul_f64 v[6:7], v[190:191], v[150:151]
	v_fma_f64 v[6:7], v[188:189], v[148:149], -v[6:7]
	v_add_f64 v[4:5], v[4:5], v[6:7]
	v_mul_f64 v[6:7], v[158:159], v[166:167]
	s_waitcnt vmcnt(0) lgkmcnt(0)
	v_mul_f64 v[2:3], v[192:193], v[186:187]
	v_fmac_f64_e32 v[2:3], v[194:195], v[184:185]
	v_add_f64 v[2:3], v[254:255], v[2:3]
	scratch_load_dwordx4 v[252:255], off, off offset:304
	v_fma_f64 v[6:7], v[156:157], v[164:165], -v[6:7]
	v_add_f64 v[4:5], v[4:5], v[6:7]
	v_mul_f64 v[6:7], v[162:163], v[174:175]
	v_fma_f64 v[6:7], v[160:161], v[172:173], -v[6:7]
	v_add_f64 v[4:5], v[4:5], v[6:7]
	v_mul_f64 v[6:7], v[182:183], v[178:179]
	;; [unrolled: 3-line block ×4, first 2 shown]
	v_fma_f64 v[6:7], v[192:193], v[184:185], -v[6:7]
	v_add_f64 v[4:5], v[4:5], v[6:7]
	s_waitcnt vmcnt(0)
	v_add_f64 v[4:5], v[252:253], -v[4:5]
	v_add_f64 v[6:7], v[254:255], -v[2:3]
	scratch_store_dwordx4 off, v[4:7], off offset:304
	s_and_saveexec_b64 s[0:1], vcc
	s_cbranch_execz .LBB52_297
; %bb.296:
	scratch_load_dwordx4 v[2:5], off, s48
	v_mov_b32_e32 v6, 0
	v_mov_b32_e32 v7, v6
	;; [unrolled: 1-line block ×4, first 2 shown]
	v_accvgpr_read_b32 v0, a107
	scratch_store_dwordx4 off, v[6:9], off offset:288
	s_waitcnt vmcnt(1)
	ds_write_b128 v0, v[2:5]
.LBB52_297:
	s_or_b64 exec, exec, s[0:1]
	s_waitcnt lgkmcnt(0)
	; wave barrier
	scratch_load_dwordx4 v[184:187], off, off offset:304
	scratch_load_dwordx4 v[188:191], off, off offset:320
	;; [unrolled: 1-line block ×32, first 2 shown]
	v_mov_b32_e32 v2, 0
	ds_read_b128 v[192:195], v2 offset:1136
	ds_read_b128 v[204:207], v2 offset:1152
	;; [unrolled: 1-line block ×16, first 2 shown]
	v_cmp_lt_u32_e32 vcc, 16, v246
	s_waitcnt vmcnt(31) lgkmcnt(14)
	v_mul_f64 v[104:105], v[192:193], v[186:187]
	s_waitcnt vmcnt(30)
	v_mul_f64 v[106:107], v[204:205], v[190:191]
	v_fmac_f64_e32 v[104:105], v[194:195], v[184:185]
	s_waitcnt vmcnt(29) lgkmcnt(13)
	v_mul_f64 v[112:113], v[216:217], v[198:199]
	v_fmac_f64_e32 v[106:107], v[206:207], v[188:189]
	v_add_f64 v[104:105], v[104:105], 0
	s_waitcnt vmcnt(28) lgkmcnt(12)
	v_mul_f64 v[114:115], v[224:225], v[202:203]
	v_fmac_f64_e32 v[112:113], v[218:219], v[196:197]
	v_add_f64 v[104:105], v[104:105], v[106:107]
	;; [unrolled: 4-line block ×10, first 2 shown]
	ds_read_b128 v[152:155], v2 offset:1392
	ds_read_b128 v[156:159], v2 offset:1408
	s_waitcnt vmcnt(19) lgkmcnt(5)
	v_mul_f64 v[164:165], v[124:125], v[26:27]
	v_fmac_f64_e32 v[162:163], v[134:135], v[20:21]
	v_add_f64 v[104:105], v[104:105], v[160:161]
	s_waitcnt vmcnt(18) lgkmcnt(4)
	v_mul_f64 v[166:167], v[120:121], v[30:31]
	v_fmac_f64_e32 v[164:165], v[126:127], v[24:25]
	v_add_f64 v[104:105], v[104:105], v[162:163]
	;; [unrolled: 4-line block ×4, first 2 shown]
	v_add_f64 v[112:113], v[104:105], v[168:169]
	v_fmac_f64_e32 v[170:171], v[110:111], v[36:37]
	scratch_load_dwordx4 v[104:107], off, off offset:816
	s_waitcnt vmcnt(16) lgkmcnt(1)
	v_mul_f64 v[114:115], v[152:153], v[42:43]
	v_add_f64 v[112:113], v[112:113], v[170:171]
	v_fmac_f64_e32 v[114:115], v[154:155], v[40:41]
	v_add_f64 v[128:129], v[112:113], v[114:115]
	scratch_load_dwordx4 v[112:115], off, off offset:832
	s_waitcnt vmcnt(16) lgkmcnt(0)
	v_mul_f64 v[130:131], v[156:157], v[46:47]
	v_fmac_f64_e32 v[130:131], v[158:159], v[44:45]
	v_add_f64 v[168:169], v[128:129], v[130:131]
	scratch_load_dwordx4 v[128:131], off, off offset:848
	ds_read_b128 v[160:163], v2 offset:1424
	ds_read_b128 v[164:167], v2 offset:1440
	v_mul_f64 v[186:187], v[194:195], v[186:187]
	v_fma_f64 v[254:255], v[192:193], v[184:185], -v[186:187]
	ds_read_b128 v[184:187], v2 offset:1520
	s_waitcnt vmcnt(16) lgkmcnt(2)
	v_mul_f64 v[170:171], v[160:161], v[50:51]
	v_fmac_f64_e32 v[170:171], v[162:163], v[48:49]
	s_waitcnt vmcnt(15) lgkmcnt(1)
	v_mul_f64 v[174:175], v[164:165], v[54:55]
	v_add_f64 v[172:173], v[168:169], v[170:171]
	ds_read_b128 v[168:171], v2 offset:1456
	v_fmac_f64_e32 v[174:175], v[166:167], v[52:53]
	v_add_f64 v[176:177], v[172:173], v[174:175]
	ds_read_b128 v[172:175], v2 offset:1472
	v_mul_f64 v[190:191], v[206:207], v[190:191]
	s_waitcnt vmcnt(14) lgkmcnt(1)
	v_mul_f64 v[178:179], v[168:169], v[58:59]
	v_fmac_f64_e32 v[178:179], v[170:171], v[56:57]
	v_add_f64 v[180:181], v[176:177], v[178:179]
	s_waitcnt vmcnt(13) lgkmcnt(0)
	v_mul_f64 v[182:183], v[172:173], v[62:63]
	ds_read_b128 v[176:179], v2 offset:1488
	v_fmac_f64_e32 v[182:183], v[174:175], v[60:61]
	v_add_f64 v[232:233], v[180:181], v[182:183]
	ds_read_b128 v[180:183], v2 offset:1504
	v_fma_f64 v[242:243], v[204:205], v[188:189], -v[190:191]
	s_waitcnt vmcnt(12) lgkmcnt(1)
	v_mul_f64 v[234:235], v[176:177], v[66:67]
	v_fmac_f64_e32 v[234:235], v[178:179], v[64:65]
	v_add_f64 v[232:233], v[232:233], v[234:235]
	s_waitcnt vmcnt(11) lgkmcnt(0)
	v_mul_f64 v[192:193], v[180:181], v[70:71]
	v_fmac_f64_e32 v[192:193], v[182:183], v[68:69]
	ds_read_b128 v[188:191], v2 offset:1536
	s_waitcnt vmcnt(10)
	v_mul_f64 v[194:195], v[184:185], v[74:75]
	v_add_f64 v[192:193], v[232:233], v[192:193]
	v_fmac_f64_e32 v[194:195], v[186:187], v[72:73]
	v_add_f64 v[204:205], v[192:193], v[194:195]
	ds_read_b128 v[192:195], v2 offset:1552
	v_mul_f64 v[198:199], v[218:219], v[198:199]
	v_fma_f64 v[244:245], v[216:217], v[196:197], -v[198:199]
	ds_read_b128 v[196:199], v2 offset:1568
	s_waitcnt vmcnt(9) lgkmcnt(2)
	v_mul_f64 v[206:207], v[188:189], v[78:79]
	v_fmac_f64_e32 v[206:207], v[190:191], v[76:77]
	v_add_f64 v[204:205], v[204:205], v[206:207]
	s_waitcnt vmcnt(8) lgkmcnt(1)
	v_mul_f64 v[206:207], v[192:193], v[82:83]
	v_fmac_f64_e32 v[206:207], v[194:195], v[80:81]
	v_mul_f64 v[202:203], v[226:227], v[202:203]
	v_add_f64 v[204:205], v[204:205], v[206:207]
	v_fma_f64 v[234:235], v[224:225], v[200:201], -v[202:203]
	ds_read_b128 v[200:203], v2 offset:1584
	s_waitcnt vmcnt(7) lgkmcnt(1)
	v_mul_f64 v[206:207], v[196:197], v[86:87]
	v_fmac_f64_e32 v[206:207], v[198:199], v[84:85]
	v_add_f64 v[216:217], v[204:205], v[206:207]
	ds_read_b128 v[204:207], v2 offset:1600
	v_mul_f64 v[210:211], v[230:231], v[210:211]
	v_fma_f64 v[236:237], v[228:229], v[208:209], -v[210:211]
	ds_read_b128 v[208:211], v2 offset:1616
	s_waitcnt vmcnt(6) lgkmcnt(2)
	v_mul_f64 v[218:219], v[200:201], v[90:91]
	v_fmac_f64_e32 v[218:219], v[202:203], v[88:89]
	v_add_f64 v[216:217], v[216:217], v[218:219]
	s_waitcnt vmcnt(5) lgkmcnt(1)
	v_mul_f64 v[218:219], v[204:205], v[94:95]
	v_fmac_f64_e32 v[218:219], v[206:207], v[92:93]
	v_mul_f64 v[214:215], v[240:241], v[214:215]
	v_fma_f64 v[238:239], v[238:239], v[212:213], -v[214:215]
	ds_read_b128 v[212:215], v2 offset:1632
	v_add_f64 v[216:217], v[216:217], v[218:219]
	s_waitcnt vmcnt(4) lgkmcnt(1)
	v_mul_f64 v[218:219], v[208:209], v[102:103]
	v_fmac_f64_e32 v[218:219], v[210:211], v[100:101]
	v_add_f64 v[224:225], v[216:217], v[218:219]
	ds_read_b128 v[216:219], v2 offset:1648
	v_mul_f64 v[222:223], v[252:253], v[222:223]
	v_fma_f64 v[250:251], v[250:251], v[220:221], -v[222:223]
	ds_read_b128 v[220:223], v2 offset:1664
	s_waitcnt vmcnt(3) lgkmcnt(2)
	v_mul_f64 v[226:227], v[212:213], v[98:99]
	v_fmac_f64_e32 v[226:227], v[214:215], v[96:97]
	v_add_f64 v[224:225], v[224:225], v[226:227]
	s_waitcnt vmcnt(2) lgkmcnt(1)
	v_mul_f64 v[226:227], v[216:217], v[106:107]
	v_fmac_f64_e32 v[226:227], v[218:219], v[104:105]
	v_add_f64 v[224:225], v[224:225], v[226:227]
	;; [unrolled: 4-line block ×3, first 2 shown]
	ds_read_b128 v[224:227], v2 offset:1680
	v_mul_f64 v[6:7], v[150:151], v[6:7]
	v_fma_f64 v[4:5], v[148:149], v[4:5], -v[6:7]
	v_mul_f64 v[6:7], v[146:147], v[10:11]
	v_fma_f64 v[6:7], v[144:145], v[8:9], -v[6:7]
	s_waitcnt vmcnt(0) lgkmcnt(0)
	v_mul_f64 v[230:231], v[224:225], v[130:131]
	v_fmac_f64_e32 v[230:231], v[226:227], v[128:129]
	v_add_f64 v[232:233], v[228:229], v[230:231]
	v_add_f64 v[228:229], v[254:255], 0
	;; [unrolled: 1-line block ×4, first 2 shown]
	scratch_load_dwordx4 v[228:231], off, off offset:288
	v_add_f64 v[234:235], v[252:253], v[234:235]
	v_add_f64 v[234:235], v[234:235], v[236:237]
	;; [unrolled: 1-line block ×6, first 2 shown]
	v_mul_f64 v[6:7], v[142:143], v[14:15]
	v_fma_f64 v[6:7], v[140:141], v[12:13], -v[6:7]
	v_add_f64 v[4:5], v[4:5], v[6:7]
	v_mul_f64 v[6:7], v[138:139], v[18:19]
	v_fma_f64 v[6:7], v[136:137], v[16:17], -v[6:7]
	v_add_f64 v[4:5], v[4:5], v[6:7]
	;; [unrolled: 3-line block ×26, first 2 shown]
	s_waitcnt vmcnt(0)
	v_add_f64 v[4:5], v[228:229], -v[4:5]
	v_add_f64 v[6:7], v[230:231], -v[232:233]
	scratch_store_dwordx4 off, v[4:7], off offset:288
	s_and_saveexec_b64 s[0:1], vcc
	s_cbranch_execz .LBB52_299
; %bb.298:
	scratch_load_dwordx4 v[6:9], off, s47
	v_mov_b32_e32 v3, v2
	v_mov_b32_e32 v4, v2
	;; [unrolled: 1-line block ×3, first 2 shown]
	v_accvgpr_read_b32 v0, a107
	scratch_store_dwordx4 off, v[2:5], off offset:272
	s_waitcnt vmcnt(1)
	ds_write_b128 v0, v[6:9]
.LBB52_299:
	s_or_b64 exec, exec, s[0:1]
	s_waitcnt lgkmcnt(0)
	; wave barrier
	scratch_load_dwordx4 v[140:143], off, off offset:288
	scratch_load_dwordx4 v[144:147], off, off offset:304
	;; [unrolled: 1-line block ×16, first 2 shown]
	ds_read_b128 v[208:211], v2 offset:1120
	ds_read_b128 v[200:203], v2 offset:1136
	;; [unrolled: 1-line block ×3, first 2 shown]
	scratch_load_dwordx4 v[40:43], off, off offset:544
	ds_read_b128 v[204:207], v2 offset:1168
	ds_read_b128 v[192:195], v2 offset:1184
	;; [unrolled: 1-line block ×3, first 2 shown]
	scratch_load_dwordx4 v[44:47], off, off offset:560
	ds_read_b128 v[196:199], v2 offset:1216
	ds_read_b128 v[64:67], v2 offset:1232
	;; [unrolled: 1-line block ×4, first 2 shown]
	scratch_load_dwordx4 v[48:51], off, off offset:576
	ds_read_b128 v[72:75], v2 offset:1280
	ds_read_b128 v[68:71], v2 offset:1296
	scratch_load_dwordx4 v[56:59], off, off offset:592
	ds_read_b128 v[92:95], v2 offset:1312
	ds_read_b128 v[88:91], v2 offset:1328
	;; [unrolled: 1-line block ×4, first 2 shown]
	scratch_load_dwordx4 v[76:79], off, off offset:608
	scratch_load_dwordx4 v[96:99], off, off offset:624
	;; [unrolled: 1-line block ×12, first 2 shown]
	ds_read_b128 v[168:171], v2 offset:1376
	v_accvgpr_write_b32 a106, v246
	v_cmp_lt_u32_e32 vcc, 15, v246
	s_waitcnt vmcnt(31) lgkmcnt(14)
	v_mul_f64 v[172:173], v[208:209], v[142:143]
	s_waitcnt vmcnt(30)
	v_mul_f64 v[174:175], v[200:201], v[146:147]
	v_fmac_f64_e32 v[172:173], v[210:211], v[140:141]
	s_waitcnt vmcnt(29)
	v_mul_f64 v[176:177], v[188:189], v[150:151]
	v_fmac_f64_e32 v[174:175], v[202:203], v[144:145]
	v_add_f64 v[172:173], v[172:173], 0
	s_waitcnt vmcnt(28) lgkmcnt(13)
	v_mul_f64 v[178:179], v[204:205], v[154:155]
	v_fmac_f64_e32 v[176:177], v[190:191], v[148:149]
	v_add_f64 v[172:173], v[172:173], v[174:175]
	s_waitcnt vmcnt(27) lgkmcnt(12)
	;; [unrolled: 4-line block ×10, first 2 shown]
	v_mul_f64 v[224:225], v[92:93], v[26:27]
	v_fmac_f64_e32 v[222:223], v[70:71], v[20:21]
	v_add_f64 v[172:173], v[172:173], v[220:221]
	ds_read_b128 v[212:215], v2 offset:1392
	s_waitcnt vmcnt(18) lgkmcnt(4)
	v_mul_f64 v[226:227], v[88:89], v[30:31]
	v_fmac_f64_e32 v[224:225], v[94:95], v[24:25]
	v_add_f64 v[172:173], v[172:173], v[222:223]
	ds_read_b128 v[216:219], v2 offset:1408
	ds_read_b128 v[220:223], v2 offset:1424
	s_waitcnt vmcnt(17) lgkmcnt(5)
	v_mul_f64 v[228:229], v[84:85], v[34:35]
	v_fmac_f64_e32 v[226:227], v[90:91], v[28:29]
	v_add_f64 v[172:173], v[172:173], v[224:225]
	s_waitcnt vmcnt(16) lgkmcnt(4)
	v_mul_f64 v[230:231], v[80:81], v[38:39]
	v_fmac_f64_e32 v[228:229], v[86:87], v[32:33]
	v_add_f64 v[172:173], v[172:173], v[226:227]
	v_add_f64 v[176:177], v[172:173], v[228:229]
	v_fmac_f64_e32 v[230:231], v[82:83], v[36:37]
	s_waitcnt vmcnt(15) lgkmcnt(3)
	v_mul_f64 v[178:179], v[168:169], v[42:43]
	v_add_f64 v[176:177], v[176:177], v[230:231]
	v_fmac_f64_e32 v[178:179], v[170:171], v[40:41]
	s_waitcnt vmcnt(14) lgkmcnt(2)
	v_mul_f64 v[182:183], v[212:213], v[46:47]
	;; [unrolled: 4-line block ×3, first 2 shown]
	v_add_f64 v[224:225], v[180:181], v[182:183]
	v_fmac_f64_e32 v[226:227], v[218:219], v[48:49]
	v_add_f64 v[228:229], v[224:225], v[226:227]
	ds_read_b128 v[224:227], v2 offset:1440
	s_waitcnt vmcnt(12) lgkmcnt(1)
	v_mul_f64 v[230:231], v[220:221], v[58:59]
	v_fmac_f64_e32 v[230:231], v[222:223], v[56:57]
	v_add_f64 v[232:233], v[228:229], v[230:231]
	ds_read_b128 v[228:231], v2 offset:1456
	s_waitcnt vmcnt(11) lgkmcnt(1)
	v_mul_f64 v[234:235], v[224:225], v[78:79]
	;; [unrolled: 5-line block ×4, first 2 shown]
	v_fmac_f64_e32 v[242:243], v[234:235], v[100:101]
	v_mul_f64 v[142:143], v[210:211], v[142:143]
	v_add_f64 v[240:241], v[240:241], v[242:243]
	v_fma_f64 v[242:243], v[208:209], v[140:141], -v[142:143]
	ds_read_b128 v[140:143], v2 offset:1504
	s_waitcnt vmcnt(8) lgkmcnt(1)
	v_mul_f64 v[208:209], v[236:237], v[106:107]
	v_fmac_f64_e32 v[208:209], v[238:239], v[104:105]
	v_mul_f64 v[146:147], v[202:203], v[146:147]
	v_add_f64 v[208:209], v[240:241], v[208:209]
	v_fma_f64 v[240:241], v[200:201], v[144:145], -v[146:147]
	ds_read_b128 v[144:147], v2 offset:1520
	s_waitcnt vmcnt(7) lgkmcnt(1)
	v_mul_f64 v[200:201], v[140:141], v[110:111]
	scratch_load_dwordx4 v[172:175], off, off offset:800
	scratch_load_dwordx4 v[176:179], off, off offset:816
	v_fmac_f64_e32 v[200:201], v[142:143], v[108:109]
	v_add_f64 v[208:209], v[208:209], v[200:201]
	ds_read_b128 v[200:203], v2 offset:1536
	v_mul_f64 v[150:151], v[190:191], v[150:151]
	v_fma_f64 v[244:245], v[188:189], v[148:149], -v[150:151]
	ds_read_b128 v[148:151], v2 offset:1552
	s_waitcnt vmcnt(8) lgkmcnt(2)
	v_mul_f64 v[210:211], v[144:145], v[114:115]
	v_fmac_f64_e32 v[210:211], v[146:147], v[112:113]
	s_waitcnt vmcnt(7) lgkmcnt(1)
	v_mul_f64 v[188:189], v[200:201], v[118:119]
	v_add_f64 v[208:209], v[208:209], v[210:211]
	v_fmac_f64_e32 v[188:189], v[202:203], v[116:117]
	v_mul_f64 v[154:155], v[206:207], v[154:155]
	s_waitcnt vmcnt(6) lgkmcnt(0)
	v_mul_f64 v[190:191], v[148:149], v[122:123]
	v_add_f64 v[188:189], v[208:209], v[188:189]
	v_fma_f64 v[250:251], v[204:205], v[152:153], -v[154:155]
	ds_read_b128 v[152:155], v2 offset:1568
	v_fmac_f64_e32 v[190:191], v[150:151], v[120:121]
	scratch_load_dwordx4 v[180:183], off, off offset:832
	v_add_f64 v[204:205], v[188:189], v[190:191]
	ds_read_b128 v[188:191], v2 offset:1584
	s_waitcnt vmcnt(6) lgkmcnt(1)
	v_mul_f64 v[206:207], v[152:153], v[126:127]
	v_mul_f64 v[158:159], v[194:195], v[158:159]
	v_fmac_f64_e32 v[206:207], v[154:155], v[124:125]
	v_fma_f64 v[252:253], v[192:193], v[156:157], -v[158:159]
	s_waitcnt vmcnt(5) lgkmcnt(0)
	v_mul_f64 v[192:193], v[188:189], v[130:131]
	v_add_f64 v[204:205], v[204:205], v[206:207]
	v_fmac_f64_e32 v[192:193], v[190:191], v[128:129]
	v_mul_f64 v[162:163], v[186:187], v[162:163]
	v_fma_f64 v[208:209], v[184:185], v[160:161], -v[162:163]
	v_add_f64 v[184:185], v[204:205], v[192:193]
	scratch_load_dwordx4 v[204:207], off, off offset:848
	ds_read_b128 v[156:159], v2 offset:1600
	ds_read_b128 v[160:163], v2 offset:1616
	v_mul_f64 v[166:167], v[198:199], v[166:167]
	v_fma_f64 v[210:211], v[196:197], v[164:165], -v[166:167]
	ds_read_b128 v[164:167], v2 offset:1648
	s_waitcnt vmcnt(5) lgkmcnt(2)
	v_mul_f64 v[186:187], v[156:157], v[138:139]
	v_fmac_f64_e32 v[186:187], v[158:159], v[136:137]
	v_add_f64 v[192:193], v[184:185], v[186:187]
	ds_read_b128 v[184:187], v2 offset:1632
	s_waitcnt vmcnt(4) lgkmcnt(2)
	v_mul_f64 v[194:195], v[160:161], v[134:135]
	v_fmac_f64_e32 v[194:195], v[162:163], v[132:133]
	v_add_f64 v[192:193], v[192:193], v[194:195]
	v_add_f64 v[242:243], v[242:243], 0
	;; [unrolled: 1-line block ×7, first 2 shown]
	v_mul_f64 v[6:7], v[66:67], v[6:7]
	v_add_f64 v[208:209], v[208:209], v[210:211]
	v_fma_f64 v[4:5], v[64:65], v[4:5], -v[6:7]
	v_mul_f64 v[6:7], v[62:63], v[10:11]
	v_add_f64 v[4:5], v[208:209], v[4:5]
	v_fma_f64 v[6:7], v[60:61], v[8:9], -v[6:7]
	v_add_f64 v[4:5], v[4:5], v[6:7]
	v_mul_f64 v[6:7], v[54:55], v[14:15]
	v_fma_f64 v[6:7], v[52:53], v[12:13], -v[6:7]
	v_add_f64 v[4:5], v[4:5], v[6:7]
	v_mul_f64 v[6:7], v[74:75], v[18:19]
	;; [unrolled: 3-line block ×8, first 2 shown]
	s_waitcnt vmcnt(3) lgkmcnt(0)
	v_mul_f64 v[194:195], v[184:185], v[174:175]
	v_fmac_f64_e32 v[194:195], v[186:187], v[172:173]
	v_add_f64 v[192:193], v[192:193], v[194:195]
	s_waitcnt vmcnt(2)
	v_mul_f64 v[194:195], v[164:165], v[178:179]
	v_fmac_f64_e32 v[194:195], v[166:167], v[176:177]
	v_add_f64 v[196:197], v[192:193], v[194:195]
	ds_read_b128 v[192:195], v2 offset:1664
	v_fma_f64 v[6:7], v[168:169], v[40:41], -v[6:7]
	v_add_f64 v[4:5], v[4:5], v[6:7]
	v_mul_f64 v[6:7], v[214:215], v[46:47]
	v_fma_f64 v[6:7], v[212:213], v[44:45], -v[6:7]
	v_add_f64 v[4:5], v[4:5], v[6:7]
	v_mul_f64 v[6:7], v[218:219], v[50:51]
	;; [unrolled: 3-line block ×4, first 2 shown]
	s_waitcnt vmcnt(1) lgkmcnt(0)
	v_mul_f64 v[198:199], v[192:193], v[182:183]
	v_fmac_f64_e32 v[198:199], v[194:195], v[180:181]
	v_add_f64 v[254:255], v[196:197], v[198:199]
	ds_read_b128 v[196:199], v2 offset:1680
	v_fma_f64 v[6:7], v[224:225], v[76:77], -v[6:7]
	v_add_f64 v[4:5], v[4:5], v[6:7]
	v_mul_f64 v[6:7], v[230:231], v[98:99]
	v_fma_f64 v[6:7], v[228:229], v[96:97], -v[6:7]
	v_add_f64 v[4:5], v[4:5], v[6:7]
	v_mul_f64 v[6:7], v[234:235], v[102:103]
	;; [unrolled: 3-line block ×3, first 2 shown]
	s_waitcnt vmcnt(0) lgkmcnt(0)
	v_mul_f64 v[2:3], v[196:197], v[206:207]
	v_fmac_f64_e32 v[2:3], v[198:199], v[204:205]
	v_add_f64 v[2:3], v[254:255], v[2:3]
	scratch_load_dwordx4 v[252:255], off, off offset:272
	v_fma_f64 v[6:7], v[236:237], v[104:105], -v[6:7]
	v_add_f64 v[4:5], v[4:5], v[6:7]
	v_mul_f64 v[6:7], v[142:143], v[110:111]
	v_fma_f64 v[6:7], v[140:141], v[108:109], -v[6:7]
	v_add_f64 v[4:5], v[4:5], v[6:7]
	v_mul_f64 v[6:7], v[146:147], v[114:115]
	;; [unrolled: 3-line block ×12, first 2 shown]
	v_fma_f64 v[6:7], v[196:197], v[204:205], -v[6:7]
	v_add_f64 v[4:5], v[4:5], v[6:7]
	s_waitcnt vmcnt(0)
	v_add_f64 v[4:5], v[252:253], -v[4:5]
	v_add_f64 v[6:7], v[254:255], -v[2:3]
	scratch_store_dwordx4 off, v[4:7], off offset:272
	s_and_saveexec_b64 s[0:1], vcc
	s_cbranch_execz .LBB52_301
; %bb.300:
	scratch_load_dwordx4 v[2:5], off, s46
	v_mov_b32_e32 v6, 0
	v_mov_b32_e32 v7, v6
	;; [unrolled: 1-line block ×4, first 2 shown]
	v_accvgpr_read_b32 v0, a107
	scratch_store_dwordx4 off, v[6:9], off offset:256
	s_waitcnt vmcnt(1)
	ds_write_b128 v0, v[2:5]
.LBB52_301:
	s_or_b64 exec, exec, s[0:1]
	s_waitcnt lgkmcnt(0)
	; wave barrier
	scratch_load_dwordx4 v[168:171], off, off offset:272
	scratch_load_dwordx4 v[172:175], off, off offset:288
	;; [unrolled: 1-line block ×32, first 2 shown]
	v_mov_b32_e32 v2, 0
	ds_read_b128 v[176:179], v2 offset:1104
	ds_read_b128 v[188:191], v2 offset:1120
	;; [unrolled: 1-line block ×17, first 2 shown]
	v_accvgpr_read_b32 v0, a106
	v_cmp_lt_u32_e32 vcc, 14, v0
	s_waitcnt vmcnt(31) lgkmcnt(14)
	v_mul_f64 v[104:105], v[176:177], v[170:171]
	s_waitcnt vmcnt(30)
	v_mul_f64 v[106:107], v[188:189], v[174:175]
	v_fmac_f64_e32 v[104:105], v[178:179], v[168:169]
	s_waitcnt vmcnt(29)
	v_mul_f64 v[108:109], v[200:201], v[182:183]
	v_fmac_f64_e32 v[106:107], v[190:191], v[172:173]
	v_add_f64 v[104:105], v[104:105], 0
	s_waitcnt vmcnt(28) lgkmcnt(13)
	v_mul_f64 v[110:111], v[212:213], v[186:187]
	v_fmac_f64_e32 v[108:109], v[202:203], v[180:181]
	v_add_f64 v[104:105], v[104:105], v[106:107]
	s_waitcnt vmcnt(27) lgkmcnt(12)
	;; [unrolled: 4-line block ×12, first 2 shown]
	v_mul_f64 v[156:157], v[112:113], v[26:27]
	v_fmac_f64_e32 v[154:155], v[118:119], v[20:21]
	v_add_f64 v[104:105], v[104:105], v[152:153]
	v_fmac_f64_e32 v[156:157], v[114:115], v[24:25]
	v_add_f64 v[104:105], v[104:105], v[154:155]
	s_waitcnt vmcnt(16) lgkmcnt(1)
	v_mul_f64 v[106:107], v[100:101], v[30:31]
	v_add_f64 v[104:105], v[104:105], v[156:157]
	v_fmac_f64_e32 v[106:107], v[102:103], v[28:29]
	v_add_f64 v[108:109], v[104:105], v[106:107]
	ds_read_b128 v[144:147], v2 offset:1376
	ds_read_b128 v[148:151], v2 offset:1392
	scratch_load_dwordx4 v[104:107], off, off offset:784
	s_waitcnt vmcnt(16) lgkmcnt(2)
	v_mul_f64 v[110:111], v[96:97], v[34:35]
	v_fmac_f64_e32 v[110:111], v[98:99], v[32:33]
	v_add_f64 v[120:121], v[108:109], v[110:111]
	scratch_load_dwordx4 v[108:111], off, off offset:800
	s_waitcnt vmcnt(16) lgkmcnt(1)
	v_mul_f64 v[122:123], v[144:145], v[38:39]
	v_fmac_f64_e32 v[122:123], v[146:147], v[36:37]
	v_add_f64 v[132:133], v[120:121], v[122:123]
	s_waitcnt vmcnt(15) lgkmcnt(0)
	v_mul_f64 v[134:135], v[148:149], v[42:43]
	scratch_load_dwordx4 v[120:123], off, off offset:816
	v_fmac_f64_e32 v[134:135], v[150:151], v[40:41]
	v_add_f64 v[160:161], v[132:133], v[134:135]
	scratch_load_dwordx4 v[132:135], off, off offset:832
	ds_read_b128 v[152:155], v2 offset:1408
	ds_read_b128 v[156:159], v2 offset:1424
	v_mul_f64 v[170:171], v[178:179], v[170:171]
	v_fma_f64 v[242:243], v[176:177], v[168:169], -v[170:171]
	ds_read_b128 v[168:171], v2 offset:1472
	s_waitcnt vmcnt(16) lgkmcnt(2)
	v_mul_f64 v[162:163], v[152:153], v[46:47]
	v_fmac_f64_e32 v[162:163], v[154:155], v[44:45]
	s_waitcnt vmcnt(15) lgkmcnt(1)
	v_mul_f64 v[166:167], v[156:157], v[50:51]
	v_add_f64 v[164:165], v[160:161], v[162:163]
	ds_read_b128 v[160:163], v2 offset:1440
	v_fmac_f64_e32 v[166:167], v[158:159], v[48:49]
	v_add_f64 v[232:233], v[164:165], v[166:167]
	ds_read_b128 v[164:167], v2 offset:1456
	v_mul_f64 v[174:175], v[190:191], v[174:175]
	s_waitcnt vmcnt(14) lgkmcnt(1)
	v_mul_f64 v[234:235], v[160:161], v[54:55]
	v_fmac_f64_e32 v[234:235], v[162:163], v[52:53]
	v_add_f64 v[232:233], v[232:233], v[234:235]
	s_waitcnt vmcnt(13) lgkmcnt(0)
	v_mul_f64 v[176:177], v[164:165], v[58:59]
	v_fmac_f64_e32 v[176:177], v[166:167], v[56:57]
	v_fma_f64 v[244:245], v[188:189], v[172:173], -v[174:175]
	ds_read_b128 v[172:175], v2 offset:1488
	s_waitcnt vmcnt(12)
	v_mul_f64 v[178:179], v[168:169], v[62:63]
	v_add_f64 v[176:177], v[232:233], v[176:177]
	v_fmac_f64_e32 v[178:179], v[170:171], v[60:61]
	v_add_f64 v[188:189], v[176:177], v[178:179]
	ds_read_b128 v[176:179], v2 offset:1504
	v_mul_f64 v[182:183], v[202:203], v[182:183]
	v_fma_f64 v[254:255], v[200:201], v[180:181], -v[182:183]
	ds_read_b128 v[180:183], v2 offset:1520
	s_waitcnt vmcnt(11) lgkmcnt(2)
	v_mul_f64 v[190:191], v[172:173], v[66:67]
	v_fmac_f64_e32 v[190:191], v[174:175], v[64:65]
	v_add_f64 v[188:189], v[188:189], v[190:191]
	s_waitcnt vmcnt(10) lgkmcnt(1)
	v_mul_f64 v[190:191], v[176:177], v[70:71]
	v_fmac_f64_e32 v[190:191], v[178:179], v[68:69]
	v_mul_f64 v[186:187], v[214:215], v[186:187]
	v_fma_f64 v[246:247], v[212:213], v[184:185], -v[186:187]
	ds_read_b128 v[184:187], v2 offset:1536
	v_add_f64 v[188:189], v[188:189], v[190:191]
	s_waitcnt vmcnt(9) lgkmcnt(1)
	v_mul_f64 v[190:191], v[180:181], v[74:75]
	v_fmac_f64_e32 v[190:191], v[182:183], v[72:73]
	v_add_f64 v[200:201], v[188:189], v[190:191]
	ds_read_b128 v[188:191], v2 offset:1552
	v_mul_f64 v[194:195], v[222:223], v[194:195]
	v_fma_f64 v[248:249], v[220:221], v[192:193], -v[194:195]
	ds_read_b128 v[192:195], v2 offset:1568
	s_waitcnt vmcnt(8) lgkmcnt(2)
	v_mul_f64 v[202:203], v[184:185], v[78:79]
	v_fmac_f64_e32 v[202:203], v[186:187], v[76:77]
	v_add_f64 v[200:201], v[200:201], v[202:203]
	s_waitcnt vmcnt(7) lgkmcnt(1)
	v_mul_f64 v[202:203], v[188:189], v[82:83]
	v_fmac_f64_e32 v[202:203], v[190:191], v[80:81]
	v_mul_f64 v[198:199], v[226:227], v[198:199]
	v_add_f64 v[200:201], v[200:201], v[202:203]
	v_fma_f64 v[234:235], v[224:225], v[196:197], -v[198:199]
	ds_read_b128 v[196:199], v2 offset:1584
	s_waitcnt vmcnt(6) lgkmcnt(1)
	v_mul_f64 v[202:203], v[192:193], v[86:87]
	v_fmac_f64_e32 v[202:203], v[194:195], v[84:85]
	v_add_f64 v[212:213], v[200:201], v[202:203]
	ds_read_b128 v[200:203], v2 offset:1600
	v_mul_f64 v[206:207], v[230:231], v[206:207]
	v_fma_f64 v[236:237], v[228:229], v[204:205], -v[206:207]
	ds_read_b128 v[204:207], v2 offset:1616
	s_waitcnt vmcnt(5) lgkmcnt(2)
	v_mul_f64 v[214:215], v[196:197], v[94:95]
	v_fmac_f64_e32 v[214:215], v[198:199], v[92:93]
	v_add_f64 v[212:213], v[212:213], v[214:215]
	s_waitcnt vmcnt(4) lgkmcnt(1)
	v_mul_f64 v[214:215], v[200:201], v[90:91]
	v_fmac_f64_e32 v[214:215], v[202:203], v[88:89]
	v_mul_f64 v[210:211], v[240:241], v[210:211]
	v_fma_f64 v[238:239], v[238:239], v[208:209], -v[210:211]
	ds_read_b128 v[208:211], v2 offset:1632
	v_add_f64 v[212:213], v[212:213], v[214:215]
	s_waitcnt vmcnt(3) lgkmcnt(1)
	v_mul_f64 v[214:215], v[204:205], v[106:107]
	v_fmac_f64_e32 v[214:215], v[206:207], v[104:105]
	v_add_f64 v[220:221], v[212:213], v[214:215]
	ds_read_b128 v[212:215], v2 offset:1648
	v_mul_f64 v[218:219], v[252:253], v[218:219]
	v_fma_f64 v[250:251], v[250:251], v[216:217], -v[218:219]
	ds_read_b128 v[216:219], v2 offset:1664
	ds_read_b128 v[224:227], v2 offset:1680
	s_waitcnt vmcnt(2) lgkmcnt(3)
	v_mul_f64 v[222:223], v[208:209], v[110:111]
	v_fmac_f64_e32 v[222:223], v[210:211], v[108:109]
	v_add_f64 v[220:221], v[220:221], v[222:223]
	s_waitcnt vmcnt(1) lgkmcnt(2)
	v_mul_f64 v[222:223], v[212:213], v[122:123]
	v_fmac_f64_e32 v[222:223], v[214:215], v[120:121]
	v_add_f64 v[220:221], v[220:221], v[222:223]
	s_waitcnt vmcnt(0) lgkmcnt(1)
	v_mul_f64 v[222:223], v[216:217], v[134:135]
	v_fmac_f64_e32 v[222:223], v[218:219], v[132:133]
	v_add_f64 v[228:229], v[220:221], v[222:223]
	scratch_load_dwordx4 v[220:223], off, off offset:848
	v_mul_f64 v[6:7], v[142:143], v[6:7]
	v_fma_f64 v[4:5], v[140:141], v[4:5], -v[6:7]
	v_mul_f64 v[6:7], v[138:139], v[10:11]
	v_fma_f64 v[6:7], v[136:137], v[8:9], -v[6:7]
	s_waitcnt vmcnt(0) lgkmcnt(0)
	v_mul_f64 v[230:231], v[224:225], v[222:223]
	v_fmac_f64_e32 v[230:231], v[226:227], v[220:221]
	v_add_f64 v[232:233], v[228:229], v[230:231]
	v_add_f64 v[228:229], v[242:243], 0
	;; [unrolled: 1-line block ×6, first 2 shown]
	scratch_load_dwordx4 v[228:231], off, off offset:256
	v_add_f64 v[234:235], v[252:253], v[234:235]
	v_add_f64 v[234:235], v[234:235], v[236:237]
	;; [unrolled: 1-line block ×6, first 2 shown]
	v_mul_f64 v[6:7], v[130:131], v[14:15]
	v_fma_f64 v[6:7], v[128:129], v[12:13], -v[6:7]
	v_add_f64 v[4:5], v[4:5], v[6:7]
	v_mul_f64 v[6:7], v[126:127], v[18:19]
	v_fma_f64 v[6:7], v[124:125], v[16:17], -v[6:7]
	v_add_f64 v[4:5], v[4:5], v[6:7]
	;; [unrolled: 3-line block ×26, first 2 shown]
	s_waitcnt vmcnt(0)
	v_add_f64 v[4:5], v[228:229], -v[4:5]
	v_add_f64 v[6:7], v[230:231], -v[232:233]
	scratch_store_dwordx4 off, v[4:7], off offset:256
	s_and_saveexec_b64 s[0:1], vcc
	s_cbranch_execz .LBB52_303
; %bb.302:
	scratch_load_dwordx4 v[6:9], off, s45
	v_mov_b32_e32 v3, v2
	v_mov_b32_e32 v4, v2
	;; [unrolled: 1-line block ×3, first 2 shown]
	v_accvgpr_read_b32 v0, a107
	scratch_store_dwordx4 off, v[2:5], off offset:240
	s_waitcnt vmcnt(1)
	ds_write_b128 v0, v[6:9]
.LBB52_303:
	s_or_b64 exec, exec, s[0:1]
	s_waitcnt lgkmcnt(0)
	; wave barrier
	scratch_load_dwordx4 v[168:171], off, off offset:256
	scratch_load_dwordx4 v[172:175], off, off offset:272
	;; [unrolled: 1-line block ×16, first 2 shown]
	ds_read_b128 v[232:235], v2 offset:1088
	ds_read_b128 v[176:179], v2 offset:1104
	scratch_load_dwordx4 v[32:35], off, off offset:512
	ds_read_b128 v[236:239], v2 offset:1120
	ds_read_b128 v[188:191], v2 offset:1136
	;; [unrolled: 1-line block ×5, first 2 shown]
	scratch_load_dwordx4 v[36:39], off, off offset:528
	ds_read_b128 v[224:227], v2 offset:1200
	ds_read_b128 v[220:223], v2 offset:1216
	;; [unrolled: 1-line block ×3, first 2 shown]
	scratch_load_dwordx4 v[40:43], off, off offset:544
	ds_read_b128 v[64:67], v2 offset:1248
	ds_read_b128 v[60:63], v2 offset:1264
	;; [unrolled: 1-line block ×4, first 2 shown]
	scratch_load_dwordx4 v[48:51], off, off offset:560
	ds_read_b128 v[80:83], v2 offset:1312
	ds_read_b128 v[72:75], v2 offset:1328
	;; [unrolled: 1-line block ×3, first 2 shown]
	scratch_load_dwordx4 v[76:79], off, off offset:576
	scratch_load_dwordx4 v[84:87], off, off offset:592
	;; [unrolled: 1-line block ×12, first 2 shown]
	v_accvgpr_read_b32 v0, a106
	v_cmp_lt_u32_e32 vcc, 13, v0
	s_waitcnt vmcnt(31) lgkmcnt(14)
	v_mul_f64 v[128:129], v[232:233], v[170:171]
	s_waitcnt vmcnt(30)
	v_mul_f64 v[130:131], v[176:177], v[174:175]
	v_fmac_f64_e32 v[128:129], v[234:235], v[168:169]
	s_waitcnt vmcnt(29)
	v_mul_f64 v[132:133], v[236:237], v[182:183]
	v_fmac_f64_e32 v[130:131], v[178:179], v[172:173]
	v_add_f64 v[128:129], v[128:129], 0
	s_waitcnt vmcnt(28) lgkmcnt(13)
	v_mul_f64 v[134:135], v[188:189], v[186:187]
	v_fmac_f64_e32 v[132:133], v[238:239], v[180:181]
	v_add_f64 v[128:129], v[128:129], v[130:131]
	s_waitcnt vmcnt(27) lgkmcnt(12)
	;; [unrolled: 4-line block ×13, first 2 shown]
	v_mul_f64 v[158:159], v[72:73], v[30:31]
	v_fmac_f64_e32 v[156:157], v[82:83], v[24:25]
	v_add_f64 v[128:129], v[128:129], v[154:155]
	v_add_f64 v[128:129], v[128:129], v[156:157]
	v_fmac_f64_e32 v[158:159], v[74:75], v[28:29]
	v_add_f64 v[132:133], v[128:129], v[158:159]
	ds_read_b128 v[144:147], v2 offset:1360
	ds_read_b128 v[148:151], v2 offset:1376
	scratch_load_dwordx4 v[128:131], off, off offset:768
	s_waitcnt vmcnt(16) lgkmcnt(2)
	v_mul_f64 v[134:135], v[68:69], v[34:35]
	v_fmac_f64_e32 v[134:135], v[70:71], v[32:33]
	s_waitcnt vmcnt(15) lgkmcnt(1)
	v_mul_f64 v[138:139], v[144:145], v[38:39]
	v_add_f64 v[136:137], v[132:133], v[134:135]
	scratch_load_dwordx4 v[132:135], off, off offset:784
	v_fmac_f64_e32 v[138:139], v[146:147], v[36:37]
	v_add_f64 v[140:141], v[136:137], v[138:139]
	s_waitcnt vmcnt(15) lgkmcnt(0)
	v_mul_f64 v[142:143], v[148:149], v[42:43]
	scratch_load_dwordx4 v[136:139], off, off offset:800
	v_fmac_f64_e32 v[142:143], v[150:151], v[40:41]
	v_add_f64 v[160:161], v[140:141], v[142:143]
	scratch_load_dwordx4 v[140:143], off, off offset:816
	ds_read_b128 v[152:155], v2 offset:1392
	ds_read_b128 v[156:159], v2 offset:1408
	v_mul_f64 v[170:171], v[234:235], v[170:171]
	v_mul_f64 v[174:175], v[178:179], v[174:175]
	;; [unrolled: 1-line block ×3, first 2 shown]
	s_waitcnt vmcnt(16) lgkmcnt(1)
	v_mul_f64 v[162:163], v[152:153], v[50:51]
	v_fmac_f64_e32 v[162:163], v[154:155], v[48:49]
	v_add_f64 v[164:165], v[160:161], v[162:163]
	ds_read_b128 v[160:163], v2 offset:1424
	s_waitcnt vmcnt(15) lgkmcnt(1)
	v_mul_f64 v[166:167], v[156:157], v[78:79]
	v_fmac_f64_e32 v[166:167], v[158:159], v[76:77]
	v_add_f64 v[240:241], v[164:165], v[166:167]
	ds_read_b128 v[164:167], v2 offset:1440
	s_waitcnt vmcnt(14) lgkmcnt(1)
	v_mul_f64 v[242:243], v[160:161], v[86:87]
	v_fmac_f64_e32 v[242:243], v[162:163], v[84:85]
	v_add_f64 v[240:241], v[240:241], v[242:243]
	v_fma_f64 v[242:243], v[232:233], v[168:169], -v[170:171]
	ds_read_b128 v[168:171], v2 offset:1456
	s_waitcnt vmcnt(13) lgkmcnt(1)
	v_mul_f64 v[232:233], v[164:165], v[90:91]
	v_fmac_f64_e32 v[232:233], v[166:167], v[88:89]
	v_add_f64 v[232:233], v[240:241], v[232:233]
	v_fma_f64 v[240:241], v[176:177], v[172:173], -v[174:175]
	ds_read_b128 v[172:175], v2 offset:1472
	s_waitcnt vmcnt(12) lgkmcnt(1)
	v_mul_f64 v[176:177], v[168:169], v[94:95]
	v_fmac_f64_e32 v[176:177], v[170:171], v[92:93]
	v_add_f64 v[232:233], v[232:233], v[176:177]
	ds_read_b128 v[176:179], v2 offset:1488
	v_fma_f64 v[236:237], v[236:237], v[180:181], -v[182:183]
	ds_read_b128 v[180:183], v2 offset:1504
	s_waitcnt vmcnt(11) lgkmcnt(2)
	v_mul_f64 v[234:235], v[172:173], v[98:99]
	v_fmac_f64_e32 v[234:235], v[174:175], v[96:97]
	v_add_f64 v[232:233], v[232:233], v[234:235]
	s_waitcnt vmcnt(10) lgkmcnt(1)
	v_mul_f64 v[234:235], v[176:177], v[102:103]
	v_fmac_f64_e32 v[234:235], v[178:179], v[100:101]
	v_mul_f64 v[186:187], v[190:191], v[186:187]
	s_waitcnt vmcnt(9) lgkmcnt(0)
	v_mul_f64 v[190:191], v[180:181], v[106:107]
	v_fma_f64 v[238:239], v[188:189], v[184:185], -v[186:187]
	ds_read_b128 v[184:187], v2 offset:1520
	v_add_f64 v[188:189], v[232:233], v[234:235]
	v_fmac_f64_e32 v[190:191], v[182:183], v[104:105]
	v_add_f64 v[232:233], v[188:189], v[190:191]
	ds_read_b128 v[188:191], v2 offset:1536
	v_mul_f64 v[194:195], v[230:231], v[194:195]
	v_fma_f64 v[244:245], v[228:229], v[192:193], -v[194:195]
	ds_read_b128 v[192:195], v2 offset:1552
	s_waitcnt vmcnt(8) lgkmcnt(2)
	v_mul_f64 v[234:235], v[184:185], v[110:111]
	v_fmac_f64_e32 v[234:235], v[186:187], v[108:109]
	s_waitcnt vmcnt(7) lgkmcnt(1)
	v_mul_f64 v[228:229], v[188:189], v[114:115]
	v_mul_f64 v[198:199], v[202:203], v[198:199]
	v_add_f64 v[232:233], v[232:233], v[234:235]
	v_fmac_f64_e32 v[228:229], v[190:191], v[112:113]
	v_fma_f64 v[246:247], v[200:201], v[196:197], -v[198:199]
	ds_read_b128 v[196:199], v2 offset:1568
	s_waitcnt vmcnt(6) lgkmcnt(1)
	v_mul_f64 v[200:201], v[192:193], v[118:119]
	v_add_f64 v[228:229], v[232:233], v[228:229]
	v_fmac_f64_e32 v[200:201], v[194:195], v[116:117]
	v_add_f64 v[228:229], v[228:229], v[200:201]
	ds_read_b128 v[200:203], v2 offset:1584
	v_mul_f64 v[206:207], v[214:215], v[206:207]
	v_fma_f64 v[248:249], v[212:213], v[204:205], -v[206:207]
	ds_read_b128 v[204:207], v2 offset:1600
	s_waitcnt vmcnt(5) lgkmcnt(2)
	v_mul_f64 v[230:231], v[196:197], v[126:127]
	v_fmac_f64_e32 v[230:231], v[198:199], v[124:125]
	s_waitcnt vmcnt(4) lgkmcnt(1)
	v_mul_f64 v[212:213], v[200:201], v[122:123]
	v_add_f64 v[228:229], v[228:229], v[230:231]
	v_fmac_f64_e32 v[212:213], v[202:203], v[120:121]
	v_mul_f64 v[210:211], v[226:227], v[210:211]
	s_waitcnt vmcnt(3) lgkmcnt(0)
	v_mul_f64 v[214:215], v[204:205], v[130:131]
	v_fma_f64 v[250:251], v[224:225], v[208:209], -v[210:211]
	ds_read_b128 v[208:211], v2 offset:1616
	v_add_f64 v[212:213], v[228:229], v[212:213]
	v_fmac_f64_e32 v[214:215], v[206:207], v[128:129]
	v_add_f64 v[224:225], v[212:213], v[214:215]
	ds_read_b128 v[212:215], v2 offset:1632
	v_mul_f64 v[218:219], v[222:223], v[218:219]
	v_fma_f64 v[252:253], v[220:221], v[216:217], -v[218:219]
	ds_read_b128 v[216:219], v2 offset:1648
	s_waitcnt vmcnt(2) lgkmcnt(2)
	v_mul_f64 v[220:221], v[208:209], v[134:135]
	v_fmac_f64_e32 v[220:221], v[210:211], v[132:133]
	s_waitcnt vmcnt(1) lgkmcnt(1)
	v_mul_f64 v[222:223], v[212:213], v[138:139]
	v_add_f64 v[220:221], v[224:225], v[220:221]
	v_fmac_f64_e32 v[222:223], v[214:215], v[136:137]
	v_add_f64 v[220:221], v[220:221], v[222:223]
	ds_read_b128 v[224:227], v2 offset:1664
	s_waitcnt vmcnt(0) lgkmcnt(1)
	v_mul_f64 v[222:223], v[216:217], v[142:143]
	v_fmac_f64_e32 v[222:223], v[218:219], v[140:141]
	v_add_f64 v[228:229], v[220:221], v[222:223]
	scratch_load_dwordx4 v[220:223], off, off offset:832
	scratch_load_dwordx4 v[232:235], off, off offset:848
	v_add_f64 v[242:243], v[242:243], 0
	v_add_f64 v[240:241], v[242:243], v[240:241]
	;; [unrolled: 1-line block ×6, first 2 shown]
	v_mul_f64 v[6:7], v[46:47], v[6:7]
	v_fma_f64 v[4:5], v[44:45], v[4:5], -v[6:7]
	v_mul_f64 v[6:7], v[66:67], v[10:11]
	v_fma_f64 v[6:7], v[64:65], v[8:9], -v[6:7]
	s_waitcnt vmcnt(1) lgkmcnt(0)
	v_mul_f64 v[230:231], v[224:225], v[222:223]
	v_fmac_f64_e32 v[230:231], v[226:227], v[220:221]
	v_add_f64 v[254:255], v[228:229], v[230:231]
	ds_read_b128 v[228:231], v2 offset:1680
	s_waitcnt vmcnt(0) lgkmcnt(0)
	v_mul_f64 v[2:3], v[228:229], v[234:235]
	v_fmac_f64_e32 v[2:3], v[230:231], v[232:233]
	v_add_f64 v[2:3], v[254:255], v[2:3]
	v_add_f64 v[254:255], v[236:237], v[248:249]
	scratch_load_dwordx4 v[236:239], off, off offset:240
	v_add_f64 v[240:241], v[254:255], v[250:251]
	v_add_f64 v[240:241], v[240:241], v[252:253]
	;; [unrolled: 1-line block ×4, first 2 shown]
	v_mul_f64 v[6:7], v[62:63], v[14:15]
	v_fma_f64 v[6:7], v[60:61], v[12:13], -v[6:7]
	v_add_f64 v[4:5], v[4:5], v[6:7]
	v_mul_f64 v[6:7], v[58:59], v[18:19]
	v_fma_f64 v[6:7], v[56:57], v[16:17], -v[6:7]
	v_add_f64 v[4:5], v[4:5], v[6:7]
	;; [unrolled: 3-line block ×27, first 2 shown]
	s_waitcnt vmcnt(0)
	v_add_f64 v[4:5], v[236:237], -v[4:5]
	v_add_f64 v[6:7], v[238:239], -v[2:3]
	scratch_store_dwordx4 off, v[4:7], off offset:240
	s_and_saveexec_b64 s[0:1], vcc
	s_cbranch_execz .LBB52_305
; %bb.304:
	scratch_load_dwordx4 v[2:5], off, s44
	v_mov_b32_e32 v6, 0
	v_mov_b32_e32 v7, v6
	;; [unrolled: 1-line block ×4, first 2 shown]
	v_accvgpr_read_b32 v0, a107
	scratch_store_dwordx4 off, v[6:9], off offset:224
	s_waitcnt vmcnt(1)
	ds_write_b128 v0, v[2:5]
.LBB52_305:
	s_or_b64 exec, exec, s[0:1]
	s_waitcnt lgkmcnt(0)
	; wave barrier
	scratch_load_dwordx4 v[80:83], off, off offset:240
	scratch_load_dwordx4 v[84:87], off, off offset:256
	;; [unrolled: 1-line block ×31, first 2 shown]
	v_mov_b32_e32 v2, 0
	ds_read_b128 v[196:199], v2 offset:1072
	ds_read_b128 v[200:203], v2 offset:1088
	;; [unrolled: 1-line block ×20, first 2 shown]
	s_waitcnt vmcnt(30) lgkmcnt(14)
	v_mul_f64 v[140:141], v[196:197], v[82:83]
	s_waitcnt vmcnt(29)
	v_mul_f64 v[142:143], v[200:201], v[86:87]
	v_fmac_f64_e32 v[140:141], v[198:199], v[80:81]
	s_waitcnt vmcnt(28)
	v_mul_f64 v[152:153], v[204:205], v[90:91]
	v_fmac_f64_e32 v[142:143], v[202:203], v[84:85]
	v_add_f64 v[140:141], v[140:141], 0
	s_waitcnt vmcnt(27)
	v_mul_f64 v[154:155], v[208:209], v[94:95]
	v_fmac_f64_e32 v[152:153], v[206:207], v[88:89]
	v_add_f64 v[140:141], v[140:141], v[142:143]
	;; [unrolled: 4-line block ×4, first 2 shown]
	s_waitcnt vmcnt(24) lgkmcnt(13)
	v_mul_f64 v[164:165], v[220:221], v[106:107]
	v_fmac_f64_e32 v[162:163], v[218:219], v[100:101]
	v_add_f64 v[140:141], v[140:141], v[160:161]
	s_waitcnt vmcnt(23) lgkmcnt(12)
	v_mul_f64 v[166:167], v[224:225], v[110:111]
	v_fmac_f64_e32 v[164:165], v[222:223], v[104:105]
	v_add_f64 v[140:141], v[140:141], v[162:163]
	;; [unrolled: 4-line block ×8, first 2 shown]
	v_fmac_f64_e32 v[178:179], v[146:147], v[12:13]
	v_add_f64 v[140:141], v[140:141], v[176:177]
	v_add_f64 v[140:141], v[140:141], v[178:179]
	ds_read_b128 v[176:179], v2 offset:1344
	s_waitcnt vmcnt(16) lgkmcnt(6)
	v_mul_f64 v[180:181], v[136:137], v[18:19]
	s_waitcnt vmcnt(15) lgkmcnt(5)
	v_mul_f64 v[182:183], v[132:133], v[22:23]
	v_fmac_f64_e32 v[180:181], v[138:139], v[16:17]
	v_add_f64 v[152:153], v[140:141], v[180:181]
	v_fmac_f64_e32 v[182:183], v[134:135], v[20:21]
	scratch_load_dwordx4 v[140:143], off, off offset:736
	s_waitcnt vmcnt(15) lgkmcnt(4)
	v_mul_f64 v[154:155], v[128:129], v[26:27]
	v_add_f64 v[152:153], v[152:153], v[182:183]
	v_fmac_f64_e32 v[154:155], v[130:131], v[24:25]
	v_add_f64 v[160:161], v[152:153], v[154:155]
	ds_read_b128 v[180:183], v2 offset:1360
	s_waitcnt vmcnt(14) lgkmcnt(1)
	v_mul_f64 v[162:163], v[176:177], v[30:31]
	scratch_load_dwordx4 v[152:155], off, off offset:752
	v_fmac_f64_e32 v[162:163], v[178:179], v[28:29]
	v_add_f64 v[164:165], v[160:161], v[162:163]
	scratch_load_dwordx4 v[160:163], off, off offset:768
	s_waitcnt vmcnt(15) lgkmcnt(0)
	v_mul_f64 v[166:167], v[180:181], v[34:35]
	v_fmac_f64_e32 v[166:167], v[182:183], v[32:33]
	v_add_f64 v[168:169], v[164:165], v[166:167]
	s_waitcnt vmcnt(14)
	v_mul_f64 v[170:171], v[184:185], v[38:39]
	scratch_load_dwordx4 v[164:167], off, off offset:784
	v_fmac_f64_e32 v[170:171], v[186:187], v[36:37]
	v_add_f64 v[168:169], v[168:169], v[170:171]
	s_waitcnt vmcnt(14)
	v_mul_f64 v[170:171], v[188:189], v[42:43]
	scratch_load_dwordx4 v[172:175], off, off offset:800
	v_fmac_f64_e32 v[170:171], v[190:191], v[40:41]
	v_add_f64 v[232:233], v[168:169], v[170:171]
	scratch_load_dwordx4 v[168:171], off, off offset:816
	v_mul_f64 v[82:83], v[198:199], v[82:83]
	v_fma_f64 v[242:243], v[196:197], v[80:81], -v[82:83]
	ds_read_b128 v[196:199], v2 offset:1424
	s_waitcnt vmcnt(15)
	v_mul_f64 v[80:81], v[192:193], v[46:47]
	v_fmac_f64_e32 v[80:81], v[194:195], v[44:45]
	v_add_f64 v[232:233], v[232:233], v[80:81]
	v_mul_f64 v[80:81], v[202:203], v[86:87]
	v_fma_f64 v[244:245], v[200:201], v[84:85], -v[80:81]
	scratch_load_dwordx4 v[80:83], off, off offset:832
	ds_read_b128 v[84:87], v2 offset:1440
	v_mul_f64 v[90:91], v[206:207], v[90:91]
	v_fma_f64 v[246:247], v[204:205], v[88:89], -v[90:91]
	ds_read_b128 v[88:91], v2 offset:1456
	s_waitcnt vmcnt(15) lgkmcnt(2)
	v_mul_f64 v[200:201], v[196:197], v[50:51]
	v_fmac_f64_e32 v[200:201], v[198:199], v[48:49]
	s_waitcnt vmcnt(14) lgkmcnt(1)
	v_mul_f64 v[202:203], v[84:85], v[54:55]
	v_add_f64 v[200:201], v[232:233], v[200:201]
	v_fmac_f64_e32 v[202:203], v[86:87], v[52:53]
	v_mul_f64 v[94:95], v[210:211], v[94:95]
	v_fma_f64 v[248:249], v[208:209], v[92:93], -v[94:95]
	ds_read_b128 v[92:95], v2 offset:1472
	v_add_f64 v[200:201], v[200:201], v[202:203]
	s_waitcnt vmcnt(13) lgkmcnt(1)
	v_mul_f64 v[202:203], v[88:89], v[58:59]
	v_fmac_f64_e32 v[202:203], v[90:91], v[56:57]
	v_add_f64 v[204:205], v[200:201], v[202:203]
	ds_read_b128 v[200:203], v2 offset:1488
	v_mul_f64 v[98:99], v[214:215], v[98:99]
	v_fma_f64 v[254:255], v[212:213], v[96:97], -v[98:99]
	ds_read_b128 v[96:99], v2 offset:1504
	s_waitcnt vmcnt(12) lgkmcnt(2)
	v_mul_f64 v[206:207], v[92:93], v[62:63]
	v_fmac_f64_e32 v[206:207], v[94:95], v[60:61]
	v_add_f64 v[204:205], v[204:205], v[206:207]
	s_waitcnt vmcnt(11) lgkmcnt(1)
	v_mul_f64 v[206:207], v[200:201], v[66:67]
	v_fmac_f64_e32 v[206:207], v[202:203], v[64:65]
	v_mul_f64 v[102:103], v[218:219], v[102:103]
	v_add_f64 v[204:205], v[204:205], v[206:207]
	v_fma_f64 v[232:233], v[216:217], v[100:101], -v[102:103]
	ds_read_b128 v[100:103], v2 offset:1520
	s_waitcnt vmcnt(10) lgkmcnt(1)
	v_mul_f64 v[206:207], v[96:97], v[70:71]
	v_fmac_f64_e32 v[206:207], v[98:99], v[68:69]
	v_add_f64 v[208:209], v[204:205], v[206:207]
	ds_read_b128 v[204:207], v2 offset:1536
	v_mul_f64 v[106:107], v[222:223], v[106:107]
	v_fma_f64 v[0:1], v[220:221], v[104:105], -v[106:107]
	ds_read_b128 v[104:107], v2 offset:1552
	s_waitcnt vmcnt(9) lgkmcnt(2)
	v_mul_f64 v[210:211], v[100:101], v[74:75]
	v_fmac_f64_e32 v[210:211], v[102:103], v[72:73]
	v_add_f64 v[208:209], v[208:209], v[210:211]
	s_waitcnt vmcnt(8) lgkmcnt(1)
	v_mul_f64 v[210:211], v[204:205], v[78:79]
	v_fmac_f64_e32 v[210:211], v[206:207], v[76:77]
	v_mul_f64 v[110:111], v[226:227], v[110:111]
	v_fma_f64 v[234:235], v[224:225], v[108:109], -v[110:111]
	ds_read_b128 v[108:111], v2 offset:1568
	v_add_f64 v[208:209], v[208:209], v[210:211]
	s_waitcnt vmcnt(7) lgkmcnt(1)
	v_mul_f64 v[210:211], v[104:105], v[126:127]
	v_fmac_f64_e32 v[210:211], v[106:107], v[124:125]
	v_add_f64 v[212:213], v[208:209], v[210:211]
	ds_read_b128 v[208:211], v2 offset:1584
	v_mul_f64 v[114:115], v[230:231], v[114:115]
	v_fma_f64 v[236:237], v[228:229], v[112:113], -v[114:115]
	ds_read_b128 v[112:115], v2 offset:1600
	s_waitcnt vmcnt(6) lgkmcnt(2)
	v_mul_f64 v[214:215], v[108:109], v[142:143]
	v_fmac_f64_e32 v[214:215], v[110:111], v[140:141]
	v_add_f64 v[212:213], v[212:213], v[214:215]
	s_waitcnt vmcnt(5) lgkmcnt(1)
	v_mul_f64 v[214:215], v[208:209], v[154:155]
	v_fmac_f64_e32 v[214:215], v[210:211], v[152:153]
	v_mul_f64 v[118:119], v[240:241], v[118:119]
	v_add_f64 v[212:213], v[212:213], v[214:215]
	v_fma_f64 v[238:239], v[238:239], v[116:117], -v[118:119]
	ds_read_b128 v[116:119], v2 offset:1616
	s_waitcnt vmcnt(4) lgkmcnt(1)
	v_mul_f64 v[214:215], v[112:113], v[162:163]
	v_fmac_f64_e32 v[214:215], v[114:115], v[160:161]
	v_add_f64 v[216:217], v[212:213], v[214:215]
	ds_read_b128 v[212:215], v2 offset:1632
	v_mul_f64 v[122:123], v[252:253], v[122:123]
	v_fma_f64 v[250:251], v[250:251], v[120:121], -v[122:123]
	ds_read_b128 v[120:123], v2 offset:1648
	s_waitcnt vmcnt(3) lgkmcnt(2)
	v_mul_f64 v[218:219], v[116:117], v[166:167]
	v_fmac_f64_e32 v[218:219], v[118:119], v[164:165]
	v_add_f64 v[216:217], v[216:217], v[218:219]
	s_waitcnt vmcnt(2) lgkmcnt(1)
	v_mul_f64 v[218:219], v[212:213], v[174:175]
	v_fmac_f64_e32 v[218:219], v[214:215], v[172:173]
	v_add_f64 v[216:217], v[216:217], v[218:219]
	;; [unrolled: 4-line block ×3, first 2 shown]
	ds_read_b128 v[216:219], v2 offset:1664
	ds_read_b128 v[224:227], v2 offset:1680
	v_mul_f64 v[6:7], v[158:159], v[6:7]
	v_fma_f64 v[4:5], v[156:157], v[4:5], -v[6:7]
	s_waitcnt vmcnt(0) lgkmcnt(1)
	v_mul_f64 v[222:223], v[216:217], v[82:83]
	v_fmac_f64_e32 v[222:223], v[218:219], v[80:81]
	v_add_f64 v[228:229], v[220:221], v[222:223]
	scratch_load_dwordx4 v[220:223], off, off offset:848
	s_waitcnt vmcnt(0) lgkmcnt(0)
	v_mul_f64 v[230:231], v[224:225], v[222:223]
	v_fmac_f64_e32 v[230:231], v[226:227], v[220:221]
	v_add_f64 v[240:241], v[228:229], v[230:231]
	v_add_f64 v[228:229], v[242:243], 0
	;; [unrolled: 1-line block ×8, first 2 shown]
	scratch_load_dwordx4 v[228:231], off, off offset:224
	v_add_f64 v[0:1], v[252:253], v[234:235]
	v_add_f64 v[0:1], v[0:1], v[236:237]
	v_add_f64 v[0:1], v[0:1], v[238:239]
	v_add_f64 v[0:1], v[0:1], v[250:251]
	v_add_f64 v[0:1], v[0:1], v[4:5]
	v_mul_f64 v[4:5], v[150:151], v[10:11]
	v_fma_f64 v[4:5], v[148:149], v[8:9], -v[4:5]
	v_add_f64 v[0:1], v[0:1], v[4:5]
	v_mul_f64 v[4:5], v[146:147], v[14:15]
	v_fma_f64 v[4:5], v[144:145], v[12:13], -v[4:5]
	v_add_f64 v[0:1], v[0:1], v[4:5]
	v_mul_f64 v[4:5], v[138:139], v[18:19]
	v_fma_f64 v[4:5], v[136:137], v[16:17], -v[4:5]
	v_add_f64 v[0:1], v[0:1], v[4:5]
	v_mul_f64 v[4:5], v[134:135], v[22:23]
	v_fma_f64 v[4:5], v[132:133], v[20:21], -v[4:5]
	v_add_f64 v[0:1], v[0:1], v[4:5]
	v_mul_f64 v[4:5], v[130:131], v[26:27]
	v_fma_f64 v[4:5], v[128:129], v[24:25], -v[4:5]
	v_add_f64 v[0:1], v[0:1], v[4:5]
	v_mul_f64 v[4:5], v[178:179], v[30:31]
	v_fma_f64 v[4:5], v[176:177], v[28:29], -v[4:5]
	v_add_f64 v[0:1], v[0:1], v[4:5]
	v_mul_f64 v[4:5], v[182:183], v[34:35]
	v_fma_f64 v[4:5], v[180:181], v[32:33], -v[4:5]
	v_add_f64 v[0:1], v[0:1], v[4:5]
	v_mul_f64 v[4:5], v[186:187], v[38:39]
	v_fma_f64 v[4:5], v[184:185], v[36:37], -v[4:5]
	v_add_f64 v[0:1], v[0:1], v[4:5]
	v_mul_f64 v[4:5], v[190:191], v[42:43]
	v_fma_f64 v[4:5], v[188:189], v[40:41], -v[4:5]
	v_add_f64 v[0:1], v[0:1], v[4:5]
	v_mul_f64 v[4:5], v[194:195], v[46:47]
	v_fma_f64 v[4:5], v[192:193], v[44:45], -v[4:5]
	v_add_f64 v[0:1], v[0:1], v[4:5]
	v_mul_f64 v[4:5], v[198:199], v[50:51]
	v_fma_f64 v[4:5], v[196:197], v[48:49], -v[4:5]
	v_add_f64 v[0:1], v[0:1], v[4:5]
	v_mul_f64 v[4:5], v[86:87], v[54:55]
	v_fma_f64 v[4:5], v[84:85], v[52:53], -v[4:5]
	v_add_f64 v[0:1], v[0:1], v[4:5]
	v_mul_f64 v[4:5], v[90:91], v[58:59]
	v_fma_f64 v[4:5], v[88:89], v[56:57], -v[4:5]
	v_add_f64 v[0:1], v[0:1], v[4:5]
	v_mul_f64 v[4:5], v[94:95], v[62:63]
	v_fma_f64 v[4:5], v[92:93], v[60:61], -v[4:5]
	v_add_f64 v[0:1], v[0:1], v[4:5]
	v_mul_f64 v[4:5], v[202:203], v[66:67]
	v_fma_f64 v[4:5], v[200:201], v[64:65], -v[4:5]
	v_add_f64 v[0:1], v[0:1], v[4:5]
	v_mul_f64 v[4:5], v[98:99], v[70:71]
	v_fma_f64 v[4:5], v[96:97], v[68:69], -v[4:5]
	v_add_f64 v[0:1], v[0:1], v[4:5]
	v_mul_f64 v[4:5], v[102:103], v[74:75]
	v_fma_f64 v[4:5], v[100:101], v[72:73], -v[4:5]
	v_add_f64 v[0:1], v[0:1], v[4:5]
	v_mul_f64 v[4:5], v[206:207], v[78:79]
	v_fma_f64 v[4:5], v[204:205], v[76:77], -v[4:5]
	v_add_f64 v[0:1], v[0:1], v[4:5]
	v_mul_f64 v[4:5], v[106:107], v[126:127]
	v_fma_f64 v[4:5], v[104:105], v[124:125], -v[4:5]
	v_add_f64 v[0:1], v[0:1], v[4:5]
	v_mul_f64 v[4:5], v[110:111], v[142:143]
	v_fma_f64 v[4:5], v[108:109], v[140:141], -v[4:5]
	v_add_f64 v[0:1], v[0:1], v[4:5]
	v_mul_f64 v[4:5], v[210:211], v[154:155]
	v_fma_f64 v[4:5], v[208:209], v[152:153], -v[4:5]
	v_add_f64 v[0:1], v[0:1], v[4:5]
	v_mul_f64 v[4:5], v[114:115], v[162:163]
	v_fma_f64 v[4:5], v[112:113], v[160:161], -v[4:5]
	v_add_f64 v[0:1], v[0:1], v[4:5]
	v_mul_f64 v[4:5], v[118:119], v[166:167]
	v_fma_f64 v[4:5], v[116:117], v[164:165], -v[4:5]
	v_add_f64 v[0:1], v[0:1], v[4:5]
	v_mul_f64 v[4:5], v[214:215], v[174:175]
	v_fma_f64 v[4:5], v[212:213], v[172:173], -v[4:5]
	v_add_f64 v[0:1], v[0:1], v[4:5]
	v_mul_f64 v[4:5], v[122:123], v[170:171]
	v_fma_f64 v[4:5], v[120:121], v[168:169], -v[4:5]
	v_add_f64 v[0:1], v[0:1], v[4:5]
	v_mul_f64 v[4:5], v[218:219], v[82:83]
	v_fma_f64 v[4:5], v[216:217], v[80:81], -v[4:5]
	v_add_f64 v[0:1], v[0:1], v[4:5]
	v_mul_f64 v[4:5], v[226:227], v[222:223]
	v_fma_f64 v[4:5], v[224:225], v[220:221], -v[4:5]
	v_add_f64 v[0:1], v[0:1], v[4:5]
	s_waitcnt vmcnt(0)
	v_add_f64 v[4:5], v[228:229], -v[0:1]
	v_accvgpr_read_b32 v0, a106
	v_add_f64 v[6:7], v[230:231], -v[240:241]
	v_cmp_lt_u32_e32 vcc, 12, v0
	scratch_store_dwordx4 off, v[4:7], off offset:224
	s_and_saveexec_b64 s[0:1], vcc
	s_cbranch_execz .LBB52_307
; %bb.306:
	scratch_load_dwordx4 v[6:9], off, s43
	v_mov_b32_e32 v3, v2
	v_mov_b32_e32 v4, v2
	v_mov_b32_e32 v5, v2
	v_accvgpr_read_b32 v0, a107
	scratch_store_dwordx4 off, v[2:5], off offset:208
	s_waitcnt vmcnt(1)
	ds_write_b128 v0, v[6:9]
.LBB52_307:
	s_or_b64 exec, exec, s[0:1]
	s_waitcnt lgkmcnt(0)
	; wave barrier
	scratch_load_dwordx4 v[132:135], off, off offset:224
	scratch_load_dwordx4 v[160:163], off, off offset:240
	scratch_load_dwordx4 v[164:167], off, off offset:256
	scratch_load_dwordx4 v[168:171], off, off offset:272
	scratch_load_dwordx4 v[176:179], off, off offset:288
	scratch_load_dwordx4 v[180:183], off, off offset:304
	scratch_load_dwordx4 v[188:191], off, off offset:320
	scratch_load_dwordx4 v[192:195], off, off offset:336
	scratch_load_dwordx4 v[200:203], off, off offset:352
	scratch_load_dwordx4 v[204:207], off, off offset:368
	scratch_load_dwordx4 v[212:215], off, off offset:384
	scratch_load_dwordx4 v[4:7], off, off offset:400
	scratch_load_dwordx4 v[8:11], off, off offset:416
	scratch_load_dwordx4 v[12:15], off, off offset:432
	scratch_load_dwordx4 v[16:19], off, off offset:448
	scratch_load_dwordx4 v[20:23], off, off offset:464
	ds_read_b128 v[156:159], v2 offset:1056
	ds_read_b128 v[172:175], v2 offset:1072
	scratch_load_dwordx4 v[24:27], off, off offset:480
	ds_read_b128 v[232:235], v2 offset:1088
	ds_read_b128 v[228:231], v2 offset:1104
	scratch_load_dwordx4 v[28:31], off, off offset:496
	ds_read_b128 v[236:239], v2 offset:1120
	ds_read_b128 v[184:187], v2 offset:1136
	;; [unrolled: 1-line block ×5, first 2 shown]
	scratch_load_dwordx4 v[32:35], off, off offset:512
	ds_read_b128 v[220:223], v2 offset:1200
	ds_read_b128 v[216:219], v2 offset:1216
	;; [unrolled: 1-line block ×3, first 2 shown]
	scratch_load_dwordx4 v[36:39], off, off offset:528
	ds_read_b128 v[64:67], v2 offset:1248
	ds_read_b128 v[60:63], v2 offset:1264
	;; [unrolled: 1-line block ×5, first 2 shown]
	scratch_load_dwordx4 v[52:55], off, off offset:544
	scratch_load_dwordx4 v[68:71], off, off offset:560
	;; [unrolled: 1-line block ×11, first 2 shown]
	ds_read_b128 v[144:147], v2 offset:1360
	ds_read_b128 v[148:151], v2 offset:1376
	;; [unrolled: 1-line block ×3, first 2 shown]
	s_waitcnt vmcnt(30) lgkmcnt(14)
	v_mul_f64 v[0:1], v[156:157], v[134:135]
	s_waitcnt vmcnt(29)
	v_mul_f64 v[108:109], v[172:173], v[162:163]
	v_fmac_f64_e32 v[0:1], v[158:159], v[132:133]
	s_waitcnt vmcnt(28)
	v_mul_f64 v[110:111], v[232:233], v[166:167]
	v_fmac_f64_e32 v[108:109], v[174:175], v[160:161]
	v_add_f64 v[0:1], v[0:1], 0
	s_waitcnt vmcnt(27)
	v_mul_f64 v[112:113], v[228:229], v[170:171]
	v_fmac_f64_e32 v[110:111], v[234:235], v[164:165]
	v_add_f64 v[0:1], v[0:1], v[108:109]
	;; [unrolled: 4-line block ×4, first 2 shown]
	s_waitcnt vmcnt(24) lgkmcnt(13)
	v_mul_f64 v[118:119], v[224:225], v[190:191]
	v_fmac_f64_e32 v[116:117], v[186:187], v[180:181]
	v_add_f64 v[0:1], v[0:1], v[114:115]
	s_waitcnt vmcnt(23) lgkmcnt(12)
	v_mul_f64 v[120:121], v[196:197], v[194:195]
	v_fmac_f64_e32 v[118:119], v[226:227], v[188:189]
	v_add_f64 v[0:1], v[0:1], v[116:117]
	;; [unrolled: 4-line block ×9, first 2 shown]
	v_fmac_f64_e32 v[138:139], v[58:59], v[16:17]
	v_add_f64 v[0:1], v[0:1], v[136:137]
	v_add_f64 v[0:1], v[0:1], v[138:139]
	ds_read_b128 v[136:139], v2 offset:1328
	s_waitcnt vmcnt(15) lgkmcnt(5)
	v_mul_f64 v[140:141], v[48:49], v[22:23]
	v_fmac_f64_e32 v[140:141], v[50:51], v[20:21]
	s_waitcnt vmcnt(14) lgkmcnt(4)
	v_mul_f64 v[112:113], v[44:45], v[26:27]
	scratch_load_dwordx4 v[108:111], off, off offset:720
	v_add_f64 v[0:1], v[0:1], v[140:141]
	v_fmac_f64_e32 v[112:113], v[46:47], v[24:25]
	v_add_f64 v[0:1], v[0:1], v[112:113]
	scratch_load_dwordx4 v[112:115], off, off offset:736
	ds_read_b128 v[140:143], v2 offset:1344
	s_waitcnt vmcnt(15) lgkmcnt(1)
	v_mul_f64 v[116:117], v[136:137], v[30:31]
	v_fmac_f64_e32 v[116:117], v[138:139], v[28:29]
	v_add_f64 v[0:1], v[0:1], v[116:117]
	scratch_load_dwordx4 v[116:119], off, off offset:752
	s_waitcnt vmcnt(15) lgkmcnt(0)
	v_mul_f64 v[120:121], v[140:141], v[34:35]
	v_fmac_f64_e32 v[120:121], v[142:143], v[32:33]
	s_waitcnt vmcnt(14)
	v_mul_f64 v[124:125], v[144:145], v[38:39]
	v_add_f64 v[0:1], v[0:1], v[120:121]
	scratch_load_dwordx4 v[120:123], off, off offset:768
	v_fmac_f64_e32 v[124:125], v[146:147], v[36:37]
	v_add_f64 v[0:1], v[0:1], v[124:125]
	s_waitcnt vmcnt(14)
	v_mul_f64 v[124:125], v[148:149], v[54:55]
	scratch_load_dwordx4 v[128:131], off, off offset:784
	v_fmac_f64_e32 v[124:125], v[150:151], v[52:53]
	v_add_f64 v[0:1], v[0:1], v[124:125]
	scratch_load_dwordx4 v[124:127], off, off offset:800
	v_mul_f64 v[134:135], v[158:159], v[134:135]
	v_fma_f64 v[240:241], v[156:157], v[132:133], -v[134:135]
	ds_read_b128 v[156:159], v2 offset:1408
	s_waitcnt vmcnt(15)
	v_mul_f64 v[132:133], v[152:153], v[70:71]
	v_fmac_f64_e32 v[132:133], v[154:155], v[68:69]
	v_add_f64 v[0:1], v[0:1], v[132:133]
	v_mul_f64 v[132:133], v[174:175], v[162:163]
	v_fma_f64 v[242:243], v[172:173], v[160:161], -v[132:133]
	scratch_load_dwordx4 v[132:135], off, off offset:816
	ds_read_b128 v[160:163], v2 offset:1424
	v_mul_f64 v[166:167], v[234:235], v[166:167]
	v_fma_f64 v[244:245], v[232:233], v[164:165], -v[166:167]
	ds_read_b128 v[164:167], v2 offset:1440
	s_waitcnt vmcnt(15) lgkmcnt(2)
	v_mul_f64 v[172:173], v[156:157], v[74:75]
	v_fmac_f64_e32 v[172:173], v[158:159], v[72:73]
	v_add_f64 v[0:1], v[0:1], v[172:173]
	s_waitcnt vmcnt(14) lgkmcnt(1)
	v_mul_f64 v[172:173], v[160:161], v[78:79]
	v_fmac_f64_e32 v[172:173], v[162:163], v[76:77]
	v_mul_f64 v[170:171], v[230:231], v[170:171]
	v_fma_f64 v[246:247], v[228:229], v[168:169], -v[170:171]
	ds_read_b128 v[168:171], v2 offset:1456
	v_add_f64 v[0:1], v[0:1], v[172:173]
	s_waitcnt vmcnt(13) lgkmcnt(1)
	v_mul_f64 v[172:173], v[164:165], v[82:83]
	v_fmac_f64_e32 v[172:173], v[166:167], v[80:81]
	v_add_f64 v[0:1], v[0:1], v[172:173]
	ds_read_b128 v[172:175], v2 offset:1472
	v_mul_f64 v[178:179], v[238:239], v[178:179]
	v_fma_f64 v[236:237], v[236:237], v[176:177], -v[178:179]
	ds_read_b128 v[176:179], v2 offset:1488
	s_waitcnt vmcnt(12) lgkmcnt(2)
	v_mul_f64 v[228:229], v[168:169], v[86:87]
	v_fmac_f64_e32 v[228:229], v[170:171], v[84:85]
	v_add_f64 v[0:1], v[0:1], v[228:229]
	s_waitcnt vmcnt(11) lgkmcnt(1)
	v_mul_f64 v[228:229], v[172:173], v[90:91]
	v_mul_f64 v[182:183], v[186:187], v[182:183]
	v_fmac_f64_e32 v[228:229], v[174:175], v[88:89]
	v_fma_f64 v[238:239], v[184:185], v[180:181], -v[182:183]
	ds_read_b128 v[180:183], v2 offset:1504
	s_waitcnt vmcnt(10) lgkmcnt(1)
	v_mul_f64 v[184:185], v[176:177], v[94:95]
	v_add_f64 v[0:1], v[0:1], v[228:229]
	v_fmac_f64_e32 v[184:185], v[178:179], v[92:93]
	v_add_f64 v[0:1], v[0:1], v[184:185]
	ds_read_b128 v[184:187], v2 offset:1520
	v_mul_f64 v[190:191], v[226:227], v[190:191]
	v_fma_f64 v[248:249], v[224:225], v[188:189], -v[190:191]
	ds_read_b128 v[188:191], v2 offset:1536
	s_waitcnt vmcnt(9) lgkmcnt(2)
	v_mul_f64 v[228:229], v[180:181], v[98:99]
	v_fmac_f64_e32 v[228:229], v[182:183], v[96:97]
	s_waitcnt vmcnt(8) lgkmcnt(1)
	v_mul_f64 v[224:225], v[184:185], v[102:103]
	v_mul_f64 v[194:195], v[198:199], v[194:195]
	v_add_f64 v[0:1], v[0:1], v[228:229]
	v_fmac_f64_e32 v[224:225], v[186:187], v[100:101]
	v_fma_f64 v[254:255], v[196:197], v[192:193], -v[194:195]
	s_waitcnt vmcnt(7) lgkmcnt(0)
	v_mul_f64 v[196:197], v[188:189], v[106:107]
	ds_read_b128 v[192:195], v2 offset:1552
	v_add_f64 v[0:1], v[0:1], v[224:225]
	v_fmac_f64_e32 v[196:197], v[190:191], v[104:105]
	v_add_f64 v[0:1], v[0:1], v[196:197]
	ds_read_b128 v[196:199], v2 offset:1568
	v_mul_f64 v[202:203], v[210:211], v[202:203]
	v_fma_f64 v[250:251], v[208:209], v[200:201], -v[202:203]
	ds_read_b128 v[200:203], v2 offset:1584
	s_waitcnt vmcnt(6) lgkmcnt(2)
	v_mul_f64 v[224:225], v[192:193], v[110:111]
	v_fmac_f64_e32 v[224:225], v[194:195], v[108:109]
	s_waitcnt vmcnt(5) lgkmcnt(1)
	v_mul_f64 v[208:209], v[196:197], v[114:115]
	v_add_f64 v[0:1], v[0:1], v[224:225]
	v_fmac_f64_e32 v[208:209], v[198:199], v[112:113]
	v_add_f64 v[208:209], v[0:1], v[208:209]
	v_mul_f64 v[0:1], v[222:223], v[206:207]
	v_fma_f64 v[0:1], v[220:221], v[204:205], -v[0:1]
	ds_read_b128 v[204:207], v2 offset:1600
	s_waitcnt vmcnt(4) lgkmcnt(1)
	v_mul_f64 v[210:211], v[200:201], v[118:119]
	v_fmac_f64_e32 v[210:211], v[202:203], v[116:117]
	v_add_f64 v[220:221], v[208:209], v[210:211]
	ds_read_b128 v[208:211], v2 offset:1616
	v_mul_f64 v[214:215], v[218:219], v[214:215]
	v_fma_f64 v[252:253], v[216:217], v[212:213], -v[214:215]
	ds_read_b128 v[212:215], v2 offset:1632
	s_waitcnt vmcnt(3) lgkmcnt(2)
	v_mul_f64 v[216:217], v[204:205], v[122:123]
	v_fmac_f64_e32 v[216:217], v[206:207], v[120:121]
	s_waitcnt vmcnt(2) lgkmcnt(1)
	v_mul_f64 v[218:219], v[208:209], v[130:131]
	v_add_f64 v[216:217], v[220:221], v[216:217]
	v_fmac_f64_e32 v[218:219], v[210:211], v[128:129]
	v_add_f64 v[216:217], v[216:217], v[218:219]
	s_waitcnt vmcnt(1) lgkmcnt(0)
	v_mul_f64 v[218:219], v[212:213], v[126:127]
	v_fmac_f64_e32 v[218:219], v[214:215], v[124:125]
	v_add_f64 v[220:221], v[216:217], v[218:219]
	ds_read_b128 v[216:219], v2 offset:1648
	ds_read_b128 v[224:227], v2 offset:1664
	scratch_load_dwordx4 v[232:235], off, off offset:848
	v_accvgpr_write_b32 a109, v1
	v_accvgpr_write_b32 a108, v0
	s_waitcnt vmcnt(1) lgkmcnt(1)
	v_mul_f64 v[222:223], v[216:217], v[134:135]
	v_fmac_f64_e32 v[222:223], v[218:219], v[132:133]
	v_add_f64 v[228:229], v[220:221], v[222:223]
	scratch_load_dwordx4 v[220:223], off, off offset:832
	v_mul_f64 v[6:7], v[42:43], v[6:7]
	v_fma_f64 v[4:5], v[40:41], v[4:5], -v[6:7]
	s_waitcnt vmcnt(0) lgkmcnt(0)
	v_mul_f64 v[230:231], v[224:225], v[222:223]
	v_fmac_f64_e32 v[230:231], v[226:227], v[220:221]
	v_add_f64 v[0:1], v[228:229], v[230:231]
	ds_read_b128 v[228:231], v2 offset:1680
	s_waitcnt lgkmcnt(0)
	v_mul_f64 v[2:3], v[228:229], v[234:235]
	v_fmac_f64_e32 v[2:3], v[230:231], v[232:233]
	v_add_f64 v[2:3], v[0:1], v[2:3]
	v_add_f64 v[0:1], v[240:241], 0
	v_add_f64 v[0:1], v[0:1], v[242:243]
	v_add_f64 v[0:1], v[0:1], v[244:245]
	v_add_f64 v[0:1], v[0:1], v[246:247]
	v_add_f64 v[0:1], v[0:1], v[236:237]
	v_add_f64 v[0:1], v[0:1], v[238:239]
	scratch_load_dwordx4 v[236:239], off, off offset:208
	v_add_f64 v[0:1], v[0:1], v[248:249]
	v_add_f64 v[0:1], v[0:1], v[254:255]
	;; [unrolled: 1-line block ×3, first 2 shown]
	v_accvgpr_read_b32 v0, a108
	v_accvgpr_read_b32 v1, a109
	v_add_f64 v[0:1], v[254:255], v[0:1]
	v_add_f64 v[0:1], v[0:1], v[252:253]
	;; [unrolled: 1-line block ×3, first 2 shown]
	v_mul_f64 v[4:5], v[66:67], v[10:11]
	v_fma_f64 v[4:5], v[64:65], v[8:9], -v[4:5]
	v_add_f64 v[0:1], v[0:1], v[4:5]
	v_mul_f64 v[4:5], v[62:63], v[14:15]
	v_fma_f64 v[4:5], v[60:61], v[12:13], -v[4:5]
	v_add_f64 v[0:1], v[0:1], v[4:5]
	;; [unrolled: 3-line block ×28, first 2 shown]
	s_waitcnt vmcnt(0)
	v_add_f64 v[4:5], v[236:237], -v[0:1]
	v_accvgpr_read_b32 v0, a106
	v_add_f64 v[6:7], v[238:239], -v[2:3]
	v_cmp_lt_u32_e32 vcc, 11, v0
	scratch_store_dwordx4 off, v[4:7], off offset:208
	s_and_saveexec_b64 s[0:1], vcc
	s_cbranch_execz .LBB52_309
; %bb.308:
	scratch_load_dwordx4 v[2:5], off, s42
	v_mov_b32_e32 v6, 0
	v_mov_b32_e32 v7, v6
	;; [unrolled: 1-line block ×4, first 2 shown]
	v_accvgpr_read_b32 v0, a107
	scratch_store_dwordx4 off, v[6:9], off offset:192
	s_waitcnt vmcnt(1)
	ds_write_b128 v0, v[2:5]
.LBB52_309:
	s_or_b64 exec, exec, s[0:1]
	s_waitcnt lgkmcnt(0)
	; wave barrier
	scratch_load_dwordx4 v[112:115], off, off offset:208
	scratch_load_dwordx4 v[116:119], off, off offset:224
	;; [unrolled: 1-line block ×30, first 2 shown]
	v_mov_b32_e32 v2, 0
	ds_read_b128 v[144:147], v2 offset:1040
	ds_read_b128 v[156:159], v2 offset:1056
	ds_read_b128 v[168:171], v2 offset:1072
	ds_read_b128 v[180:183], v2 offset:1088
	ds_read_b128 v[192:195], v2 offset:1104
	ds_read_b128 v[204:207], v2 offset:1120
	ds_read_b128 v[212:215], v2 offset:1136
	ds_read_b128 v[216:219], v2 offset:1152
	ds_read_b128 v[220:223], v2 offset:1168
	ds_read_b128 v[224:227], v2 offset:1184
	ds_read_b128 v[228:231], v2 offset:1200
	ds_read_b128 v[238:241], v2 offset:1216
	ds_read_b128 v[250:253], v2 offset:1232
	ds_read_b128 v[84:87], v2 offset:1248
	ds_read_b128 v[80:83], v2 offset:1264
	ds_read_b128 v[76:79], v2 offset:1280
	ds_read_b128 v[72:75], v2 offset:1296
	ds_read_b128 v[132:135], v2 offset:1344
	ds_read_b128 v[136:139], v2 offset:1360
	ds_read_b128 v[140:143], v2 offset:1376
	s_waitcnt vmcnt(29) lgkmcnt(14)
	v_mul_f64 v[0:1], v[144:145], v[114:115]
	s_waitcnt vmcnt(28)
	v_mul_f64 v[88:89], v[156:157], v[118:119]
	v_fmac_f64_e32 v[0:1], v[146:147], v[112:113]
	s_waitcnt vmcnt(27)
	v_mul_f64 v[90:91], v[168:169], v[122:123]
	v_fmac_f64_e32 v[88:89], v[158:159], v[116:117]
	v_add_f64 v[0:1], v[0:1], 0
	s_waitcnt vmcnt(26)
	v_mul_f64 v[92:93], v[180:181], v[154:155]
	v_fmac_f64_e32 v[90:91], v[170:171], v[120:121]
	v_add_f64 v[0:1], v[0:1], v[88:89]
	;; [unrolled: 4-line block ×4, first 2 shown]
	s_waitcnt vmcnt(23) lgkmcnt(13)
	v_mul_f64 v[98:99], v[212:213], v[174:175]
	v_fmac_f64_e32 v[96:97], v[206:207], v[164:165]
	v_add_f64 v[0:1], v[0:1], v[94:95]
	s_waitcnt vmcnt(22) lgkmcnt(12)
	v_mul_f64 v[100:101], v[216:217], v[178:179]
	v_fmac_f64_e32 v[98:99], v[214:215], v[172:173]
	v_add_f64 v[0:1], v[0:1], v[96:97]
	;; [unrolled: 4-line block ×9, first 2 shown]
	v_fmac_f64_e32 v[126:127], v[82:83], v[234:235]
	v_add_f64 v[0:1], v[0:1], v[124:125]
	scratch_load_dwordx4 v[88:91], off, off offset:688
	s_waitcnt vmcnt(15) lgkmcnt(4)
	v_mul_f64 v[128:129], v[76:77], v[14:15]
	v_add_f64 v[0:1], v[0:1], v[126:127]
	ds_read_b128 v[124:127], v2 offset:1312
	v_fmac_f64_e32 v[128:129], v[78:79], v[12:13]
	v_add_f64 v[0:1], v[0:1], v[128:129]
	ds_read_b128 v[128:131], v2 offset:1328
	s_waitcnt vmcnt(14) lgkmcnt(5)
	v_mul_f64 v[92:93], v[72:73], v[18:19]
	v_fmac_f64_e32 v[92:93], v[74:75], v[16:17]
	v_add_f64 v[0:1], v[0:1], v[92:93]
	s_waitcnt vmcnt(13) lgkmcnt(1)
	v_mul_f64 v[96:97], v[124:125], v[22:23]
	scratch_load_dwordx4 v[92:95], off, off offset:704
	v_fmac_f64_e32 v[96:97], v[126:127], v[20:21]
	v_add_f64 v[0:1], v[0:1], v[96:97]
	s_waitcnt vmcnt(13) lgkmcnt(0)
	v_mul_f64 v[100:101], v[128:129], v[26:27]
	scratch_load_dwordx4 v[96:99], off, off offset:720
	v_fmac_f64_e32 v[100:101], v[130:131], v[24:25]
	v_add_f64 v[0:1], v[0:1], v[100:101]
	scratch_load_dwordx4 v[100:103], off, off offset:736
	s_waitcnt vmcnt(14)
	v_mul_f64 v[104:105], v[132:133], v[30:31]
	v_fmac_f64_e32 v[104:105], v[134:135], v[28:29]
	v_add_f64 v[0:1], v[0:1], v[104:105]
	s_waitcnt vmcnt(13)
	v_mul_f64 v[104:105], v[136:137], v[34:35]
	v_fmac_f64_e32 v[104:105], v[138:139], v[32:33]
	v_add_f64 v[0:1], v[0:1], v[104:105]
	scratch_load_dwordx4 v[104:107], off, off offset:752
	s_waitcnt vmcnt(13)
	v_mul_f64 v[108:109], v[140:141], v[38:39]
	v_fmac_f64_e32 v[108:109], v[142:143], v[36:37]
	v_add_f64 v[0:1], v[0:1], v[108:109]
	scratch_load_dwordx4 v[108:111], off, off offset:768
	v_mul_f64 v[114:115], v[146:147], v[114:115]
	v_fma_f64 v[242:243], v[144:145], v[112:113], -v[114:115]
	v_mul_f64 v[112:113], v[158:159], v[118:119]
	ds_read_b128 v[148:151], v2 offset:1392
	ds_read_b128 v[144:147], v2 offset:1408
	v_fma_f64 v[244:245], v[156:157], v[116:117], -v[112:113]
	scratch_load_dwordx4 v[116:119], off, off offset:784
	scratch_load_dwordx4 v[112:115], off, off offset:800
	v_mul_f64 v[122:123], v[170:171], v[122:123]
	v_fma_f64 v[246:247], v[168:169], v[120:121], -v[122:123]
	scratch_load_dwordx4 v[120:123], off, off offset:816
	s_waitcnt vmcnt(16) lgkmcnt(1)
	v_mul_f64 v[156:157], v[148:149], v[42:43]
	v_fmac_f64_e32 v[156:157], v[150:151], v[40:41]
	v_mul_f64 v[154:155], v[182:183], v[154:155]
	v_add_f64 v[0:1], v[0:1], v[156:157]
	v_fma_f64 v[248:249], v[180:181], v[152:153], -v[154:155]
	ds_read_b128 v[152:155], v2 offset:1424
	s_waitcnt vmcnt(15) lgkmcnt(1)
	v_mul_f64 v[156:157], v[144:145], v[46:47]
	v_fmac_f64_e32 v[156:157], v[146:147], v[44:45]
	v_add_f64 v[0:1], v[0:1], v[156:157]
	ds_read_b128 v[156:159], v2 offset:1440
	v_mul_f64 v[162:163], v[194:195], v[162:163]
	v_fma_f64 v[254:255], v[192:193], v[160:161], -v[162:163]
	ds_read_b128 v[160:163], v2 offset:1456
	s_waitcnt vmcnt(14) lgkmcnt(2)
	v_mul_f64 v[168:169], v[152:153], v[50:51]
	v_fmac_f64_e32 v[168:169], v[154:155], v[48:49]
	v_add_f64 v[0:1], v[0:1], v[168:169]
	s_waitcnt vmcnt(13) lgkmcnt(1)
	v_mul_f64 v[168:169], v[156:157], v[54:55]
	v_fmac_f64_e32 v[168:169], v[158:159], v[52:53]
	v_mul_f64 v[166:167], v[206:207], v[166:167]
	v_add_f64 v[0:1], v[0:1], v[168:169]
	v_fma_f64 v[232:233], v[204:205], v[164:165], -v[166:167]
	ds_read_b128 v[164:167], v2 offset:1472
	s_waitcnt vmcnt(12) lgkmcnt(1)
	v_mul_f64 v[168:169], v[160:161], v[58:59]
	v_fmac_f64_e32 v[168:169], v[162:163], v[56:57]
	v_add_f64 v[0:1], v[0:1], v[168:169]
	ds_read_b128 v[168:171], v2 offset:1488
	v_accvgpr_write_b32 a111, v7
	v_accvgpr_write_b32 a110, v6
	;; [unrolled: 1-line block ×4, first 2 shown]
	s_waitcnt vmcnt(11) lgkmcnt(1)
	v_mul_f64 v[6:7], v[164:165], v[62:63]
	v_mul_f64 v[174:175], v[214:215], v[174:175]
	v_fmac_f64_e32 v[6:7], v[166:167], v[60:61]
	v_fma_f64 v[8:9], v[212:213], v[172:173], -v[174:175]
	ds_read_b128 v[172:175], v2 offset:1504
	v_add_f64 v[0:1], v[0:1], v[6:7]
	s_waitcnt vmcnt(10) lgkmcnt(1)
	v_mul_f64 v[6:7], v[168:169], v[66:67]
	v_fmac_f64_e32 v[6:7], v[170:171], v[64:65]
	v_add_f64 v[0:1], v[0:1], v[6:7]
	v_mul_f64 v[6:7], v[218:219], v[178:179]
	v_fma_f64 v[4:5], v[216:217], v[176:177], -v[6:7]
	ds_read_b128 v[176:179], v2 offset:1520
	ds_read_b128 v[180:183], v2 offset:1536
	s_waitcnt vmcnt(9) lgkmcnt(2)
	v_mul_f64 v[6:7], v[172:173], v[70:71]
	v_fmac_f64_e32 v[6:7], v[174:175], v[68:69]
	v_add_f64 v[0:1], v[0:1], v[6:7]
	s_waitcnt vmcnt(8) lgkmcnt(1)
	v_mul_f64 v[6:7], v[176:177], v[90:91]
	v_fmac_f64_e32 v[6:7], v[178:179], v[88:89]
	v_add_f64 v[0:1], v[0:1], v[6:7]
	v_mul_f64 v[6:7], v[222:223], v[186:187]
	v_fma_f64 v[10:11], v[220:221], v[184:185], -v[6:7]
	ds_read_b128 v[184:187], v2 offset:1552
	v_mul_f64 v[6:7], v[226:227], v[190:191]
	v_fma_f64 v[6:7], v[224:225], v[188:189], -v[6:7]
	ds_read_b128 v[188:191], v2 offset:1568
	s_waitcnt vmcnt(7) lgkmcnt(2)
	v_mul_f64 v[192:193], v[180:181], v[94:95]
	v_fmac_f64_e32 v[192:193], v[182:183], v[92:93]
	v_add_f64 v[0:1], v[0:1], v[192:193]
	s_waitcnt vmcnt(6) lgkmcnt(1)
	v_mul_f64 v[192:193], v[184:185], v[98:99]
	v_fmac_f64_e32 v[192:193], v[186:187], v[96:97]
	v_add_f64 v[0:1], v[0:1], v[192:193]
	s_waitcnt vmcnt(5) lgkmcnt(0)
	v_mul_f64 v[204:205], v[188:189], v[102:103]
	ds_read_b128 v[192:195], v2 offset:1584
	v_fmac_f64_e32 v[204:205], v[190:191], v[100:101]
	v_add_f64 v[204:205], v[0:1], v[204:205]
	v_mul_f64 v[0:1], v[230:231], v[198:199]
	v_fma_f64 v[0:1], v[228:229], v[196:197], -v[0:1]
	ds_read_b128 v[196:199], v2 offset:1600
	v_mul_f64 v[202:203], v[240:241], v[202:203]
	s_waitcnt vmcnt(4) lgkmcnt(1)
	v_mul_f64 v[206:207], v[192:193], v[106:107]
	v_fma_f64 v[238:239], v[238:239], v[200:201], -v[202:203]
	ds_read_b128 v[200:203], v2 offset:1616
	v_fmac_f64_e32 v[206:207], v[194:195], v[104:105]
	v_add_f64 v[212:213], v[204:205], v[206:207]
	ds_read_b128 v[204:207], v2 offset:1632
	s_waitcnt vmcnt(3) lgkmcnt(2)
	v_mul_f64 v[214:215], v[196:197], v[110:111]
	v_mul_f64 v[210:211], v[252:253], v[210:211]
	v_fmac_f64_e32 v[214:215], v[198:199], v[108:109]
	v_fma_f64 v[250:251], v[250:251], v[208:209], -v[210:211]
	ds_read_b128 v[208:211], v2 offset:1648
	ds_read_b128 v[216:219], v2 offset:1664
	v_add_f64 v[212:213], v[212:213], v[214:215]
	s_waitcnt vmcnt(2) lgkmcnt(3)
	v_mul_f64 v[214:215], v[200:201], v[118:119]
	v_fmac_f64_e32 v[214:215], v[202:203], v[116:117]
	v_add_f64 v[212:213], v[212:213], v[214:215]
	s_waitcnt vmcnt(1) lgkmcnt(2)
	v_mul_f64 v[214:215], v[204:205], v[114:115]
	v_fmac_f64_e32 v[214:215], v[206:207], v[112:113]
	;; [unrolled: 4-line block ×3, first 2 shown]
	v_add_f64 v[220:221], v[212:213], v[214:215]
	scratch_load_dwordx4 v[212:215], off, off offset:832
	ds_read_b128 v[224:227], v2 offset:1680
	s_waitcnt vmcnt(0) lgkmcnt(1)
	v_mul_f64 v[222:223], v[216:217], v[214:215]
	v_fmac_f64_e32 v[222:223], v[218:219], v[212:213]
	v_add_f64 v[228:229], v[220:221], v[222:223]
	scratch_load_dwordx4 v[220:223], off, off offset:848
	s_waitcnt vmcnt(0) lgkmcnt(0)
	v_mul_f64 v[230:231], v[224:225], v[222:223]
	v_fmac_f64_e32 v[230:231], v[226:227], v[220:221]
	v_add_f64 v[240:241], v[228:229], v[230:231]
	v_add_f64 v[228:229], v[242:243], 0
	;; [unrolled: 1-line block ×8, first 2 shown]
	scratch_load_dwordx4 v[228:231], off, off offset:192
	v_add_f64 v[4:5], v[8:9], v[4:5]
	v_add_f64 v[252:253], v[4:5], v[10:11]
	;; [unrolled: 1-line block ×3, first 2 shown]
	v_accvgpr_read_b32 v6, a108
	v_add_f64 v[0:1], v[4:5], v[0:1]
	v_accvgpr_read_b32 v8, a110
	v_accvgpr_read_b32 v9, a111
	v_add_f64 v[0:1], v[0:1], v[238:239]
	v_accvgpr_read_b32 v7, a109
	v_mul_f64 v[4:5], v[86:87], v[8:9]
	v_add_f64 v[0:1], v[0:1], v[250:251]
	v_fma_f64 v[4:5], v[84:85], v[6:7], -v[4:5]
	v_add_f64 v[0:1], v[0:1], v[4:5]
	v_mul_f64 v[4:5], v[82:83], v[236:237]
	v_fma_f64 v[4:5], v[80:81], v[234:235], -v[4:5]
	v_add_f64 v[0:1], v[0:1], v[4:5]
	v_mul_f64 v[4:5], v[78:79], v[14:15]
	;; [unrolled: 3-line block ×27, first 2 shown]
	v_fma_f64 v[4:5], v[224:225], v[220:221], -v[4:5]
	v_add_f64 v[0:1], v[0:1], v[4:5]
	s_waitcnt vmcnt(0)
	v_add_f64 v[4:5], v[228:229], -v[0:1]
	v_accvgpr_read_b32 v0, a106
	v_add_f64 v[6:7], v[230:231], -v[240:241]
	v_cmp_lt_u32_e32 vcc, 10, v0
	scratch_store_dwordx4 off, v[4:7], off offset:192
	s_and_saveexec_b64 s[0:1], vcc
	s_cbranch_execz .LBB52_311
; %bb.310:
	scratch_load_dwordx4 v[6:9], off, s41
	v_mov_b32_e32 v3, v2
	v_mov_b32_e32 v4, v2
	;; [unrolled: 1-line block ×3, first 2 shown]
	v_accvgpr_read_b32 v0, a107
	scratch_store_dwordx4 off, v[2:5], off offset:176
	s_waitcnt vmcnt(1)
	ds_write_b128 v0, v[6:9]
.LBB52_311:
	s_or_b64 exec, exec, s[0:1]
	s_waitcnt lgkmcnt(0)
	; wave barrier
	scratch_load_dwordx4 v[88:91], off, off offset:192
	scratch_load_dwordx4 v[92:95], off, off offset:208
	;; [unrolled: 1-line block ×17, first 2 shown]
	ds_read_b128 v[212:215], v2 offset:1024
	ds_read_b128 v[204:207], v2 offset:1040
	;; [unrolled: 1-line block ×3, first 2 shown]
	scratch_load_dwordx4 v[20:23], off, off offset:464
	ds_read_b128 v[216:219], v2 offset:1072
	ds_read_b128 v[208:211], v2 offset:1088
	ds_read_b128 v[200:203], v2 offset:1104
	ds_read_b128 v[184:187], v2 offset:1120
	ds_read_b128 v[156:159], v2 offset:1136
	scratch_load_dwordx4 v[24:27], off, off offset:480
	ds_read_b128 v[180:183], v2 offset:1152
	ds_read_b128 v[160:163], v2 offset:1168
	;; [unrolled: 1-line block ×3, first 2 shown]
	scratch_load_dwordx4 v[28:31], off, off offset:496
	ds_read_b128 v[172:175], v2 offset:1200
	ds_read_b128 v[148:151], v2 offset:1216
	;; [unrolled: 1-line block ×5, first 2 shown]
	scratch_load_dwordx4 v[36:39], off, off offset:512
	ds_read_b128 v[48:51], v2 offset:1280
	scratch_load_dwordx4 v[52:55], off, off offset:528
	scratch_load_dwordx4 v[56:59], off, off offset:544
	;; [unrolled: 1-line block ×9, first 2 shown]
	ds_read_b128 v[140:143], v2 offset:1296
	ds_read_b128 v[232:235], v2 offset:1360
	;; [unrolled: 1-line block ×3, first 2 shown]
	s_waitcnt vmcnt(29) lgkmcnt(14)
	v_mul_f64 v[0:1], v[212:213], v[90:91]
	s_waitcnt vmcnt(28)
	v_mul_f64 v[152:153], v[204:205], v[94:95]
	v_fmac_f64_e32 v[0:1], v[214:215], v[88:89]
	s_waitcnt vmcnt(27)
	v_mul_f64 v[154:155], v[196:197], v[98:99]
	v_fmac_f64_e32 v[152:153], v[206:207], v[92:93]
	v_add_f64 v[0:1], v[0:1], 0
	s_waitcnt vmcnt(26)
	v_mul_f64 v[164:165], v[216:217], v[102:103]
	v_fmac_f64_e32 v[154:155], v[198:199], v[96:97]
	v_add_f64 v[0:1], v[0:1], v[152:153]
	;; [unrolled: 4-line block ×4, first 2 shown]
	s_waitcnt vmcnt(23) lgkmcnt(13)
	v_mul_f64 v[170:171], v[184:185], v[114:115]
	v_fmac_f64_e32 v[168:169], v[202:203], v[108:109]
	v_add_f64 v[0:1], v[0:1], v[166:167]
	s_waitcnt vmcnt(22) lgkmcnt(12)
	v_mul_f64 v[176:177], v[156:157], v[118:119]
	v_fmac_f64_e32 v[170:171], v[186:187], v[112:113]
	v_add_f64 v[0:1], v[0:1], v[168:169]
	;; [unrolled: 4-line block ×10, first 2 shown]
	v_fmac_f64_e32 v[224:225], v[34:35], v[12:13]
	v_add_f64 v[0:1], v[0:1], v[222:223]
	ds_read_b128 v[220:223], v2 offset:1312
	v_add_f64 v[0:1], v[0:1], v[224:225]
	ds_read_b128 v[224:227], v2 offset:1328
	s_waitcnt vmcnt(13) lgkmcnt(5)
	v_mul_f64 v[164:165], v[48:49], v[18:19]
	scratch_load_dwordx4 v[152:155], off, off offset:672
	v_fmac_f64_e32 v[164:165], v[50:51], v[16:17]
	s_waitcnt vmcnt(13) lgkmcnt(4)
	v_mul_f64 v[168:169], v[140:141], v[22:23]
	v_add_f64 v[0:1], v[0:1], v[164:165]
	v_fmac_f64_e32 v[168:169], v[142:143], v[20:21]
	scratch_load_dwordx4 v[164:167], off, off offset:688
	v_add_f64 v[0:1], v[0:1], v[168:169]
	s_waitcnt vmcnt(13) lgkmcnt(1)
	v_mul_f64 v[176:177], v[220:221], v[26:27]
	scratch_load_dwordx4 v[168:171], off, off offset:704
	v_fmac_f64_e32 v[176:177], v[222:223], v[24:25]
	s_waitcnt vmcnt(13) lgkmcnt(0)
	v_mul_f64 v[188:189], v[224:225], v[30:31]
	v_add_f64 v[0:1], v[0:1], v[176:177]
	scratch_load_dwordx4 v[176:179], off, off offset:720
	v_fmac_f64_e32 v[188:189], v[226:227], v[28:29]
	v_add_f64 v[0:1], v[0:1], v[188:189]
	s_waitcnt vmcnt(13)
	v_mul_f64 v[188:189], v[228:229], v[38:39]
	v_fmac_f64_e32 v[188:189], v[230:231], v[36:37]
	v_add_f64 v[0:1], v[0:1], v[188:189]
	scratch_load_dwordx4 v[188:191], off, off offset:736
	s_waitcnt vmcnt(13)
	v_mul_f64 v[192:193], v[232:233], v[54:55]
	v_fmac_f64_e32 v[192:193], v[234:235], v[52:53]
	v_mul_f64 v[90:91], v[214:215], v[90:91]
	v_add_f64 v[0:1], v[0:1], v[192:193]
	scratch_load_dwordx4 v[192:195], off, off offset:752
	v_fma_f64 v[240:241], v[212:213], v[88:89], -v[90:91]
	v_mul_f64 v[88:89], v[206:207], v[94:95]
	ds_read_b128 v[236:239], v2 offset:1376
	ds_read_b128 v[212:215], v2 offset:1392
	v_fma_f64 v[242:243], v[204:205], v[92:93], -v[88:89]
	scratch_load_dwordx4 v[92:95], off, off offset:768
	scratch_load_dwordx4 v[88:91], off, off offset:784
	v_mul_f64 v[98:99], v[198:199], v[98:99]
	v_fma_f64 v[244:245], v[196:197], v[96:97], -v[98:99]
	scratch_load_dwordx4 v[96:99], off, off offset:800
	s_waitcnt vmcnt(16) lgkmcnt(1)
	v_mul_f64 v[204:205], v[236:237], v[58:59]
	v_mul_f64 v[102:103], v[218:219], v[102:103]
	v_fmac_f64_e32 v[204:205], v[238:239], v[56:57]
	v_fma_f64 v[216:217], v[216:217], v[100:101], -v[102:103]
	ds_read_b128 v[100:103], v2 offset:1408
	s_waitcnt vmcnt(15) lgkmcnt(1)
	v_mul_f64 v[196:197], v[212:213], v[62:63]
	v_add_f64 v[0:1], v[0:1], v[204:205]
	v_fmac_f64_e32 v[196:197], v[214:215], v[60:61]
	v_add_f64 v[0:1], v[0:1], v[196:197]
	ds_read_b128 v[196:199], v2 offset:1424
	v_mul_f64 v[106:107], v[210:211], v[106:107]
	v_fma_f64 v[218:219], v[208:209], v[104:105], -v[106:107]
	ds_read_b128 v[104:107], v2 offset:1440
	s_waitcnt vmcnt(14) lgkmcnt(2)
	v_mul_f64 v[204:205], v[100:101], v[66:67]
	v_fmac_f64_e32 v[204:205], v[102:103], v[64:65]
	v_add_f64 v[0:1], v[0:1], v[204:205]
	s_waitcnt vmcnt(13) lgkmcnt(1)
	v_mul_f64 v[204:205], v[196:197], v[70:71]
	v_mul_f64 v[110:111], v[202:203], v[110:111]
	v_fmac_f64_e32 v[204:205], v[198:199], v[68:69]
	v_fma_f64 v[246:247], v[200:201], v[108:109], -v[110:111]
	ds_read_b128 v[108:111], v2 offset:1456
	s_waitcnt vmcnt(12) lgkmcnt(1)
	v_mul_f64 v[200:201], v[104:105], v[74:75]
	v_add_f64 v[0:1], v[0:1], v[204:205]
	v_fmac_f64_e32 v[200:201], v[106:107], v[72:73]
	v_add_f64 v[0:1], v[0:1], v[200:201]
	ds_read_b128 v[200:203], v2 offset:1472
	v_mul_f64 v[114:115], v[186:187], v[114:115]
	v_fma_f64 v[248:249], v[184:185], v[112:113], -v[114:115]
	ds_read_b128 v[112:115], v2 offset:1488
	s_waitcnt vmcnt(11) lgkmcnt(2)
	v_mul_f64 v[184:185], v[108:109], v[78:79]
	v_fmac_f64_e32 v[184:185], v[110:111], v[76:77]
	v_add_f64 v[0:1], v[0:1], v[184:185]
	s_waitcnt vmcnt(10) lgkmcnt(1)
	v_mul_f64 v[184:185], v[200:201], v[82:83]
	v_mul_f64 v[118:119], v[158:159], v[118:119]
	v_fmac_f64_e32 v[184:185], v[202:203], v[80:81]
	v_fma_f64 v[254:255], v[156:157], v[116:117], -v[118:119]
	s_waitcnt vmcnt(9) lgkmcnt(0)
	v_mul_f64 v[156:157], v[112:113], v[86:87]
	v_add_f64 v[0:1], v[0:1], v[184:185]
	ds_read_b128 v[116:119], v2 offset:1504
	v_fmac_f64_e32 v[156:157], v[114:115], v[84:85]
	v_add_f64 v[0:1], v[0:1], v[156:157]
	ds_read_b128 v[156:159], v2 offset:1520
	v_mul_f64 v[122:123], v[182:183], v[122:123]
	v_fma_f64 v[250:251], v[180:181], v[120:121], -v[122:123]
	ds_read_b128 v[120:123], v2 offset:1536
	v_accvgpr_write_b32 a111, v7
	v_mul_f64 v[126:127], v[162:163], v[126:127]
	v_accvgpr_write_b32 a110, v6
	v_accvgpr_write_b32 a109, v5
	;; [unrolled: 1-line block ×3, first 2 shown]
	v_fma_f64 v[4:5], v[160:161], v[124:125], -v[126:127]
	ds_read_b128 v[124:127], v2 offset:1552
	s_waitcnt vmcnt(8) lgkmcnt(3)
	v_mul_f64 v[184:185], v[116:117], v[154:155]
	v_fmac_f64_e32 v[184:185], v[118:119], v[152:153]
	s_waitcnt vmcnt(7) lgkmcnt(2)
	v_mul_f64 v[180:181], v[156:157], v[166:167]
	v_add_f64 v[0:1], v[0:1], v[184:185]
	v_fmac_f64_e32 v[180:181], v[158:159], v[164:165]
	s_waitcnt vmcnt(6) lgkmcnt(1)
	v_mul_f64 v[6:7], v[120:121], v[170:171]
	ds_read_b128 v[160:163], v2 offset:1568
	v_add_f64 v[0:1], v[0:1], v[180:181]
	v_fmac_f64_e32 v[6:7], v[122:123], v[168:169]
	v_add_f64 v[0:1], v[0:1], v[6:7]
	s_waitcnt vmcnt(5) lgkmcnt(1)
	v_mul_f64 v[6:7], v[124:125], v[178:179]
	v_fmac_f64_e32 v[6:7], v[126:127], v[176:177]
	v_add_f64 v[0:1], v[0:1], v[6:7]
	v_mul_f64 v[6:7], v[146:147], v[130:131]
	v_fma_f64 v[6:7], v[144:145], v[128:129], -v[6:7]
	ds_read_b128 v[128:131], v2 offset:1584
	s_waitcnt vmcnt(4) lgkmcnt(1)
	v_mul_f64 v[144:145], v[160:161], v[190:191]
	v_fmac_f64_e32 v[144:145], v[162:163], v[188:189]
	v_add_f64 v[180:181], v[0:1], v[144:145]
	v_mul_f64 v[0:1], v[174:175], v[134:135]
	v_fma_f64 v[0:1], v[172:173], v[132:133], -v[0:1]
	ds_read_b128 v[132:135], v2 offset:1600
	ds_read_b128 v[144:147], v2 offset:1616
	v_mul_f64 v[138:139], v[150:151], v[138:139]
	v_fma_f64 v[252:253], v[148:149], v[136:137], -v[138:139]
	ds_read_b128 v[136:139], v2 offset:1632
	s_waitcnt vmcnt(3) lgkmcnt(3)
	v_mul_f64 v[172:173], v[128:129], v[194:195]
	v_fmac_f64_e32 v[172:173], v[130:131], v[192:193]
	s_waitcnt vmcnt(2) lgkmcnt(2)
	v_mul_f64 v[148:149], v[132:133], v[94:95]
	v_add_f64 v[172:173], v[180:181], v[172:173]
	v_fmac_f64_e32 v[148:149], v[134:135], v[92:93]
	s_waitcnt vmcnt(1) lgkmcnt(1)
	v_mul_f64 v[150:151], v[144:145], v[90:91]
	v_add_f64 v[148:149], v[172:173], v[148:149]
	v_fmac_f64_e32 v[150:151], v[146:147], v[88:89]
	v_add_f64 v[148:149], v[148:149], v[150:151]
	ds_read_b128 v[172:175], v2 offset:1648
	scratch_load_dwordx4 v[208:211], off, off offset:848
	s_waitcnt vmcnt(1) lgkmcnt(1)
	v_mul_f64 v[150:151], v[136:137], v[98:99]
	v_fmac_f64_e32 v[150:151], v[138:139], v[96:97]
	v_add_f64 v[180:181], v[148:149], v[150:151]
	scratch_load_dwordx4 v[148:151], off, off offset:816
	ds_read_b128 v[184:187], v2 offset:1664
	v_accvgpr_write_b32 a113, v1
	v_accvgpr_write_b32 a112, v0
	s_waitcnt vmcnt(0) lgkmcnt(1)
	v_mul_f64 v[182:183], v[172:173], v[150:151]
	v_fmac_f64_e32 v[182:183], v[174:175], v[148:149]
	v_add_f64 v[204:205], v[180:181], v[182:183]
	scratch_load_dwordx4 v[180:183], off, off offset:832
	s_waitcnt vmcnt(0) lgkmcnt(0)
	v_mul_f64 v[206:207], v[184:185], v[182:183]
	v_fmac_f64_e32 v[206:207], v[186:187], v[180:181]
	v_add_f64 v[0:1], v[204:205], v[206:207]
	ds_read_b128 v[204:207], v2 offset:1680
	s_waitcnt lgkmcnt(0)
	v_mul_f64 v[2:3], v[204:205], v[210:211]
	v_fmac_f64_e32 v[2:3], v[206:207], v[208:209]
	v_add_f64 v[2:3], v[0:1], v[2:3]
	v_add_f64 v[0:1], v[240:241], 0
	;; [unrolled: 1-line block ×6, first 2 shown]
	scratch_load_dwordx4 v[216:219], off, off offset:176
	v_add_f64 v[0:1], v[0:1], v[246:247]
	v_add_f64 v[0:1], v[0:1], v[248:249]
	;; [unrolled: 1-line block ×6, first 2 shown]
	v_accvgpr_read_b32 v0, a112
	v_accvgpr_read_b32 v243, a111
	v_accvgpr_read_b32 v1, a113
	v_accvgpr_read_b32 v242, a110
	v_add_f64 v[0:1], v[254:255], v[0:1]
	v_accvgpr_read_b32 v241, a109
	v_accvgpr_read_b32 v240, a108
	v_mul_f64 v[4:5], v[46:47], v[242:243]
	v_add_f64 v[0:1], v[0:1], v[252:253]
	v_fma_f64 v[4:5], v[44:45], v[240:241], -v[4:5]
	v_add_f64 v[0:1], v[0:1], v[4:5]
	v_mul_f64 v[4:5], v[42:43], v[10:11]
	v_fma_f64 v[4:5], v[40:41], v[8:9], -v[4:5]
	v_add_f64 v[0:1], v[0:1], v[4:5]
	v_mul_f64 v[4:5], v[34:35], v[14:15]
	;; [unrolled: 3-line block ×28, first 2 shown]
	v_fma_f64 v[4:5], v[204:205], v[208:209], -v[4:5]
	v_add_f64 v[0:1], v[0:1], v[4:5]
	s_waitcnt vmcnt(0)
	v_add_f64 v[4:5], v[216:217], -v[0:1]
	v_accvgpr_read_b32 v0, a106
	v_add_f64 v[6:7], v[218:219], -v[2:3]
	v_cmp_lt_u32_e32 vcc, 9, v0
	scratch_store_dwordx4 off, v[4:7], off offset:176
	s_and_saveexec_b64 s[0:1], vcc
	s_cbranch_execz .LBB52_313
; %bb.312:
	scratch_load_dwordx4 v[2:5], off, s40
	v_mov_b32_e32 v6, 0
	v_mov_b32_e32 v7, v6
	v_mov_b32_e32 v8, v6
	v_mov_b32_e32 v9, v6
	v_accvgpr_read_b32 v0, a107
	scratch_store_dwordx4 off, v[6:9], off offset:160
	s_waitcnt vmcnt(1)
	ds_write_b128 v0, v[2:5]
.LBB52_313:
	s_or_b64 exec, exec, s[0:1]
	s_waitcnt lgkmcnt(0)
	; wave barrier
	scratch_load_dwordx4 v[96:99], off, off offset:176
	scratch_load_dwordx4 v[100:103], off, off offset:192
	;; [unrolled: 1-line block ×30, first 2 shown]
	v_mov_b32_e32 v2, 0
	ds_read_b128 v[136:139], v2 offset:1008
	ds_read_b128 v[144:147], v2 offset:1024
	;; [unrolled: 1-line block ×20, first 2 shown]
	s_waitcnt vmcnt(29) lgkmcnt(14)
	v_mul_f64 v[0:1], v[136:137], v[98:99]
	s_waitcnt vmcnt(28)
	v_mul_f64 v[72:73], v[144:145], v[102:103]
	v_fmac_f64_e32 v[0:1], v[138:139], v[96:97]
	s_waitcnt vmcnt(27)
	v_mul_f64 v[74:75], v[148:149], v[106:107]
	v_fmac_f64_e32 v[72:73], v[146:147], v[100:101]
	v_add_f64 v[0:1], v[0:1], 0
	s_waitcnt vmcnt(26)
	v_mul_f64 v[76:77], v[164:165], v[110:111]
	v_fmac_f64_e32 v[74:75], v[150:151], v[104:105]
	v_add_f64 v[0:1], v[0:1], v[72:73]
	;; [unrolled: 4-line block ×4, first 2 shown]
	s_waitcnt vmcnt(23) lgkmcnt(13)
	v_mul_f64 v[82:83], v[200:201], v[158:159]
	v_fmac_f64_e32 v[80:81], v[190:191], v[152:153]
	v_add_f64 v[0:1], v[0:1], v[78:79]
	s_waitcnt vmcnt(22) lgkmcnt(12)
	v_mul_f64 v[84:85], v[208:209], v[162:163]
	v_fmac_f64_e32 v[82:83], v[202:203], v[156:157]
	v_add_f64 v[0:1], v[0:1], v[80:81]
	s_waitcnt vmcnt(21) lgkmcnt(11)
	v_mul_f64 v[86:87], v[212:213], v[170:171]
	v_fmac_f64_e32 v[84:85], v[210:211], v[160:161]
	v_add_f64 v[0:1], v[0:1], v[82:83]
	s_waitcnt vmcnt(20) lgkmcnt(10)
	v_mul_f64 v[88:89], v[216:217], v[174:175]
	v_fmac_f64_e32 v[86:87], v[214:215], v[168:169]
	v_add_f64 v[0:1], v[0:1], v[84:85]
	s_waitcnt vmcnt(19) lgkmcnt(9)
	v_mul_f64 v[90:91], v[220:221], v[182:183]
	v_fmac_f64_e32 v[88:89], v[218:219], v[172:173]
	v_add_f64 v[0:1], v[0:1], v[86:87]
	s_waitcnt vmcnt(18) lgkmcnt(8)
	v_mul_f64 v[92:93], v[224:225], v[186:187]
	v_fmac_f64_e32 v[90:91], v[222:223], v[180:181]
	v_add_f64 v[0:1], v[0:1], v[88:89]
	s_waitcnt vmcnt(17) lgkmcnt(7)
	v_mul_f64 v[94:95], v[228:229], v[194:195]
	v_fmac_f64_e32 v[92:93], v[226:227], v[184:185]
	v_add_f64 v[0:1], v[0:1], v[90:91]
	s_waitcnt vmcnt(16) lgkmcnt(6)
	v_mul_f64 v[116:117], v[238:239], v[198:199]
	v_fmac_f64_e32 v[94:95], v[230:231], v[192:193]
	v_add_f64 v[0:1], v[0:1], v[92:93]
	s_waitcnt vmcnt(15) lgkmcnt(5)
	v_mul_f64 v[118:119], v[250:251], v[206:207]
	v_fmac_f64_e32 v[116:117], v[240:241], v[196:197]
	v_add_f64 v[0:1], v[0:1], v[94:95]
	s_waitcnt vmcnt(14) lgkmcnt(4)
	v_mul_f64 v[120:121], v[68:69], v[6:7]
	v_fmac_f64_e32 v[118:119], v[252:253], v[204:205]
	v_accvgpr_write_b32 a111, v7
	v_add_f64 v[0:1], v[0:1], v[116:117]
	v_fmac_f64_e32 v[120:121], v[70:71], v[4:5]
	v_accvgpr_write_b32 a110, v6
	v_accvgpr_write_b32 a109, v5
	;; [unrolled: 1-line block ×3, first 2 shown]
	v_add_f64 v[0:1], v[0:1], v[118:119]
	ds_read_b128 v[116:119], v2 offset:1280
	s_waitcnt vmcnt(13)
	v_mov_b64_e32 v[4:5], v[8:9]
	v_mov_b64_e32 v[6:7], v[10:11]
	s_waitcnt lgkmcnt(4)
	v_mul_f64 v[76:77], v[64:65], v[6:7]
	scratch_load_dwordx4 v[72:75], off, off offset:656
	v_add_f64 v[0:1], v[0:1], v[120:121]
	v_fmac_f64_e32 v[76:77], v[66:67], v[4:5]
	v_add_f64 v[0:1], v[0:1], v[76:77]
	scratch_load_dwordx4 v[76:79], off, off offset:672
	ds_read_b128 v[120:123], v2 offset:1296
	s_waitcnt vmcnt(14) lgkmcnt(1)
	v_mul_f64 v[80:81], v[116:117], v[236:237]
	v_fmac_f64_e32 v[80:81], v[118:119], v[234:235]
	v_add_f64 v[0:1], v[0:1], v[80:81]
	scratch_load_dwordx4 v[80:83], off, off offset:688
	s_waitcnt vmcnt(14) lgkmcnt(0)
	v_mul_f64 v[84:85], v[120:121], v[18:19]
	v_fmac_f64_e32 v[84:85], v[122:123], v[16:17]
	s_waitcnt vmcnt(13)
	v_mul_f64 v[88:89], v[124:125], v[22:23]
	v_add_f64 v[0:1], v[0:1], v[84:85]
	v_fmac_f64_e32 v[88:89], v[126:127], v[20:21]
	scratch_load_dwordx4 v[84:87], off, off offset:704
	v_add_f64 v[0:1], v[0:1], v[88:89]
	s_waitcnt vmcnt(13)
	v_mul_f64 v[88:89], v[128:129], v[26:27]
	v_fmac_f64_e32 v[88:89], v[130:131], v[24:25]
	v_add_f64 v[0:1], v[0:1], v[88:89]
	scratch_load_dwordx4 v[88:91], off, off offset:720
	s_waitcnt vmcnt(13)
	v_mul_f64 v[92:93], v[132:133], v[30:31]
	v_fmac_f64_e32 v[92:93], v[134:135], v[28:29]
	v_add_f64 v[0:1], v[0:1], v[92:93]
	scratch_load_dwordx4 v[92:95], off, off offset:736
	v_mul_f64 v[98:99], v[138:139], v[98:99]
	v_fma_f64 v[242:243], v[136:137], v[96:97], -v[98:99]
	v_mul_f64 v[96:97], v[146:147], v[102:103]
	ds_read_b128 v[140:143], v2 offset:1360
	ds_read_b128 v[136:139], v2 offset:1376
	v_fma_f64 v[244:245], v[144:145], v[100:101], -v[96:97]
	scratch_load_dwordx4 v[100:103], off, off offset:752
	scratch_load_dwordx4 v[96:99], off, off offset:768
	s_waitcnt vmcnt(15) lgkmcnt(1)
	v_mul_f64 v[144:145], v[140:141], v[34:35]
	v_fmac_f64_e32 v[144:145], v[142:143], v[32:33]
	v_mul_f64 v[106:107], v[150:151], v[106:107]
	v_add_f64 v[0:1], v[0:1], v[144:145]
	s_waitcnt vmcnt(14) lgkmcnt(0)
	v_mul_f64 v[144:145], v[136:137], v[38:39]
	v_fma_f64 v[246:247], v[148:149], v[104:105], -v[106:107]
	v_mul_f64 v[104:105], v[166:167], v[110:111]
	v_fmac_f64_e32 v[144:145], v[138:139], v[36:37]
	v_fma_f64 v[248:249], v[164:165], v[108:109], -v[104:105]
	scratch_load_dwordx4 v[104:107], off, off offset:784
	v_add_f64 v[0:1], v[0:1], v[144:145]
	ds_read_b128 v[144:147], v2 offset:1392
	ds_read_b128 v[148:151], v2 offset:1408
	v_mul_f64 v[108:109], v[178:179], v[114:115]
	v_fma_f64 v[254:255], v[176:177], v[112:113], -v[108:109]
	scratch_load_dwordx4 v[108:111], off, off offset:800
	s_waitcnt vmcnt(15) lgkmcnt(1)
	v_mul_f64 v[112:113], v[144:145], v[42:43]
	v_fmac_f64_e32 v[112:113], v[146:147], v[40:41]
	v_add_f64 v[0:1], v[0:1], v[112:113]
	v_mul_f64 v[112:113], v[190:191], v[154:155]
	v_fma_f64 v[232:233], v[188:189], v[152:153], -v[112:113]
	scratch_load_dwordx4 v[112:115], off, off offset:816
	ds_read_b128 v[152:155], v2 offset:1424
	s_waitcnt vmcnt(15) lgkmcnt(1)
	v_mul_f64 v[164:165], v[148:149], v[46:47]
	v_mul_f64 v[158:159], v[202:203], v[158:159]
	v_fmac_f64_e32 v[164:165], v[150:151], v[44:45]
	v_fma_f64 v[12:13], v[200:201], v[156:157], -v[158:159]
	ds_read_b128 v[156:159], v2 offset:1440
	s_waitcnt vmcnt(14) lgkmcnt(1)
	v_mul_f64 v[6:7], v[152:153], v[50:51]
	v_add_f64 v[0:1], v[0:1], v[164:165]
	v_fmac_f64_e32 v[6:7], v[154:155], v[48:49]
	v_accvgpr_write_b32 a115, v11
	v_add_f64 v[0:1], v[0:1], v[6:7]
	v_mul_f64 v[6:7], v[210:211], v[162:163]
	v_accvgpr_write_b32 a114, v10
	v_accvgpr_write_b32 a113, v9
	;; [unrolled: 1-line block ×3, first 2 shown]
	v_fma_f64 v[8:9], v[208:209], v[160:161], -v[6:7]
	ds_read_b128 v[160:163], v2 offset:1456
	ds_read_b128 v[164:167], v2 offset:1472
	s_waitcnt vmcnt(13) lgkmcnt(2)
	v_mul_f64 v[6:7], v[156:157], v[54:55]
	v_fmac_f64_e32 v[6:7], v[158:159], v[52:53]
	v_add_f64 v[0:1], v[0:1], v[6:7]
	s_waitcnt vmcnt(12) lgkmcnt(1)
	v_mul_f64 v[6:7], v[160:161], v[62:63]
	v_fmac_f64_e32 v[6:7], v[162:163], v[60:61]
	v_add_f64 v[0:1], v[0:1], v[6:7]
	v_mul_f64 v[6:7], v[214:215], v[170:171]
	v_fma_f64 v[10:11], v[212:213], v[168:169], -v[6:7]
	s_waitcnt vmcnt(11) lgkmcnt(0)
	v_mul_f64 v[6:7], v[164:165], v[58:59]
	v_fmac_f64_e32 v[6:7], v[166:167], v[56:57]
	ds_read_b128 v[168:171], v2 offset:1488
	v_add_f64 v[0:1], v[0:1], v[6:7]
	v_mul_f64 v[6:7], v[218:219], v[174:175]
	v_fma_f64 v[4:5], v[216:217], v[172:173], -v[6:7]
	ds_read_b128 v[172:175], v2 offset:1504
	s_waitcnt vmcnt(10) lgkmcnt(1)
	v_mul_f64 v[6:7], v[168:169], v[74:75]
	ds_read_b128 v[176:179], v2 offset:1520
	v_fmac_f64_e32 v[6:7], v[170:171], v[72:73]
	v_add_f64 v[0:1], v[0:1], v[6:7]
	s_waitcnt vmcnt(9) lgkmcnt(1)
	v_mul_f64 v[6:7], v[172:173], v[78:79]
	v_fmac_f64_e32 v[6:7], v[174:175], v[76:77]
	v_add_f64 v[0:1], v[0:1], v[6:7]
	v_mul_f64 v[6:7], v[222:223], v[182:183]
	v_fma_f64 v[14:15], v[220:221], v[180:181], -v[6:7]
	ds_read_b128 v[180:183], v2 offset:1536
	s_waitcnt vmcnt(8) lgkmcnt(1)
	v_mul_f64 v[6:7], v[176:177], v[82:83]
	v_fmac_f64_e32 v[6:7], v[178:179], v[80:81]
	v_add_f64 v[0:1], v[0:1], v[6:7]
	v_mul_f64 v[6:7], v[226:227], v[186:187]
	v_fma_f64 v[6:7], v[224:225], v[184:185], -v[6:7]
	ds_read_b128 v[184:187], v2 offset:1552
	s_waitcnt vmcnt(7) lgkmcnt(1)
	v_mul_f64 v[188:189], v[180:181], v[86:87]
	v_fmac_f64_e32 v[188:189], v[182:183], v[84:85]
	v_add_f64 v[0:1], v[0:1], v[188:189]
	ds_read_b128 v[188:191], v2 offset:1568
	s_waitcnt vmcnt(6) lgkmcnt(1)
	v_mul_f64 v[200:201], v[184:185], v[90:91]
	v_fmac_f64_e32 v[200:201], v[186:187], v[88:89]
	v_add_f64 v[200:201], v[0:1], v[200:201]
	v_mul_f64 v[0:1], v[230:231], v[194:195]
	v_fma_f64 v[0:1], v[228:229], v[192:193], -v[0:1]
	ds_read_b128 v[192:195], v2 offset:1584
	s_waitcnt vmcnt(5) lgkmcnt(1)
	v_mul_f64 v[202:203], v[188:189], v[94:95]
	v_fmac_f64_e32 v[202:203], v[190:191], v[92:93]
	v_mul_f64 v[198:199], v[240:241], v[198:199]
	v_fma_f64 v[238:239], v[238:239], v[196:197], -v[198:199]
	ds_read_b128 v[196:199], v2 offset:1600
	v_add_f64 v[200:201], v[200:201], v[202:203]
	s_waitcnt vmcnt(4) lgkmcnt(1)
	v_mul_f64 v[202:203], v[192:193], v[102:103]
	v_fmac_f64_e32 v[202:203], v[194:195], v[100:101]
	v_add_f64 v[208:209], v[200:201], v[202:203]
	ds_read_b128 v[200:203], v2 offset:1616
	v_mul_f64 v[206:207], v[252:253], v[206:207]
	v_fma_f64 v[250:251], v[250:251], v[204:205], -v[206:207]
	ds_read_b128 v[204:207], v2 offset:1632
	s_waitcnt vmcnt(3) lgkmcnt(2)
	v_mul_f64 v[210:211], v[196:197], v[98:99]
	v_fmac_f64_e32 v[210:211], v[198:199], v[96:97]
	v_add_f64 v[208:209], v[208:209], v[210:211]
	s_waitcnt vmcnt(2) lgkmcnt(1)
	v_mul_f64 v[210:211], v[200:201], v[106:107]
	v_fmac_f64_e32 v[210:211], v[202:203], v[104:105]
	v_add_f64 v[208:209], v[208:209], v[210:211]
	;; [unrolled: 4-line block ×3, first 2 shown]
	ds_read_b128 v[208:211], v2 offset:1648
	ds_read_b128 v[216:219], v2 offset:1664
	;; [unrolled: 1-line block ×3, first 2 shown]
	s_waitcnt vmcnt(0) lgkmcnt(2)
	v_mul_f64 v[214:215], v[208:209], v[114:115]
	v_fmac_f64_e32 v[214:215], v[210:211], v[112:113]
	v_add_f64 v[220:221], v[212:213], v[214:215]
	scratch_load_dwordx4 v[212:215], off, off offset:832
	s_waitcnt vmcnt(0) lgkmcnt(1)
	v_mul_f64 v[222:223], v[216:217], v[214:215]
	v_fmac_f64_e32 v[222:223], v[218:219], v[212:213]
	v_add_f64 v[228:229], v[220:221], v[222:223]
	scratch_load_dwordx4 v[220:223], off, off offset:848
	s_waitcnt vmcnt(0) lgkmcnt(0)
	v_mul_f64 v[230:231], v[224:225], v[222:223]
	v_fmac_f64_e32 v[230:231], v[226:227], v[220:221]
	v_add_f64 v[240:241], v[228:229], v[230:231]
	v_add_f64 v[228:229], v[242:243], 0
	;; [unrolled: 1-line block ×8, first 2 shown]
	scratch_load_dwordx4 v[228:231], off, off offset:160
	v_add_f64 v[8:9], v[12:13], v[8:9]
	v_add_f64 v[8:9], v[8:9], v[10:11]
	;; [unrolled: 1-line block ×5, first 2 shown]
	v_accvgpr_read_b32 v6, a108
	v_accvgpr_read_b32 v8, a110
	;; [unrolled: 1-line block ×3, first 2 shown]
	v_add_f64 v[0:1], v[4:5], v[0:1]
	v_accvgpr_read_b32 v7, a109
	v_mul_f64 v[4:5], v[70:71], v[8:9]
	v_add_f64 v[0:1], v[0:1], v[238:239]
	v_fma_f64 v[4:5], v[68:69], v[6:7], -v[4:5]
	v_accvgpr_read_b32 v6, a112
	v_add_f64 v[0:1], v[0:1], v[250:251]
	v_accvgpr_read_b32 v8, a114
	v_accvgpr_read_b32 v9, a115
	v_add_f64 v[0:1], v[0:1], v[4:5]
	v_accvgpr_read_b32 v7, a113
	v_mul_f64 v[4:5], v[66:67], v[8:9]
	v_fma_f64 v[4:5], v[64:65], v[6:7], -v[4:5]
	v_add_f64 v[0:1], v[0:1], v[4:5]
	v_mul_f64 v[4:5], v[118:119], v[236:237]
	v_fma_f64 v[4:5], v[116:117], v[234:235], -v[4:5]
	v_add_f64 v[0:1], v[0:1], v[4:5]
	;; [unrolled: 3-line block ×27, first 2 shown]
	s_waitcnt vmcnt(0)
	v_add_f64 v[4:5], v[228:229], -v[0:1]
	v_accvgpr_read_b32 v0, a106
	v_add_f64 v[6:7], v[230:231], -v[240:241]
	v_cmp_lt_u32_e32 vcc, 8, v0
	scratch_store_dwordx4 off, v[4:7], off offset:160
	s_and_saveexec_b64 s[0:1], vcc
	s_cbranch_execz .LBB52_315
; %bb.314:
	scratch_load_dwordx4 v[6:9], off, s39
	v_mov_b32_e32 v3, v2
	v_mov_b32_e32 v4, v2
	;; [unrolled: 1-line block ×3, first 2 shown]
	v_accvgpr_read_b32 v0, a107
	scratch_store_dwordx4 off, v[2:5], off offset:144
	s_waitcnt vmcnt(1)
	ds_write_b128 v0, v[6:9]
.LBB52_315:
	s_or_b64 exec, exec, s[0:1]
	s_waitcnt lgkmcnt(0)
	; wave barrier
	scratch_load_dwordx4 v[72:75], off, off offset:160
	scratch_load_dwordx4 v[76:79], off, off offset:176
	;; [unrolled: 1-line block ×17, first 2 shown]
	ds_read_b128 v[176:179], v2 offset:992
	ds_read_b128 v[192:195], v2 offset:1008
	;; [unrolled: 1-line block ×3, first 2 shown]
	scratch_load_dwordx4 v[20:23], off, off offset:432
	ds_read_b128 v[236:239], v2 offset:1040
	ds_read_b128 v[232:235], v2 offset:1056
	ds_read_b128 v[228:231], v2 offset:1072
	ds_read_b128 v[220:223], v2 offset:1088
	ds_read_b128 v[208:211], v2 offset:1104
	scratch_load_dwordx4 v[168:171], off, off offset:448
	ds_read_b128 v[224:227], v2 offset:1120
	ds_read_b128 v[212:215], v2 offset:1136
	;; [unrolled: 1-line block ×3, first 2 shown]
	scratch_load_dwordx4 v[12:15], off, off offset:464
	ds_read_b128 v[216:219], v2 offset:1168
	ds_read_b128 v[204:207], v2 offset:1184
	;; [unrolled: 1-line block ×5, first 2 shown]
	scratch_load_dwordx4 v[28:31], off, off offset:480
	ds_read_b128 v[32:35], v2 offset:1248
	scratch_load_dwordx4 v[36:39], off, off offset:496
	scratch_load_dwordx4 v[40:43], off, off offset:512
	;; [unrolled: 1-line block ×9, first 2 shown]
	ds_read_b128 v[132:135], v2 offset:1264
	s_waitcnt lgkmcnt(2)
	v_accvgpr_write_b32 a115, v19
	v_accvgpr_write_b32 a114, v18
	v_accvgpr_write_b32 a113, v17
	v_accvgpr_write_b32 a112, v16
	ds_read_b128 v[172:175], v2 offset:1328
	s_waitcnt vmcnt(29)
	v_mul_f64 v[0:1], v[176:177], v[74:75]
	s_waitcnt vmcnt(28)
	v_mul_f64 v[136:137], v[192:193], v[78:79]
	v_fmac_f64_e32 v[0:1], v[178:179], v[72:73]
	s_waitcnt vmcnt(27)
	v_mul_f64 v[138:139], v[188:189], v[82:83]
	v_fmac_f64_e32 v[136:137], v[194:195], v[76:77]
	v_add_f64 v[0:1], v[0:1], 0
	s_waitcnt vmcnt(26)
	v_mul_f64 v[140:141], v[236:237], v[86:87]
	v_fmac_f64_e32 v[138:139], v[190:191], v[80:81]
	v_add_f64 v[0:1], v[0:1], v[136:137]
	;; [unrolled: 4-line block ×14, first 2 shown]
	v_fmac_f64_e32 v[164:165], v[18:19], v[4:5]
	v_add_f64 v[0:1], v[0:1], v[162:163]
	s_waitcnt vmcnt(13) lgkmcnt(2)
	v_mul_f64 v[140:141], v[32:33], v[26:27]
	scratch_load_dwordx4 v[136:139], off, off offset:640
	v_add_f64 v[0:1], v[0:1], v[164:165]
	v_fmac_f64_e32 v[140:141], v[34:35], v[24:25]
	v_add_f64 v[0:1], v[0:1], v[140:141]
	ds_read_b128 v[160:163], v2 offset:1280
	scratch_load_dwordx4 v[140:143], off, off offset:656
	ds_read_b128 v[164:167], v2 offset:1296
	s_waitcnt vmcnt(13)
	v_mov_b64_e32 v[16:17], v[168:169]
	v_mov_b64_e32 v[18:19], v[170:171]
	ds_read_b128 v[168:171], v2 offset:1312
	s_waitcnt lgkmcnt(4)
	v_mul_f64 v[144:145], v[132:133], v[22:23]
	v_fmac_f64_e32 v[144:145], v[134:135], v[20:21]
	s_waitcnt lgkmcnt(2)
	v_mul_f64 v[148:149], v[160:161], v[18:19]
	v_add_f64 v[0:1], v[0:1], v[144:145]
	v_fmac_f64_e32 v[148:149], v[162:163], v[16:17]
	s_waitcnt vmcnt(12) lgkmcnt(1)
	v_mul_f64 v[152:153], v[164:165], v[14:15]
	scratch_load_dwordx4 v[144:147], off, off offset:672
	v_add_f64 v[0:1], v[0:1], v[148:149]
	v_fmac_f64_e32 v[152:153], v[166:167], v[12:13]
	scratch_load_dwordx4 v[148:151], off, off offset:688
	v_add_f64 v[0:1], v[0:1], v[152:153]
	s_waitcnt vmcnt(13) lgkmcnt(0)
	v_mul_f64 v[152:153], v[168:169], v[30:31]
	v_fmac_f64_e32 v[152:153], v[170:171], v[28:29]
	v_add_f64 v[0:1], v[0:1], v[152:153]
	scratch_load_dwordx4 v[152:155], off, off offset:704
	s_waitcnt vmcnt(13)
	v_mul_f64 v[156:157], v[172:173], v[38:39]
	v_fmac_f64_e32 v[156:157], v[174:175], v[36:37]
	v_mul_f64 v[74:75], v[178:179], v[74:75]
	v_add_f64 v[0:1], v[0:1], v[156:157]
	scratch_load_dwordx4 v[156:159], off, off offset:720
	v_fma_f64 v[240:241], v[176:177], v[72:73], -v[74:75]
	v_mul_f64 v[72:73], v[194:195], v[78:79]
	ds_read_b128 v[180:183], v2 offset:1344
	ds_read_b128 v[176:179], v2 offset:1360
	v_fma_f64 v[242:243], v[192:193], v[76:77], -v[72:73]
	scratch_load_dwordx4 v[76:79], off, off offset:736
	scratch_load_dwordx4 v[72:75], off, off offset:752
	v_mul_f64 v[82:83], v[190:191], v[82:83]
	v_fma_f64 v[244:245], v[188:189], v[80:81], -v[82:83]
	v_mul_f64 v[80:81], v[238:239], v[86:87]
	v_fma_f64 v[236:237], v[236:237], v[84:85], -v[80:81]
	scratch_load_dwordx4 v[80:83], off, off offset:768
	ds_read_b128 v[188:191], v2 offset:1376
	v_mul_f64 v[84:85], v[234:235], v[90:91]
	s_waitcnt vmcnt(16) lgkmcnt(2)
	v_mul_f64 v[192:193], v[180:181], v[42:43]
	v_fma_f64 v[238:239], v[232:233], v[88:89], -v[84:85]
	scratch_load_dwordx4 v[84:87], off, off offset:784
	v_fmac_f64_e32 v[192:193], v[182:183], v[40:41]
	v_add_f64 v[0:1], v[0:1], v[192:193]
	s_waitcnt vmcnt(16) lgkmcnt(1)
	v_mul_f64 v[192:193], v[176:177], v[46:47]
	v_fmac_f64_e32 v[192:193], v[178:179], v[44:45]
	v_add_f64 v[0:1], v[0:1], v[192:193]
	ds_read_b128 v[192:195], v2 offset:1392
	s_waitcnt vmcnt(15) lgkmcnt(1)
	v_mul_f64 v[88:89], v[188:189], v[50:51]
	v_fmac_f64_e32 v[88:89], v[190:191], v[48:49]
	v_add_f64 v[0:1], v[0:1], v[88:89]
	v_mul_f64 v[88:89], v[230:231], v[94:95]
	v_fma_f64 v[246:247], v[228:229], v[92:93], -v[88:89]
	scratch_load_dwordx4 v[88:91], off, off offset:800
	scratch_load_dwordx4 v[232:235], off, off offset:848
	ds_read_b128 v[92:95], v2 offset:1408
	v_mul_f64 v[98:99], v[222:223], v[98:99]
	v_fma_f64 v[248:249], v[220:221], v[96:97], -v[98:99]
	ds_read_b128 v[96:99], v2 offset:1424
	v_mul_f64 v[102:103], v[210:211], v[102:103]
	s_waitcnt vmcnt(16) lgkmcnt(2)
	v_mul_f64 v[228:229], v[192:193], v[54:55]
	v_fma_f64 v[254:255], v[208:209], v[100:101], -v[102:103]
	ds_read_b128 v[100:103], v2 offset:1440
	ds_read_b128 v[208:211], v2 offset:1456
	v_fmac_f64_e32 v[228:229], v[194:195], v[52:53]
	s_waitcnt vmcnt(15) lgkmcnt(3)
	v_mul_f64 v[220:221], v[92:93], v[58:59]
	v_add_f64 v[0:1], v[0:1], v[228:229]
	v_fmac_f64_e32 v[220:221], v[94:95], v[56:57]
	v_mul_f64 v[106:107], v[226:227], v[106:107]
	v_add_f64 v[0:1], v[0:1], v[220:221]
	s_waitcnt vmcnt(14) lgkmcnt(2)
	v_mul_f64 v[220:221], v[96:97], v[62:63]
	v_fma_f64 v[250:251], v[224:225], v[104:105], -v[106:107]
	ds_read_b128 v[104:107], v2 offset:1472
	v_fmac_f64_e32 v[220:221], v[98:99], v[60:61]
	v_mul_f64 v[110:111], v[214:215], v[110:111]
	v_add_f64 v[0:1], v[0:1], v[220:221]
	s_waitcnt vmcnt(13) lgkmcnt(2)
	v_mul_f64 v[220:221], v[100:101], v[70:71]
	v_fma_f64 v[8:9], v[212:213], v[108:109], -v[110:111]
	ds_read_b128 v[108:111], v2 offset:1488
	v_fmac_f64_e32 v[220:221], v[102:103], v[68:69]
	v_accvgpr_write_b32 a111, v7
	v_add_f64 v[0:1], v[0:1], v[220:221]
	s_waitcnt vmcnt(12) lgkmcnt(2)
	v_mul_f64 v[220:221], v[208:209], v[66:67]
	v_accvgpr_write_b32 a110, v6
	v_accvgpr_write_b32 a109, v5
	;; [unrolled: 1-line block ×3, first 2 shown]
	v_fmac_f64_e32 v[220:221], v[210:211], v[64:65]
	s_waitcnt vmcnt(11) lgkmcnt(1)
	v_mul_f64 v[6:7], v[104:105], v[138:139]
	v_add_f64 v[0:1], v[0:1], v[220:221]
	v_fmac_f64_e32 v[6:7], v[106:107], v[136:137]
	v_add_f64 v[0:1], v[0:1], v[6:7]
	s_waitcnt vmcnt(10) lgkmcnt(0)
	v_mul_f64 v[6:7], v[108:109], v[142:143]
	v_fmac_f64_e32 v[6:7], v[110:111], v[140:141]
	ds_read_b128 v[212:215], v2 offset:1504
	v_add_f64 v[0:1], v[0:1], v[6:7]
	v_mul_f64 v[6:7], v[202:203], v[114:115]
	v_fma_f64 v[6:7], v[200:201], v[112:113], -v[6:7]
	ds_read_b128 v[112:115], v2 offset:1520
	v_mul_f64 v[118:119], v[218:219], v[118:119]
	v_fma_f64 v[4:5], v[216:217], v[116:117], -v[118:119]
	ds_read_b128 v[116:119], v2 offset:1536
	s_waitcnt vmcnt(9) lgkmcnt(2)
	v_mul_f64 v[200:201], v[212:213], v[146:147]
	v_fmac_f64_e32 v[200:201], v[214:215], v[144:145]
	s_waitcnt vmcnt(8) lgkmcnt(1)
	v_mul_f64 v[10:11], v[112:113], v[150:151]
	v_add_f64 v[0:1], v[0:1], v[200:201]
	v_fmac_f64_e32 v[10:11], v[114:115], v[148:149]
	v_add_f64 v[0:1], v[0:1], v[10:11]
	ds_read_b128 v[200:203], v2 offset:1552
	s_waitcnt vmcnt(7) lgkmcnt(1)
	v_mul_f64 v[10:11], v[116:117], v[154:155]
	v_fmac_f64_e32 v[10:11], v[118:119], v[152:153]
	v_add_f64 v[10:11], v[0:1], v[10:11]
	v_mul_f64 v[0:1], v[206:207], v[122:123]
	v_fma_f64 v[0:1], v[204:205], v[120:121], -v[0:1]
	ds_read_b128 v[120:123], v2 offset:1568
	v_mul_f64 v[126:127], v[198:199], v[126:127]
	v_fma_f64 v[124:125], v[196:197], v[124:125], -v[126:127]
	s_waitcnt vmcnt(6) lgkmcnt(1)
	v_mul_f64 v[204:205], v[200:201], v[158:159]
	v_accvgpr_write_b32 a116, v124
	v_fmac_f64_e32 v[204:205], v[202:203], v[156:157]
	v_accvgpr_write_b32 a117, v125
	ds_read_b128 v[124:127], v2 offset:1584
	s_waitcnt vmcnt(5) lgkmcnt(1)
	v_mul_f64 v[196:197], v[120:121], v[78:79]
	v_add_f64 v[10:11], v[10:11], v[204:205]
	v_fmac_f64_e32 v[196:197], v[122:123], v[76:77]
	v_add_f64 v[10:11], v[10:11], v[196:197]
	ds_read_b128 v[196:199], v2 offset:1600
	v_mul_f64 v[130:131], v[186:187], v[130:131]
	v_fma_f64 v[252:253], v[184:185], v[128:129], -v[130:131]
	ds_read_b128 v[128:131], v2 offset:1616
	s_waitcnt vmcnt(4) lgkmcnt(2)
	v_mul_f64 v[184:185], v[124:125], v[74:75]
	v_fmac_f64_e32 v[184:185], v[126:127], v[72:73]
	v_add_f64 v[10:11], v[10:11], v[184:185]
	s_waitcnt vmcnt(3) lgkmcnt(1)
	v_mul_f64 v[184:185], v[196:197], v[82:83]
	v_fmac_f64_e32 v[184:185], v[198:199], v[80:81]
	v_add_f64 v[10:11], v[10:11], v[184:185]
	;; [unrolled: 4-line block ×3, first 2 shown]
	ds_read_b128 v[184:187], v2 offset:1632
	ds_read_b128 v[216:219], v2 offset:1648
	;; [unrolled: 1-line block ×3, first 2 shown]
	s_waitcnt vmcnt(1) lgkmcnt(2)
	v_mul_f64 v[204:205], v[184:185], v[90:91]
	v_fmac_f64_e32 v[204:205], v[186:187], v[88:89]
	v_add_f64 v[10:11], v[10:11], v[204:205]
	scratch_load_dwordx4 v[204:207], off, off offset:816
	s_waitcnt vmcnt(0) lgkmcnt(1)
	v_mul_f64 v[220:221], v[216:217], v[206:207]
	v_fmac_f64_e32 v[220:221], v[218:219], v[204:205]
	v_add_f64 v[10:11], v[10:11], v[220:221]
	scratch_load_dwordx4 v[220:223], off, off offset:832
	s_waitcnt vmcnt(0) lgkmcnt(0)
	v_mul_f64 v[228:229], v[224:225], v[222:223]
	v_fmac_f64_e32 v[228:229], v[226:227], v[220:221]
	v_add_f64 v[10:11], v[10:11], v[228:229]
	ds_read_b128 v[228:231], v2 offset:1680
	s_waitcnt lgkmcnt(0)
	v_mul_f64 v[2:3], v[228:229], v[234:235]
	v_fmac_f64_e32 v[2:3], v[230:231], v[232:233]
	v_add_f64 v[2:3], v[10:11], v[2:3]
	v_add_f64 v[10:11], v[240:241], 0
	;; [unrolled: 1-line block ×6, first 2 shown]
	scratch_load_dwordx4 v[236:239], off, off offset:144
	v_add_f64 v[10:11], v[10:11], v[246:247]
	v_add_f64 v[10:11], v[10:11], v[248:249]
	;; [unrolled: 1-line block ×8, first 2 shown]
	v_accvgpr_read_b32 v0, a116
	v_accvgpr_read_b32 v6, a108
	v_accvgpr_read_b32 v243, a115
	v_accvgpr_read_b32 v1, a117
	v_accvgpr_read_b32 v8, a110
	v_accvgpr_read_b32 v9, a111
	v_accvgpr_read_b32 v242, a114
	v_add_f64 v[0:1], v[254:255], v[0:1]
	v_accvgpr_read_b32 v7, a109
	v_accvgpr_read_b32 v241, a113
	;; [unrolled: 1-line block ×3, first 2 shown]
	v_mul_f64 v[4:5], v[242:243], v[8:9]
	v_add_f64 v[0:1], v[0:1], v[252:253]
	v_fma_f64 v[4:5], v[240:241], v[6:7], -v[4:5]
	v_add_f64 v[0:1], v[0:1], v[4:5]
	v_mul_f64 v[4:5], v[34:35], v[26:27]
	v_fma_f64 v[4:5], v[32:33], v[24:25], -v[4:5]
	v_add_f64 v[0:1], v[0:1], v[4:5]
	v_mul_f64 v[4:5], v[134:135], v[22:23]
	;; [unrolled: 3-line block ×28, first 2 shown]
	v_fma_f64 v[4:5], v[228:229], v[232:233], -v[4:5]
	v_add_f64 v[0:1], v[0:1], v[4:5]
	s_waitcnt vmcnt(0)
	v_add_f64 v[4:5], v[236:237], -v[0:1]
	v_accvgpr_read_b32 v0, a106
	v_add_f64 v[6:7], v[238:239], -v[2:3]
	v_cmp_lt_u32_e32 vcc, 7, v0
	scratch_store_dwordx4 off, v[4:7], off offset:144
	s_and_saveexec_b64 s[0:1], vcc
	s_cbranch_execz .LBB52_317
; %bb.316:
	scratch_load_dwordx4 v[2:5], off, s38
	v_mov_b32_e32 v6, 0
	v_mov_b32_e32 v7, v6
	;; [unrolled: 1-line block ×4, first 2 shown]
	v_accvgpr_read_b32 v0, a107
	scratch_store_dwordx4 off, v[6:9], off offset:128
	s_waitcnt vmcnt(1)
	ds_write_b128 v0, v[2:5]
.LBB52_317:
	s_or_b64 exec, exec, s[0:1]
	s_waitcnt lgkmcnt(0)
	; wave barrier
	scratch_load_dwordx4 v[80:83], off, off offset:144
	scratch_load_dwordx4 v[84:87], off, off offset:160
	;; [unrolled: 1-line block ×29, first 2 shown]
	v_mov_b32_e32 v2, 0
	ds_read_b128 v[132:135], v2 offset:976
	ds_read_b128 v[136:139], v2 offset:992
	;; [unrolled: 1-line block ×22, first 2 shown]
	s_waitcnt vmcnt(28) lgkmcnt(14)
	v_mul_f64 v[0:1], v[132:133], v[82:83]
	s_waitcnt vmcnt(27)
	v_mul_f64 v[56:57], v[136:137], v[86:87]
	v_fmac_f64_e32 v[0:1], v[134:135], v[80:81]
	s_waitcnt vmcnt(26)
	v_mul_f64 v[58:59], v[140:141], v[90:91]
	v_fmac_f64_e32 v[56:57], v[138:139], v[84:85]
	v_add_f64 v[0:1], v[0:1], 0
	s_waitcnt vmcnt(25)
	v_mul_f64 v[60:61], v[148:149], v[94:95]
	v_fmac_f64_e32 v[58:59], v[142:143], v[88:89]
	v_add_f64 v[0:1], v[0:1], v[56:57]
	;; [unrolled: 4-line block ×6, first 2 shown]
	s_waitcnt vmcnt(20) lgkmcnt(13)
	v_mul_f64 v[70:71], v[204:205], v[154:155]
	v_fmac_f64_e32 v[68:69], v[198:199], v[144:145]
	v_add_f64 v[0:1], v[0:1], v[66:67]
	s_waitcnt vmcnt(19) lgkmcnt(12)
	v_mul_f64 v[72:73], v[208:209], v[158:159]
	v_fmac_f64_e32 v[70:71], v[206:207], v[152:153]
	v_add_f64 v[0:1], v[0:1], v[68:69]
	;; [unrolled: 4-line block ×8, first 2 shown]
	v_fmac_f64_e32 v[112:113], v[240:241], v[192:193]
	v_add_f64 v[0:1], v[0:1], v[110:111]
	s_waitcnt vmcnt(12) lgkmcnt(5)
	v_mul_f64 v[60:61], v[250:251], v[202:203]
	scratch_load_dwordx4 v[56:59], off, off offset:608
	ds_read_b128 v[108:111], v2 offset:1264
	v_add_f64 v[0:1], v[0:1], v[112:113]
	v_fmac_f64_e32 v[60:61], v[252:253], v[200:201]
	v_add_f64 v[0:1], v[0:1], v[60:61]
	s_waitcnt vmcnt(12) lgkmcnt(5)
	v_mul_f64 v[64:65], v[52:53], v[6:7]
	scratch_load_dwordx4 v[60:63], off, off offset:624
	v_accvgpr_write_b32 a111, v7
	v_fmac_f64_e32 v[64:65], v[54:55], v[4:5]
	v_accvgpr_write_b32 a110, v6
	v_accvgpr_write_b32 a109, v5
	;; [unrolled: 1-line block ×3, first 2 shown]
	ds_read_b128 v[112:115], v2 offset:1280
	s_waitcnt vmcnt(12)
	v_mov_b64_e32 v[4:5], v[8:9]
	v_mov_b64_e32 v[6:7], v[10:11]
	s_waitcnt lgkmcnt(1)
	v_mul_f64 v[68:69], v[108:109], v[6:7]
	v_fmac_f64_e32 v[68:69], v[110:111], v[4:5]
	s_waitcnt vmcnt(11)
	v_mov_b64_e32 v[4:5], v[12:13]
	v_add_f64 v[0:1], v[0:1], v[64:65]
	v_mov_b64_e32 v[6:7], v[14:15]
	scratch_load_dwordx4 v[64:67], off, off offset:640
	v_add_f64 v[0:1], v[0:1], v[68:69]
	s_waitcnt lgkmcnt(0)
	v_mul_f64 v[68:69], v[112:113], v[6:7]
	v_fmac_f64_e32 v[68:69], v[114:115], v[4:5]
	v_add_f64 v[0:1], v[0:1], v[68:69]
	scratch_load_dwordx4 v[68:71], off, off offset:656
	s_waitcnt vmcnt(12)
	v_mul_f64 v[76:77], v[116:117], v[236:237]
	scratch_load_dwordx4 v[72:75], off, off offset:672
	v_fmac_f64_e32 v[76:77], v[118:119], v[234:235]
	v_add_f64 v[0:1], v[0:1], v[76:77]
	s_waitcnt vmcnt(12)
	v_mul_f64 v[76:77], v[120:121], v[22:23]
	v_fmac_f64_e32 v[76:77], v[122:123], v[20:21]
	v_add_f64 v[0:1], v[0:1], v[76:77]
	scratch_load_dwordx4 v[76:79], off, off offset:688
	v_mul_f64 v[82:83], v[134:135], v[82:83]
	v_fma_f64 v[242:243], v[132:133], v[80:81], -v[82:83]
	scratch_load_dwordx4 v[80:83], off, off offset:704
	v_mul_f64 v[86:87], v[138:139], v[86:87]
	v_fma_f64 v[244:245], v[136:137], v[84:85], -v[86:87]
	scratch_load_dwordx4 v[84:87], off, off offset:720
	v_mul_f64 v[90:91], v[142:143], v[90:91]
	s_waitcnt vmcnt(14)
	v_mul_f64 v[132:133], v[124:125], v[26:27]
	v_fma_f64 v[246:247], v[140:141], v[88:89], -v[90:91]
	scratch_load_dwordx4 v[88:91], off, off offset:736
	v_fmac_f64_e32 v[132:133], v[126:127], v[24:25]
	s_waitcnt vmcnt(14)
	v_mul_f64 v[136:137], v[128:129], v[30:31]
	v_mul_f64 v[94:95], v[150:151], v[94:95]
	v_add_f64 v[0:1], v[0:1], v[132:133]
	v_fmac_f64_e32 v[136:137], v[130:131], v[28:29]
	v_fma_f64 v[248:249], v[148:149], v[92:93], -v[94:95]
	v_mul_f64 v[92:93], v[162:163], v[98:99]
	ds_read_b128 v[132:135], v2 offset:1360
	v_add_f64 v[0:1], v[0:1], v[136:137]
	ds_read_b128 v[136:139], v2 offset:1376
	v_fma_f64 v[254:255], v[160:161], v[96:97], -v[92:93]
	scratch_load_dwordx4 v[96:99], off, off offset:752
	scratch_load_dwordx4 v[92:95], off, off offset:768
	v_mul_f64 v[102:103], v[174:175], v[102:103]
	v_fma_f64 v[232:233], v[172:173], v[100:101], -v[102:103]
	scratch_load_dwordx4 v[100:103], off, off offset:784
	v_mul_f64 v[106:107], v[186:187], v[106:107]
	v_fma_f64 v[16:17], v[184:185], v[104:105], -v[106:107]
	scratch_load_dwordx4 v[104:107], off, off offset:800
	s_waitcnt vmcnt(17) lgkmcnt(1)
	v_mul_f64 v[140:141], v[132:133], v[34:35]
	v_fmac_f64_e32 v[140:141], v[134:135], v[32:33]
	v_add_f64 v[0:1], v[0:1], v[140:141]
	ds_read_b128 v[140:143], v2 offset:1392
	v_accvgpr_write_b32 a119, v15
	v_mul_f64 v[6:7], v[198:199], v[146:147]
	v_accvgpr_write_b32 a118, v14
	v_accvgpr_write_b32 a117, v13
	;; [unrolled: 1-line block ×3, first 2 shown]
	v_fma_f64 v[12:13], v[196:197], v[144:145], -v[6:7]
	ds_read_b128 v[144:147], v2 offset:1408
	s_waitcnt vmcnt(16) lgkmcnt(2)
	v_mul_f64 v[148:149], v[136:137], v[38:39]
	v_fmac_f64_e32 v[148:149], v[138:139], v[36:37]
	v_add_f64 v[0:1], v[0:1], v[148:149]
	s_waitcnt vmcnt(15) lgkmcnt(1)
	v_mul_f64 v[6:7], v[140:141], v[42:43]
	ds_read_b128 v[148:151], v2 offset:1424
	v_fmac_f64_e32 v[6:7], v[142:143], v[40:41]
	v_add_f64 v[0:1], v[0:1], v[6:7]
	s_waitcnt vmcnt(14) lgkmcnt(1)
	v_mul_f64 v[6:7], v[144:145], v[46:47]
	v_fmac_f64_e32 v[6:7], v[146:147], v[44:45]
	v_accvgpr_write_b32 a115, v11
	v_add_f64 v[0:1], v[0:1], v[6:7]
	v_mul_f64 v[6:7], v[206:207], v[154:155]
	v_accvgpr_write_b32 a114, v10
	v_accvgpr_write_b32 a113, v9
	;; [unrolled: 1-line block ×3, first 2 shown]
	v_fma_f64 v[10:11], v[204:205], v[152:153], -v[6:7]
	ds_read_b128 v[152:155], v2 offset:1440
	s_waitcnt vmcnt(13) lgkmcnt(1)
	v_mul_f64 v[6:7], v[148:149], v[50:51]
	v_fmac_f64_e32 v[6:7], v[150:151], v[48:49]
	v_add_f64 v[0:1], v[0:1], v[6:7]
	v_mul_f64 v[6:7], v[210:211], v[158:159]
	v_fma_f64 v[8:9], v[208:209], v[156:157], -v[6:7]
	ds_read_b128 v[156:159], v2 offset:1456
	ds_read_b128 v[160:163], v2 offset:1472
	s_waitcnt vmcnt(12) lgkmcnt(2)
	v_mul_f64 v[6:7], v[152:153], v[58:59]
	v_fmac_f64_e32 v[6:7], v[154:155], v[56:57]
	v_add_f64 v[0:1], v[0:1], v[6:7]
	s_waitcnt vmcnt(11) lgkmcnt(1)
	v_mul_f64 v[6:7], v[156:157], v[62:63]
	v_fmac_f64_e32 v[6:7], v[158:159], v[60:61]
	v_add_f64 v[0:1], v[0:1], v[6:7]
	v_mul_f64 v[6:7], v[214:215], v[166:167]
	v_fma_f64 v[14:15], v[212:213], v[164:165], -v[6:7]
	ds_read_b128 v[164:167], v2 offset:1488
	v_mul_f64 v[170:171], v[218:219], v[170:171]
	v_fma_f64 v[4:5], v[216:217], v[168:169], -v[170:171]
	ds_read_b128 v[168:171], v2 offset:1504
	s_waitcnt vmcnt(10) lgkmcnt(2)
	v_mul_f64 v[6:7], v[160:161], v[66:67]
	v_fmac_f64_e32 v[6:7], v[162:163], v[64:65]
	v_add_f64 v[0:1], v[0:1], v[6:7]
	s_waitcnt vmcnt(9) lgkmcnt(1)
	v_mul_f64 v[6:7], v[164:165], v[70:71]
	ds_read_b128 v[172:175], v2 offset:1520
	v_fmac_f64_e32 v[6:7], v[166:167], v[68:69]
	v_add_f64 v[0:1], v[0:1], v[6:7]
	s_waitcnt vmcnt(8) lgkmcnt(1)
	v_mul_f64 v[6:7], v[168:169], v[74:75]
	v_fmac_f64_e32 v[6:7], v[170:171], v[72:73]
	v_add_f64 v[0:1], v[0:1], v[6:7]
	v_mul_f64 v[6:7], v[222:223], v[178:179]
	v_fma_f64 v[18:19], v[220:221], v[176:177], -v[6:7]
	ds_read_b128 v[176:179], v2 offset:1536
	s_waitcnt vmcnt(7) lgkmcnt(1)
	v_mul_f64 v[6:7], v[172:173], v[78:79]
	v_fmac_f64_e32 v[6:7], v[174:175], v[76:77]
	v_add_f64 v[0:1], v[0:1], v[6:7]
	v_mul_f64 v[6:7], v[226:227], v[182:183]
	v_fma_f64 v[6:7], v[224:225], v[180:181], -v[6:7]
	ds_read_b128 v[180:183], v2 offset:1552
	s_waitcnt vmcnt(6) lgkmcnt(1)
	v_mul_f64 v[184:185], v[176:177], v[82:83]
	v_fmac_f64_e32 v[184:185], v[178:179], v[80:81]
	v_add_f64 v[0:1], v[0:1], v[184:185]
	ds_read_b128 v[184:187], v2 offset:1568
	s_waitcnt vmcnt(5) lgkmcnt(1)
	v_mul_f64 v[196:197], v[180:181], v[86:87]
	v_fmac_f64_e32 v[196:197], v[182:183], v[84:85]
	v_add_f64 v[196:197], v[0:1], v[196:197]
	v_mul_f64 v[0:1], v[230:231], v[190:191]
	v_fma_f64 v[0:1], v[228:229], v[188:189], -v[0:1]
	ds_read_b128 v[188:191], v2 offset:1584
	s_waitcnt vmcnt(4) lgkmcnt(1)
	v_mul_f64 v[198:199], v[184:185], v[90:91]
	v_fmac_f64_e32 v[198:199], v[186:187], v[88:89]
	v_mul_f64 v[194:195], v[240:241], v[194:195]
	v_fma_f64 v[238:239], v[238:239], v[192:193], -v[194:195]
	ds_read_b128 v[192:195], v2 offset:1600
	v_add_f64 v[196:197], v[196:197], v[198:199]
	s_waitcnt vmcnt(3) lgkmcnt(1)
	v_mul_f64 v[198:199], v[188:189], v[98:99]
	v_fmac_f64_e32 v[198:199], v[190:191], v[96:97]
	v_add_f64 v[204:205], v[196:197], v[198:199]
	ds_read_b128 v[196:199], v2 offset:1616
	v_mul_f64 v[202:203], v[252:253], v[202:203]
	v_fma_f64 v[250:251], v[250:251], v[200:201], -v[202:203]
	ds_read_b128 v[200:203], v2 offset:1632
	s_waitcnt vmcnt(2) lgkmcnt(2)
	v_mul_f64 v[206:207], v[192:193], v[94:95]
	v_fmac_f64_e32 v[206:207], v[194:195], v[92:93]
	v_add_f64 v[204:205], v[204:205], v[206:207]
	s_waitcnt vmcnt(1) lgkmcnt(1)
	v_mul_f64 v[206:207], v[196:197], v[102:103]
	v_fmac_f64_e32 v[206:207], v[198:199], v[100:101]
	v_add_f64 v[204:205], v[204:205], v[206:207]
	;; [unrolled: 4-line block ×3, first 2 shown]
	scratch_load_dwordx4 v[204:207], off, off offset:816
	ds_read_b128 v[208:211], v2 offset:1648
	ds_read_b128 v[216:219], v2 offset:1664
	;; [unrolled: 1-line block ×3, first 2 shown]
	s_waitcnt vmcnt(0) lgkmcnt(2)
	v_mul_f64 v[214:215], v[208:209], v[206:207]
	v_fmac_f64_e32 v[214:215], v[210:211], v[204:205]
	v_add_f64 v[220:221], v[212:213], v[214:215]
	scratch_load_dwordx4 v[212:215], off, off offset:832
	s_waitcnt vmcnt(0) lgkmcnt(1)
	v_mul_f64 v[222:223], v[216:217], v[214:215]
	v_fmac_f64_e32 v[222:223], v[218:219], v[212:213]
	v_add_f64 v[228:229], v[220:221], v[222:223]
	scratch_load_dwordx4 v[220:223], off, off offset:848
	s_waitcnt vmcnt(0) lgkmcnt(0)
	v_mul_f64 v[230:231], v[224:225], v[222:223]
	v_fmac_f64_e32 v[230:231], v[226:227], v[220:221]
	v_add_f64 v[240:241], v[228:229], v[230:231]
	v_add_f64 v[228:229], v[242:243], 0
	;; [unrolled: 1-line block ×8, first 2 shown]
	scratch_load_dwordx4 v[228:231], off, off offset:128
	v_add_f64 v[12:13], v[16:17], v[12:13]
	v_add_f64 v[10:11], v[12:13], v[10:11]
	;; [unrolled: 1-line block ×7, first 2 shown]
	v_accvgpr_read_b32 v6, a108
	v_accvgpr_read_b32 v8, a110
	;; [unrolled: 1-line block ×3, first 2 shown]
	v_add_f64 v[0:1], v[4:5], v[0:1]
	v_accvgpr_read_b32 v7, a109
	v_mul_f64 v[4:5], v[54:55], v[8:9]
	v_add_f64 v[0:1], v[0:1], v[238:239]
	v_fma_f64 v[4:5], v[52:53], v[6:7], -v[4:5]
	v_accvgpr_read_b32 v6, a112
	v_add_f64 v[0:1], v[0:1], v[250:251]
	v_accvgpr_read_b32 v8, a114
	v_accvgpr_read_b32 v9, a115
	v_add_f64 v[0:1], v[0:1], v[4:5]
	v_accvgpr_read_b32 v7, a113
	v_mul_f64 v[4:5], v[110:111], v[8:9]
	v_fma_f64 v[4:5], v[108:109], v[6:7], -v[4:5]
	v_accvgpr_read_b32 v6, a116
	v_accvgpr_read_b32 v8, a118
	;; [unrolled: 1-line block ×3, first 2 shown]
	v_add_f64 v[0:1], v[0:1], v[4:5]
	v_accvgpr_read_b32 v7, a117
	v_mul_f64 v[4:5], v[114:115], v[8:9]
	v_fma_f64 v[4:5], v[112:113], v[6:7], -v[4:5]
	v_add_f64 v[0:1], v[0:1], v[4:5]
	v_mul_f64 v[4:5], v[118:119], v[236:237]
	v_fma_f64 v[4:5], v[116:117], v[234:235], -v[4:5]
	v_add_f64 v[0:1], v[0:1], v[4:5]
	;; [unrolled: 3-line block ×26, first 2 shown]
	s_waitcnt vmcnt(0)
	v_add_f64 v[4:5], v[228:229], -v[0:1]
	v_accvgpr_read_b32 v0, a106
	v_add_f64 v[6:7], v[230:231], -v[240:241]
	v_cmp_lt_u32_e32 vcc, 6, v0
	scratch_store_dwordx4 off, v[4:7], off offset:128
	s_and_saveexec_b64 s[0:1], vcc
	s_cbranch_execz .LBB52_319
; %bb.318:
	scratch_load_dwordx4 v[6:9], off, s37
	v_mov_b32_e32 v3, v2
	v_mov_b32_e32 v4, v2
	;; [unrolled: 1-line block ×3, first 2 shown]
	v_accvgpr_read_b32 v0, a107
	scratch_store_dwordx4 off, v[2:5], off offset:112
	s_waitcnt vmcnt(1)
	ds_write_b128 v0, v[6:9]
.LBB52_319:
	s_or_b64 exec, exec, s[0:1]
	s_waitcnt lgkmcnt(0)
	; wave barrier
	scratch_load_dwordx4 v[80:83], off, off offset:128
	scratch_load_dwordx4 v[84:87], off, off offset:144
	;; [unrolled: 1-line block ×17, first 2 shown]
	ds_read_b128 v[136:139], v2 offset:960
	ds_read_b128 v[132:135], v2 offset:976
	scratch_load_dwordx4 v[4:7], off, off offset:400
	ds_read_b128 v[236:239], v2 offset:992
	ds_read_b128 v[228:231], v2 offset:1008
	;; [unrolled: 1-line block ×5, first 2 shown]
	scratch_load_dwordx4 v[8:11], off, off offset:416
	ds_read_b128 v[232:235], v2 offset:1072
	ds_read_b128 v[216:219], v2 offset:1088
	;; [unrolled: 1-line block ×3, first 2 shown]
	scratch_load_dwordx4 v[12:15], off, off offset:432
	ds_read_b128 v[220:223], v2 offset:1120
	ds_read_b128 v[172:175], v2 offset:1136
	;; [unrolled: 1-line block ×5, first 2 shown]
	scratch_load_dwordx4 v[16:19], off, off offset:448
	ds_read_b128 v[208:211], v2 offset:1200
	ds_read_b128 v[204:207], v2 offset:1216
	;; [unrolled: 1-line block ×3, first 2 shown]
	scratch_load_dwordx4 v[24:27], off, off offset:464
	scratch_load_dwordx4 v[28:31], off, off offset:480
	;; [unrolled: 1-line block ×8, first 2 shown]
	ds_read_b128 v[116:119], v2 offset:1280
	ds_read_b128 v[120:123], v2 offset:1296
	;; [unrolled: 1-line block ×4, first 2 shown]
	s_waitcnt vmcnt(28) lgkmcnt(14)
	v_mul_f64 v[0:1], v[136:137], v[82:83]
	s_waitcnt vmcnt(27)
	v_mul_f64 v[56:57], v[132:133], v[86:87]
	v_fmac_f64_e32 v[0:1], v[138:139], v[80:81]
	s_waitcnt vmcnt(26)
	v_mul_f64 v[58:59], v[236:237], v[90:91]
	v_fmac_f64_e32 v[56:57], v[134:135], v[84:85]
	v_add_f64 v[0:1], v[0:1], 0
	s_waitcnt vmcnt(25)
	v_mul_f64 v[60:61], v[228:229], v[94:95]
	v_fmac_f64_e32 v[58:59], v[238:239], v[88:89]
	v_add_f64 v[0:1], v[0:1], v[56:57]
	;; [unrolled: 4-line block ×6, first 2 shown]
	s_waitcnt vmcnt(20) lgkmcnt(13)
	v_mul_f64 v[70:71], v[216:217], v[154:155]
	v_fmac_f64_e32 v[68:69], v[234:235], v[144:145]
	v_add_f64 v[0:1], v[0:1], v[66:67]
	s_waitcnt vmcnt(19) lgkmcnt(12)
	v_mul_f64 v[72:73], v[160:161], v[158:159]
	v_fmac_f64_e32 v[70:71], v[218:219], v[152:153]
	v_add_f64 v[0:1], v[0:1], v[68:69]
	;; [unrolled: 4-line block ×7, first 2 shown]
	v_fmac_f64_e32 v[110:111], v[198:199], v[188:189]
	v_add_f64 v[0:1], v[0:1], v[108:109]
	s_waitcnt vmcnt(13) lgkmcnt(6)
	v_mul_f64 v[112:113], v[208:209], v[194:195]
	v_add_f64 v[0:1], v[0:1], v[110:111]
	scratch_load_dwordx4 v[56:59], off, off offset:592
	scratch_load_dwordx4 v[60:63], off, off offset:608
	ds_read_b128 v[108:111], v2 offset:1248
	s_waitcnt vmcnt(14) lgkmcnt(6)
	v_mul_f64 v[114:115], v[204:205], v[202:203]
	v_fmac_f64_e32 v[112:113], v[210:211], v[192:193]
	v_add_f64 v[0:1], v[0:1], v[112:113]
	v_fmac_f64_e32 v[114:115], v[206:207], v[200:201]
	s_waitcnt vmcnt(13) lgkmcnt(5)
	v_mul_f64 v[64:65], v[20:21], v[6:7]
	v_accvgpr_write_b32 a111, v7
	v_add_f64 v[0:1], v[0:1], v[114:115]
	v_fmac_f64_e32 v[64:65], v[22:23], v[4:5]
	v_accvgpr_write_b32 a110, v6
	v_accvgpr_write_b32 a109, v5
	;; [unrolled: 1-line block ×3, first 2 shown]
	ds_read_b128 v[112:115], v2 offset:1264
	s_waitcnt vmcnt(12)
	v_mov_b64_e32 v[4:5], v[8:9]
	v_mov_b64_e32 v[6:7], v[10:11]
	s_waitcnt lgkmcnt(1)
	v_mul_f64 v[68:69], v[108:109], v[6:7]
	v_fmac_f64_e32 v[68:69], v[110:111], v[4:5]
	s_waitcnt vmcnt(11)
	v_mov_b64_e32 v[4:5], v[12:13]
	v_add_f64 v[0:1], v[0:1], v[64:65]
	v_mov_b64_e32 v[6:7], v[14:15]
	v_add_f64 v[0:1], v[0:1], v[68:69]
	s_waitcnt lgkmcnt(0)
	v_mul_f64 v[68:69], v[112:113], v[6:7]
	scratch_load_dwordx4 v[64:67], off, off offset:624
	v_fmac_f64_e32 v[68:69], v[114:115], v[4:5]
	v_add_f64 v[0:1], v[0:1], v[68:69]
	scratch_load_dwordx4 v[68:71], off, off offset:640
	scratch_load_dwordx4 v[72:75], off, off offset:656
	s_waitcnt vmcnt(13)
	v_mul_f64 v[76:77], v[116:117], v[18:19]
	v_fmac_f64_e32 v[76:77], v[118:119], v[16:17]
	v_add_f64 v[0:1], v[0:1], v[76:77]
	s_waitcnt vmcnt(12)
	v_mul_f64 v[76:77], v[120:121], v[26:27]
	v_fmac_f64_e32 v[76:77], v[122:123], v[24:25]
	v_add_f64 v[0:1], v[0:1], v[76:77]
	scratch_load_dwordx4 v[76:79], off, off offset:672
	v_mul_f64 v[82:83], v[138:139], v[82:83]
	v_fma_f64 v[240:241], v[136:137], v[80:81], -v[82:83]
	scratch_load_dwordx4 v[80:83], off, off offset:688
	v_mul_f64 v[86:87], v[134:135], v[86:87]
	v_fma_f64 v[242:243], v[132:133], v[84:85], -v[86:87]
	scratch_load_dwordx4 v[84:87], off, off offset:704
	s_waitcnt vmcnt(14)
	v_mul_f64 v[136:137], v[124:125], v[30:31]
	v_mul_f64 v[90:91], v[238:239], v[90:91]
	v_fmac_f64_e32 v[136:137], v[126:127], v[28:29]
	v_fma_f64 v[236:237], v[236:237], v[88:89], -v[90:91]
	scratch_load_dwordx4 v[88:91], off, off offset:720
	v_add_f64 v[0:1], v[0:1], v[136:137]
	s_waitcnt vmcnt(14)
	v_mul_f64 v[136:137], v[128:129], v[34:35]
	v_mul_f64 v[94:95], v[230:231], v[94:95]
	v_fmac_f64_e32 v[136:137], v[130:131], v[32:33]
	v_fma_f64 v[238:239], v[228:229], v[92:93], -v[94:95]
	v_mul_f64 v[92:93], v[226:227], v[98:99]
	ds_read_b128 v[132:135], v2 offset:1344
	v_add_f64 v[0:1], v[0:1], v[136:137]
	ds_read_b128 v[136:139], v2 offset:1360
	v_fma_f64 v[244:245], v[224:225], v[96:97], -v[92:93]
	scratch_load_dwordx4 v[96:99], off, off offset:736
	scratch_load_dwordx4 v[92:95], off, off offset:752
	v_mul_f64 v[102:103], v[150:151], v[102:103]
	v_fma_f64 v[246:247], v[148:149], v[100:101], -v[102:103]
	scratch_load_dwordx4 v[100:103], off, off offset:768
	v_mul_f64 v[106:107], v[142:143], v[106:107]
	v_fma_f64 v[248:249], v[140:141], v[104:105], -v[106:107]
	v_mul_f64 v[104:105], v[234:235], v[146:147]
	v_fma_f64 v[254:255], v[232:233], v[144:145], -v[104:105]
	scratch_load_dwordx4 v[104:107], off, off offset:784
	ds_read_b128 v[140:143], v2 offset:1376
	ds_read_b128 v[144:147], v2 offset:1392
	s_waitcnt vmcnt(17) lgkmcnt(3)
	v_mul_f64 v[228:229], v[132:133], v[38:39]
	v_fmac_f64_e32 v[228:229], v[134:135], v[36:37]
	s_waitcnt vmcnt(16) lgkmcnt(2)
	v_mul_f64 v[224:225], v[136:137], v[42:43]
	v_add_f64 v[0:1], v[0:1], v[228:229]
	v_fmac_f64_e32 v[224:225], v[138:139], v[40:41]
	s_waitcnt vmcnt(15) lgkmcnt(1)
	v_mul_f64 v[148:149], v[140:141], v[46:47]
	v_add_f64 v[0:1], v[0:1], v[224:225]
	v_fmac_f64_e32 v[148:149], v[142:143], v[44:45]
	v_add_f64 v[0:1], v[0:1], v[148:149]
	ds_read_b128 v[148:151], v2 offset:1408
	v_mul_f64 v[154:155], v[218:219], v[154:155]
	v_fma_f64 v[250:251], v[216:217], v[152:153], -v[154:155]
	ds_read_b128 v[152:155], v2 offset:1424
	v_accvgpr_write_b32 a119, v15
	v_mul_f64 v[158:159], v[162:163], v[158:159]
	v_accvgpr_write_b32 a118, v14
	v_accvgpr_write_b32 a117, v13
	;; [unrolled: 1-line block ×3, first 2 shown]
	v_fma_f64 v[12:13], v[160:161], v[156:157], -v[158:159]
	ds_read_b128 v[156:159], v2 offset:1440
	ds_read_b128 v[160:163], v2 offset:1456
	s_waitcnt vmcnt(14) lgkmcnt(4)
	v_mul_f64 v[224:225], v[144:145], v[50:51]
	v_fmac_f64_e32 v[224:225], v[146:147], v[48:49]
	s_waitcnt vmcnt(13) lgkmcnt(3)
	v_mul_f64 v[216:217], v[148:149], v[54:55]
	v_add_f64 v[0:1], v[0:1], v[224:225]
	v_fmac_f64_e32 v[216:217], v[150:151], v[52:53]
	s_waitcnt vmcnt(12) lgkmcnt(2)
	v_mul_f64 v[6:7], v[152:153], v[58:59]
	v_add_f64 v[0:1], v[0:1], v[216:217]
	v_fmac_f64_e32 v[6:7], v[154:155], v[56:57]
	v_add_f64 v[0:1], v[0:1], v[6:7]
	s_waitcnt vmcnt(11) lgkmcnt(1)
	v_mul_f64 v[6:7], v[156:157], v[62:63]
	v_fmac_f64_e32 v[6:7], v[158:159], v[60:61]
	v_accvgpr_write_b32 a115, v11
	v_add_f64 v[0:1], v[0:1], v[6:7]
	v_mul_f64 v[6:7], v[222:223], v[166:167]
	v_accvgpr_write_b32 a114, v10
	v_accvgpr_write_b32 a113, v9
	;; [unrolled: 1-line block ×3, first 2 shown]
	v_fma_f64 v[8:9], v[220:221], v[164:165], -v[6:7]
	ds_read_b128 v[164:167], v2 offset:1472
	v_mul_f64 v[170:171], v[174:175], v[170:171]
	v_fma_f64 v[6:7], v[172:173], v[168:169], -v[170:171]
	ds_read_b128 v[168:171], v2 offset:1488
	s_waitcnt vmcnt(10) lgkmcnt(2)
	v_mul_f64 v[216:217], v[160:161], v[66:67]
	v_fmac_f64_e32 v[216:217], v[162:163], v[64:65]
	s_waitcnt vmcnt(9) lgkmcnt(1)
	v_mul_f64 v[10:11], v[164:165], v[70:71]
	v_add_f64 v[0:1], v[0:1], v[216:217]
	v_fmac_f64_e32 v[10:11], v[166:167], v[68:69]
	v_add_f64 v[0:1], v[0:1], v[10:11]
	s_waitcnt vmcnt(8) lgkmcnt(0)
	v_mul_f64 v[10:11], v[168:169], v[74:75]
	v_fmac_f64_e32 v[10:11], v[170:171], v[72:73]
	ds_read_b128 v[172:175], v2 offset:1504
	v_add_f64 v[0:1], v[0:1], v[10:11]
	v_mul_f64 v[10:11], v[214:215], v[178:179]
	v_fma_f64 v[10:11], v[212:213], v[176:177], -v[10:11]
	ds_read_b128 v[176:179], v2 offset:1520
	v_mul_f64 v[182:183], v[186:187], v[182:183]
	v_fma_f64 v[4:5], v[184:185], v[180:181], -v[182:183]
	ds_read_b128 v[180:183], v2 offset:1536
	ds_read_b128 v[184:187], v2 offset:1552
	s_waitcnt vmcnt(7) lgkmcnt(3)
	v_mul_f64 v[212:213], v[172:173], v[78:79]
	v_fmac_f64_e32 v[212:213], v[174:175], v[76:77]
	s_waitcnt vmcnt(6) lgkmcnt(2)
	v_mul_f64 v[14:15], v[176:177], v[82:83]
	v_add_f64 v[0:1], v[0:1], v[212:213]
	v_fmac_f64_e32 v[14:15], v[178:179], v[80:81]
	v_add_f64 v[0:1], v[0:1], v[14:15]
	s_waitcnt vmcnt(5) lgkmcnt(1)
	v_mul_f64 v[14:15], v[180:181], v[86:87]
	v_fmac_f64_e32 v[14:15], v[182:183], v[84:85]
	v_add_f64 v[14:15], v[0:1], v[14:15]
	v_mul_f64 v[0:1], v[198:199], v[190:191]
	v_fma_f64 v[0:1], v[196:197], v[188:189], -v[0:1]
	ds_read_b128 v[188:191], v2 offset:1568
	v_mul_f64 v[194:195], v[210:211], v[194:195]
	s_waitcnt vmcnt(4) lgkmcnt(1)
	v_mul_f64 v[196:197], v[184:185], v[90:91]
	v_fma_f64 v[192:193], v[208:209], v[192:193], -v[194:195]
	v_fmac_f64_e32 v[196:197], v[186:187], v[88:89]
	v_accvgpr_write_b32 a120, v192
	v_accvgpr_write_b32 a121, v193
	ds_read_b128 v[192:195], v2 offset:1584
	v_add_f64 v[14:15], v[14:15], v[196:197]
	s_waitcnt vmcnt(3) lgkmcnt(1)
	v_mul_f64 v[196:197], v[188:189], v[98:99]
	v_fmac_f64_e32 v[196:197], v[190:191], v[96:97]
	v_add_f64 v[14:15], v[14:15], v[196:197]
	ds_read_b128 v[196:199], v2 offset:1600
	v_mul_f64 v[202:203], v[206:207], v[202:203]
	v_fma_f64 v[252:253], v[204:205], v[200:201], -v[202:203]
	ds_read_b128 v[200:203], v2 offset:1616
	s_waitcnt vmcnt(2) lgkmcnt(2)
	v_mul_f64 v[204:205], v[192:193], v[94:95]
	v_fmac_f64_e32 v[204:205], v[194:195], v[92:93]
	v_add_f64 v[14:15], v[14:15], v[204:205]
	s_waitcnt vmcnt(1) lgkmcnt(1)
	v_mul_f64 v[204:205], v[196:197], v[102:103]
	v_fmac_f64_e32 v[204:205], v[198:199], v[100:101]
	v_add_f64 v[14:15], v[14:15], v[204:205]
	;; [unrolled: 4-line block ×3, first 2 shown]
	scratch_load_dwordx4 v[204:207], off, off offset:800
	scratch_load_dwordx4 v[232:235], off, off offset:848
	ds_read_b128 v[208:211], v2 offset:1632
	ds_read_b128 v[216:219], v2 offset:1648
	;; [unrolled: 1-line block ×3, first 2 shown]
	s_waitcnt vmcnt(1) lgkmcnt(2)
	v_mul_f64 v[212:213], v[208:209], v[206:207]
	v_fmac_f64_e32 v[212:213], v[210:211], v[204:205]
	v_add_f64 v[14:15], v[14:15], v[212:213]
	scratch_load_dwordx4 v[212:215], off, off offset:816
	s_waitcnt vmcnt(0) lgkmcnt(1)
	v_mul_f64 v[220:221], v[216:217], v[214:215]
	v_fmac_f64_e32 v[220:221], v[218:219], v[212:213]
	v_add_f64 v[14:15], v[14:15], v[220:221]
	scratch_load_dwordx4 v[220:223], off, off offset:832
	s_waitcnt vmcnt(0) lgkmcnt(0)
	v_mul_f64 v[228:229], v[224:225], v[222:223]
	v_fmac_f64_e32 v[228:229], v[226:227], v[220:221]
	v_add_f64 v[14:15], v[14:15], v[228:229]
	ds_read_b128 v[228:231], v2 offset:1680
	s_waitcnt lgkmcnt(0)
	v_mul_f64 v[2:3], v[228:229], v[234:235]
	v_fmac_f64_e32 v[2:3], v[230:231], v[232:233]
	v_add_f64 v[2:3], v[14:15], v[2:3]
	v_add_f64 v[14:15], v[240:241], 0
	;; [unrolled: 1-line block ×5, first 2 shown]
	scratch_load_dwordx4 v[236:239], off, off offset:112
	v_add_f64 v[14:15], v[14:15], v[244:245]
	v_add_f64 v[14:15], v[14:15], v[246:247]
	;; [unrolled: 1-line block ×10, first 2 shown]
	v_accvgpr_read_b32 v6, a108
	v_add_f64 v[254:255], v[4:5], v[0:1]
	v_accvgpr_read_b32 v0, a120
	v_accvgpr_read_b32 v8, a110
	;; [unrolled: 1-line block ×5, first 2 shown]
	v_mul_f64 v[4:5], v[22:23], v[8:9]
	v_add_f64 v[0:1], v[254:255], v[0:1]
	v_fma_f64 v[4:5], v[20:21], v[6:7], -v[4:5]
	v_accvgpr_read_b32 v6, a112
	v_add_f64 v[0:1], v[0:1], v[252:253]
	v_accvgpr_read_b32 v8, a114
	v_accvgpr_read_b32 v9, a115
	v_add_f64 v[0:1], v[0:1], v[4:5]
	v_accvgpr_read_b32 v7, a113
	v_mul_f64 v[4:5], v[110:111], v[8:9]
	v_fma_f64 v[4:5], v[108:109], v[6:7], -v[4:5]
	v_accvgpr_read_b32 v6, a116
	v_accvgpr_read_b32 v8, a118
	;; [unrolled: 1-line block ×3, first 2 shown]
	v_add_f64 v[0:1], v[0:1], v[4:5]
	v_accvgpr_read_b32 v7, a117
	v_mul_f64 v[4:5], v[114:115], v[8:9]
	v_fma_f64 v[4:5], v[112:113], v[6:7], -v[4:5]
	v_add_f64 v[0:1], v[0:1], v[4:5]
	v_mul_f64 v[4:5], v[118:119], v[18:19]
	v_fma_f64 v[4:5], v[116:117], v[16:17], -v[4:5]
	v_add_f64 v[0:1], v[0:1], v[4:5]
	;; [unrolled: 3-line block ×27, first 2 shown]
	s_waitcnt vmcnt(0)
	v_add_f64 v[4:5], v[236:237], -v[0:1]
	v_accvgpr_read_b32 v0, a106
	v_add_f64 v[6:7], v[238:239], -v[2:3]
	v_cmp_lt_u32_e32 vcc, 5, v0
	scratch_store_dwordx4 off, v[4:7], off offset:112
	s_and_saveexec_b64 s[0:1], vcc
	s_cbranch_execz .LBB52_321
; %bb.320:
	scratch_load_dwordx4 v[2:5], off, s36
	v_mov_b32_e32 v6, 0
	v_mov_b32_e32 v7, v6
	;; [unrolled: 1-line block ×4, first 2 shown]
	v_accvgpr_read_b32 v0, a107
	scratch_store_dwordx4 off, v[6:9], off offset:96
	s_waitcnt vmcnt(1)
	ds_write_b128 v0, v[2:5]
.LBB52_321:
	s_or_b64 exec, exec, s[0:1]
	s_waitcnt lgkmcnt(0)
	; wave barrier
	scratch_load_dwordx4 v[68:71], off, off offset:112
	scratch_load_dwordx4 v[72:75], off, off offset:128
	;; [unrolled: 1-line block ×28, first 2 shown]
	v_mov_b32_e32 v2, 0
	ds_read_b128 v[124:127], v2 offset:944
	ds_read_b128 v[128:131], v2 offset:960
	;; [unrolled: 1-line block ×23, first 2 shown]
	s_waitcnt vmcnt(27) lgkmcnt(14)
	v_mul_f64 v[0:1], v[124:125], v[70:71]
	s_waitcnt vmcnt(26)
	v_mul_f64 v[40:41], v[128:129], v[74:75]
	v_fmac_f64_e32 v[0:1], v[126:127], v[68:69]
	s_waitcnt vmcnt(25)
	v_mul_f64 v[42:43], v[132:133], v[78:79]
	v_fmac_f64_e32 v[40:41], v[130:131], v[72:73]
	v_add_f64 v[0:1], v[0:1], 0
	s_waitcnt vmcnt(24)
	v_mul_f64 v[44:45], v[136:137], v[82:83]
	v_fmac_f64_e32 v[42:43], v[134:135], v[76:77]
	v_add_f64 v[0:1], v[0:1], v[40:41]
	;; [unrolled: 4-line block ×7, first 2 shown]
	s_waitcnt vmcnt(18) lgkmcnt(13)
	v_mul_f64 v[56:57], v[200:201], v[146:147]
	v_fmac_f64_e32 v[54:55], v[194:195], v[112:113]
	v_add_f64 v[0:1], v[0:1], v[52:53]
	s_waitcnt vmcnt(17) lgkmcnt(12)
	v_mul_f64 v[58:59], v[204:205], v[150:151]
	v_fmac_f64_e32 v[56:57], v[202:203], v[144:145]
	v_add_f64 v[0:1], v[0:1], v[54:55]
	;; [unrolled: 4-line block ×7, first 2 shown]
	scratch_load_dwordx4 v[40:43], off, off offset:560
	scratch_load_dwordx4 v[44:47], off, off offset:576
	s_waitcnt vmcnt(13) lgkmcnt(6)
	v_mul_f64 v[102:103], v[228:229], v[186:187]
	v_fmac_f64_e32 v[100:101], v[226:227], v[176:177]
	v_add_f64 v[0:1], v[0:1], v[66:67]
	v_add_f64 v[0:1], v[0:1], v[100:101]
	v_fmac_f64_e32 v[102:103], v[230:231], v[184:185]
	v_add_f64 v[0:1], v[0:1], v[102:103]
	ds_read_b128 v[100:103], v2 offset:1248
	s_waitcnt vmcnt(12) lgkmcnt(6)
	v_mul_f64 v[48:49], v[238:239], v[190:191]
	v_fmac_f64_e32 v[48:49], v[240:241], v[188:189]
	v_add_f64 v[0:1], v[0:1], v[48:49]
	s_waitcnt vmcnt(11) lgkmcnt(5)
	v_mul_f64 v[48:49], v[250:251], v[198:199]
	v_fmac_f64_e32 v[48:49], v[252:253], v[196:197]
	v_add_f64 v[0:1], v[0:1], v[48:49]
	scratch_load_dwordx4 v[48:51], off, off offset:592
	scratch_load_dwordx4 v[52:55], off, off offset:608
	s_waitcnt vmcnt(12) lgkmcnt(0)
	v_mul_f64 v[56:57], v[100:101], v[6:7]
	v_accvgpr_write_b32 a111, v7
	v_fmac_f64_e32 v[56:57], v[102:103], v[4:5]
	v_accvgpr_write_b32 a110, v6
	v_accvgpr_write_b32 a109, v5
	;; [unrolled: 1-line block ×3, first 2 shown]
	s_waitcnt vmcnt(11)
	v_mov_b64_e32 v[4:5], v[8:9]
	v_mov_b64_e32 v[6:7], v[10:11]
	v_add_f64 v[0:1], v[0:1], v[56:57]
	v_mul_f64 v[56:57], v[104:105], v[6:7]
	v_fmac_f64_e32 v[56:57], v[106:107], v[4:5]
	v_add_f64 v[0:1], v[0:1], v[56:57]
	scratch_load_dwordx4 v[56:59], off, off offset:624
	s_waitcnt vmcnt(11)
	v_mov_b64_e32 v[4:5], v[12:13]
	v_mov_b64_e32 v[6:7], v[14:15]
	v_mul_f64 v[60:61], v[108:109], v[6:7]
	v_fmac_f64_e32 v[60:61], v[110:111], v[4:5]
	s_waitcnt vmcnt(10)
	v_mov_b64_e32 v[4:5], v[16:17]
	v_mov_b64_e32 v[6:7], v[18:19]
	v_add_f64 v[0:1], v[0:1], v[60:61]
	scratch_load_dwordx4 v[60:63], off, off offset:640
	v_mul_f64 v[64:65], v[116:117], v[6:7]
	v_fmac_f64_e32 v[64:65], v[118:119], v[4:5]
	v_add_f64 v[0:1], v[0:1], v[64:65]
	scratch_load_dwordx4 v[64:67], off, off offset:656
	v_mul_f64 v[70:71], v[126:127], v[70:71]
	v_fma_f64 v[242:243], v[124:125], v[68:69], -v[70:71]
	s_waitcnt vmcnt(11)
	v_mul_f64 v[124:125], v[120:121], v[236:237]
	scratch_load_dwordx4 v[68:71], off, off offset:672
	v_fmac_f64_e32 v[124:125], v[122:123], v[234:235]
	v_mul_f64 v[74:75], v[130:131], v[74:75]
	v_mul_f64 v[78:79], v[134:135], v[78:79]
	v_add_f64 v[0:1], v[0:1], v[124:125]
	v_fma_f64 v[244:245], v[128:129], v[72:73], -v[74:75]
	ds_read_b128 v[124:127], v2 offset:1328
	ds_read_b128 v[128:131], v2 offset:1344
	scratch_load_dwordx4 v[72:75], off, off offset:688
	v_fma_f64 v[246:247], v[132:133], v[76:77], -v[78:79]
	v_mul_f64 v[76:77], v[138:139], v[82:83]
	v_fma_f64 v[248:249], v[136:137], v[80:81], -v[76:77]
	scratch_load_dwordx4 v[76:79], off, off offset:704
	s_waitcnt vmcnt(13) lgkmcnt(1)
	v_mul_f64 v[132:133], v[124:125], v[26:27]
	v_fmac_f64_e32 v[132:133], v[126:127], v[24:25]
	v_add_f64 v[0:1], v[0:1], v[132:133]
	s_waitcnt vmcnt(12) lgkmcnt(0)
	v_mul_f64 v[132:133], v[128:129], v[30:31]
	scratch_load_dwordx4 v[80:83], off, off offset:720
	v_fmac_f64_e32 v[132:133], v[130:131], v[28:29]
	v_mul_f64 v[86:87], v[142:143], v[86:87]
	v_add_f64 v[0:1], v[0:1], v[132:133]
	v_fma_f64 v[254:255], v[140:141], v[84:85], -v[86:87]
	ds_read_b128 v[132:135], v2 offset:1360
	v_mul_f64 v[84:85], v[158:159], v[90:91]
	v_fma_f64 v[232:233], v[156:157], v[88:89], -v[84:85]
	scratch_load_dwordx4 v[88:91], off, off offset:736
	scratch_load_dwordx4 v[84:87], off, off offset:752
	v_accvgpr_write_b32 a123, v19
	s_waitcnt vmcnt(14) lgkmcnt(0)
	v_mul_f64 v[6:7], v[132:133], v[34:35]
	v_fmac_f64_e32 v[6:7], v[134:135], v[32:33]
	v_mul_f64 v[94:95], v[170:171], v[94:95]
	v_add_f64 v[0:1], v[0:1], v[6:7]
	v_mul_f64 v[6:7], v[182:183], v[98:99]
	v_accvgpr_write_b32 a122, v18
	v_accvgpr_write_b32 a121, v17
	v_accvgpr_write_b32 a120, v16
	v_fma_f64 v[20:21], v[168:169], v[92:93], -v[94:95]
	ds_read_b128 v[136:139], v2 offset:1376
	v_fma_f64 v[16:17], v[180:181], v[96:97], -v[6:7]
	scratch_load_dwordx4 v[96:99], off, off offset:768
	scratch_load_dwordx4 v[92:95], off, off offset:784
	v_accvgpr_write_b32 a119, v15
	v_mul_f64 v[6:7], v[194:195], v[114:115]
	v_accvgpr_write_b32 a118, v14
	v_accvgpr_write_b32 a117, v13
	;; [unrolled: 1-line block ×3, first 2 shown]
	v_fma_f64 v[12:13], v[192:193], v[112:113], -v[6:7]
	scratch_load_dwordx4 v[112:115], off, off offset:800
	ds_read_b128 v[140:143], v2 offset:1392
	s_waitcnt vmcnt(16) lgkmcnt(1)
	v_mul_f64 v[6:7], v[136:137], v[38:39]
	v_fmac_f64_e32 v[6:7], v[138:139], v[36:37]
	v_accvgpr_write_b32 a115, v11
	v_add_f64 v[0:1], v[0:1], v[6:7]
	v_mul_f64 v[6:7], v[202:203], v[146:147]
	v_accvgpr_write_b32 a114, v10
	v_accvgpr_write_b32 a113, v9
	;; [unrolled: 1-line block ×3, first 2 shown]
	v_fma_f64 v[10:11], v[200:201], v[144:145], -v[6:7]
	ds_read_b128 v[144:147], v2 offset:1408
	s_waitcnt vmcnt(15) lgkmcnt(1)
	v_mul_f64 v[6:7], v[140:141], v[42:43]
	v_fmac_f64_e32 v[6:7], v[142:143], v[40:41]
	v_add_f64 v[0:1], v[0:1], v[6:7]
	v_mul_f64 v[6:7], v[206:207], v[150:151]
	v_fma_f64 v[14:15], v[204:205], v[148:149], -v[6:7]
	ds_read_b128 v[148:151], v2 offset:1424
	v_mul_f64 v[154:155], v[210:211], v[154:155]
	v_fma_f64 v[8:9], v[208:209], v[152:153], -v[154:155]
	ds_read_b128 v[152:155], v2 offset:1440
	s_waitcnt vmcnt(14) lgkmcnt(2)
	v_mul_f64 v[6:7], v[144:145], v[46:47]
	v_fmac_f64_e32 v[6:7], v[146:147], v[44:45]
	v_add_f64 v[0:1], v[0:1], v[6:7]
	s_waitcnt vmcnt(13) lgkmcnt(1)
	v_mul_f64 v[6:7], v[148:149], v[50:51]
	ds_read_b128 v[156:159], v2 offset:1456
	v_fmac_f64_e32 v[6:7], v[150:151], v[48:49]
	v_add_f64 v[0:1], v[0:1], v[6:7]
	s_waitcnt vmcnt(12) lgkmcnt(1)
	v_mul_f64 v[6:7], v[152:153], v[54:55]
	v_fmac_f64_e32 v[6:7], v[154:155], v[52:53]
	v_add_f64 v[0:1], v[0:1], v[6:7]
	v_mul_f64 v[6:7], v[214:215], v[162:163]
	v_fma_f64 v[18:19], v[212:213], v[160:161], -v[6:7]
	ds_read_b128 v[160:163], v2 offset:1472
	s_waitcnt vmcnt(11) lgkmcnt(1)
	v_mul_f64 v[6:7], v[156:157], v[58:59]
	v_fmac_f64_e32 v[6:7], v[158:159], v[56:57]
	v_add_f64 v[0:1], v[0:1], v[6:7]
	v_mul_f64 v[6:7], v[218:219], v[166:167]
	v_fma_f64 v[4:5], v[216:217], v[164:165], -v[6:7]
	ds_read_b128 v[164:167], v2 offset:1488
	ds_read_b128 v[168:171], v2 offset:1504
	s_waitcnt vmcnt(10) lgkmcnt(2)
	v_mul_f64 v[6:7], v[160:161], v[62:63]
	v_fmac_f64_e32 v[6:7], v[162:163], v[60:61]
	v_add_f64 v[0:1], v[0:1], v[6:7]
	s_waitcnt vmcnt(9) lgkmcnt(1)
	v_mul_f64 v[6:7], v[164:165], v[66:67]
	v_fmac_f64_e32 v[6:7], v[166:167], v[64:65]
	v_add_f64 v[0:1], v[0:1], v[6:7]
	v_mul_f64 v[6:7], v[222:223], v[174:175]
	v_fma_f64 v[22:23], v[220:221], v[172:173], -v[6:7]
	ds_read_b128 v[172:175], v2 offset:1520
	v_mul_f64 v[6:7], v[226:227], v[178:179]
	v_fma_f64 v[6:7], v[224:225], v[176:177], -v[6:7]
	ds_read_b128 v[176:179], v2 offset:1536
	s_waitcnt vmcnt(8) lgkmcnt(2)
	v_mul_f64 v[180:181], v[168:169], v[70:71]
	v_fmac_f64_e32 v[180:181], v[170:171], v[68:69]
	v_add_f64 v[0:1], v[0:1], v[180:181]
	s_waitcnt vmcnt(7) lgkmcnt(1)
	v_mul_f64 v[180:181], v[172:173], v[74:75]
	v_fmac_f64_e32 v[180:181], v[174:175], v[72:73]
	s_waitcnt vmcnt(6) lgkmcnt(0)
	v_mul_f64 v[192:193], v[176:177], v[78:79]
	v_add_f64 v[0:1], v[0:1], v[180:181]
	v_fmac_f64_e32 v[192:193], v[178:179], v[76:77]
	ds_read_b128 v[180:183], v2 offset:1552
	v_add_f64 v[192:193], v[0:1], v[192:193]
	v_mul_f64 v[0:1], v[230:231], v[186:187]
	v_fma_f64 v[0:1], v[228:229], v[184:185], -v[0:1]
	ds_read_b128 v[184:187], v2 offset:1568
	s_waitcnt vmcnt(5) lgkmcnt(1)
	v_mul_f64 v[194:195], v[180:181], v[82:83]
	v_fmac_f64_e32 v[194:195], v[182:183], v[80:81]
	v_mul_f64 v[190:191], v[240:241], v[190:191]
	v_add_f64 v[192:193], v[192:193], v[194:195]
	v_fma_f64 v[238:239], v[238:239], v[188:189], -v[190:191]
	ds_read_b128 v[188:191], v2 offset:1584
	s_waitcnt vmcnt(4) lgkmcnt(1)
	v_mul_f64 v[194:195], v[184:185], v[90:91]
	v_fmac_f64_e32 v[194:195], v[186:187], v[88:89]
	v_add_f64 v[200:201], v[192:193], v[194:195]
	ds_read_b128 v[192:195], v2 offset:1600
	v_mul_f64 v[198:199], v[252:253], v[198:199]
	v_fma_f64 v[250:251], v[250:251], v[196:197], -v[198:199]
	ds_read_b128 v[196:199], v2 offset:1616
	ds_read_b128 v[208:211], v2 offset:1648
	s_waitcnt vmcnt(3) lgkmcnt(3)
	v_mul_f64 v[202:203], v[188:189], v[86:87]
	v_fmac_f64_e32 v[202:203], v[190:191], v[84:85]
	v_add_f64 v[200:201], v[200:201], v[202:203]
	s_waitcnt vmcnt(2) lgkmcnt(2)
	v_mul_f64 v[202:203], v[192:193], v[98:99]
	v_fmac_f64_e32 v[202:203], v[194:195], v[96:97]
	v_add_f64 v[200:201], v[200:201], v[202:203]
	;; [unrolled: 4-line block ×3, first 2 shown]
	ds_read_b128 v[200:203], v2 offset:1632
	ds_read_b128 v[216:219], v2 offset:1664
	;; [unrolled: 1-line block ×3, first 2 shown]
	s_waitcnt vmcnt(0) lgkmcnt(2)
	v_mul_f64 v[206:207], v[200:201], v[114:115]
	v_fmac_f64_e32 v[206:207], v[202:203], v[112:113]
	v_add_f64 v[212:213], v[204:205], v[206:207]
	scratch_load_dwordx4 v[204:207], off, off offset:816
	s_waitcnt vmcnt(0)
	v_mul_f64 v[214:215], v[208:209], v[206:207]
	v_fmac_f64_e32 v[214:215], v[210:211], v[204:205]
	v_add_f64 v[220:221], v[212:213], v[214:215]
	scratch_load_dwordx4 v[212:215], off, off offset:832
	s_waitcnt vmcnt(0) lgkmcnt(1)
	v_mul_f64 v[222:223], v[216:217], v[214:215]
	v_fmac_f64_e32 v[222:223], v[218:219], v[212:213]
	v_add_f64 v[228:229], v[220:221], v[222:223]
	scratch_load_dwordx4 v[220:223], off, off offset:848
	s_waitcnt vmcnt(0) lgkmcnt(0)
	v_mul_f64 v[230:231], v[224:225], v[222:223]
	v_fmac_f64_e32 v[230:231], v[226:227], v[220:221]
	v_add_f64 v[240:241], v[228:229], v[230:231]
	v_add_f64 v[228:229], v[242:243], 0
	;; [unrolled: 1-line block ×8, first 2 shown]
	scratch_load_dwordx4 v[228:231], off, off offset:96
	v_add_f64 v[16:17], v[20:21], v[16:17]
	v_add_f64 v[12:13], v[16:17], v[12:13]
	;; [unrolled: 1-line block ×9, first 2 shown]
	v_accvgpr_read_b32 v6, a108
	v_accvgpr_read_b32 v8, a110
	;; [unrolled: 1-line block ×3, first 2 shown]
	v_add_f64 v[0:1], v[4:5], v[0:1]
	v_accvgpr_read_b32 v7, a109
	v_mul_f64 v[4:5], v[102:103], v[8:9]
	v_add_f64 v[0:1], v[0:1], v[238:239]
	v_fma_f64 v[4:5], v[100:101], v[6:7], -v[4:5]
	v_accvgpr_read_b32 v6, a112
	v_add_f64 v[0:1], v[0:1], v[250:251]
	v_accvgpr_read_b32 v8, a114
	v_accvgpr_read_b32 v9, a115
	v_add_f64 v[0:1], v[0:1], v[4:5]
	v_accvgpr_read_b32 v7, a113
	v_mul_f64 v[4:5], v[106:107], v[8:9]
	v_fma_f64 v[4:5], v[104:105], v[6:7], -v[4:5]
	v_accvgpr_read_b32 v6, a116
	v_accvgpr_read_b32 v8, a118
	;; [unrolled: 1-line block ×3, first 2 shown]
	v_add_f64 v[0:1], v[0:1], v[4:5]
	v_accvgpr_read_b32 v7, a117
	v_mul_f64 v[4:5], v[110:111], v[8:9]
	v_fma_f64 v[4:5], v[108:109], v[6:7], -v[4:5]
	v_accvgpr_read_b32 v6, a120
	v_accvgpr_read_b32 v8, a122
	;; [unrolled: 1-line block ×3, first 2 shown]
	v_add_f64 v[0:1], v[0:1], v[4:5]
	v_accvgpr_read_b32 v7, a121
	v_mul_f64 v[4:5], v[118:119], v[8:9]
	v_fma_f64 v[4:5], v[116:117], v[6:7], -v[4:5]
	v_add_f64 v[0:1], v[0:1], v[4:5]
	v_mul_f64 v[4:5], v[122:123], v[236:237]
	v_fma_f64 v[4:5], v[120:121], v[234:235], -v[4:5]
	v_add_f64 v[0:1], v[0:1], v[4:5]
	v_mul_f64 v[4:5], v[126:127], v[26:27]
	v_fma_f64 v[4:5], v[124:125], v[24:25], -v[4:5]
	v_add_f64 v[0:1], v[0:1], v[4:5]
	v_mul_f64 v[4:5], v[130:131], v[30:31]
	v_fma_f64 v[4:5], v[128:129], v[28:29], -v[4:5]
	v_add_f64 v[0:1], v[0:1], v[4:5]
	v_mul_f64 v[4:5], v[134:135], v[34:35]
	v_fma_f64 v[4:5], v[132:133], v[32:33], -v[4:5]
	v_add_f64 v[0:1], v[0:1], v[4:5]
	v_mul_f64 v[4:5], v[138:139], v[38:39]
	v_fma_f64 v[4:5], v[136:137], v[36:37], -v[4:5]
	v_add_f64 v[0:1], v[0:1], v[4:5]
	v_mul_f64 v[4:5], v[142:143], v[42:43]
	v_fma_f64 v[4:5], v[140:141], v[40:41], -v[4:5]
	v_add_f64 v[0:1], v[0:1], v[4:5]
	v_mul_f64 v[4:5], v[146:147], v[46:47]
	v_fma_f64 v[4:5], v[144:145], v[44:45], -v[4:5]
	v_add_f64 v[0:1], v[0:1], v[4:5]
	v_mul_f64 v[4:5], v[150:151], v[50:51]
	v_fma_f64 v[4:5], v[148:149], v[48:49], -v[4:5]
	v_add_f64 v[0:1], v[0:1], v[4:5]
	v_mul_f64 v[4:5], v[154:155], v[54:55]
	v_fma_f64 v[4:5], v[152:153], v[52:53], -v[4:5]
	v_add_f64 v[0:1], v[0:1], v[4:5]
	v_mul_f64 v[4:5], v[158:159], v[58:59]
	v_fma_f64 v[4:5], v[156:157], v[56:57], -v[4:5]
	v_add_f64 v[0:1], v[0:1], v[4:5]
	v_mul_f64 v[4:5], v[162:163], v[62:63]
	v_fma_f64 v[4:5], v[160:161], v[60:61], -v[4:5]
	v_add_f64 v[0:1], v[0:1], v[4:5]
	v_mul_f64 v[4:5], v[166:167], v[66:67]
	v_fma_f64 v[4:5], v[164:165], v[64:65], -v[4:5]
	v_add_f64 v[0:1], v[0:1], v[4:5]
	v_mul_f64 v[4:5], v[170:171], v[70:71]
	v_fma_f64 v[4:5], v[168:169], v[68:69], -v[4:5]
	v_add_f64 v[0:1], v[0:1], v[4:5]
	v_mul_f64 v[4:5], v[174:175], v[74:75]
	v_fma_f64 v[4:5], v[172:173], v[72:73], -v[4:5]
	v_add_f64 v[0:1], v[0:1], v[4:5]
	v_mul_f64 v[4:5], v[178:179], v[78:79]
	v_fma_f64 v[4:5], v[176:177], v[76:77], -v[4:5]
	v_add_f64 v[0:1], v[0:1], v[4:5]
	v_mul_f64 v[4:5], v[182:183], v[82:83]
	v_fma_f64 v[4:5], v[180:181], v[80:81], -v[4:5]
	v_add_f64 v[0:1], v[0:1], v[4:5]
	v_mul_f64 v[4:5], v[186:187], v[90:91]
	v_fma_f64 v[4:5], v[184:185], v[88:89], -v[4:5]
	v_add_f64 v[0:1], v[0:1], v[4:5]
	v_mul_f64 v[4:5], v[190:191], v[86:87]
	v_fma_f64 v[4:5], v[188:189], v[84:85], -v[4:5]
	v_add_f64 v[0:1], v[0:1], v[4:5]
	v_mul_f64 v[4:5], v[194:195], v[98:99]
	v_fma_f64 v[4:5], v[192:193], v[96:97], -v[4:5]
	v_add_f64 v[0:1], v[0:1], v[4:5]
	v_mul_f64 v[4:5], v[198:199], v[94:95]
	v_fma_f64 v[4:5], v[196:197], v[92:93], -v[4:5]
	v_add_f64 v[0:1], v[0:1], v[4:5]
	v_mul_f64 v[4:5], v[202:203], v[114:115]
	v_fma_f64 v[4:5], v[200:201], v[112:113], -v[4:5]
	v_add_f64 v[0:1], v[0:1], v[4:5]
	v_mul_f64 v[4:5], v[210:211], v[206:207]
	v_fma_f64 v[4:5], v[208:209], v[204:205], -v[4:5]
	v_add_f64 v[0:1], v[0:1], v[4:5]
	v_mul_f64 v[4:5], v[218:219], v[214:215]
	v_fma_f64 v[4:5], v[216:217], v[212:213], -v[4:5]
	v_add_f64 v[0:1], v[0:1], v[4:5]
	v_mul_f64 v[4:5], v[226:227], v[222:223]
	v_fma_f64 v[4:5], v[224:225], v[220:221], -v[4:5]
	v_add_f64 v[0:1], v[0:1], v[4:5]
	s_waitcnt vmcnt(0)
	v_add_f64 v[4:5], v[228:229], -v[0:1]
	v_accvgpr_read_b32 v0, a106
	v_add_f64 v[6:7], v[230:231], -v[240:241]
	v_cmp_lt_u32_e32 vcc, 4, v0
	scratch_store_dwordx4 off, v[4:7], off offset:96
	s_and_saveexec_b64 s[0:1], vcc
	s_cbranch_execz .LBB52_323
; %bb.322:
	scratch_load_dwordx4 v[6:9], off, s35
	v_mov_b32_e32 v3, v2
	v_mov_b32_e32 v4, v2
	;; [unrolled: 1-line block ×3, first 2 shown]
	v_accvgpr_read_b32 v0, a107
	scratch_store_dwordx4 off, v[2:5], off offset:80
	s_waitcnt vmcnt(1)
	ds_write_b128 v0, v[6:9]
.LBB52_323:
	s_or_b64 exec, exec, s[0:1]
	s_waitcnt lgkmcnt(0)
	; wave barrier
	scratch_load_dwordx4 v[40:43], off, off offset:96
	scratch_load_dwordx4 v[44:47], off, off offset:112
	scratch_load_dwordx4 v[48:51], off, off offset:128
	scratch_load_dwordx4 v[52:55], off, off offset:144
	scratch_load_dwordx4 v[56:59], off, off offset:160
	scratch_load_dwordx4 v[60:63], off, off offset:176
	scratch_load_dwordx4 v[64:67], off, off offset:192
	scratch_load_dwordx4 v[68:71], off, off offset:208
	scratch_load_dwordx4 v[76:79], off, off offset:224
	scratch_load_dwordx4 v[80:83], off, off offset:240
	scratch_load_dwordx4 v[84:87], off, off offset:256
	scratch_load_dwordx4 v[88:91], off, off offset:272
	scratch_load_dwordx4 v[92:95], off, off offset:288
	scratch_load_dwordx4 v[96:99], off, off offset:304
	scratch_load_dwordx4 v[100:103], off, off offset:320
	scratch_load_dwordx4 v[104:107], off, off offset:336
	scratch_load_dwordx4 v[112:115], off, off offset:352
	scratch_load_dwordx4 v[136:139], off, off offset:368
	ds_read_b128 v[164:167], v2 offset:928
	ds_read_b128 v[232:235], v2 offset:944
	;; [unrolled: 1-line block ×6, first 2 shown]
	scratch_load_dwordx4 v[140:143], off, off offset:384
	ds_read_b128 v[224:227], v2 offset:1024
	ds_read_b128 v[212:215], v2 offset:1040
	;; [unrolled: 1-line block ×3, first 2 shown]
	scratch_load_dwordx4 v[4:7], off, off offset:400
	ds_read_b128 v[228:231], v2 offset:1072
	ds_read_b128 v[216:219], v2 offset:1088
	;; [unrolled: 1-line block ×5, first 2 shown]
	scratch_load_dwordx4 v[8:11], off, off offset:416
	ds_read_b128 v[208:211], v2 offset:1152
	ds_read_b128 v[196:199], v2 offset:1168
	;; [unrolled: 1-line block ×3, first 2 shown]
	scratch_load_dwordx4 v[12:15], off, off offset:432
	ds_read_b128 v[200:203], v2 offset:1200
	scratch_load_dwordx4 v[16:19], off, off offset:448
	scratch_load_dwordx4 v[20:23], off, off offset:464
	;; [unrolled: 1-line block ×7, first 2 shown]
	ds_read_b128 v[236:239], v2 offset:1216
	ds_read_b128 v[156:159], v2 offset:1280
	;; [unrolled: 1-line block ×4, first 2 shown]
	s_waitcnt vmcnt(28) lgkmcnt(14)
	v_mul_f64 v[0:1], v[164:165], v[42:43]
	s_waitcnt vmcnt(27)
	v_mul_f64 v[108:109], v[232:233], v[46:47]
	v_fmac_f64_e32 v[0:1], v[166:167], v[40:41]
	s_waitcnt vmcnt(26)
	v_mul_f64 v[110:111], v[168:169], v[50:51]
	v_fmac_f64_e32 v[108:109], v[234:235], v[44:45]
	v_add_f64 v[0:1], v[0:1], 0
	s_waitcnt vmcnt(25)
	v_mul_f64 v[116:117], v[220:221], v[54:55]
	v_fmac_f64_e32 v[110:111], v[170:171], v[48:49]
	v_add_f64 v[0:1], v[0:1], v[108:109]
	;; [unrolled: 4-line block ×6, first 2 shown]
	s_waitcnt vmcnt(20) lgkmcnt(13)
	v_mul_f64 v[126:127], v[180:181], v[78:79]
	v_fmac_f64_e32 v[124:125], v[214:215], v[68:69]
	v_add_f64 v[0:1], v[0:1], v[122:123]
	s_waitcnt vmcnt(19) lgkmcnt(12)
	v_mul_f64 v[128:129], v[228:229], v[82:83]
	v_fmac_f64_e32 v[126:127], v[182:183], v[76:77]
	v_add_f64 v[0:1], v[0:1], v[124:125]
	;; [unrolled: 4-line block ×9, first 2 shown]
	v_add_f64 v[0:1], v[0:1], v[148:149]
	v_fmac_f64_e32 v[150:151], v[186:187], v[112:113]
	s_waitcnt vmcnt(11) lgkmcnt(4)
	v_mul_f64 v[116:117], v[200:201], v[138:139]
	v_add_f64 v[0:1], v[0:1], v[150:151]
	v_fmac_f64_e32 v[116:117], v[202:203], v[136:137]
	v_add_f64 v[0:1], v[0:1], v[116:117]
	ds_read_b128 v[144:147], v2 offset:1232
	s_waitcnt vmcnt(10) lgkmcnt(4)
	v_mul_f64 v[116:117], v[236:237], v[142:143]
	scratch_load_dwordx4 v[108:111], off, off offset:560
	v_fmac_f64_e32 v[116:117], v[238:239], v[140:141]
	v_add_f64 v[0:1], v[0:1], v[116:117]
	scratch_load_dwordx4 v[116:119], off, off offset:576
	ds_read_b128 v[148:151], v2 offset:1248
	scratch_load_dwordx4 v[120:123], off, off offset:592
	s_waitcnt vmcnt(12) lgkmcnt(1)
	v_mul_f64 v[124:125], v[144:145], v[6:7]
	v_fmac_f64_e32 v[124:125], v[146:147], v[4:5]
	v_add_f64 v[0:1], v[0:1], v[124:125]
	s_waitcnt vmcnt(11) lgkmcnt(0)
	v_mul_f64 v[124:125], v[148:149], v[10:11]
	v_fmac_f64_e32 v[124:125], v[150:151], v[8:9]
	s_waitcnt vmcnt(10)
	v_mul_f64 v[128:129], v[152:153], v[14:15]
	v_add_f64 v[0:1], v[0:1], v[124:125]
	scratch_load_dwordx4 v[124:127], off, off offset:608
	v_fmac_f64_e32 v[128:129], v[154:155], v[12:13]
	v_add_f64 v[0:1], v[0:1], v[128:129]
	scratch_load_dwordx4 v[128:131], off, off offset:624
	s_waitcnt vmcnt(11)
	v_mul_f64 v[132:133], v[156:157], v[18:19]
	v_fmac_f64_e32 v[132:133], v[158:159], v[16:17]
	v_add_f64 v[0:1], v[0:1], v[132:133]
	scratch_load_dwordx4 v[132:135], off, off offset:640
	v_mul_f64 v[42:43], v[166:167], v[42:43]
	v_fma_f64 v[240:241], v[164:165], v[40:41], -v[42:43]
	scratch_load_dwordx4 v[40:43], off, off offset:656
	v_mul_f64 v[46:47], v[234:235], v[46:47]
	v_fma_f64 v[242:243], v[232:233], v[44:45], -v[46:47]
	;; [unrolled: 3-line block ×3, first 2 shown]
	v_mul_f64 v[48:49], v[222:223], v[54:55]
	v_fma_f64 v[246:247], v[220:221], v[52:53], -v[48:49]
	scratch_load_dwordx4 v[48:51], off, off offset:688
	scratch_load_dwordx4 v[52:55], off, off offset:704
	s_waitcnt vmcnt(15)
	v_mul_f64 v[164:165], v[160:161], v[22:23]
	v_fmac_f64_e32 v[164:165], v[162:163], v[20:21]
	v_add_f64 v[0:1], v[0:1], v[164:165]
	ds_read_b128 v[164:167], v2 offset:1312
	ds_read_b128 v[168:171], v2 offset:1328
	v_mul_f64 v[58:59], v[174:175], v[58:59]
	v_fma_f64 v[248:249], v[172:173], v[56:57], -v[58:59]
	ds_read_b128 v[172:175], v2 offset:1344
	v_mul_f64 v[56:57], v[178:179], v[62:63]
	v_fma_f64 v[254:255], v[176:177], v[60:61], -v[56:57]
	scratch_load_dwordx4 v[60:63], off, off offset:720
	scratch_load_dwordx4 v[56:59], off, off offset:736
	s_waitcnt vmcnt(16) lgkmcnt(2)
	v_mul_f64 v[232:233], v[164:165], v[34:35]
	v_fmac_f64_e32 v[232:233], v[166:167], v[32:33]
	s_waitcnt vmcnt(15) lgkmcnt(1)
	v_mul_f64 v[220:221], v[168:169], v[38:39]
	v_mul_f64 v[66:67], v[226:227], v[66:67]
	v_add_f64 v[0:1], v[0:1], v[232:233]
	v_fmac_f64_e32 v[220:221], v[170:171], v[36:37]
	v_fma_f64 v[250:251], v[224:225], v[64:65], -v[66:67]
	s_waitcnt vmcnt(14) lgkmcnt(0)
	v_mul_f64 v[64:65], v[172:173], v[30:31]
	v_add_f64 v[0:1], v[0:1], v[220:221]
	v_fmac_f64_e32 v[64:65], v[174:175], v[28:29]
	v_accvgpr_write_b32 a135, v23
	v_add_f64 v[0:1], v[0:1], v[64:65]
	v_mul_f64 v[64:65], v[214:215], v[70:71]
	v_accvgpr_write_b32 a134, v22
	v_accvgpr_write_b32 a133, v21
	;; [unrolled: 1-line block ×3, first 2 shown]
	ds_read_b128 v[176:179], v2 offset:1360
	v_fma_f64 v[20:21], v[212:213], v[68:69], -v[64:65]
	scratch_load_dwordx4 v[68:71], off, off offset:752
	scratch_load_dwordx4 v[64:67], off, off offset:768
	v_accvgpr_write_b32 a119, v7
	v_accvgpr_write_b32 a118, v6
	;; [unrolled: 1-line block ×5, first 2 shown]
	v_mul_f64 v[6:7], v[182:183], v[78:79]
	v_accvgpr_write_b32 a130, v18
	v_accvgpr_write_b32 a129, v17
	;; [unrolled: 1-line block ×3, first 2 shown]
	v_fma_f64 v[16:17], v[180:181], v[76:77], -v[6:7]
	s_waitcnt vmcnt(15) lgkmcnt(0)
	v_mul_f64 v[76:77], v[176:177], v[26:27]
	v_fmac_f64_e32 v[76:77], v[178:179], v[24:25]
	v_accvgpr_write_b32 a127, v15
	v_add_f64 v[0:1], v[0:1], v[76:77]
	v_mul_f64 v[76:77], v[230:231], v[82:83]
	v_accvgpr_write_b32 a126, v14
	v_accvgpr_write_b32 a125, v13
	;; [unrolled: 1-line block ×3, first 2 shown]
	v_fma_f64 v[12:13], v[228:229], v[80:81], -v[76:77]
	scratch_load_dwordx4 v[76:79], off, off offset:784
	scratch_load_dwordx4 v[232:235], off, off offset:848
	ds_read_b128 v[180:183], v2 offset:1376
	ds_read_b128 v[80:83], v2 offset:1392
	v_accvgpr_write_b32 a123, v11
	v_accvgpr_write_b32 a122, v10
	v_accvgpr_write_b32 a121, v9
	v_accvgpr_write_b32 a120, v8
	s_waitcnt vmcnt(16) lgkmcnt(1)
	v_mul_f64 v[10:11], v[180:181], v[74:75]
	v_fmac_f64_e32 v[10:11], v[182:183], v[72:73]
	v_add_f64 v[0:1], v[0:1], v[10:11]
	v_mul_f64 v[10:11], v[218:219], v[86:87]
	v_fma_f64 v[10:11], v[216:217], v[84:85], -v[10:11]
	ds_read_b128 v[84:87], v2 offset:1408
	v_mul_f64 v[90:91], v[190:191], v[90:91]
	v_fma_f64 v[8:9], v[188:189], v[88:89], -v[90:91]
	ds_read_b128 v[88:91], v2 offset:1424
	s_waitcnt vmcnt(15) lgkmcnt(2)
	v_mul_f64 v[212:213], v[80:81], v[110:111]
	v_fmac_f64_e32 v[212:213], v[82:83], v[108:109]
	s_waitcnt vmcnt(14) lgkmcnt(1)
	v_mul_f64 v[14:15], v[84:85], v[118:119]
	v_add_f64 v[0:1], v[0:1], v[212:213]
	v_fmac_f64_e32 v[14:15], v[86:87], v[116:117]
	v_add_f64 v[0:1], v[0:1], v[14:15]
	s_waitcnt vmcnt(13) lgkmcnt(0)
	v_mul_f64 v[14:15], v[88:89], v[122:123]
	v_fmac_f64_e32 v[14:15], v[90:91], v[120:121]
	ds_read_b128 v[188:191], v2 offset:1440
	v_add_f64 v[0:1], v[0:1], v[14:15]
	v_mul_f64 v[14:15], v[206:207], v[94:95]
	v_fma_f64 v[14:15], v[204:205], v[92:93], -v[14:15]
	ds_read_b128 v[92:95], v2 offset:1456
	v_mul_f64 v[98:99], v[194:195], v[98:99]
	v_fma_f64 v[6:7], v[192:193], v[96:97], -v[98:99]
	ds_read_b128 v[96:99], v2 offset:1472
	ds_read_b128 v[192:195], v2 offset:1488
	s_waitcnt vmcnt(12) lgkmcnt(3)
	v_mul_f64 v[204:205], v[188:189], v[126:127]
	v_fmac_f64_e32 v[204:205], v[190:191], v[124:125]
	s_waitcnt vmcnt(11) lgkmcnt(2)
	v_mul_f64 v[18:19], v[92:93], v[130:131]
	v_add_f64 v[0:1], v[0:1], v[204:205]
	v_fmac_f64_e32 v[18:19], v[94:95], v[128:129]
	v_add_f64 v[0:1], v[0:1], v[18:19]
	s_waitcnt vmcnt(10) lgkmcnt(1)
	v_mul_f64 v[18:19], v[96:97], v[134:135]
	v_fmac_f64_e32 v[18:19], v[98:99], v[132:133]
	v_add_f64 v[0:1], v[0:1], v[18:19]
	v_mul_f64 v[18:19], v[210:211], v[102:103]
	v_fma_f64 v[18:19], v[208:209], v[100:101], -v[18:19]
	ds_read_b128 v[100:103], v2 offset:1504
	v_mul_f64 v[106:107], v[198:199], v[106:107]
	v_fma_f64 v[4:5], v[196:197], v[104:105], -v[106:107]
	ds_read_b128 v[104:107], v2 offset:1520
	s_waitcnt vmcnt(9) lgkmcnt(2)
	v_mul_f64 v[204:205], v[192:193], v[42:43]
	v_fmac_f64_e32 v[204:205], v[194:195], v[40:41]
	s_waitcnt vmcnt(8) lgkmcnt(1)
	v_mul_f64 v[22:23], v[100:101], v[46:47]
	v_add_f64 v[0:1], v[0:1], v[204:205]
	v_fmac_f64_e32 v[22:23], v[102:103], v[44:45]
	v_add_f64 v[0:1], v[0:1], v[22:23]
	s_waitcnt vmcnt(7) lgkmcnt(0)
	v_mul_f64 v[22:23], v[104:105], v[50:51]
	ds_read_b128 v[196:199], v2 offset:1536
	v_fmac_f64_e32 v[22:23], v[106:107], v[48:49]
	v_add_f64 v[0:1], v[0:1], v[22:23]
	v_mul_f64 v[22:23], v[186:187], v[114:115]
	v_fma_f64 v[22:23], v[184:185], v[112:113], -v[22:23]
	ds_read_b128 v[112:115], v2 offset:1552
	s_waitcnt vmcnt(6) lgkmcnt(1)
	v_mul_f64 v[184:185], v[196:197], v[54:55]
	v_fmac_f64_e32 v[184:185], v[198:199], v[52:53]
	v_add_f64 v[184:185], v[0:1], v[184:185]
	v_mul_f64 v[0:1], v[202:203], v[138:139]
	v_fma_f64 v[0:1], v[200:201], v[136:137], -v[0:1]
	ds_read_b128 v[136:139], v2 offset:1568
	s_waitcnt vmcnt(5) lgkmcnt(1)
	v_mul_f64 v[186:187], v[112:113], v[62:63]
	v_fmac_f64_e32 v[186:187], v[114:115], v[60:61]
	v_add_f64 v[200:201], v[184:185], v[186:187]
	ds_read_b128 v[184:187], v2 offset:1584
	v_mul_f64 v[142:143], v[238:239], v[142:143]
	v_fma_f64 v[252:253], v[236:237], v[140:141], -v[142:143]
	ds_read_b128 v[140:143], v2 offset:1600
	ds_read_b128 v[208:211], v2 offset:1632
	s_waitcnt vmcnt(4) lgkmcnt(3)
	v_mul_f64 v[202:203], v[136:137], v[58:59]
	v_fmac_f64_e32 v[202:203], v[138:139], v[56:57]
	v_add_f64 v[200:201], v[200:201], v[202:203]
	s_waitcnt vmcnt(3) lgkmcnt(2)
	v_mul_f64 v[202:203], v[184:185], v[70:71]
	v_fmac_f64_e32 v[202:203], v[186:187], v[68:69]
	v_add_f64 v[200:201], v[200:201], v[202:203]
	;; [unrolled: 4-line block ×3, first 2 shown]
	ds_read_b128 v[200:203], v2 offset:1616
	ds_read_b128 v[216:219], v2 offset:1648
	;; [unrolled: 1-line block ×3, first 2 shown]
	s_waitcnt vmcnt(1) lgkmcnt(2)
	v_mul_f64 v[206:207], v[200:201], v[78:79]
	v_fmac_f64_e32 v[206:207], v[202:203], v[76:77]
	v_add_f64 v[212:213], v[204:205], v[206:207]
	scratch_load_dwordx4 v[204:207], off, off offset:800
	s_waitcnt vmcnt(0)
	v_mul_f64 v[214:215], v[208:209], v[206:207]
	v_fmac_f64_e32 v[214:215], v[210:211], v[204:205]
	v_add_f64 v[220:221], v[212:213], v[214:215]
	scratch_load_dwordx4 v[212:215], off, off offset:816
	s_waitcnt vmcnt(0) lgkmcnt(1)
	v_mul_f64 v[222:223], v[216:217], v[214:215]
	v_fmac_f64_e32 v[222:223], v[218:219], v[212:213]
	v_add_f64 v[228:229], v[220:221], v[222:223]
	scratch_load_dwordx4 v[220:223], off, off offset:832
	s_waitcnt vmcnt(0) lgkmcnt(0)
	v_mul_f64 v[230:231], v[224:225], v[222:223]
	v_fmac_f64_e32 v[230:231], v[226:227], v[220:221]
	v_add_f64 v[236:237], v[228:229], v[230:231]
	ds_read_b128 v[228:231], v2 offset:1680
	s_waitcnt lgkmcnt(0)
	v_mul_f64 v[2:3], v[228:229], v[234:235]
	v_fmac_f64_e32 v[2:3], v[230:231], v[232:233]
	v_add_f64 v[2:3], v[236:237], v[2:3]
	v_add_f64 v[236:237], v[240:241], 0
	;; [unrolled: 1-line block ×9, first 2 shown]
	scratch_load_dwordx4 v[236:239], off, off offset:80
	v_add_f64 v[16:17], v[20:21], v[16:17]
	v_add_f64 v[12:13], v[16:17], v[12:13]
	v_add_f64 v[10:11], v[12:13], v[10:11]
	v_add_f64 v[8:9], v[10:11], v[8:9]
	v_add_f64 v[8:9], v[8:9], v[14:15]
	v_add_f64 v[6:7], v[8:9], v[6:7]
	v_add_f64 v[6:7], v[6:7], v[18:19]
	v_add_f64 v[4:5], v[6:7], v[4:5]
	v_accvgpr_read_b32 v6, a116
	v_accvgpr_read_b32 v8, a118
	;; [unrolled: 1-line block ×3, first 2 shown]
	v_add_f64 v[254:255], v[4:5], v[22:23]
	v_accvgpr_read_b32 v7, a117
	v_mul_f64 v[4:5], v[146:147], v[8:9]
	v_add_f64 v[0:1], v[254:255], v[0:1]
	v_fma_f64 v[4:5], v[144:145], v[6:7], -v[4:5]
	v_accvgpr_read_b32 v6, a120
	v_add_f64 v[0:1], v[0:1], v[252:253]
	v_accvgpr_read_b32 v8, a122
	v_accvgpr_read_b32 v9, a123
	v_add_f64 v[0:1], v[0:1], v[4:5]
	v_accvgpr_read_b32 v7, a121
	v_mul_f64 v[4:5], v[150:151], v[8:9]
	v_fma_f64 v[4:5], v[148:149], v[6:7], -v[4:5]
	v_accvgpr_read_b32 v6, a124
	v_accvgpr_read_b32 v8, a126
	v_accvgpr_read_b32 v9, a127
	v_add_f64 v[0:1], v[0:1], v[4:5]
	v_accvgpr_read_b32 v7, a125
	v_mul_f64 v[4:5], v[154:155], v[8:9]
	v_fma_f64 v[4:5], v[152:153], v[6:7], -v[4:5]
	v_accvgpr_read_b32 v6, a128
	v_accvgpr_read_b32 v8, a130
	v_accvgpr_read_b32 v9, a131
	v_add_f64 v[0:1], v[0:1], v[4:5]
	v_accvgpr_read_b32 v7, a129
	v_mul_f64 v[4:5], v[158:159], v[8:9]
	v_fma_f64 v[4:5], v[156:157], v[6:7], -v[4:5]
	v_accvgpr_read_b32 v6, a132
	v_accvgpr_read_b32 v8, a134
	v_accvgpr_read_b32 v9, a135
	v_add_f64 v[0:1], v[0:1], v[4:5]
	v_accvgpr_read_b32 v7, a133
	v_mul_f64 v[4:5], v[162:163], v[8:9]
	v_fma_f64 v[4:5], v[160:161], v[6:7], -v[4:5]
	v_add_f64 v[0:1], v[0:1], v[4:5]
	v_mul_f64 v[4:5], v[166:167], v[34:35]
	v_fma_f64 v[4:5], v[164:165], v[32:33], -v[4:5]
	v_add_f64 v[0:1], v[0:1], v[4:5]
	;; [unrolled: 3-line block ×25, first 2 shown]
	s_waitcnt vmcnt(0)
	v_add_f64 v[4:5], v[236:237], -v[0:1]
	v_accvgpr_read_b32 v0, a106
	v_add_f64 v[6:7], v[238:239], -v[2:3]
	v_cmp_lt_u32_e32 vcc, 3, v0
	scratch_store_dwordx4 off, v[4:7], off offset:80
	s_and_saveexec_b64 s[0:1], vcc
	s_cbranch_execz .LBB52_325
; %bb.324:
	scratch_load_dwordx4 v[2:5], off, s66
	v_mov_b32_e32 v6, 0
	v_mov_b32_e32 v7, v6
	;; [unrolled: 1-line block ×4, first 2 shown]
	v_accvgpr_read_b32 v0, a107
	scratch_store_dwordx4 off, v[6:9], off offset:64
	s_waitcnt vmcnt(1)
	ds_write_b128 v0, v[2:5]
.LBB52_325:
	s_or_b64 exec, exec, s[0:1]
	s_waitcnt lgkmcnt(0)
	; wave barrier
	scratch_load_dwordx4 v[56:59], off, off offset:80
	scratch_load_dwordx4 v[60:63], off, off offset:96
	;; [unrolled: 1-line block ×28, first 2 shown]
	v_mov_b32_e32 v2, 0
	ds_read_b128 v[116:119], v2 offset:912
	ds_read_b128 v[120:123], v2 offset:928
	;; [unrolled: 1-line block ×22, first 2 shown]
	s_waitcnt vmcnt(27) lgkmcnt(14)
	v_mul_f64 v[0:1], v[116:117], v[58:59]
	s_waitcnt vmcnt(26)
	v_mul_f64 v[32:33], v[120:121], v[62:63]
	v_fmac_f64_e32 v[0:1], v[118:119], v[56:57]
	s_waitcnt vmcnt(25)
	v_mul_f64 v[34:35], v[124:125], v[66:67]
	v_fmac_f64_e32 v[32:33], v[122:123], v[60:61]
	v_add_f64 v[0:1], v[0:1], 0
	v_fmac_f64_e32 v[34:35], v[126:127], v[64:65]
	v_add_f64 v[0:1], v[0:1], v[32:33]
	v_add_f64 v[0:1], v[0:1], v[34:35]
	scratch_load_dwordx4 v[32:35], off, off offset:528
	s_waitcnt vmcnt(25)
	v_mul_f64 v[36:37], v[128:129], v[70:71]
	s_waitcnt vmcnt(24)
	v_mul_f64 v[38:39], v[132:133], v[74:75]
	v_fmac_f64_e32 v[36:37], v[130:131], v[68:69]
	s_waitcnt vmcnt(23)
	v_mul_f64 v[40:41], v[140:141], v[78:79]
	v_fmac_f64_e32 v[38:39], v[134:135], v[72:73]
	v_add_f64 v[0:1], v[0:1], v[36:37]
	s_waitcnt vmcnt(22)
	v_mul_f64 v[42:43], v[152:153], v[82:83]
	v_fmac_f64_e32 v[40:41], v[142:143], v[76:77]
	v_add_f64 v[0:1], v[0:1], v[38:39]
	;; [unrolled: 4-line block ×3, first 2 shown]
	s_waitcnt vmcnt(20) lgkmcnt(13)
	v_mul_f64 v[46:47], v[176:177], v[94:95]
	v_fmac_f64_e32 v[44:45], v[166:167], v[84:85]
	v_add_f64 v[0:1], v[0:1], v[42:43]
	s_waitcnt vmcnt(19) lgkmcnt(12)
	v_mul_f64 v[48:49], v[188:189], v[98:99]
	v_fmac_f64_e32 v[46:47], v[178:179], v[92:93]
	v_add_f64 v[0:1], v[0:1], v[44:45]
	;; [unrolled: 4-line block ×9, first 2 shown]
	v_add_f64 v[0:1], v[0:1], v[104:105]
	v_fmac_f64_e32 v[106:107], v[222:223], v[168:169]
	s_waitcnt vmcnt(11) lgkmcnt(4)
	v_mul_f64 v[40:41], v[224:225], v[174:175]
	v_add_f64 v[0:1], v[0:1], v[106:107]
	v_fmac_f64_e32 v[40:41], v[226:227], v[172:173]
	scratch_load_dwordx4 v[36:39], off, off offset:544
	v_add_f64 v[0:1], v[0:1], v[40:41]
	s_waitcnt vmcnt(11) lgkmcnt(3)
	v_mul_f64 v[40:41], v[228:229], v[182:183]
	v_fmac_f64_e32 v[40:41], v[230:231], v[180:181]
	s_waitcnt vmcnt(10) lgkmcnt(2)
	v_mul_f64 v[44:45], v[238:239], v[186:187]
	v_add_f64 v[0:1], v[0:1], v[40:41]
	v_fmac_f64_e32 v[44:45], v[240:241], v[184:185]
	scratch_load_dwordx4 v[40:43], off, off offset:560
	ds_read_b128 v[88:91], v2 offset:1248
	v_add_f64 v[0:1], v[0:1], v[44:45]
	s_waitcnt vmcnt(10) lgkmcnt(2)
	v_mul_f64 v[44:45], v[250:251], v[194:195]
	v_fmac_f64_e32 v[44:45], v[252:253], v[192:193]
	v_add_f64 v[0:1], v[0:1], v[44:45]
	scratch_load_dwordx4 v[44:47], off, off offset:576
	ds_read_b128 v[104:107], v2 offset:1264
	s_waitcnt vmcnt(10) lgkmcnt(1)
	v_mul_f64 v[48:49], v[88:89], v[6:7]
	v_accvgpr_write_b32 a111, v7
	v_fmac_f64_e32 v[48:49], v[90:91], v[4:5]
	v_accvgpr_write_b32 a110, v6
	v_accvgpr_write_b32 a109, v5
	;; [unrolled: 1-line block ×3, first 2 shown]
	s_waitcnt vmcnt(9)
	v_mov_b64_e32 v[4:5], v[8:9]
	v_add_f64 v[0:1], v[0:1], v[48:49]
	scratch_load_dwordx4 v[48:51], off, off offset:592
	v_mov_b64_e32 v[6:7], v[10:11]
	s_waitcnt lgkmcnt(0)
	v_mul_f64 v[52:53], v[104:105], v[6:7]
	v_fmac_f64_e32 v[52:53], v[106:107], v[4:5]
	v_add_f64 v[0:1], v[0:1], v[52:53]
	scratch_load_dwordx4 v[52:55], off, off offset:608
	v_mul_f64 v[58:59], v[118:119], v[58:59]
	v_fma_f64 v[242:243], v[116:117], v[56:57], -v[58:59]
	scratch_load_dwordx4 v[56:59], off, off offset:624
	s_waitcnt vmcnt(11)
	v_mov_b64_e32 v[4:5], v[12:13]
	v_mov_b64_e32 v[6:7], v[14:15]
	v_mul_f64 v[112:113], v[108:109], v[6:7]
	v_fmac_f64_e32 v[112:113], v[110:111], v[4:5]
	v_mul_f64 v[62:63], v[122:123], v[62:63]
	v_add_f64 v[0:1], v[0:1], v[112:113]
	ds_read_b128 v[112:115], v2 offset:1296
	ds_read_b128 v[116:119], v2 offset:1312
	v_fma_f64 v[244:245], v[120:121], v[60:61], -v[62:63]
	scratch_load_dwordx4 v[60:63], off, off offset:640
	v_mul_f64 v[66:67], v[126:127], v[66:67]
	v_fma_f64 v[246:247], v[124:125], v[64:65], -v[66:67]
	scratch_load_dwordx4 v[64:67], off, off offset:656
	s_waitcnt vmcnt(12)
	v_mov_b64_e32 v[4:5], v[16:17]
	v_mov_b64_e32 v[6:7], v[18:19]
	s_waitcnt lgkmcnt(1)
	v_mul_f64 v[120:121], v[112:113], v[6:7]
	v_fmac_f64_e32 v[120:121], v[114:115], v[4:5]
	s_waitcnt vmcnt(11)
	v_mov_b64_e32 v[4:5], v[20:21]
	v_mov_b64_e32 v[6:7], v[22:23]
	v_mul_f64 v[70:71], v[130:131], v[70:71]
	v_add_f64 v[0:1], v[0:1], v[120:121]
	s_waitcnt lgkmcnt(0)
	v_mul_f64 v[120:121], v[116:117], v[6:7]
	v_fma_f64 v[248:249], v[128:129], v[68:69], -v[70:71]
	scratch_load_dwordx4 v[68:71], off, off offset:672
	v_fmac_f64_e32 v[120:121], v[118:119], v[4:5]
	v_mul_f64 v[74:75], v[134:135], v[74:75]
	v_add_f64 v[0:1], v[0:1], v[120:121]
	ds_read_b128 v[120:123], v2 offset:1328
	ds_read_b128 v[124:127], v2 offset:1344
	v_fma_f64 v[254:255], v[132:133], v[72:73], -v[74:75]
	scratch_load_dwordx4 v[72:75], off, off offset:688
	v_mul_f64 v[78:79], v[142:143], v[78:79]
	v_fma_f64 v[232:233], v[140:141], v[76:77], -v[78:79]
	scratch_load_dwordx4 v[76:79], off, off offset:704
	s_waitcnt vmcnt(13) lgkmcnt(1)
	v_mul_f64 v[128:129], v[120:121], v[236:237]
	v_fmac_f64_e32 v[128:129], v[122:123], v[234:235]
	v_mul_f64 v[82:83], v[154:155], v[82:83]
	s_waitcnt vmcnt(12) lgkmcnt(0)
	v_mul_f64 v[6:7], v[124:125], v[30:31]
	v_add_f64 v[0:1], v[0:1], v[128:129]
	v_fma_f64 v[24:25], v[152:153], v[80:81], -v[82:83]
	v_fmac_f64_e32 v[6:7], v[126:127], v[28:29]
	scratch_load_dwordx4 v[80:83], off, off offset:720
	v_accvgpr_write_b32 a127, v23
	v_add_f64 v[0:1], v[0:1], v[6:7]
	v_mul_f64 v[6:7], v[166:167], v[86:87]
	v_accvgpr_write_b32 a126, v22
	v_accvgpr_write_b32 a125, v21
	;; [unrolled: 1-line block ×3, first 2 shown]
	v_fma_f64 v[20:21], v[164:165], v[84:85], -v[6:7]
	scratch_load_dwordx4 v[84:87], off, off offset:736
	ds_read_b128 v[132:135], v2 offset:1360
	ds_read_b128 v[128:131], v2 offset:1376
	v_accvgpr_write_b32 a123, v19
	v_mul_f64 v[6:7], v[178:179], v[94:95]
	v_accvgpr_write_b32 a119, v15
	v_accvgpr_write_b32 a122, v18
	;; [unrolled: 1-line block ×4, first 2 shown]
	v_fma_f64 v[16:17], v[176:177], v[92:93], -v[6:7]
	v_mul_f64 v[6:7], v[190:191], v[98:99]
	v_accvgpr_write_b32 a118, v14
	v_accvgpr_write_b32 a117, v13
	;; [unrolled: 1-line block ×3, first 2 shown]
	v_fma_f64 v[12:13], v[188:189], v[96:97], -v[6:7]
	scratch_load_dwordx4 v[96:99], off, off offset:752
	scratch_load_dwordx4 v[92:95], off, off offset:768
	s_waitcnt vmcnt(15) lgkmcnt(1)
	v_mul_f64 v[6:7], v[132:133], v[34:35]
	v_fmac_f64_e32 v[6:7], v[134:135], v[32:33]
	v_add_f64 v[0:1], v[0:1], v[6:7]
	v_mul_f64 v[6:7], v[198:199], v[102:103]
	v_fma_f64 v[14:15], v[196:197], v[100:101], -v[6:7]
	scratch_load_dwordx4 v[100:103], off, off offset:784
	v_accvgpr_write_b32 a115, v11
	v_mul_f64 v[6:7], v[202:203], v[138:139]
	v_accvgpr_write_b32 a114, v10
	v_accvgpr_write_b32 a113, v9
	;; [unrolled: 1-line block ×3, first 2 shown]
	v_fma_f64 v[10:11], v[200:201], v[136:137], -v[6:7]
	ds_read_b128 v[136:139], v2 offset:1392
	ds_read_b128 v[140:143], v2 offset:1408
	s_waitcnt vmcnt(15) lgkmcnt(2)
	v_mul_f64 v[6:7], v[128:129], v[38:39]
	v_fmac_f64_e32 v[6:7], v[130:131], v[36:37]
	v_add_f64 v[0:1], v[0:1], v[6:7]
	s_waitcnt vmcnt(14) lgkmcnt(1)
	v_mul_f64 v[6:7], v[136:137], v[42:43]
	v_fmac_f64_e32 v[6:7], v[138:139], v[40:41]
	v_add_f64 v[0:1], v[0:1], v[6:7]
	v_mul_f64 v[6:7], v[206:207], v[146:147]
	v_fma_f64 v[18:19], v[204:205], v[144:145], -v[6:7]
	ds_read_b128 v[144:147], v2 offset:1424
	s_waitcnt vmcnt(13) lgkmcnt(1)
	v_mul_f64 v[6:7], v[140:141], v[46:47]
	v_fmac_f64_e32 v[6:7], v[142:143], v[44:45]
	v_add_f64 v[0:1], v[0:1], v[6:7]
	v_mul_f64 v[6:7], v[210:211], v[150:151]
	v_fma_f64 v[8:9], v[208:209], v[148:149], -v[6:7]
	ds_read_b128 v[148:151], v2 offset:1440
	s_waitcnt vmcnt(12) lgkmcnt(1)
	v_mul_f64 v[6:7], v[144:145], v[50:51]
	ds_read_b128 v[152:155], v2 offset:1456
	v_fmac_f64_e32 v[6:7], v[146:147], v[48:49]
	v_add_f64 v[0:1], v[0:1], v[6:7]
	v_mul_f64 v[6:7], v[214:215], v[158:159]
	v_fma_f64 v[22:23], v[212:213], v[156:157], -v[6:7]
	s_waitcnt vmcnt(11) lgkmcnt(1)
	v_mul_f64 v[6:7], v[148:149], v[54:55]
	v_fmac_f64_e32 v[6:7], v[150:151], v[52:53]
	ds_read_b128 v[156:159], v2 offset:1472
	v_add_f64 v[0:1], v[0:1], v[6:7]
	s_waitcnt vmcnt(10) lgkmcnt(1)
	v_mul_f64 v[6:7], v[152:153], v[58:59]
	v_fmac_f64_e32 v[6:7], v[154:155], v[56:57]
	v_add_f64 v[0:1], v[0:1], v[6:7]
	v_mul_f64 v[6:7], v[218:219], v[162:163]
	v_fma_f64 v[4:5], v[216:217], v[160:161], -v[6:7]
	ds_read_b128 v[160:163], v2 offset:1488
	ds_read_b128 v[164:167], v2 offset:1504
	s_waitcnt vmcnt(9) lgkmcnt(2)
	v_mul_f64 v[6:7], v[156:157], v[62:63]
	v_fmac_f64_e32 v[6:7], v[158:159], v[60:61]
	v_add_f64 v[0:1], v[0:1], v[6:7]
	s_waitcnt vmcnt(8) lgkmcnt(1)
	v_mul_f64 v[6:7], v[160:161], v[66:67]
	v_fmac_f64_e32 v[6:7], v[162:163], v[64:65]
	v_add_f64 v[0:1], v[0:1], v[6:7]
	v_mul_f64 v[6:7], v[222:223], v[170:171]
	v_fma_f64 v[26:27], v[220:221], v[168:169], -v[6:7]
	ds_read_b128 v[168:171], v2 offset:1520
	v_mul_f64 v[6:7], v[226:227], v[174:175]
	v_fma_f64 v[6:7], v[224:225], v[172:173], -v[6:7]
	ds_read_b128 v[172:175], v2 offset:1536
	s_waitcnt vmcnt(7) lgkmcnt(2)
	v_mul_f64 v[176:177], v[164:165], v[70:71]
	v_fmac_f64_e32 v[176:177], v[166:167], v[68:69]
	v_add_f64 v[0:1], v[0:1], v[176:177]
	s_waitcnt vmcnt(6) lgkmcnt(1)
	v_mul_f64 v[176:177], v[168:169], v[74:75]
	v_fmac_f64_e32 v[176:177], v[170:171], v[72:73]
	v_add_f64 v[0:1], v[0:1], v[176:177]
	s_waitcnt vmcnt(5) lgkmcnt(0)
	v_mul_f64 v[188:189], v[172:173], v[78:79]
	ds_read_b128 v[176:179], v2 offset:1552
	v_fmac_f64_e32 v[188:189], v[174:175], v[76:77]
	v_add_f64 v[188:189], v[0:1], v[188:189]
	v_mul_f64 v[0:1], v[230:231], v[182:183]
	v_fma_f64 v[0:1], v[228:229], v[180:181], -v[0:1]
	ds_read_b128 v[180:183], v2 offset:1568
	v_mul_f64 v[186:187], v[240:241], v[186:187]
	s_waitcnt vmcnt(4) lgkmcnt(1)
	v_mul_f64 v[190:191], v[176:177], v[82:83]
	v_fma_f64 v[238:239], v[238:239], v[184:185], -v[186:187]
	ds_read_b128 v[184:187], v2 offset:1584
	v_fmac_f64_e32 v[190:191], v[178:179], v[80:81]
	v_add_f64 v[196:197], v[188:189], v[190:191]
	ds_read_b128 v[188:191], v2 offset:1600
	s_waitcnt vmcnt(3) lgkmcnt(2)
	v_mul_f64 v[198:199], v[180:181], v[86:87]
	v_mul_f64 v[194:195], v[252:253], v[194:195]
	v_fmac_f64_e32 v[198:199], v[182:183], v[84:85]
	v_fma_f64 v[250:251], v[250:251], v[192:193], -v[194:195]
	ds_read_b128 v[192:195], v2 offset:1616
	ds_read_b128 v[200:203], v2 offset:1632
	v_add_f64 v[196:197], v[196:197], v[198:199]
	s_waitcnt vmcnt(2) lgkmcnt(3)
	v_mul_f64 v[198:199], v[184:185], v[98:99]
	v_fmac_f64_e32 v[198:199], v[186:187], v[96:97]
	v_add_f64 v[196:197], v[196:197], v[198:199]
	s_waitcnt vmcnt(1) lgkmcnt(2)
	v_mul_f64 v[198:199], v[188:189], v[94:95]
	v_fmac_f64_e32 v[198:199], v[190:191], v[92:93]
	;; [unrolled: 4-line block ×3, first 2 shown]
	v_add_f64 v[204:205], v[196:197], v[198:199]
	scratch_load_dwordx4 v[196:199], off, off offset:800
	ds_read_b128 v[208:211], v2 offset:1648
	ds_read_b128 v[216:219], v2 offset:1664
	;; [unrolled: 1-line block ×3, first 2 shown]
	s_waitcnt vmcnt(0) lgkmcnt(3)
	v_mul_f64 v[206:207], v[200:201], v[198:199]
	v_fmac_f64_e32 v[206:207], v[202:203], v[196:197]
	v_add_f64 v[212:213], v[204:205], v[206:207]
	scratch_load_dwordx4 v[204:207], off, off offset:816
	s_waitcnt vmcnt(0) lgkmcnt(2)
	v_mul_f64 v[214:215], v[208:209], v[206:207]
	v_fmac_f64_e32 v[214:215], v[210:211], v[204:205]
	v_add_f64 v[220:221], v[212:213], v[214:215]
	scratch_load_dwordx4 v[212:215], off, off offset:832
	;; [unrolled: 5-line block ×3, first 2 shown]
	s_waitcnt vmcnt(0) lgkmcnt(0)
	v_mul_f64 v[230:231], v[224:225], v[222:223]
	v_fmac_f64_e32 v[230:231], v[226:227], v[220:221]
	v_add_f64 v[240:241], v[228:229], v[230:231]
	v_add_f64 v[228:229], v[242:243], 0
	;; [unrolled: 1-line block ×8, first 2 shown]
	scratch_load_dwordx4 v[228:231], off, off offset:64
	v_add_f64 v[20:21], v[24:25], v[20:21]
	v_add_f64 v[16:17], v[20:21], v[16:17]
	;; [unrolled: 1-line block ×11, first 2 shown]
	v_accvgpr_read_b32 v6, a108
	v_accvgpr_read_b32 v8, a110
	;; [unrolled: 1-line block ×3, first 2 shown]
	v_add_f64 v[0:1], v[4:5], v[0:1]
	v_accvgpr_read_b32 v7, a109
	v_mul_f64 v[4:5], v[90:91], v[8:9]
	v_add_f64 v[0:1], v[0:1], v[238:239]
	v_fma_f64 v[4:5], v[88:89], v[6:7], -v[4:5]
	v_accvgpr_read_b32 v6, a112
	v_add_f64 v[0:1], v[0:1], v[250:251]
	v_accvgpr_read_b32 v8, a114
	v_accvgpr_read_b32 v9, a115
	v_add_f64 v[0:1], v[0:1], v[4:5]
	v_accvgpr_read_b32 v7, a113
	v_mul_f64 v[4:5], v[106:107], v[8:9]
	v_fma_f64 v[4:5], v[104:105], v[6:7], -v[4:5]
	v_accvgpr_read_b32 v6, a116
	v_accvgpr_read_b32 v8, a118
	v_accvgpr_read_b32 v9, a119
	v_add_f64 v[0:1], v[0:1], v[4:5]
	v_accvgpr_read_b32 v7, a117
	v_mul_f64 v[4:5], v[110:111], v[8:9]
	v_fma_f64 v[4:5], v[108:109], v[6:7], -v[4:5]
	v_accvgpr_read_b32 v6, a120
	;; [unrolled: 7-line block ×3, first 2 shown]
	v_accvgpr_read_b32 v8, a126
	v_accvgpr_read_b32 v9, a127
	v_add_f64 v[0:1], v[0:1], v[4:5]
	v_accvgpr_read_b32 v7, a125
	v_mul_f64 v[4:5], v[118:119], v[8:9]
	v_fma_f64 v[4:5], v[116:117], v[6:7], -v[4:5]
	v_add_f64 v[0:1], v[0:1], v[4:5]
	v_mul_f64 v[4:5], v[122:123], v[236:237]
	v_fma_f64 v[4:5], v[120:121], v[234:235], -v[4:5]
	v_add_f64 v[0:1], v[0:1], v[4:5]
	;; [unrolled: 3-line block ×24, first 2 shown]
	s_waitcnt vmcnt(0)
	v_add_f64 v[4:5], v[228:229], -v[0:1]
	v_accvgpr_read_b32 v0, a106
	v_add_f64 v[6:7], v[230:231], -v[240:241]
	v_cmp_lt_u32_e32 vcc, 2, v0
	scratch_store_dwordx4 off, v[4:7], off offset:64
	s_and_saveexec_b64 s[0:1], vcc
	s_cbranch_execz .LBB52_327
; %bb.326:
	scratch_load_dwordx4 v[6:9], off, s67
	v_mov_b32_e32 v3, v2
	v_mov_b32_e32 v4, v2
	;; [unrolled: 1-line block ×3, first 2 shown]
	v_accvgpr_read_b32 v0, a107
	scratch_store_dwordx4 off, v[2:5], off offset:48
	s_waitcnt vmcnt(1)
	ds_write_b128 v0, v[6:9]
.LBB52_327:
	s_or_b64 exec, exec, s[0:1]
	s_waitcnt lgkmcnt(0)
	; wave barrier
	scratch_load_dwordx4 v[56:59], off, off offset:64
	scratch_load_dwordx4 v[60:63], off, off offset:80
	;; [unrolled: 1-line block ×18, first 2 shown]
	ds_read_b128 v[116:119], v2 offset:896
	ds_read_b128 v[220:223], v2 offset:912
	;; [unrolled: 1-line block ×6, first 2 shown]
	scratch_load_dwordx4 v[180:183], off, off offset:352
	ds_read_b128 v[204:207], v2 offset:992
	ds_read_b128 v[132:135], v2 offset:1008
	scratch_load_dwordx4 v[184:187], off, off offset:368
	ds_read_b128 v[224:227], v2 offset:1024
	ds_read_b128 v[216:219], v2 offset:1040
	;; [unrolled: 1-line block ×5, first 2 shown]
	scratch_load_dwordx4 v[192:195], off, off offset:384
	ds_read_b128 v[200:203], v2 offset:1104
	ds_read_b128 v[164:167], v2 offset:1120
	scratch_load_dwordx4 v[4:7], off, off offset:400
	ds_read_b128 v[212:215], v2 offset:1136
	ds_read_b128 v[188:191], v2 offset:1152
	;; [unrolled: 1-line block ×3, first 2 shown]
	scratch_load_dwordx4 v[8:11], off, off offset:416
	scratch_load_dwordx4 v[12:15], off, off offset:432
	;; [unrolled: 1-line block ×6, first 2 shown]
	ds_read_b128 v[228:231], v2 offset:1184
	ds_read_b128 v[232:235], v2 offset:1200
	;; [unrolled: 1-line block ×4, first 2 shown]
	s_waitcnt vmcnt(27) lgkmcnt(14)
	v_mul_f64 v[0:1], v[116:117], v[58:59]
	s_waitcnt vmcnt(26)
	v_mul_f64 v[32:33], v[220:221], v[62:63]
	v_fmac_f64_e32 v[0:1], v[118:119], v[56:57]
	s_waitcnt vmcnt(25)
	v_mul_f64 v[34:35], v[208:209], v[66:67]
	v_fmac_f64_e32 v[32:33], v[222:223], v[60:61]
	v_add_f64 v[0:1], v[0:1], 0
	v_fmac_f64_e32 v[34:35], v[210:211], v[64:65]
	v_add_f64 v[0:1], v[0:1], v[32:33]
	v_add_f64 v[0:1], v[0:1], v[34:35]
	scratch_load_dwordx4 v[32:35], off, off offset:512
	s_waitcnt vmcnt(25)
	v_mul_f64 v[36:37], v[120:121], v[70:71]
	s_waitcnt vmcnt(24)
	v_mul_f64 v[38:39], v[128:129], v[74:75]
	v_fmac_f64_e32 v[36:37], v[122:123], v[68:69]
	s_waitcnt vmcnt(23)
	v_mul_f64 v[40:41], v[124:125], v[78:79]
	v_fmac_f64_e32 v[38:39], v[130:131], v[72:73]
	v_add_f64 v[0:1], v[0:1], v[36:37]
	s_waitcnt vmcnt(22)
	v_mul_f64 v[42:43], v[204:205], v[82:83]
	v_fmac_f64_e32 v[40:41], v[126:127], v[76:77]
	v_add_f64 v[0:1], v[0:1], v[38:39]
	;; [unrolled: 4-line block ×3, first 2 shown]
	s_waitcnt vmcnt(20) lgkmcnt(13)
	v_mul_f64 v[46:47], v[224:225], v[94:95]
	v_fmac_f64_e32 v[44:45], v[134:135], v[84:85]
	v_add_f64 v[0:1], v[0:1], v[42:43]
	s_waitcnt vmcnt(19) lgkmcnt(12)
	v_mul_f64 v[48:49], v[216:217], v[98:99]
	v_fmac_f64_e32 v[46:47], v[226:227], v[92:93]
	v_add_f64 v[0:1], v[0:1], v[44:45]
	;; [unrolled: 4-line block ×9, first 2 shown]
	v_fmac_f64_e32 v[106:107], v[190:191], v[168:169]
	v_add_f64 v[0:1], v[0:1], v[104:105]
	s_waitcnt vmcnt(11) lgkmcnt(4)
	v_mul_f64 v[40:41], v[176:177], v[174:175]
	v_add_f64 v[0:1], v[0:1], v[106:107]
	v_fmac_f64_e32 v[40:41], v[178:179], v[172:173]
	scratch_load_dwordx4 v[36:39], off, off offset:528
	v_add_f64 v[0:1], v[0:1], v[40:41]
	s_waitcnt vmcnt(11) lgkmcnt(3)
	v_mul_f64 v[40:41], v[228:229], v[182:183]
	v_fmac_f64_e32 v[40:41], v[230:231], v[180:181]
	v_add_f64 v[0:1], v[0:1], v[40:41]
	scratch_load_dwordx4 v[40:43], off, off offset:544
	ds_read_b128 v[88:91], v2 offset:1232
	s_waitcnt vmcnt(11) lgkmcnt(3)
	v_mul_f64 v[44:45], v[232:233], v[186:187]
	v_fmac_f64_e32 v[44:45], v[234:235], v[184:185]
	v_add_f64 v[0:1], v[0:1], v[44:45]
	s_waitcnt vmcnt(10) lgkmcnt(2)
	v_mul_f64 v[44:45], v[236:237], v[194:195]
	v_fmac_f64_e32 v[44:45], v[238:239], v[192:193]
	s_waitcnt vmcnt(9) lgkmcnt(0)
	v_mul_f64 v[48:49], v[88:89], v[6:7]
	ds_read_b128 v[104:107], v2 offset:1248
	v_add_f64 v[0:1], v[0:1], v[44:45]
	scratch_load_dwordx4 v[44:47], off, off offset:560
	v_fmac_f64_e32 v[48:49], v[90:91], v[4:5]
	v_accvgpr_write_b32 a111, v7
	v_add_f64 v[0:1], v[0:1], v[48:49]
	scratch_load_dwordx4 v[48:51], off, off offset:576
	v_accvgpr_write_b32 a110, v6
	v_accvgpr_write_b32 a109, v5
	;; [unrolled: 1-line block ×3, first 2 shown]
	s_waitcnt vmcnt(10)
	v_mov_b64_e32 v[4:5], v[8:9]
	v_mov_b64_e32 v[6:7], v[10:11]
	s_waitcnt lgkmcnt(0)
	v_mul_f64 v[52:53], v[104:105], v[6:7]
	v_fmac_f64_e32 v[52:53], v[106:107], v[4:5]
	v_add_f64 v[0:1], v[0:1], v[52:53]
	scratch_load_dwordx4 v[52:55], off, off offset:592
	v_mul_f64 v[58:59], v[118:119], v[58:59]
	v_fma_f64 v[240:241], v[116:117], v[56:57], -v[58:59]
	scratch_load_dwordx4 v[56:59], off, off offset:608
	v_mul_f64 v[62:63], v[222:223], v[62:63]
	v_fma_f64 v[242:243], v[220:221], v[60:61], -v[62:63]
	scratch_load_dwordx4 v[60:63], off, off offset:624
	s_waitcnt vmcnt(12)
	v_mov_b64_e32 v[4:5], v[12:13]
	v_mul_f64 v[66:67], v[210:211], v[66:67]
	v_mov_b64_e32 v[6:7], v[14:15]
	v_fma_f64 v[244:245], v[208:209], v[64:65], -v[66:67]
	scratch_load_dwordx4 v[64:67], off, off offset:640
	v_mul_f64 v[112:113], v[108:109], v[6:7]
	v_fmac_f64_e32 v[112:113], v[110:111], v[4:5]
	v_add_f64 v[0:1], v[0:1], v[112:113]
	ds_read_b128 v[112:115], v2 offset:1280
	ds_read_b128 v[116:119], v2 offset:1296
	s_waitcnt vmcnt(12)
	v_mov_b64_e32 v[4:5], v[16:17]
	v_mul_f64 v[70:71], v[122:123], v[70:71]
	v_mov_b64_e32 v[6:7], v[18:19]
	v_fma_f64 v[246:247], v[120:121], v[68:69], -v[70:71]
	scratch_load_dwordx4 v[68:71], off, off offset:656
	v_mul_f64 v[74:75], v[130:131], v[74:75]
	s_waitcnt lgkmcnt(1)
	v_mul_f64 v[220:221], v[112:113], v[6:7]
	v_fma_f64 v[248:249], v[128:129], v[72:73], -v[74:75]
	scratch_load_dwordx4 v[72:75], off, off offset:672
	v_fmac_f64_e32 v[220:221], v[114:115], v[4:5]
	s_waitcnt vmcnt(13)
	v_mov_b64_e32 v[4:5], v[20:21]
	ds_read_b128 v[120:123], v2 offset:1312
	v_mul_f64 v[78:79], v[126:127], v[78:79]
	v_mov_b64_e32 v[6:7], v[22:23]
	v_fma_f64 v[254:255], v[124:125], v[76:77], -v[78:79]
	scratch_load_dwordx4 v[76:79], off, off offset:688
	s_waitcnt lgkmcnt(1)
	v_mul_f64 v[208:209], v[116:117], v[6:7]
	ds_read_b128 v[124:127], v2 offset:1328
	v_fmac_f64_e32 v[208:209], v[118:119], v[4:5]
	s_waitcnt vmcnt(13)
	v_mov_b64_e32 v[4:5], v[24:25]
	v_mul_f64 v[82:83], v[206:207], v[82:83]
	v_mov_b64_e32 v[6:7], v[26:27]
	v_fma_f64 v[250:251], v[204:205], v[80:81], -v[82:83]
	scratch_load_dwordx4 v[80:83], off, off offset:704
	v_add_f64 v[0:1], v[0:1], v[220:221]
	s_waitcnt lgkmcnt(1)
	v_mul_f64 v[128:129], v[120:121], v[6:7]
	v_add_f64 v[0:1], v[0:1], v[208:209]
	v_fmac_f64_e32 v[128:129], v[122:123], v[4:5]
	v_add_f64 v[0:1], v[0:1], v[128:129]
	s_waitcnt vmcnt(13) lgkmcnt(0)
	v_mul_f64 v[128:129], v[124:125], v[30:31]
	v_accvgpr_write_b32 a131, v27
	v_fmac_f64_e32 v[128:129], v[126:127], v[28:29]
	v_mul_f64 v[86:87], v[134:135], v[86:87]
	v_accvgpr_write_b32 a130, v26
	v_accvgpr_write_b32 a129, v25
	;; [unrolled: 1-line block ×3, first 2 shown]
	v_add_f64 v[0:1], v[0:1], v[128:129]
	v_fma_f64 v[24:25], v[132:133], v[84:85], -v[86:87]
	scratch_load_dwordx4 v[84:87], off, off offset:720
	ds_read_b128 v[132:135], v2 offset:1344
	ds_read_b128 v[128:131], v2 offset:1360
	v_accvgpr_write_b32 a127, v23
	v_mul_f64 v[6:7], v[226:227], v[94:95]
	v_accvgpr_write_b32 a123, v19
	v_accvgpr_write_b32 a126, v22
	v_accvgpr_write_b32 a125, v21
	v_accvgpr_write_b32 a124, v20
	v_fma_f64 v[20:21], v[224:225], v[92:93], -v[6:7]
	v_mul_f64 v[92:93], v[218:219], v[98:99]
	v_accvgpr_write_b32 a115, v11
	v_accvgpr_write_b32 a122, v18
	;; [unrolled: 1-line block ×4, first 2 shown]
	v_fma_f64 v[16:17], v[216:217], v[96:97], -v[92:93]
	scratch_load_dwordx4 v[96:99], off, off offset:736
	scratch_load_dwordx4 v[92:95], off, off offset:752
	v_accvgpr_write_b32 a114, v10
	v_accvgpr_write_b32 a113, v9
	;; [unrolled: 1-line block ×3, first 2 shown]
	s_waitcnt vmcnt(15) lgkmcnt(1)
	v_mul_f64 v[10:11], v[132:133], v[34:35]
	v_fmac_f64_e32 v[10:11], v[134:135], v[32:33]
	v_accvgpr_write_b32 a119, v15
	v_add_f64 v[0:1], v[0:1], v[10:11]
	v_mul_f64 v[10:11], v[198:199], v[102:103]
	v_accvgpr_write_b32 a118, v14
	v_accvgpr_write_b32 a117, v13
	;; [unrolled: 1-line block ×3, first 2 shown]
	v_fma_f64 v[12:13], v[196:197], v[100:101], -v[10:11]
	scratch_load_dwordx4 v[100:103], off, off offset:768
	v_mul_f64 v[138:139], v[142:143], v[138:139]
	v_fma_f64 v[10:11], v[140:141], v[136:137], -v[138:139]
	ds_read_b128 v[136:139], v2 offset:1376
	ds_read_b128 v[140:143], v2 offset:1392
	s_waitcnt vmcnt(15) lgkmcnt(2)
	v_mul_f64 v[14:15], v[128:129], v[38:39]
	v_fmac_f64_e32 v[14:15], v[130:131], v[36:37]
	v_add_f64 v[0:1], v[0:1], v[14:15]
	s_waitcnt vmcnt(14) lgkmcnt(1)
	v_mul_f64 v[14:15], v[136:137], v[42:43]
	v_fmac_f64_e32 v[14:15], v[138:139], v[40:41]
	v_add_f64 v[0:1], v[0:1], v[14:15]
	v_mul_f64 v[14:15], v[154:155], v[146:147]
	v_fma_f64 v[14:15], v[152:153], v[144:145], -v[14:15]
	ds_read_b128 v[144:147], v2 offset:1408
	s_waitcnt vmcnt(13) lgkmcnt(1)
	v_mul_f64 v[152:153], v[140:141], v[46:47]
	v_mul_f64 v[150:151], v[202:203], v[150:151]
	v_fmac_f64_e32 v[152:153], v[142:143], v[44:45]
	v_fma_f64 v[8:9], v[200:201], v[148:149], -v[150:151]
	ds_read_b128 v[148:151], v2 offset:1424
	s_waitcnt vmcnt(12) lgkmcnt(1)
	v_mul_f64 v[18:19], v[144:145], v[50:51]
	v_add_f64 v[0:1], v[0:1], v[152:153]
	v_fmac_f64_e32 v[18:19], v[146:147], v[48:49]
	v_add_f64 v[0:1], v[0:1], v[18:19]
	ds_read_b128 v[152:155], v2 offset:1440
	v_mul_f64 v[18:19], v[166:167], v[158:159]
	v_fma_f64 v[18:19], v[164:165], v[156:157], -v[18:19]
	ds_read_b128 v[156:159], v2 offset:1456
	v_mul_f64 v[162:163], v[214:215], v[162:163]
	s_waitcnt vmcnt(11) lgkmcnt(2)
	v_mul_f64 v[164:165], v[148:149], v[54:55]
	v_fma_f64 v[6:7], v[212:213], v[160:161], -v[162:163]
	ds_read_b128 v[160:163], v2 offset:1472
	v_fmac_f64_e32 v[164:165], v[150:151], v[52:53]
	v_add_f64 v[0:1], v[0:1], v[164:165]
	s_waitcnt vmcnt(10) lgkmcnt(2)
	v_mul_f64 v[164:165], v[152:153], v[58:59]
	v_fmac_f64_e32 v[164:165], v[154:155], v[56:57]
	s_waitcnt vmcnt(9) lgkmcnt(1)
	v_mul_f64 v[22:23], v[156:157], v[62:63]
	v_add_f64 v[0:1], v[0:1], v[164:165]
	v_fmac_f64_e32 v[22:23], v[158:159], v[60:61]
	v_add_f64 v[0:1], v[0:1], v[22:23]
	ds_read_b128 v[164:167], v2 offset:1488
	s_waitcnt vmcnt(8) lgkmcnt(1)
	v_mul_f64 v[22:23], v[160:161], v[66:67]
	v_fmac_f64_e32 v[22:23], v[162:163], v[64:65]
	v_add_f64 v[0:1], v[0:1], v[22:23]
	v_mul_f64 v[22:23], v[190:191], v[170:171]
	v_fma_f64 v[22:23], v[188:189], v[168:169], -v[22:23]
	ds_read_b128 v[168:171], v2 offset:1504
	v_mul_f64 v[174:175], v[178:179], v[174:175]
	v_fma_f64 v[4:5], v[176:177], v[172:173], -v[174:175]
	ds_read_b128 v[172:175], v2 offset:1520
	s_waitcnt vmcnt(7) lgkmcnt(2)
	v_mul_f64 v[188:189], v[164:165], v[70:71]
	v_fmac_f64_e32 v[188:189], v[166:167], v[68:69]
	s_waitcnt vmcnt(6) lgkmcnt(1)
	v_mul_f64 v[26:27], v[168:169], v[74:75]
	ds_read_b128 v[176:179], v2 offset:1536
	v_add_f64 v[0:1], v[0:1], v[188:189]
	v_fmac_f64_e32 v[26:27], v[170:171], v[72:73]
	v_add_f64 v[0:1], v[0:1], v[26:27]
	s_waitcnt vmcnt(5) lgkmcnt(1)
	v_mul_f64 v[26:27], v[172:173], v[78:79]
	v_fmac_f64_e32 v[26:27], v[174:175], v[76:77]
	v_add_f64 v[0:1], v[0:1], v[26:27]
	v_mul_f64 v[26:27], v[230:231], v[182:183]
	v_fma_f64 v[26:27], v[228:229], v[180:181], -v[26:27]
	ds_read_b128 v[180:183], v2 offset:1552
	s_waitcnt vmcnt(4) lgkmcnt(1)
	v_mul_f64 v[188:189], v[176:177], v[82:83]
	v_fmac_f64_e32 v[188:189], v[178:179], v[80:81]
	v_add_f64 v[196:197], v[0:1], v[188:189]
	v_mul_f64 v[0:1], v[234:235], v[186:187]
	v_fma_f64 v[0:1], v[232:233], v[184:185], -v[0:1]
	ds_read_b128 v[184:187], v2 offset:1568
	ds_read_b128 v[188:191], v2 offset:1584
	s_waitcnt vmcnt(3) lgkmcnt(2)
	v_mul_f64 v[198:199], v[180:181], v[86:87]
	v_mul_f64 v[194:195], v[238:239], v[194:195]
	v_fmac_f64_e32 v[198:199], v[182:183], v[84:85]
	v_fma_f64 v[252:253], v[236:237], v[192:193], -v[194:195]
	ds_read_b128 v[192:195], v2 offset:1600
	ds_read_b128 v[200:203], v2 offset:1616
	v_add_f64 v[196:197], v[196:197], v[198:199]
	s_waitcnt vmcnt(2) lgkmcnt(3)
	v_mul_f64 v[198:199], v[184:185], v[98:99]
	v_fmac_f64_e32 v[198:199], v[186:187], v[96:97]
	v_add_f64 v[196:197], v[196:197], v[198:199]
	s_waitcnt vmcnt(1) lgkmcnt(2)
	v_mul_f64 v[198:199], v[188:189], v[94:95]
	v_fmac_f64_e32 v[198:199], v[190:191], v[92:93]
	v_add_f64 v[196:197], v[196:197], v[198:199]
	scratch_load_dwordx4 v[232:235], off, off offset:848
	s_waitcnt vmcnt(1) lgkmcnt(1)
	v_mul_f64 v[198:199], v[192:193], v[102:103]
	v_fmac_f64_e32 v[198:199], v[194:195], v[100:101]
	v_add_f64 v[204:205], v[196:197], v[198:199]
	scratch_load_dwordx4 v[196:199], off, off offset:784
	ds_read_b128 v[208:211], v2 offset:1632
	ds_read_b128 v[216:219], v2 offset:1648
	;; [unrolled: 1-line block ×3, first 2 shown]
	s_waitcnt vmcnt(0) lgkmcnt(3)
	v_mul_f64 v[206:207], v[200:201], v[198:199]
	v_fmac_f64_e32 v[206:207], v[202:203], v[196:197]
	v_add_f64 v[212:213], v[204:205], v[206:207]
	scratch_load_dwordx4 v[204:207], off, off offset:800
	s_waitcnt vmcnt(0) lgkmcnt(2)
	v_mul_f64 v[214:215], v[208:209], v[206:207]
	v_fmac_f64_e32 v[214:215], v[210:211], v[204:205]
	v_add_f64 v[220:221], v[212:213], v[214:215]
	scratch_load_dwordx4 v[212:215], off, off offset:816
	;; [unrolled: 5-line block ×3, first 2 shown]
	s_waitcnt vmcnt(0) lgkmcnt(0)
	v_mul_f64 v[230:231], v[224:225], v[222:223]
	v_fmac_f64_e32 v[230:231], v[226:227], v[220:221]
	v_add_f64 v[236:237], v[228:229], v[230:231]
	ds_read_b128 v[228:231], v2 offset:1680
	s_waitcnt lgkmcnt(0)
	v_mul_f64 v[2:3], v[228:229], v[234:235]
	v_fmac_f64_e32 v[2:3], v[230:231], v[232:233]
	v_add_f64 v[2:3], v[236:237], v[2:3]
	v_add_f64 v[236:237], v[240:241], 0
	;; [unrolled: 1-line block ×9, first 2 shown]
	scratch_load_dwordx4 v[236:239], off, off offset:48
	v_add_f64 v[20:21], v[24:25], v[20:21]
	v_add_f64 v[16:17], v[20:21], v[16:17]
	;; [unrolled: 1-line block ×10, first 2 shown]
	v_accvgpr_read_b32 v6, a108
	v_accvgpr_read_b32 v8, a110
	;; [unrolled: 1-line block ×3, first 2 shown]
	v_add_f64 v[254:255], v[4:5], v[26:27]
	v_accvgpr_read_b32 v7, a109
	v_mul_f64 v[4:5], v[90:91], v[8:9]
	v_add_f64 v[0:1], v[254:255], v[0:1]
	v_fma_f64 v[4:5], v[88:89], v[6:7], -v[4:5]
	v_accvgpr_read_b32 v6, a112
	v_add_f64 v[0:1], v[0:1], v[252:253]
	v_accvgpr_read_b32 v8, a114
	v_accvgpr_read_b32 v9, a115
	v_add_f64 v[0:1], v[0:1], v[4:5]
	v_accvgpr_read_b32 v7, a113
	v_mul_f64 v[4:5], v[106:107], v[8:9]
	v_fma_f64 v[4:5], v[104:105], v[6:7], -v[4:5]
	v_accvgpr_read_b32 v6, a116
	v_accvgpr_read_b32 v8, a118
	v_accvgpr_read_b32 v9, a119
	v_add_f64 v[0:1], v[0:1], v[4:5]
	v_accvgpr_read_b32 v7, a117
	v_mul_f64 v[4:5], v[110:111], v[8:9]
	v_fma_f64 v[4:5], v[108:109], v[6:7], -v[4:5]
	v_accvgpr_read_b32 v6, a120
	;; [unrolled: 7-line block ×4, first 2 shown]
	v_accvgpr_read_b32 v8, a130
	v_accvgpr_read_b32 v9, a131
	v_add_f64 v[0:1], v[0:1], v[4:5]
	v_accvgpr_read_b32 v7, a129
	v_mul_f64 v[4:5], v[122:123], v[8:9]
	v_fma_f64 v[4:5], v[120:121], v[6:7], -v[4:5]
	v_add_f64 v[0:1], v[0:1], v[4:5]
	v_mul_f64 v[4:5], v[126:127], v[30:31]
	v_fma_f64 v[4:5], v[124:125], v[28:29], -v[4:5]
	v_add_f64 v[0:1], v[0:1], v[4:5]
	;; [unrolled: 3-line block ×24, first 2 shown]
	s_waitcnt vmcnt(0)
	v_add_f64 v[4:5], v[236:237], -v[0:1]
	v_accvgpr_read_b32 v0, a106
	v_add_f64 v[6:7], v[238:239], -v[2:3]
	v_cmp_lt_u32_e32 vcc, 1, v0
	scratch_store_dwordx4 off, v[4:7], off offset:48
	s_and_saveexec_b64 s[0:1], vcc
	s_cbranch_execz .LBB52_329
; %bb.328:
	scratch_load_dwordx4 v[2:5], off, s68
	v_mov_b32_e32 v6, 0
	v_mov_b32_e32 v7, v6
	;; [unrolled: 1-line block ×4, first 2 shown]
	v_accvgpr_read_b32 v0, a107
	scratch_store_dwordx4 off, v[6:9], off offset:32
	s_waitcnt vmcnt(1)
	ds_write_b128 v0, v[2:5]
.LBB52_329:
	s_or_b64 exec, exec, s[0:1]
	s_waitcnt lgkmcnt(0)
	; wave barrier
	scratch_load_dwordx4 v[48:51], off, off offset:48
	scratch_load_dwordx4 v[52:55], off, off offset:64
	;; [unrolled: 1-line block ×28, first 2 shown]
	v_mov_b32_e32 v2, 0
	ds_read_b128 v[104:107], v2 offset:880
	ds_read_b128 v[112:115], v2 offset:896
	;; [unrolled: 1-line block ×18, first 2 shown]
	scratch_load_dwordx4 a[108:111], off, off offset:496
	scratch_load_dwordx4 v[234:237], off, off offset:512
	ds_read_b128 v[220:223], v2 offset:1168
	ds_read_b128 v[224:227], v2 offset:1184
	;; [unrolled: 1-line block ×5, first 2 shown]
	s_waitcnt vmcnt(29) lgkmcnt(14)
	v_mul_f64 v[0:1], v[104:105], v[50:51]
	s_waitcnt vmcnt(28)
	v_mul_f64 v[24:25], v[112:113], v[54:55]
	v_fmac_f64_e32 v[0:1], v[106:107], v[48:49]
	s_waitcnt vmcnt(27)
	v_mul_f64 v[26:27], v[116:117], v[58:59]
	v_fmac_f64_e32 v[24:25], v[114:115], v[52:53]
	v_add_f64 v[0:1], v[0:1], 0
	s_waitcnt vmcnt(26)
	v_mul_f64 v[28:29], v[120:121], v[62:63]
	v_fmac_f64_e32 v[26:27], v[118:119], v[56:57]
	v_add_f64 v[0:1], v[0:1], v[24:25]
	;; [unrolled: 4-line block ×7, first 2 shown]
	s_waitcnt vmcnt(20) lgkmcnt(13)
	v_mul_f64 v[40:41], v[172:173], v[86:87]
	v_fmac_f64_e32 v[38:39], v[162:163], v[80:81]
	v_add_f64 v[0:1], v[0:1], v[36:37]
	s_waitcnt vmcnt(19) lgkmcnt(12)
	v_mul_f64 v[42:43], v[184:185], v[94:95]
	v_fmac_f64_e32 v[40:41], v[174:175], v[84:85]
	v_add_f64 v[0:1], v[0:1], v[38:39]
	;; [unrolled: 4-line block ×8, first 2 shown]
	v_add_f64 v[0:1], v[0:1], v[96:97]
	v_fmac_f64_e32 v[98:99], v[214:215], v[152:153]
	s_waitcnt vmcnt(12) lgkmcnt(5)
	v_mul_f64 v[32:33], v[216:217], v[158:159]
	v_add_f64 v[0:1], v[0:1], v[98:99]
	v_fmac_f64_e32 v[32:33], v[218:219], v[156:157]
	v_add_f64 v[0:1], v[0:1], v[32:33]
	s_waitcnt vmcnt(11) lgkmcnt(4)
	v_mul_f64 v[32:33], v[220:221], v[166:167]
	v_fmac_f64_e32 v[32:33], v[222:223], v[164:165]
	v_add_f64 v[0:1], v[0:1], v[32:33]
	scratch_load_dwordx4 v[32:35], off, off offset:528
	s_waitcnt vmcnt(11) lgkmcnt(3)
	v_mul_f64 v[36:37], v[224:225], v[170:171]
	v_fmac_f64_e32 v[36:37], v[226:227], v[168:169]
	v_add_f64 v[0:1], v[0:1], v[36:37]
	s_waitcnt vmcnt(10) lgkmcnt(2)
	v_mul_f64 v[36:37], v[228:229], v[178:179]
	v_fmac_f64_e32 v[36:37], v[230:231], v[176:177]
	v_add_f64 v[0:1], v[0:1], v[36:37]
	scratch_load_dwordx4 v[36:39], off, off offset:544
	s_waitcnt vmcnt(10) lgkmcnt(1)
	v_mul_f64 v[40:41], v[238:239], v[182:183]
	v_fmac_f64_e32 v[40:41], v[240:241], v[180:181]
	v_add_f64 v[0:1], v[0:1], v[40:41]
	scratch_load_dwordx4 v[40:43], off, off offset:560
	ds_read_b128 v[88:91], v2 offset:1248
	s_waitcnt vmcnt(10) lgkmcnt(1)
	v_mul_f64 v[44:45], v[250:251], v[190:191]
	v_fmac_f64_e32 v[44:45], v[252:253], v[188:189]
	v_add_f64 v[0:1], v[0:1], v[44:45]
	scratch_load_dwordx4 v[44:47], off, off offset:576
	v_mul_f64 v[50:51], v[106:107], v[50:51]
	v_fma_f64 v[242:243], v[104:105], v[48:49], -v[50:51]
	scratch_load_dwordx4 v[48:51], off, off offset:592
	v_mul_f64 v[54:55], v[114:115], v[54:55]
	v_fma_f64 v[244:245], v[112:113], v[52:53], -v[54:55]
	scratch_load_dwordx4 v[52:55], off, off offset:608
	s_waitcnt vmcnt(12) lgkmcnt(0)
	v_mul_f64 v[96:97], v[88:89], v[6:7]
	v_fmac_f64_e32 v[96:97], v[90:91], v[4:5]
	v_mul_f64 v[58:59], v[118:119], v[58:59]
	v_add_f64 v[0:1], v[0:1], v[96:97]
	ds_read_b128 v[96:99], v2 offset:1264
	ds_read_b128 v[104:107], v2 offset:1280
	v_fma_f64 v[246:247], v[116:117], v[56:57], -v[58:59]
	scratch_load_dwordx4 v[56:59], off, off offset:624
	v_mul_f64 v[62:63], v[122:123], v[62:63]
	v_accvgpr_write_b32 a115, v7
	v_fma_f64 v[248:249], v[120:121], v[60:61], -v[62:63]
	scratch_load_dwordx4 v[60:63], off, off offset:640
	v_accvgpr_write_b32 a114, v6
	v_accvgpr_write_b32 a113, v5
	;; [unrolled: 1-line block ×3, first 2 shown]
	s_waitcnt vmcnt(13)
	v_mov_b64_e32 v[4:5], v[8:9]
	v_mov_b64_e32 v[6:7], v[10:11]
	v_mul_f64 v[66:67], v[126:127], v[66:67]
	s_waitcnt lgkmcnt(1)
	v_mul_f64 v[112:113], v[96:97], v[6:7]
	v_fma_f64 v[254:255], v[124:125], v[64:65], -v[66:67]
	scratch_load_dwordx4 v[64:67], off, off offset:656
	v_fmac_f64_e32 v[112:113], v[98:99], v[4:5]
	s_waitcnt vmcnt(13)
	v_mov_b64_e32 v[4:5], v[12:13]
	v_mov_b64_e32 v[6:7], v[14:15]
	v_add_f64 v[0:1], v[0:1], v[112:113]
	s_waitcnt lgkmcnt(0)
	v_mul_f64 v[112:113], v[104:105], v[6:7]
	v_fmac_f64_e32 v[112:113], v[106:107], v[4:5]
	v_add_f64 v[0:1], v[0:1], v[112:113]
	ds_read_b128 v[112:115], v2 offset:1296
	ds_read_b128 v[116:119], v2 offset:1312
	v_mul_f64 v[70:71], v[130:131], v[70:71]
	v_fma_f64 v[232:233], v[128:129], v[68:69], -v[70:71]
	scratch_load_dwordx4 v[68:71], off, off offset:672
	v_mul_f64 v[74:75], v[134:135], v[74:75]
	v_accvgpr_write_b32 a119, v11
	s_waitcnt vmcnt(13)
	v_mov_b64_e32 v[4:5], v[16:17]
	v_fma_f64 v[28:29], v[132:133], v[72:73], -v[74:75]
	scratch_load_dwordx4 v[72:75], off, off offset:688
	v_accvgpr_write_b32 a118, v10
	v_accvgpr_write_b32 a117, v9
	v_accvgpr_write_b32 a116, v8
	v_mov_b64_e32 v[6:7], v[18:19]
	s_waitcnt vmcnt(13)
	v_mov_b64_e32 v[8:9], v[20:21]
	s_waitcnt lgkmcnt(1)
	v_mul_f64 v[120:121], v[112:113], v[6:7]
	v_mov_b64_e32 v[10:11], v[22:23]
	v_fmac_f64_e32 v[120:121], v[114:115], v[4:5]
	s_waitcnt lgkmcnt(0)
	v_mul_f64 v[6:7], v[116:117], v[10:11]
	v_add_f64 v[0:1], v[0:1], v[120:121]
	v_fmac_f64_e32 v[6:7], v[118:119], v[8:9]
	v_add_f64 v[0:1], v[0:1], v[6:7]
	v_mul_f64 v[6:7], v[150:151], v[78:79]
	v_accvgpr_write_b32 a131, v23
	v_fma_f64 v[24:25], v[148:149], v[76:77], -v[6:7]
	scratch_load_dwordx4 v[76:79], off, off offset:704
	v_mul_f64 v[6:7], v[162:163], v[82:83]
	ds_read_b128 v[124:127], v2 offset:1328
	ds_read_b128 v[120:123], v2 offset:1344
	v_accvgpr_write_b32 a127, v19
	v_accvgpr_write_b32 a130, v22
	;; [unrolled: 1-line block ×4, first 2 shown]
	v_fma_f64 v[20:21], v[160:161], v[80:81], -v[6:7]
	v_mul_f64 v[6:7], v[174:175], v[86:87]
	v_accvgpr_write_b32 a126, v18
	v_accvgpr_write_b32 a125, v17
	;; [unrolled: 1-line block ×3, first 2 shown]
	v_fma_f64 v[16:17], v[172:173], v[84:85], -v[6:7]
	scratch_load_dwordx4 v[84:87], off, off offset:720
	scratch_load_dwordx4 v[80:83], off, off offset:736
	s_waitcnt vmcnt(15)
	v_accvgpr_read_b32 v8, a108
	v_accvgpr_read_b32 v10, a110
	;; [unrolled: 1-line block ×4, first 2 shown]
	s_waitcnt lgkmcnt(1)
	v_mul_f64 v[6:7], v[124:125], v[10:11]
	v_fmac_f64_e32 v[6:7], v[126:127], v[8:9]
	v_add_f64 v[0:1], v[0:1], v[6:7]
	s_waitcnt vmcnt(14) lgkmcnt(0)
	v_mul_f64 v[6:7], v[120:121], v[236:237]
	v_fmac_f64_e32 v[6:7], v[122:123], v[234:235]
	v_accvgpr_write_b32 a123, v15
	v_add_f64 v[0:1], v[0:1], v[6:7]
	v_mul_f64 v[6:7], v[186:187], v[94:95]
	v_accvgpr_write_b32 a122, v14
	v_accvgpr_write_b32 a121, v13
	;; [unrolled: 1-line block ×3, first 2 shown]
	v_fma_f64 v[14:15], v[184:185], v[92:93], -v[6:7]
	scratch_load_dwordx4 v[92:95], off, off offset:752
	v_mul_f64 v[6:7], v[194:195], v[102:103]
	v_fma_f64 v[12:13], v[192:193], v[100:101], -v[6:7]
	scratch_load_dwordx4 v[100:103], off, off offset:768
	v_mul_f64 v[6:7], v[198:199], v[110:111]
	v_fma_f64 v[18:19], v[196:197], v[108:109], -v[6:7]
	scratch_load_dwordx4 v[108:111], off, off offset:784
	ds_read_b128 v[128:131], v2 offset:1360
	ds_read_b128 v[132:135], v2 offset:1376
	;; [unrolled: 1-line block ×4, first 2 shown]
	v_mul_f64 v[182:183], v[240:241], v[182:183]
	s_waitcnt vmcnt(16) lgkmcnt(3)
	v_mul_f64 v[6:7], v[128:129], v[34:35]
	v_fmac_f64_e32 v[6:7], v[130:131], v[32:33]
	v_add_f64 v[0:1], v[0:1], v[6:7]
	v_mul_f64 v[6:7], v[202:203], v[138:139]
	v_fma_f64 v[10:11], v[200:201], v[136:137], -v[6:7]
	ds_read_b128 v[136:139], v2 offset:1392
	s_waitcnt vmcnt(15) lgkmcnt(3)
	v_mul_f64 v[6:7], v[132:133], v[38:39]
	v_fmac_f64_e32 v[6:7], v[134:135], v[36:37]
	v_add_f64 v[0:1], v[0:1], v[6:7]
	v_mul_f64 v[6:7], v[206:207], v[142:143]
	v_fma_f64 v[22:23], v[204:205], v[140:141], -v[6:7]
	ds_read_b128 v[140:143], v2 offset:1408
	;; [unrolled: 7-line block ×3, first 2 shown]
	s_waitcnt vmcnt(13) lgkmcnt(1)
	v_mul_f64 v[6:7], v[140:141], v[46:47]
	v_fmac_f64_e32 v[6:7], v[142:143], v[44:45]
	v_add_f64 v[0:1], v[0:1], v[6:7]
	v_fma_f64 v[238:239], v[238:239], v[180:181], -v[182:183]
	s_waitcnt vmcnt(12) lgkmcnt(0)
	v_mul_f64 v[6:7], v[144:145], v[50:51]
	v_fmac_f64_e32 v[6:7], v[146:147], v[48:49]
	v_add_f64 v[0:1], v[0:1], v[6:7]
	v_mul_f64 v[6:7], v[214:215], v[154:155]
	v_fma_f64 v[26:27], v[212:213], v[152:153], -v[6:7]
	s_waitcnt vmcnt(11)
	v_mul_f64 v[6:7], v[148:149], v[54:55]
	v_fmac_f64_e32 v[6:7], v[150:151], v[52:53]
	ds_read_b128 v[152:155], v2 offset:1456
	v_add_f64 v[0:1], v[0:1], v[6:7]
	v_mul_f64 v[6:7], v[218:219], v[158:159]
	v_fma_f64 v[4:5], v[216:217], v[156:157], -v[6:7]
	ds_read_b128 v[156:159], v2 offset:1472
	s_waitcnt vmcnt(10) lgkmcnt(1)
	v_mul_f64 v[6:7], v[152:153], v[58:59]
	v_fmac_f64_e32 v[6:7], v[154:155], v[56:57]
	v_add_f64 v[0:1], v[0:1], v[6:7]
	ds_read_b128 v[180:183], v2 offset:1568
	s_waitcnt vmcnt(9) lgkmcnt(1)
	v_mul_f64 v[6:7], v[156:157], v[62:63]
	v_fmac_f64_e32 v[6:7], v[158:159], v[60:61]
	v_add_f64 v[0:1], v[0:1], v[6:7]
	v_mul_f64 v[6:7], v[222:223], v[166:167]
	v_fma_f64 v[30:31], v[220:221], v[164:165], -v[6:7]
	ds_read_b128 v[164:167], v2 offset:1504
	s_waitcnt vmcnt(8)
	v_mul_f64 v[6:7], v[160:161], v[66:67]
	v_fmac_f64_e32 v[6:7], v[162:163], v[64:65]
	v_add_f64 v[0:1], v[0:1], v[6:7]
	v_mul_f64 v[6:7], v[226:227], v[170:171]
	v_fma_f64 v[6:7], v[224:225], v[168:169], -v[6:7]
	ds_read_b128 v[168:171], v2 offset:1520
	s_waitcnt vmcnt(7) lgkmcnt(1)
	v_mul_f64 v[172:173], v[164:165], v[70:71]
	v_fmac_f64_e32 v[172:173], v[166:167], v[68:69]
	v_add_f64 v[0:1], v[0:1], v[172:173]
	ds_read_b128 v[172:175], v2 offset:1536
	s_waitcnt vmcnt(6) lgkmcnt(1)
	v_mul_f64 v[184:185], v[168:169], v[74:75]
	v_fmac_f64_e32 v[184:185], v[170:171], v[72:73]
	v_add_f64 v[184:185], v[0:1], v[184:185]
	v_mul_f64 v[0:1], v[230:231], v[178:179]
	v_fma_f64 v[0:1], v[228:229], v[176:177], -v[0:1]
	ds_read_b128 v[176:179], v2 offset:1552
	s_waitcnt vmcnt(5) lgkmcnt(1)
	v_mul_f64 v[186:187], v[172:173], v[78:79]
	v_fmac_f64_e32 v[186:187], v[174:175], v[76:77]
	v_add_f64 v[184:185], v[184:185], v[186:187]
	v_mul_f64 v[190:191], v[252:253], v[190:191]
	s_waitcnt vmcnt(4) lgkmcnt(0)
	v_mul_f64 v[186:187], v[176:177], v[86:87]
	v_fmac_f64_e32 v[186:187], v[178:179], v[84:85]
	v_add_f64 v[192:193], v[184:185], v[186:187]
	ds_read_b128 v[184:187], v2 offset:1584
	v_fma_f64 v[250:251], v[250:251], v[188:189], -v[190:191]
	ds_read_b128 v[188:191], v2 offset:1600
	s_waitcnt vmcnt(3)
	v_mul_f64 v[194:195], v[180:181], v[82:83]
	v_fmac_f64_e32 v[194:195], v[182:183], v[80:81]
	v_add_f64 v[192:193], v[192:193], v[194:195]
	s_waitcnt vmcnt(2) lgkmcnt(1)
	v_mul_f64 v[194:195], v[184:185], v[94:95]
	v_fmac_f64_e32 v[194:195], v[186:187], v[92:93]
	v_add_f64 v[192:193], v[192:193], v[194:195]
	s_waitcnt vmcnt(1) lgkmcnt(0)
	v_mul_f64 v[194:195], v[188:189], v[102:103]
	v_fmac_f64_e32 v[194:195], v[190:191], v[100:101]
	v_add_f64 v[196:197], v[192:193], v[194:195]
	ds_read_b128 v[192:195], v2 offset:1616
	ds_read_b128 v[200:203], v2 offset:1632
	;; [unrolled: 1-line block ×5, first 2 shown]
	s_waitcnt vmcnt(0) lgkmcnt(4)
	v_mul_f64 v[198:199], v[192:193], v[110:111]
	v_fmac_f64_e32 v[198:199], v[194:195], v[108:109]
	v_add_f64 v[204:205], v[196:197], v[198:199]
	scratch_load_dwordx4 v[196:199], off, off offset:800
	s_waitcnt vmcnt(0) lgkmcnt(3)
	v_mul_f64 v[206:207], v[200:201], v[198:199]
	v_fmac_f64_e32 v[206:207], v[202:203], v[196:197]
	v_add_f64 v[212:213], v[204:205], v[206:207]
	scratch_load_dwordx4 v[204:207], off, off offset:816
	;; [unrolled: 5-line block ×4, first 2 shown]
	s_waitcnt vmcnt(0) lgkmcnt(0)
	v_mul_f64 v[230:231], v[224:225], v[222:223]
	v_fmac_f64_e32 v[230:231], v[226:227], v[220:221]
	v_add_f64 v[240:241], v[228:229], v[230:231]
	v_add_f64 v[228:229], v[242:243], 0
	;; [unrolled: 1-line block ×8, first 2 shown]
	scratch_load_dwordx4 v[228:231], off, off offset:32
	v_add_f64 v[24:25], v[28:29], v[24:25]
	v_add_f64 v[20:21], v[24:25], v[20:21]
	;; [unrolled: 1-line block ×13, first 2 shown]
	v_accvgpr_read_b32 v6, a112
	v_accvgpr_read_b32 v8, a114
	;; [unrolled: 1-line block ×3, first 2 shown]
	v_add_f64 v[0:1], v[4:5], v[0:1]
	v_accvgpr_read_b32 v7, a113
	v_mul_f64 v[4:5], v[90:91], v[8:9]
	v_add_f64 v[0:1], v[0:1], v[238:239]
	v_fma_f64 v[4:5], v[88:89], v[6:7], -v[4:5]
	v_accvgpr_read_b32 v6, a116
	v_add_f64 v[0:1], v[0:1], v[250:251]
	v_accvgpr_read_b32 v8, a118
	v_accvgpr_read_b32 v9, a119
	v_add_f64 v[0:1], v[0:1], v[4:5]
	v_accvgpr_read_b32 v7, a117
	v_mul_f64 v[4:5], v[98:99], v[8:9]
	v_fma_f64 v[4:5], v[96:97], v[6:7], -v[4:5]
	v_accvgpr_read_b32 v6, a120
	v_accvgpr_read_b32 v8, a122
	v_accvgpr_read_b32 v9, a123
	v_add_f64 v[0:1], v[0:1], v[4:5]
	v_accvgpr_read_b32 v7, a121
	v_mul_f64 v[4:5], v[106:107], v[8:9]
	v_fma_f64 v[4:5], v[104:105], v[6:7], -v[4:5]
	v_accvgpr_read_b32 v6, a124
	;; [unrolled: 7-line block ×4, first 2 shown]
	v_accvgpr_read_b32 v8, a110
	v_accvgpr_read_b32 v9, a111
	v_add_f64 v[0:1], v[0:1], v[4:5]
	v_accvgpr_read_b32 v7, a109
	v_mul_f64 v[4:5], v[126:127], v[8:9]
	v_fma_f64 v[4:5], v[124:125], v[6:7], -v[4:5]
	v_add_f64 v[0:1], v[0:1], v[4:5]
	v_mul_f64 v[4:5], v[122:123], v[236:237]
	v_fma_f64 v[4:5], v[120:121], v[234:235], -v[4:5]
	v_add_f64 v[0:1], v[0:1], v[4:5]
	;; [unrolled: 3-line block ×23, first 2 shown]
	s_waitcnt vmcnt(0)
	v_add_f64 v[4:5], v[228:229], -v[0:1]
	v_accvgpr_read_b32 v0, a106
	v_add_f64 v[6:7], v[230:231], -v[240:241]
	v_cmp_ne_u32_e32 vcc, 0, v0
	scratch_store_dwordx4 off, v[4:7], off offset:32
	s_and_saveexec_b64 s[0:1], vcc
	s_cbranch_execz .LBB52_331
; %bb.330:
	scratch_load_dwordx4 v[6:9], off, off offset:16
	v_mov_b32_e32 v3, v2
	v_mov_b32_e32 v4, v2
	;; [unrolled: 1-line block ×3, first 2 shown]
	v_accvgpr_read_b32 v0, a107
	scratch_store_dwordx4 off, v[2:5], off offset:16
	s_waitcnt vmcnt(1)
	ds_write_b128 v0, v[6:9]
.LBB52_331:
	s_or_b64 exec, exec, s[0:1]
	s_waitcnt lgkmcnt(0)
	; wave barrier
	scratch_load_dwordx4 v[48:51], off, off offset:32
	scratch_load_dwordx4 v[52:55], off, off offset:48
	;; [unrolled: 1-line block ×17, first 2 shown]
	ds_read_b128 v[100:103], v2 offset:864
	ds_read_b128 v[116:119], v2 offset:880
	;; [unrolled: 1-line block ×3, first 2 shown]
	scratch_load_dwordx4 v[156:159], off, off offset:304
	ds_read_b128 v[192:195], v2 offset:912
	ds_read_b128 v[124:127], v2 offset:928
	;; [unrolled: 1-line block ×3, first 2 shown]
	scratch_load_dwordx4 v[164:167], off, off offset:320
	ds_read_b128 v[196:199], v2 offset:960
	ds_read_b128 v[128:131], v2 offset:976
	scratch_load_dwordx4 v[168:171], off, off offset:336
	ds_read_b128 v[212:215], v2 offset:992
	ds_read_b128 v[200:203], v2 offset:1008
	;; [unrolled: 1-line block ×5, first 2 shown]
	scratch_load_dwordx4 v[176:179], off, off offset:352
	ds_read_b128 v[208:211], v2 offset:1072
	ds_read_b128 v[184:187], v2 offset:1088
	scratch_load_dwordx4 v[180:183], off, off offset:368
	ds_read_b128 v[216:219], v2 offset:1104
	ds_read_b128 v[204:207], v2 offset:1120
	;; [unrolled: 1-line block ×3, first 2 shown]
	scratch_load_dwordx4 v[188:191], off, off offset:384
	scratch_load_dwordx4 v[4:7], off, off offset:400
	;; [unrolled: 1-line block ×9, first 2 shown]
	ds_read_b128 v[228:231], v2 offset:1184
	ds_read_b128 v[232:235], v2 offset:1200
	;; [unrolled: 1-line block ×3, first 2 shown]
	s_and_b64 vcc, exec, s[18:19]
	ds_read_b128 v[224:227], v2 offset:1168
	s_waitcnt vmcnt(30) lgkmcnt(14)
	v_mul_f64 v[0:1], v[100:101], v[50:51]
	s_waitcnt vmcnt(29)
	v_mul_f64 v[28:29], v[116:117], v[54:55]
	v_fmac_f64_e32 v[0:1], v[102:103], v[48:49]
	s_waitcnt vmcnt(28)
	v_mul_f64 v[30:31], v[112:113], v[58:59]
	v_fmac_f64_e32 v[28:29], v[118:119], v[52:53]
	v_add_f64 v[0:1], v[0:1], 0
	s_waitcnt vmcnt(27)
	v_mul_f64 v[32:33], v[192:193], v[62:63]
	v_fmac_f64_e32 v[30:31], v[114:115], v[56:57]
	v_add_f64 v[0:1], v[0:1], v[28:29]
	;; [unrolled: 4-line block ×6, first 2 shown]
	s_waitcnt vmcnt(22) lgkmcnt(13)
	v_mul_f64 v[42:43], v[212:213], v[90:91]
	v_fmac_f64_e32 v[40:41], v[130:131], v[80:81]
	v_add_f64 v[0:1], v[0:1], v[38:39]
	s_waitcnt vmcnt(21) lgkmcnt(12)
	v_mul_f64 v[44:45], v[200:201], v[94:95]
	v_fmac_f64_e32 v[42:43], v[214:215], v[88:89]
	v_add_f64 v[0:1], v[0:1], v[40:41]
	;; [unrolled: 4-line block ×9, first 2 shown]
	v_add_f64 v[0:1], v[0:1], v[220:221]
	v_fmac_f64_e32 v[222:223], v[206:207], v[152:153]
	v_add_f64 v[0:1], v[0:1], v[222:223]
	ds_read_b128 v[220:223], v2 offset:1152
	s_waitcnt vmcnt(13) lgkmcnt(5)
	v_mul_f64 v[32:33], v[160:161], v[158:159]
	v_fmac_f64_e32 v[32:33], v[162:163], v[156:157]
	v_add_f64 v[0:1], v[0:1], v[32:33]
	s_waitcnt vmcnt(11) lgkmcnt(1)
	v_mul_f64 v[36:37], v[224:225], v[170:171]
	s_waitcnt lgkmcnt(0)
	v_mul_f64 v[32:33], v[220:221], v[166:167]
	v_fmac_f64_e32 v[32:33], v[222:223], v[164:165]
	v_add_f64 v[0:1], v[0:1], v[32:33]
	v_fmac_f64_e32 v[36:37], v[226:227], v[168:169]
	v_add_f64 v[0:1], v[0:1], v[36:37]
	s_waitcnt vmcnt(10)
	v_mul_f64 v[36:37], v[228:229], v[178:179]
	v_fmac_f64_e32 v[36:37], v[230:231], v[176:177]
	v_add_f64 v[0:1], v[0:1], v[36:37]
	s_waitcnt vmcnt(9)
	v_mul_f64 v[36:37], v[232:233], v[182:183]
	v_fmac_f64_e32 v[36:37], v[234:235], v[180:181]
	v_add_f64 v[0:1], v[0:1], v[36:37]
	scratch_load_dwordx4 v[36:39], off, off offset:528
	ds_read_b128 v[76:79], v2 offset:1232
	s_waitcnt vmcnt(9)
	v_mul_f64 v[40:41], v[250:251], v[190:191]
	v_fmac_f64_e32 v[40:41], v[252:253], v[188:189]
	v_add_f64 v[0:1], v[0:1], v[40:41]
	scratch_load_dwordx4 v[40:43], off, off offset:544
	s_waitcnt vmcnt(9) lgkmcnt(0)
	v_mul_f64 v[44:45], v[76:77], v[6:7]
	v_fmac_f64_e32 v[44:45], v[78:79], v[4:5]
	v_add_f64 v[0:1], v[0:1], v[44:45]
	scratch_load_dwordx4 v[44:47], off, off offset:560
	v_mul_f64 v[50:51], v[102:103], v[50:51]
	v_fma_f64 v[240:241], v[100:101], v[48:49], -v[50:51]
	v_mul_f64 v[48:49], v[118:119], v[54:55]
	ds_read_b128 v[84:87], v2 offset:1248
	ds_read_b128 v[100:103], v2 offset:1264
	v_fma_f64 v[242:243], v[116:117], v[52:53], -v[48:49]
	scratch_load_dwordx4 v[48:51], off, off offset:576
	v_accvgpr_write_b32 a121, v7
	v_accvgpr_write_b32 a120, v6
	;; [unrolled: 1-line block ×4, first 2 shown]
	s_waitcnt vmcnt(10)
	v_mov_b64_e32 v[4:5], v[8:9]
	scratch_load_dwordx4 v[52:55], off, off offset:592
	v_mov_b64_e32 v[6:7], v[10:11]
	s_waitcnt lgkmcnt(1)
	v_mul_f64 v[236:237], v[84:85], v[6:7]
	v_mul_f64 v[58:59], v[114:115], v[58:59]
	v_fmac_f64_e32 v[236:237], v[86:87], v[4:5]
	s_waitcnt vmcnt(10)
	v_mov_b64_e32 v[4:5], v[12:13]
	v_fma_f64 v[244:245], v[112:113], v[56:57], -v[58:59]
	ds_read_b128 v[112:115], v2 offset:1280
	v_mov_b64_e32 v[6:7], v[14:15]
	s_waitcnt lgkmcnt(1)
	v_mul_f64 v[116:117], v[100:101], v[6:7]
	v_mul_f64 v[56:57], v[194:195], v[62:63]
	v_fmac_f64_e32 v[116:117], v[102:103], v[4:5]
	v_fma_f64 v[246:247], v[192:193], v[60:61], -v[56:57]
	scratch_load_dwordx4 v[56:59], off, off offset:608
	s_waitcnt vmcnt(10)
	v_mov_b64_e32 v[4:5], v[16:17]
	v_add_f64 v[0:1], v[0:1], v[236:237]
	v_mul_f64 v[60:61], v[126:127], v[66:67]
	v_mov_b64_e32 v[6:7], v[18:19]
	v_add_f64 v[0:1], v[0:1], v[116:117]
	ds_read_b128 v[116:119], v2 offset:1296
	v_fma_f64 v[248:249], v[124:125], v[64:65], -v[60:61]
	scratch_load_dwordx4 v[60:63], off, off offset:624
	s_waitcnt lgkmcnt(1)
	v_mul_f64 v[64:65], v[112:113], v[6:7]
	v_fmac_f64_e32 v[64:65], v[114:115], v[4:5]
	v_add_f64 v[0:1], v[0:1], v[64:65]
	v_mul_f64 v[64:65], v[122:123], v[70:71]
	v_fma_f64 v[254:255], v[120:121], v[68:69], -v[64:65]
	scratch_load_dwordx4 v[64:67], off, off offset:640
	scratch_load_dwordx4 v[68:71], off, off offset:656
	v_mul_f64 v[74:75], v[198:199], v[74:75]
	v_fma_f64 v[32:33], v[196:197], v[72:73], -v[74:75]
	scratch_load_dwordx4 v[72:75], off, off offset:672
	s_waitcnt vmcnt(13)
	v_mov_b64_e32 v[4:5], v[20:21]
	v_mov_b64_e32 v[6:7], v[22:23]
	s_waitcnt lgkmcnt(0)
	v_mul_f64 v[120:121], v[116:117], v[6:7]
	v_fmac_f64_e32 v[120:121], v[118:119], v[4:5]
	v_add_f64 v[0:1], v[0:1], v[120:121]
	ds_read_b128 v[120:123], v2 offset:1312
	ds_read_b128 v[124:127], v2 offset:1328
	v_mul_f64 v[6:7], v[130:131], v[82:83]
	v_fma_f64 v[28:29], v[128:129], v[80:81], -v[6:7]
	s_waitcnt vmcnt(12)
	v_accvgpr_read_b32 v4, a106
	v_accvgpr_write_b32 a125, v11
	v_accvgpr_read_b32 v6, a108
	v_accvgpr_read_b32 v7, a109
	v_accvgpr_write_b32 a124, v10
	v_accvgpr_write_b32 a123, v9
	v_accvgpr_write_b32 a122, v8
	v_accvgpr_read_b32 v5, a107
	s_waitcnt lgkmcnt(1)
	v_mul_f64 v[10:11], v[120:121], v[6:7]
	v_fmac_f64_e32 v[10:11], v[122:123], v[4:5]
	s_waitcnt vmcnt(11)
	v_accvgpr_read_b32 v4, a110
	v_accvgpr_read_b32 v6, a112
	;; [unrolled: 1-line block ×3, first 2 shown]
	v_add_f64 v[0:1], v[0:1], v[10:11]
	v_accvgpr_read_b32 v5, a111
	s_waitcnt lgkmcnt(0)
	v_mul_f64 v[10:11], v[124:125], v[6:7]
	ds_read_b128 v[128:131], v2 offset:1344
	v_fmac_f64_e32 v[10:11], v[126:127], v[4:5]
	v_accvgpr_write_b32 a137, v23
	v_add_f64 v[0:1], v[0:1], v[10:11]
	v_mul_f64 v[10:11], v[174:175], v[98:99]
	v_accvgpr_write_b32 a133, v19
	v_accvgpr_write_b32 a136, v22
	;; [unrolled: 1-line block ×4, first 2 shown]
	v_fma_f64 v[20:21], v[172:173], v[96:97], -v[10:11]
	v_mul_f64 v[10:11], v[134:135], v[106:107]
	s_waitcnt vmcnt(10)
	v_accvgpr_read_b32 v4, a114
	v_accvgpr_write_b32 a129, v15
	v_accvgpr_write_b32 a132, v18
	;; [unrolled: 1-line block ×4, first 2 shown]
	v_fma_f64 v[16:17], v[132:133], v[104:105], -v[10:11]
	v_mul_f64 v[10:11], v[150:151], v[110:111]
	v_accvgpr_read_b32 v6, a116
	v_accvgpr_read_b32 v7, a117
	v_accvgpr_write_b32 a128, v14
	v_accvgpr_write_b32 a127, v13
	;; [unrolled: 1-line block ×3, first 2 shown]
	ds_read_b128 v[132:135], v2 offset:1360
	v_fma_f64 v[14:15], v[148:149], v[108:109], -v[10:11]
	v_accvgpr_read_b32 v5, a115
	s_waitcnt lgkmcnt(1)
	v_mul_f64 v[10:11], v[128:129], v[6:7]
	v_fmac_f64_e32 v[10:11], v[130:131], v[4:5]
	v_add_f64 v[0:1], v[0:1], v[10:11]
	v_mul_f64 v[10:11], v[210:211], v[138:139]
	v_fma_f64 v[18:19], v[208:209], v[136:137], -v[10:11]
	ds_read_b128 v[136:139], v2 offset:1376
	s_waitcnt vmcnt(9) lgkmcnt(1)
	v_mul_f64 v[10:11], v[132:133], v[38:39]
	v_fmac_f64_e32 v[10:11], v[134:135], v[36:37]
	v_add_f64 v[0:1], v[0:1], v[10:11]
	v_mul_f64 v[10:11], v[186:187], v[142:143]
	v_fma_f64 v[12:13], v[184:185], v[140:141], -v[10:11]
	ds_read_b128 v[140:143], v2 offset:1392
	s_waitcnt vmcnt(8) lgkmcnt(1)
	v_mul_f64 v[10:11], v[136:137], v[42:43]
	v_fmac_f64_e32 v[10:11], v[138:139], v[40:41]
	v_add_f64 v[0:1], v[0:1], v[10:11]
	v_mul_f64 v[10:11], v[218:219], v[146:147]
	v_mul_f64 v[80:81], v[214:215], v[90:91]
	v_fma_f64 v[22:23], v[216:217], v[144:145], -v[10:11]
	ds_read_b128 v[144:147], v2 offset:1408
	ds_read_b128 v[148:151], v2 offset:1424
	v_fma_f64 v[24:25], v[212:213], v[88:89], -v[80:81]
	scratch_load_dwordx4 v[80:83], off, off offset:688
	s_waitcnt vmcnt(8) lgkmcnt(2)
	v_mul_f64 v[10:11], v[140:141], v[46:47]
	v_mul_f64 v[88:89], v[202:203], v[94:95]
	v_fmac_f64_e32 v[10:11], v[142:143], v[44:45]
	v_fma_f64 v[236:237], v[200:201], v[92:93], -v[88:89]
	scratch_load_dwordx4 v[88:91], off, off offset:704
	v_add_f64 v[0:1], v[0:1], v[10:11]
	s_waitcnt vmcnt(8) lgkmcnt(1)
	v_mul_f64 v[10:11], v[144:145], v[50:51]
	v_fmac_f64_e32 v[10:11], v[146:147], v[48:49]
	v_add_f64 v[0:1], v[0:1], v[10:11]
	v_mul_f64 v[10:11], v[206:207], v[154:155]
	v_fma_f64 v[8:9], v[204:205], v[152:153], -v[10:11]
	s_waitcnt vmcnt(7) lgkmcnt(0)
	v_mul_f64 v[10:11], v[148:149], v[54:55]
	scratch_load_dwordx4 v[92:95], off, off offset:720
	v_fmac_f64_e32 v[10:11], v[150:151], v[52:53]
	ds_read_b128 v[152:155], v2 offset:1440
	v_add_f64 v[0:1], v[0:1], v[10:11]
	v_mul_f64 v[10:11], v[162:163], v[158:159]
	scratch_load_dwordx4 v[96:99], off, off offset:736
	scratch_load_dwordx4 v[104:107], off, off offset:752
	v_fma_f64 v[26:27], v[160:161], v[156:157], -v[10:11]
	ds_read_b128 v[156:159], v2 offset:1456
	s_waitcnt vmcnt(9) lgkmcnt(1)
	v_mul_f64 v[10:11], v[152:153], v[58:59]
	ds_read_b128 v[160:163], v2 offset:1472
	scratch_load_dwordx4 v[108:111], off, off offset:768
	scratch_load_dwordx4 v[196:199], off, off offset:784
	v_fmac_f64_e32 v[10:11], v[154:155], v[56:57]
	v_add_f64 v[0:1], v[0:1], v[10:11]
	s_waitcnt vmcnt(10) lgkmcnt(1)
	v_mul_f64 v[10:11], v[156:157], v[62:63]
	v_fmac_f64_e32 v[10:11], v[158:159], v[60:61]
	v_add_f64 v[0:1], v[0:1], v[10:11]
	v_mul_f64 v[10:11], v[222:223], v[166:167]
	v_fma_f64 v[6:7], v[220:221], v[164:165], -v[10:11]
	ds_read_b128 v[164:167], v2 offset:1488
	s_waitcnt vmcnt(9) lgkmcnt(1)
	v_mul_f64 v[10:11], v[160:161], v[66:67]
	scratch_load_dwordx4 v[204:207], off, off offset:800
	scratch_load_dwordx4 v[212:215], off, off offset:816
	v_fmac_f64_e32 v[10:11], v[162:163], v[64:65]
	v_add_f64 v[0:1], v[0:1], v[10:11]
	v_mul_f64 v[10:11], v[226:227], v[170:171]
	v_fma_f64 v[30:31], v[224:225], v[168:169], -v[10:11]
	ds_read_b128 v[168:171], v2 offset:1504
	ds_read_b128 v[172:175], v2 offset:1520
	scratch_load_dwordx4 v[220:223], off, off offset:832
	s_waitcnt vmcnt(11) lgkmcnt(2)
	v_mul_f64 v[10:11], v[164:165], v[70:71]
	v_fmac_f64_e32 v[10:11], v[166:167], v[68:69]
	v_add_f64 v[0:1], v[0:1], v[10:11]
	s_waitcnt vmcnt(10) lgkmcnt(1)
	v_mul_f64 v[10:11], v[168:169], v[74:75]
	v_fmac_f64_e32 v[10:11], v[170:171], v[72:73]
	v_add_f64 v[0:1], v[0:1], v[10:11]
	v_mul_f64 v[10:11], v[230:231], v[178:179]
	v_fma_f64 v[4:5], v[228:229], v[176:177], -v[10:11]
	scratch_load_dwordx4 v[228:231], off, off offset:848
	ds_read_b128 v[176:179], v2 offset:1536
	ds_read_b128 v[184:187], v2 offset:1568
	;; [unrolled: 1-line block ×7, first 2 shown]
	s_waitcnt vmcnt(10) lgkmcnt(7)
	v_mul_f64 v[10:11], v[172:173], v[82:83]
	v_fmac_f64_e32 v[10:11], v[174:175], v[80:81]
	v_add_f64 v[0:1], v[0:1], v[10:11]
	v_mul_f64 v[10:11], v[234:235], v[182:183]
	v_fma_f64 v[238:239], v[232:233], v[180:181], -v[10:11]
	ds_read_b128 v[180:183], v2 offset:1552
	scratch_load_dwordx4 v[232:235], off, off offset:16
	s_waitcnt vmcnt(10) lgkmcnt(7)
	v_mul_f64 v[10:11], v[176:177], v[90:91]
	v_fmac_f64_e32 v[10:11], v[178:179], v[88:89]
	v_add_f64 v[0:1], v[0:1], v[10:11]
	v_mul_f64 v[10:11], v[252:253], v[190:191]
	v_fma_f64 v[250:251], v[250:251], v[188:189], -v[10:11]
	ds_read_b128 v[188:191], v2 offset:1584
	s_waitcnt vmcnt(9) lgkmcnt(1)
	v_mul_f64 v[10:11], v[180:181], v[94:95]
	v_fmac_f64_e32 v[10:11], v[182:183], v[92:93]
	v_add_f64 v[0:1], v[0:1], v[10:11]
	s_waitcnt vmcnt(8)
	v_mul_f64 v[10:11], v[184:185], v[98:99]
	v_fmac_f64_e32 v[10:11], v[186:187], v[96:97]
	v_add_f64 v[0:1], v[0:1], v[10:11]
	s_waitcnt vmcnt(7) lgkmcnt(0)
	v_mul_f64 v[10:11], v[188:189], v[106:107]
	v_fmac_f64_e32 v[10:11], v[190:191], v[104:105]
	v_add_f64 v[0:1], v[0:1], v[10:11]
	s_waitcnt vmcnt(6)
	v_mul_f64 v[10:11], v[192:193], v[110:111]
	v_fmac_f64_e32 v[10:11], v[194:195], v[108:109]
	v_add_f64 v[0:1], v[0:1], v[10:11]
	s_waitcnt vmcnt(5)
	;; [unrolled: 4-line block ×5, first 2 shown]
	v_mul_f64 v[10:11], v[224:225], v[222:223]
	v_fmac_f64_e32 v[10:11], v[226:227], v[220:221]
	v_add_f64 v[10:11], v[0:1], v[10:11]
	ds_read_b128 v[0:3], v2 offset:1680
	s_waitcnt vmcnt(1) lgkmcnt(0)
	v_mul_f64 v[34:35], v[0:1], v[230:231]
	v_fmac_f64_e32 v[34:35], v[2:3], v[228:229]
	v_add_f64 v[10:11], v[10:11], v[34:35]
	v_add_f64 v[34:35], v[240:241], 0
	;; [unrolled: 1-line block ×20, first 2 shown]
	v_accvgpr_read_b32 v12, a118
	v_add_f64 v[6:7], v[6:7], v[30:31]
	v_accvgpr_read_b32 v14, a120
	v_accvgpr_read_b32 v15, a121
	v_add_f64 v[252:253], v[6:7], v[4:5]
	v_accvgpr_read_b32 v13, a119
	v_mul_f64 v[6:7], v[78:79], v[14:15]
	v_add_f64 v[4:5], v[252:253], v[238:239]
	v_fma_f64 v[6:7], v[76:77], v[12:13], -v[6:7]
	v_accvgpr_read_b32 v12, a122
	v_add_f64 v[4:5], v[4:5], v[250:251]
	v_accvgpr_read_b32 v14, a124
	v_accvgpr_read_b32 v15, a125
	v_add_f64 v[4:5], v[4:5], v[6:7]
	v_accvgpr_read_b32 v13, a123
	v_mul_f64 v[6:7], v[86:87], v[14:15]
	v_fma_f64 v[6:7], v[84:85], v[12:13], -v[6:7]
	v_accvgpr_read_b32 v12, a126
	v_accvgpr_read_b32 v14, a128
	v_accvgpr_read_b32 v15, a129
	v_add_f64 v[4:5], v[4:5], v[6:7]
	v_accvgpr_read_b32 v13, a127
	v_mul_f64 v[6:7], v[102:103], v[14:15]
	v_fma_f64 v[6:7], v[100:101], v[12:13], -v[6:7]
	v_accvgpr_read_b32 v12, a130
	;; [unrolled: 7-line block ×6, first 2 shown]
	v_accvgpr_read_b32 v14, a116
	v_accvgpr_read_b32 v15, a117
	v_add_f64 v[4:5], v[4:5], v[6:7]
	v_accvgpr_read_b32 v13, a115
	v_mul_f64 v[6:7], v[130:131], v[14:15]
	v_fma_f64 v[6:7], v[128:129], v[12:13], -v[6:7]
	v_add_f64 v[4:5], v[4:5], v[6:7]
	v_mul_f64 v[6:7], v[134:135], v[38:39]
	v_fma_f64 v[6:7], v[132:133], v[36:37], -v[6:7]
	v_add_f64 v[4:5], v[4:5], v[6:7]
	;; [unrolled: 3-line block ×20, first 2 shown]
	v_mul_f64 v[6:7], v[226:227], v[222:223]
	v_fma_f64 v[6:7], v[224:225], v[220:221], -v[6:7]
	v_mul_f64 v[2:3], v[2:3], v[230:231]
	v_add_f64 v[4:5], v[4:5], v[6:7]
	v_fma_f64 v[0:1], v[0:1], v[228:229], -v[2:3]
	v_add_f64 v[0:1], v[4:5], v[0:1]
	s_waitcnt vmcnt(0)
	v_add_f64 v[0:1], v[232:233], -v[0:1]
	v_add_f64 v[2:3], v[234:235], -v[10:11]
	scratch_store_dwordx4 off, v[0:3], off offset:16
	s_cbranch_vccz .LBB52_436
; %bb.332:
	s_nop 0
	v_mov_b32_e32 v0, 0
	global_load_dword v1, v0, s[16:17] offset:204
	s_waitcnt vmcnt(0)
	v_readfirstlane_b32 s0, v1
	s_add_i32 s0, s0, -1
	s_cmp_lg_u32 s0, 51
	s_cbranch_scc0 .LBB52_334
; %bb.333:
	s_lshl_b32 s0, s0, 4
	s_add_i32 s0, s0, 16
	scratch_load_dwordx4 v[2:5], off, s0
	scratch_load_dwordx4 v[6:9], off, s12
	s_waitcnt vmcnt(1)
	scratch_store_dwordx4 off, v[2:5], s12
	s_waitcnt vmcnt(1)
	scratch_store_dwordx4 off, v[6:9], s0
.LBB52_334:
	global_load_dword v0, v0, s[16:17] offset:200
	s_waitcnt vmcnt(0)
	v_readfirstlane_b32 s0, v0
	s_add_i32 s0, s0, -1
	s_cmp_eq_u32 s0, 50
	s_cbranch_scc1 .LBB52_336
; %bb.335:
	s_lshl_b32 s0, s0, 4
	s_add_i32 s0, s0, 16
	scratch_load_dwordx4 v[0:3], off, s0
	scratch_load_dwordx4 v[4:7], off, s15
	s_waitcnt vmcnt(1)
	scratch_store_dwordx4 off, v[0:3], s15
	s_waitcnt vmcnt(1)
	scratch_store_dwordx4 off, v[4:7], s0
.LBB52_336:
	v_mov_b32_e32 v0, 0
	global_load_dword v1, v0, s[16:17] offset:196
	s_waitcnt vmcnt(0)
	v_readfirstlane_b32 s0, v1
	s_add_i32 s0, s0, -1
	s_cmp_eq_u32 s0, 49
	s_cbranch_scc1 .LBB52_338
; %bb.337:
	s_lshl_b32 s0, s0, 4
	s_add_i32 s0, s0, 16
	scratch_load_dwordx4 v[2:5], off, s0
	scratch_load_dwordx4 v[6:9], off, s14
	s_waitcnt vmcnt(1)
	scratch_store_dwordx4 off, v[2:5], s14
	s_waitcnt vmcnt(1)
	scratch_store_dwordx4 off, v[6:9], s0
.LBB52_338:
	global_load_dword v0, v0, s[16:17] offset:192
	s_waitcnt vmcnt(0)
	v_readfirstlane_b32 s0, v0
	s_add_i32 s0, s0, -1
	s_cmp_eq_u32 s0, 48
	s_cbranch_scc1 .LBB52_340
; %bb.339:
	s_lshl_b32 s0, s0, 4
	s_add_i32 s0, s0, 16
	scratch_load_dwordx4 v[0:3], off, s0
	scratch_load_dwordx4 v[4:7], off, s21
	s_waitcnt vmcnt(1)
	scratch_store_dwordx4 off, v[0:3], s21
	s_waitcnt vmcnt(1)
	scratch_store_dwordx4 off, v[4:7], s0
.LBB52_340:
	v_mov_b32_e32 v0, 0
	global_load_dword v1, v0, s[16:17] offset:188
	s_waitcnt vmcnt(0)
	v_readfirstlane_b32 s0, v1
	s_add_i32 s0, s0, -1
	s_cmp_eq_u32 s0, 47
	s_cbranch_scc1 .LBB52_342
; %bb.341:
	s_lshl_b32 s0, s0, 4
	s_add_i32 s0, s0, 16
	scratch_load_dwordx4 v[2:5], off, s0
	scratch_load_dwordx4 v[6:9], off, s20
	s_waitcnt vmcnt(1)
	scratch_store_dwordx4 off, v[2:5], s20
	s_waitcnt vmcnt(1)
	scratch_store_dwordx4 off, v[6:9], s0
.LBB52_342:
	global_load_dword v0, v0, s[16:17] offset:184
	s_waitcnt vmcnt(0)
	v_readfirstlane_b32 s0, v0
	s_add_i32 s0, s0, -1
	s_cmp_eq_u32 s0, 46
	s_cbranch_scc1 .LBB52_344
; %bb.343:
	s_lshl_b32 s0, s0, 4
	s_add_i32 s0, s0, 16
	scratch_load_dwordx4 v[0:3], off, s0
	scratch_load_dwordx4 v[4:7], off, s23
	s_waitcnt vmcnt(1)
	scratch_store_dwordx4 off, v[0:3], s23
	s_waitcnt vmcnt(1)
	scratch_store_dwordx4 off, v[4:7], s0
.LBB52_344:
	v_mov_b32_e32 v0, 0
	global_load_dword v1, v0, s[16:17] offset:180
	s_waitcnt vmcnt(0)
	v_readfirstlane_b32 s0, v1
	s_add_i32 s0, s0, -1
	s_cmp_eq_u32 s0, 45
	s_cbranch_scc1 .LBB52_346
; %bb.345:
	s_lshl_b32 s0, s0, 4
	s_add_i32 s0, s0, 16
	scratch_load_dwordx4 v[2:5], off, s0
	scratch_load_dwordx4 v[6:9], off, s22
	s_waitcnt vmcnt(1)
	scratch_store_dwordx4 off, v[2:5], s22
	s_waitcnt vmcnt(1)
	scratch_store_dwordx4 off, v[6:9], s0
.LBB52_346:
	global_load_dword v0, v0, s[16:17] offset:176
	s_waitcnt vmcnt(0)
	v_readfirstlane_b32 s0, v0
	s_add_i32 s0, s0, -1
	s_cmp_eq_u32 s0, 44
	s_cbranch_scc1 .LBB52_348
; %bb.347:
	s_lshl_b32 s0, s0, 4
	s_add_i32 s0, s0, 16
	scratch_load_dwordx4 v[0:3], off, s0
	scratch_load_dwordx4 v[4:7], off, s25
	s_waitcnt vmcnt(1)
	scratch_store_dwordx4 off, v[0:3], s25
	s_waitcnt vmcnt(1)
	scratch_store_dwordx4 off, v[4:7], s0
.LBB52_348:
	v_mov_b32_e32 v0, 0
	global_load_dword v1, v0, s[16:17] offset:172
	s_waitcnt vmcnt(0)
	v_readfirstlane_b32 s0, v1
	s_add_i32 s0, s0, -1
	s_cmp_eq_u32 s0, 43
	s_cbranch_scc1 .LBB52_350
; %bb.349:
	s_lshl_b32 s0, s0, 4
	s_add_i32 s0, s0, 16
	scratch_load_dwordx4 v[2:5], off, s0
	scratch_load_dwordx4 v[6:9], off, s24
	s_waitcnt vmcnt(1)
	scratch_store_dwordx4 off, v[2:5], s24
	s_waitcnt vmcnt(1)
	scratch_store_dwordx4 off, v[6:9], s0
.LBB52_350:
	global_load_dword v0, v0, s[16:17] offset:168
	s_waitcnt vmcnt(0)
	v_readfirstlane_b32 s0, v0
	s_add_i32 s0, s0, -1
	s_cmp_eq_u32 s0, 42
	s_cbranch_scc1 .LBB52_352
; %bb.351:
	s_lshl_b32 s0, s0, 4
	s_add_i32 s0, s0, 16
	scratch_load_dwordx4 v[0:3], off, s0
	scratch_load_dwordx4 v[4:7], off, s27
	s_waitcnt vmcnt(1)
	scratch_store_dwordx4 off, v[0:3], s27
	s_waitcnt vmcnt(1)
	scratch_store_dwordx4 off, v[4:7], s0
.LBB52_352:
	v_mov_b32_e32 v0, 0
	global_load_dword v1, v0, s[16:17] offset:164
	s_waitcnt vmcnt(0)
	v_readfirstlane_b32 s0, v1
	s_add_i32 s0, s0, -1
	s_cmp_eq_u32 s0, 41
	s_cbranch_scc1 .LBB52_354
; %bb.353:
	s_lshl_b32 s0, s0, 4
	s_add_i32 s0, s0, 16
	scratch_load_dwordx4 v[2:5], off, s0
	scratch_load_dwordx4 v[6:9], off, s26
	s_waitcnt vmcnt(1)
	scratch_store_dwordx4 off, v[2:5], s26
	s_waitcnt vmcnt(1)
	scratch_store_dwordx4 off, v[6:9], s0
.LBB52_354:
	global_load_dword v0, v0, s[16:17] offset:160
	s_waitcnt vmcnt(0)
	v_readfirstlane_b32 s0, v0
	s_add_i32 s0, s0, -1
	s_cmp_eq_u32 s0, 40
	s_cbranch_scc1 .LBB52_356
; %bb.355:
	s_lshl_b32 s0, s0, 4
	s_add_i32 s0, s0, 16
	scratch_load_dwordx4 v[0:3], off, s0
	scratch_load_dwordx4 v[4:7], off, s29
	s_waitcnt vmcnt(1)
	scratch_store_dwordx4 off, v[0:3], s29
	s_waitcnt vmcnt(1)
	scratch_store_dwordx4 off, v[4:7], s0
.LBB52_356:
	v_mov_b32_e32 v0, 0
	global_load_dword v1, v0, s[16:17] offset:156
	s_waitcnt vmcnt(0)
	v_readfirstlane_b32 s0, v1
	s_add_i32 s0, s0, -1
	s_cmp_eq_u32 s0, 39
	s_cbranch_scc1 .LBB52_358
; %bb.357:
	s_lshl_b32 s0, s0, 4
	s_add_i32 s0, s0, 16
	scratch_load_dwordx4 v[2:5], off, s0
	scratch_load_dwordx4 v[6:9], off, s28
	s_waitcnt vmcnt(1)
	scratch_store_dwordx4 off, v[2:5], s28
	s_waitcnt vmcnt(1)
	scratch_store_dwordx4 off, v[6:9], s0
.LBB52_358:
	global_load_dword v0, v0, s[16:17] offset:152
	s_waitcnt vmcnt(0)
	v_readfirstlane_b32 s0, v0
	s_add_i32 s0, s0, -1
	s_cmp_eq_u32 s0, 38
	s_cbranch_scc1 .LBB52_360
; %bb.359:
	s_lshl_b32 s0, s0, 4
	s_add_i32 s0, s0, 16
	scratch_load_dwordx4 v[0:3], off, s0
	scratch_load_dwordx4 v[4:7], off, s31
	s_waitcnt vmcnt(1)
	scratch_store_dwordx4 off, v[0:3], s31
	s_waitcnt vmcnt(1)
	scratch_store_dwordx4 off, v[4:7], s0
.LBB52_360:
	v_mov_b32_e32 v0, 0
	global_load_dword v1, v0, s[16:17] offset:148
	s_waitcnt vmcnt(0)
	v_readfirstlane_b32 s0, v1
	s_add_i32 s0, s0, -1
	s_cmp_eq_u32 s0, 37
	s_cbranch_scc1 .LBB52_362
; %bb.361:
	s_lshl_b32 s0, s0, 4
	s_add_i32 s0, s0, 16
	scratch_load_dwordx4 v[2:5], off, s0
	scratch_load_dwordx4 v[6:9], off, s30
	s_waitcnt vmcnt(1)
	scratch_store_dwordx4 off, v[2:5], s30
	s_waitcnt vmcnt(1)
	scratch_store_dwordx4 off, v[6:9], s0
.LBB52_362:
	global_load_dword v0, v0, s[16:17] offset:144
	s_waitcnt vmcnt(0)
	v_readfirstlane_b32 s0, v0
	s_add_i32 s0, s0, -1
	s_cmp_eq_u32 s0, 36
	s_cbranch_scc1 .LBB52_364
; %bb.363:
	s_lshl_b32 s0, s0, 4
	s_add_i32 s0, s0, 16
	scratch_load_dwordx4 v[0:3], off, s0
	scratch_load_dwordx4 v[4:7], off, s34
	s_waitcnt vmcnt(1)
	scratch_store_dwordx4 off, v[0:3], s34
	s_waitcnt vmcnt(1)
	scratch_store_dwordx4 off, v[4:7], s0
.LBB52_364:
	v_mov_b32_e32 v0, 0
	global_load_dword v1, v0, s[16:17] offset:140
	s_waitcnt vmcnt(0)
	v_readfirstlane_b32 s0, v1
	s_add_i32 s0, s0, -1
	s_cmp_eq_u32 s0, 35
	s_cbranch_scc1 .LBB52_366
; %bb.365:
	s_lshl_b32 s0, s0, 4
	s_add_i32 s0, s0, 16
	scratch_load_dwordx4 v[2:5], off, s0
	scratch_load_dwordx4 v[6:9], off, s33
	s_waitcnt vmcnt(1)
	scratch_store_dwordx4 off, v[2:5], s33
	s_waitcnt vmcnt(1)
	scratch_store_dwordx4 off, v[6:9], s0
.LBB52_366:
	global_load_dword v0, v0, s[16:17] offset:136
	s_waitcnt vmcnt(0)
	v_readfirstlane_b32 s0, v0
	s_add_i32 s0, s0, -1
	s_cmp_eq_u32 s0, 34
	s_cbranch_scc1 .LBB52_368
; %bb.367:
	s_lshl_b32 s0, s0, 4
	s_add_i32 s0, s0, 16
	scratch_load_dwordx4 v[0:3], off, s0
	scratch_load_dwordx4 v[4:7], off, s65
	s_waitcnt vmcnt(1)
	scratch_store_dwordx4 off, v[0:3], s65
	s_waitcnt vmcnt(1)
	scratch_store_dwordx4 off, v[4:7], s0
.LBB52_368:
	v_mov_b32_e32 v0, 0
	global_load_dword v1, v0, s[16:17] offset:132
	s_waitcnt vmcnt(0)
	v_readfirstlane_b32 s0, v1
	s_add_i32 s0, s0, -1
	s_cmp_eq_u32 s0, 33
	s_cbranch_scc1 .LBB52_370
; %bb.369:
	s_lshl_b32 s0, s0, 4
	s_add_i32 s0, s0, 16
	scratch_load_dwordx4 v[2:5], off, s0
	scratch_load_dwordx4 v[6:9], off, s64
	s_waitcnt vmcnt(1)
	scratch_store_dwordx4 off, v[2:5], s64
	s_waitcnt vmcnt(1)
	scratch_store_dwordx4 off, v[6:9], s0
.LBB52_370:
	global_load_dword v0, v0, s[16:17] offset:128
	s_waitcnt vmcnt(0)
	v_readfirstlane_b32 s0, v0
	s_add_i32 s0, s0, -1
	s_cmp_eq_u32 s0, 32
	s_cbranch_scc1 .LBB52_372
; %bb.371:
	s_lshl_b32 s0, s0, 4
	s_add_i32 s0, s0, 16
	scratch_load_dwordx4 v[0:3], off, s0
	scratch_load_dwordx4 v[4:7], off, s63
	s_waitcnt vmcnt(1)
	scratch_store_dwordx4 off, v[0:3], s63
	s_waitcnt vmcnt(1)
	scratch_store_dwordx4 off, v[4:7], s0
.LBB52_372:
	v_mov_b32_e32 v0, 0
	global_load_dword v1, v0, s[16:17] offset:124
	s_waitcnt vmcnt(0)
	v_readfirstlane_b32 s0, v1
	s_add_i32 s0, s0, -1
	s_cmp_eq_u32 s0, 31
	s_cbranch_scc1 .LBB52_374
; %bb.373:
	s_lshl_b32 s0, s0, 4
	s_add_i32 s0, s0, 16
	scratch_load_dwordx4 v[2:5], off, s0
	scratch_load_dwordx4 v[6:9], off, s62
	s_waitcnt vmcnt(1)
	scratch_store_dwordx4 off, v[2:5], s62
	s_waitcnt vmcnt(1)
	scratch_store_dwordx4 off, v[6:9], s0
.LBB52_374:
	global_load_dword v0, v0, s[16:17] offset:120
	s_waitcnt vmcnt(0)
	v_readfirstlane_b32 s0, v0
	s_add_i32 s0, s0, -1
	s_cmp_eq_u32 s0, 30
	s_cbranch_scc1 .LBB52_376
; %bb.375:
	s_lshl_b32 s0, s0, 4
	s_add_i32 s0, s0, 16
	scratch_load_dwordx4 v[0:3], off, s0
	scratch_load_dwordx4 v[4:7], off, s61
	s_waitcnt vmcnt(1)
	scratch_store_dwordx4 off, v[0:3], s61
	s_waitcnt vmcnt(1)
	scratch_store_dwordx4 off, v[4:7], s0
.LBB52_376:
	v_mov_b32_e32 v0, 0
	global_load_dword v1, v0, s[16:17] offset:116
	s_waitcnt vmcnt(0)
	v_readfirstlane_b32 s0, v1
	s_add_i32 s0, s0, -1
	s_cmp_eq_u32 s0, 29
	s_cbranch_scc1 .LBB52_378
; %bb.377:
	s_lshl_b32 s0, s0, 4
	s_add_i32 s0, s0, 16
	scratch_load_dwordx4 v[2:5], off, s0
	scratch_load_dwordx4 v[6:9], off, s60
	s_waitcnt vmcnt(1)
	scratch_store_dwordx4 off, v[2:5], s60
	s_waitcnt vmcnt(1)
	scratch_store_dwordx4 off, v[6:9], s0
.LBB52_378:
	global_load_dword v0, v0, s[16:17] offset:112
	s_waitcnt vmcnt(0)
	v_readfirstlane_b32 s0, v0
	s_add_i32 s0, s0, -1
	s_cmp_eq_u32 s0, 28
	s_cbranch_scc1 .LBB52_380
; %bb.379:
	s_lshl_b32 s0, s0, 4
	s_add_i32 s0, s0, 16
	scratch_load_dwordx4 v[0:3], off, s0
	scratch_load_dwordx4 v[4:7], off, s59
	s_waitcnt vmcnt(1)
	scratch_store_dwordx4 off, v[0:3], s59
	s_waitcnt vmcnt(1)
	scratch_store_dwordx4 off, v[4:7], s0
.LBB52_380:
	v_mov_b32_e32 v0, 0
	global_load_dword v1, v0, s[16:17] offset:108
	s_waitcnt vmcnt(0)
	v_readfirstlane_b32 s0, v1
	s_add_i32 s0, s0, -1
	s_cmp_eq_u32 s0, 27
	s_cbranch_scc1 .LBB52_382
; %bb.381:
	s_lshl_b32 s0, s0, 4
	s_add_i32 s0, s0, 16
	scratch_load_dwordx4 v[2:5], off, s0
	scratch_load_dwordx4 v[6:9], off, s58
	s_waitcnt vmcnt(1)
	scratch_store_dwordx4 off, v[2:5], s58
	s_waitcnt vmcnt(1)
	scratch_store_dwordx4 off, v[6:9], s0
.LBB52_382:
	global_load_dword v0, v0, s[16:17] offset:104
	s_waitcnt vmcnt(0)
	v_readfirstlane_b32 s0, v0
	s_add_i32 s0, s0, -1
	s_cmp_eq_u32 s0, 26
	s_cbranch_scc1 .LBB52_384
; %bb.383:
	s_lshl_b32 s0, s0, 4
	s_add_i32 s0, s0, 16
	scratch_load_dwordx4 v[0:3], off, s0
	scratch_load_dwordx4 v[4:7], off, s57
	s_waitcnt vmcnt(1)
	scratch_store_dwordx4 off, v[0:3], s57
	s_waitcnt vmcnt(1)
	scratch_store_dwordx4 off, v[4:7], s0
.LBB52_384:
	v_mov_b32_e32 v0, 0
	global_load_dword v1, v0, s[16:17] offset:100
	s_waitcnt vmcnt(0)
	v_readfirstlane_b32 s0, v1
	s_add_i32 s0, s0, -1
	s_cmp_eq_u32 s0, 25
	s_cbranch_scc1 .LBB52_386
; %bb.385:
	s_lshl_b32 s0, s0, 4
	s_add_i32 s0, s0, 16
	scratch_load_dwordx4 v[2:5], off, s0
	scratch_load_dwordx4 v[6:9], off, s56
	s_waitcnt vmcnt(1)
	scratch_store_dwordx4 off, v[2:5], s56
	s_waitcnt vmcnt(1)
	scratch_store_dwordx4 off, v[6:9], s0
.LBB52_386:
	global_load_dword v0, v0, s[16:17] offset:96
	s_waitcnt vmcnt(0)
	v_readfirstlane_b32 s0, v0
	s_add_i32 s0, s0, -1
	s_cmp_eq_u32 s0, 24
	s_cbranch_scc1 .LBB52_388
; %bb.387:
	s_lshl_b32 s0, s0, 4
	s_add_i32 s0, s0, 16
	scratch_load_dwordx4 v[0:3], off, s0
	scratch_load_dwordx4 v[4:7], off, s55
	s_waitcnt vmcnt(1)
	scratch_store_dwordx4 off, v[0:3], s55
	s_waitcnt vmcnt(1)
	scratch_store_dwordx4 off, v[4:7], s0
.LBB52_388:
	v_mov_b32_e32 v0, 0
	global_load_dword v1, v0, s[16:17] offset:92
	s_waitcnt vmcnt(0)
	v_readfirstlane_b32 s0, v1
	s_add_i32 s0, s0, -1
	s_cmp_eq_u32 s0, 23
	s_cbranch_scc1 .LBB52_390
; %bb.389:
	s_lshl_b32 s0, s0, 4
	s_add_i32 s0, s0, 16
	scratch_load_dwordx4 v[2:5], off, s0
	scratch_load_dwordx4 v[6:9], off, s54
	s_waitcnt vmcnt(1)
	scratch_store_dwordx4 off, v[2:5], s54
	s_waitcnt vmcnt(1)
	scratch_store_dwordx4 off, v[6:9], s0
.LBB52_390:
	global_load_dword v0, v0, s[16:17] offset:88
	s_waitcnt vmcnt(0)
	v_readfirstlane_b32 s0, v0
	s_add_i32 s0, s0, -1
	s_cmp_eq_u32 s0, 22
	s_cbranch_scc1 .LBB52_392
; %bb.391:
	s_lshl_b32 s0, s0, 4
	s_add_i32 s0, s0, 16
	scratch_load_dwordx4 v[0:3], off, s0
	scratch_load_dwordx4 v[4:7], off, s53
	s_waitcnt vmcnt(1)
	scratch_store_dwordx4 off, v[0:3], s53
	s_waitcnt vmcnt(1)
	scratch_store_dwordx4 off, v[4:7], s0
.LBB52_392:
	v_mov_b32_e32 v0, 0
	global_load_dword v1, v0, s[16:17] offset:84
	s_waitcnt vmcnt(0)
	v_readfirstlane_b32 s0, v1
	s_add_i32 s0, s0, -1
	s_cmp_eq_u32 s0, 21
	s_cbranch_scc1 .LBB52_394
; %bb.393:
	s_lshl_b32 s0, s0, 4
	s_add_i32 s0, s0, 16
	scratch_load_dwordx4 v[2:5], off, s0
	scratch_load_dwordx4 v[6:9], off, s52
	s_waitcnt vmcnt(1)
	scratch_store_dwordx4 off, v[2:5], s52
	s_waitcnt vmcnt(1)
	scratch_store_dwordx4 off, v[6:9], s0
.LBB52_394:
	global_load_dword v0, v0, s[16:17] offset:80
	s_waitcnt vmcnt(0)
	v_readfirstlane_b32 s0, v0
	s_add_i32 s0, s0, -1
	s_cmp_eq_u32 s0, 20
	s_cbranch_scc1 .LBB52_396
; %bb.395:
	s_lshl_b32 s0, s0, 4
	s_add_i32 s0, s0, 16
	scratch_load_dwordx4 v[0:3], off, s0
	scratch_load_dwordx4 v[4:7], off, s51
	s_waitcnt vmcnt(1)
	scratch_store_dwordx4 off, v[0:3], s51
	s_waitcnt vmcnt(1)
	scratch_store_dwordx4 off, v[4:7], s0
.LBB52_396:
	v_mov_b32_e32 v0, 0
	global_load_dword v1, v0, s[16:17] offset:76
	s_waitcnt vmcnt(0)
	v_readfirstlane_b32 s0, v1
	s_add_i32 s0, s0, -1
	s_cmp_eq_u32 s0, 19
	s_cbranch_scc1 .LBB52_398
; %bb.397:
	s_lshl_b32 s0, s0, 4
	s_add_i32 s0, s0, 16
	scratch_load_dwordx4 v[2:5], off, s0
	scratch_load_dwordx4 v[6:9], off, s50
	s_waitcnt vmcnt(1)
	scratch_store_dwordx4 off, v[2:5], s50
	s_waitcnt vmcnt(1)
	scratch_store_dwordx4 off, v[6:9], s0
.LBB52_398:
	global_load_dword v0, v0, s[16:17] offset:72
	s_waitcnt vmcnt(0)
	v_readfirstlane_b32 s0, v0
	s_add_i32 s0, s0, -1
	s_cmp_eq_u32 s0, 18
	s_cbranch_scc1 .LBB52_400
; %bb.399:
	s_lshl_b32 s0, s0, 4
	s_add_i32 s0, s0, 16
	scratch_load_dwordx4 v[0:3], off, s0
	scratch_load_dwordx4 v[4:7], off, s49
	s_waitcnt vmcnt(1)
	scratch_store_dwordx4 off, v[0:3], s49
	s_waitcnt vmcnt(1)
	scratch_store_dwordx4 off, v[4:7], s0
.LBB52_400:
	v_mov_b32_e32 v0, 0
	global_load_dword v1, v0, s[16:17] offset:68
	s_waitcnt vmcnt(0)
	v_readfirstlane_b32 s0, v1
	s_add_i32 s0, s0, -1
	s_cmp_eq_u32 s0, 17
	s_cbranch_scc1 .LBB52_402
; %bb.401:
	s_lshl_b32 s0, s0, 4
	s_add_i32 s0, s0, 16
	scratch_load_dwordx4 v[2:5], off, s0
	scratch_load_dwordx4 v[6:9], off, s48
	s_waitcnt vmcnt(1)
	scratch_store_dwordx4 off, v[2:5], s48
	s_waitcnt vmcnt(1)
	scratch_store_dwordx4 off, v[6:9], s0
.LBB52_402:
	global_load_dword v0, v0, s[16:17] offset:64
	s_waitcnt vmcnt(0)
	v_readfirstlane_b32 s0, v0
	s_add_i32 s0, s0, -1
	s_cmp_eq_u32 s0, 16
	s_cbranch_scc1 .LBB52_404
; %bb.403:
	s_lshl_b32 s0, s0, 4
	s_add_i32 s0, s0, 16
	scratch_load_dwordx4 v[0:3], off, s0
	scratch_load_dwordx4 v[4:7], off, s47
	s_waitcnt vmcnt(1)
	scratch_store_dwordx4 off, v[0:3], s47
	s_waitcnt vmcnt(1)
	scratch_store_dwordx4 off, v[4:7], s0
.LBB52_404:
	v_mov_b32_e32 v0, 0
	global_load_dword v1, v0, s[16:17] offset:60
	s_waitcnt vmcnt(0)
	v_readfirstlane_b32 s0, v1
	s_add_i32 s0, s0, -1
	s_cmp_eq_u32 s0, 15
	s_cbranch_scc1 .LBB52_406
; %bb.405:
	s_lshl_b32 s0, s0, 4
	s_add_i32 s0, s0, 16
	scratch_load_dwordx4 v[2:5], off, s0
	scratch_load_dwordx4 v[6:9], off, s46
	s_waitcnt vmcnt(1)
	scratch_store_dwordx4 off, v[2:5], s46
	s_waitcnt vmcnt(1)
	scratch_store_dwordx4 off, v[6:9], s0
.LBB52_406:
	global_load_dword v0, v0, s[16:17] offset:56
	s_waitcnt vmcnt(0)
	v_readfirstlane_b32 s0, v0
	s_add_i32 s0, s0, -1
	s_cmp_eq_u32 s0, 14
	s_cbranch_scc1 .LBB52_408
; %bb.407:
	s_lshl_b32 s0, s0, 4
	s_add_i32 s0, s0, 16
	scratch_load_dwordx4 v[0:3], off, s0
	scratch_load_dwordx4 v[4:7], off, s45
	s_waitcnt vmcnt(1)
	scratch_store_dwordx4 off, v[0:3], s45
	s_waitcnt vmcnt(1)
	scratch_store_dwordx4 off, v[4:7], s0
.LBB52_408:
	v_mov_b32_e32 v0, 0
	global_load_dword v1, v0, s[16:17] offset:52
	s_waitcnt vmcnt(0)
	v_readfirstlane_b32 s0, v1
	s_add_i32 s0, s0, -1
	s_cmp_eq_u32 s0, 13
	s_cbranch_scc1 .LBB52_410
; %bb.409:
	s_lshl_b32 s0, s0, 4
	s_add_i32 s0, s0, 16
	scratch_load_dwordx4 v[2:5], off, s0
	scratch_load_dwordx4 v[6:9], off, s44
	s_waitcnt vmcnt(1)
	scratch_store_dwordx4 off, v[2:5], s44
	s_waitcnt vmcnt(1)
	scratch_store_dwordx4 off, v[6:9], s0
.LBB52_410:
	global_load_dword v0, v0, s[16:17] offset:48
	s_waitcnt vmcnt(0)
	v_readfirstlane_b32 s0, v0
	s_add_i32 s0, s0, -1
	s_cmp_eq_u32 s0, 12
	s_cbranch_scc1 .LBB52_412
; %bb.411:
	s_lshl_b32 s0, s0, 4
	s_add_i32 s0, s0, 16
	scratch_load_dwordx4 v[0:3], off, s0
	scratch_load_dwordx4 v[4:7], off, s43
	s_waitcnt vmcnt(1)
	scratch_store_dwordx4 off, v[0:3], s43
	s_waitcnt vmcnt(1)
	scratch_store_dwordx4 off, v[4:7], s0
.LBB52_412:
	v_mov_b32_e32 v0, 0
	global_load_dword v1, v0, s[16:17] offset:44
	s_waitcnt vmcnt(0)
	v_readfirstlane_b32 s0, v1
	s_add_i32 s0, s0, -1
	s_cmp_eq_u32 s0, 11
	s_cbranch_scc1 .LBB52_414
; %bb.413:
	s_lshl_b32 s0, s0, 4
	s_add_i32 s0, s0, 16
	scratch_load_dwordx4 v[2:5], off, s0
	scratch_load_dwordx4 v[6:9], off, s42
	s_waitcnt vmcnt(1)
	scratch_store_dwordx4 off, v[2:5], s42
	s_waitcnt vmcnt(1)
	scratch_store_dwordx4 off, v[6:9], s0
.LBB52_414:
	global_load_dword v0, v0, s[16:17] offset:40
	s_waitcnt vmcnt(0)
	v_readfirstlane_b32 s0, v0
	s_add_i32 s0, s0, -1
	s_cmp_eq_u32 s0, 10
	s_cbranch_scc1 .LBB52_416
; %bb.415:
	s_lshl_b32 s0, s0, 4
	s_add_i32 s0, s0, 16
	scratch_load_dwordx4 v[0:3], off, s0
	scratch_load_dwordx4 v[4:7], off, s41
	s_waitcnt vmcnt(1)
	scratch_store_dwordx4 off, v[0:3], s41
	s_waitcnt vmcnt(1)
	scratch_store_dwordx4 off, v[4:7], s0
.LBB52_416:
	v_mov_b32_e32 v0, 0
	global_load_dword v1, v0, s[16:17] offset:36
	s_waitcnt vmcnt(0)
	v_readfirstlane_b32 s0, v1
	s_add_i32 s0, s0, -1
	s_cmp_eq_u32 s0, 9
	s_cbranch_scc1 .LBB52_418
; %bb.417:
	s_lshl_b32 s0, s0, 4
	s_add_i32 s0, s0, 16
	scratch_load_dwordx4 v[2:5], off, s0
	scratch_load_dwordx4 v[6:9], off, s40
	s_waitcnt vmcnt(1)
	scratch_store_dwordx4 off, v[2:5], s40
	s_waitcnt vmcnt(1)
	scratch_store_dwordx4 off, v[6:9], s0
.LBB52_418:
	global_load_dword v0, v0, s[16:17] offset:32
	s_waitcnt vmcnt(0)
	v_readfirstlane_b32 s0, v0
	s_add_i32 s0, s0, -1
	s_cmp_eq_u32 s0, 8
	s_cbranch_scc1 .LBB52_420
; %bb.419:
	s_lshl_b32 s0, s0, 4
	s_add_i32 s0, s0, 16
	scratch_load_dwordx4 v[0:3], off, s0
	scratch_load_dwordx4 v[4:7], off, s39
	s_waitcnt vmcnt(1)
	scratch_store_dwordx4 off, v[0:3], s39
	s_waitcnt vmcnt(1)
	scratch_store_dwordx4 off, v[4:7], s0
.LBB52_420:
	v_mov_b32_e32 v0, 0
	global_load_dword v1, v0, s[16:17] offset:28
	s_waitcnt vmcnt(0)
	v_readfirstlane_b32 s0, v1
	s_add_i32 s0, s0, -1
	s_cmp_eq_u32 s0, 7
	s_cbranch_scc1 .LBB52_422
; %bb.421:
	s_lshl_b32 s0, s0, 4
	s_add_i32 s0, s0, 16
	scratch_load_dwordx4 v[2:5], off, s0
	scratch_load_dwordx4 v[6:9], off, s38
	s_waitcnt vmcnt(1)
	scratch_store_dwordx4 off, v[2:5], s38
	s_waitcnt vmcnt(1)
	scratch_store_dwordx4 off, v[6:9], s0
.LBB52_422:
	global_load_dword v0, v0, s[16:17] offset:24
	s_waitcnt vmcnt(0)
	v_readfirstlane_b32 s0, v0
	s_add_i32 s0, s0, -1
	s_cmp_eq_u32 s0, 6
	s_cbranch_scc1 .LBB52_424
; %bb.423:
	s_lshl_b32 s0, s0, 4
	s_add_i32 s0, s0, 16
	scratch_load_dwordx4 v[0:3], off, s0
	scratch_load_dwordx4 v[4:7], off, s37
	s_waitcnt vmcnt(1)
	scratch_store_dwordx4 off, v[0:3], s37
	s_waitcnt vmcnt(1)
	scratch_store_dwordx4 off, v[4:7], s0
.LBB52_424:
	v_mov_b32_e32 v0, 0
	global_load_dword v1, v0, s[16:17] offset:20
	s_waitcnt vmcnt(0)
	v_readfirstlane_b32 s0, v1
	s_add_i32 s0, s0, -1
	s_cmp_eq_u32 s0, 5
	s_cbranch_scc1 .LBB52_426
; %bb.425:
	s_lshl_b32 s0, s0, 4
	s_add_i32 s0, s0, 16
	scratch_load_dwordx4 v[2:5], off, s0
	scratch_load_dwordx4 v[6:9], off, s36
	s_waitcnt vmcnt(1)
	scratch_store_dwordx4 off, v[2:5], s36
	s_waitcnt vmcnt(1)
	scratch_store_dwordx4 off, v[6:9], s0
.LBB52_426:
	global_load_dword v0, v0, s[16:17] offset:16
	s_waitcnt vmcnt(0)
	v_readfirstlane_b32 s0, v0
	s_add_i32 s0, s0, -1
	s_cmp_eq_u32 s0, 4
	s_cbranch_scc1 .LBB52_428
; %bb.427:
	s_lshl_b32 s0, s0, 4
	s_add_i32 s0, s0, 16
	scratch_load_dwordx4 v[0:3], off, s0
	scratch_load_dwordx4 v[4:7], off, s35
	s_waitcnt vmcnt(1)
	scratch_store_dwordx4 off, v[0:3], s35
	s_waitcnt vmcnt(1)
	scratch_store_dwordx4 off, v[4:7], s0
.LBB52_428:
	v_mov_b32_e32 v0, 0
	global_load_dword v1, v0, s[16:17] offset:12
	s_waitcnt vmcnt(0)
	v_readfirstlane_b32 s0, v1
	s_add_i32 s0, s0, -1
	s_cmp_eq_u32 s0, 3
	s_cbranch_scc1 .LBB52_430
; %bb.429:
	s_lshl_b32 s0, s0, 4
	s_add_i32 s0, s0, 16
	scratch_load_dwordx4 v[2:5], off, s0
	scratch_load_dwordx4 v[6:9], off, s66
	s_waitcnt vmcnt(1)
	scratch_store_dwordx4 off, v[2:5], s66
	s_waitcnt vmcnt(1)
	scratch_store_dwordx4 off, v[6:9], s0
.LBB52_430:
	global_load_dword v0, v0, s[16:17] offset:8
	s_waitcnt vmcnt(0)
	v_readfirstlane_b32 s0, v0
	s_add_i32 s0, s0, -1
	s_cmp_eq_u32 s0, 2
	s_cbranch_scc1 .LBB52_432
; %bb.431:
	s_lshl_b32 s0, s0, 4
	s_add_i32 s0, s0, 16
	scratch_load_dwordx4 v[0:3], off, s0
	scratch_load_dwordx4 v[4:7], off, s67
	s_waitcnt vmcnt(1)
	scratch_store_dwordx4 off, v[0:3], s67
	s_waitcnt vmcnt(1)
	scratch_store_dwordx4 off, v[4:7], s0
.LBB52_432:
	v_mov_b32_e32 v0, 0
	global_load_dword v1, v0, s[16:17] offset:4
	s_waitcnt vmcnt(0)
	v_readfirstlane_b32 s0, v1
	s_add_i32 s0, s0, -1
	s_cmp_eq_u32 s0, 1
	s_cbranch_scc1 .LBB52_434
; %bb.433:
	s_lshl_b32 s0, s0, 4
	s_add_i32 s0, s0, 16
	scratch_load_dwordx4 v[2:5], off, s0
	scratch_load_dwordx4 v[6:9], off, s68
	s_waitcnt vmcnt(1)
	scratch_store_dwordx4 off, v[2:5], s68
	s_waitcnt vmcnt(1)
	scratch_store_dwordx4 off, v[6:9], s0
.LBB52_434:
	global_load_dword v0, v0, s[16:17]
	s_waitcnt vmcnt(0)
	v_readfirstlane_b32 s0, v0
	s_add_i32 s0, s0, -1
	s_cmp_eq_u32 s0, 0
	s_cbranch_scc1 .LBB52_436
; %bb.435:
	s_lshl_b32 s0, s0, 4
	s_add_i32 s0, s0, 16
	scratch_load_dwordx4 v[0:3], off, s0
	scratch_load_dwordx4 v[4:7], off, off offset:16
	s_waitcnt vmcnt(1)
	scratch_store_dwordx4 off, v[0:3], off offset:16
	s_waitcnt vmcnt(1)
	scratch_store_dwordx4 off, v[4:7], s0
.LBB52_436:
	scratch_load_dwordx4 v[0:3], off, off offset:16
	s_nop 0
	scratch_load_dwordx4 v[4:7], off, s68
	scratch_load_dwordx4 v[8:11], off, s67
	;; [unrolled: 1-line block ×34, first 2 shown]
	v_accvgpr_read_b32 v141, a1
	v_accvgpr_read_b32 v140, a0
	;; [unrolled: 1-line block ×16, first 2 shown]
	s_waitcnt vmcnt(34)
	global_store_dwordx4 v[140:141], v[0:3], off
	scratch_load_dwordx4 v[0:3], off, s33
	s_nop 0
	scratch_load_dwordx4 v[140:143], off, s34
	s_waitcnt vmcnt(36)
	global_store_dwordx4 v[144:145], v[4:7], off
	scratch_load_dwordx4 v[4:7], off, s30
	s_nop 0
	scratch_load_dwordx4 v[144:147], off, s31
	;; [unrolled: 5-line block ×3, first 2 shown]
	s_waitcnt vmcnt(40)
	global_store_dwordx4 v[152:153], v[12:15], off
	v_accvgpr_read_b32 v153, a11
	v_accvgpr_read_b32 v152, a10
	;; [unrolled: 1-line block ×4, first 2 shown]
	s_waitcnt vmcnt(40)
	global_store_dwordx4 v[12:13], v[16:19], off
	scratch_load_dwordx4 v[12:15], off, s26
	s_nop 0
	scratch_load_dwordx4 v[16:19], off, s27
	s_waitcnt vmcnt(42)
	global_store_dwordx4 v[152:153], v[20:23], off
	scratch_load_dwordx4 v[20:23], off, s24
	s_nop 0
	scratch_load_dwordx4 v[152:155], off, s25
	;; [unrolled: 5-line block ×3, first 2 shown]
	s_waitcnt vmcnt(46)
	global_store_dwordx4 v[160:161], v[28:31], off
	v_accvgpr_read_b32 v161, a19
	v_accvgpr_read_b32 v160, a18
	;; [unrolled: 1-line block ×4, first 2 shown]
	s_waitcnt vmcnt(46)
	global_store_dwordx4 v[28:29], v[32:35], off
	scratch_load_dwordx4 v[28:31], off, s20
	s_nop 0
	scratch_load_dwordx4 v[32:35], off, s21
	s_waitcnt vmcnt(48)
	global_store_dwordx4 v[160:161], v[36:39], off
	scratch_load_dwordx4 v[36:39], off, s14
	s_nop 0
	scratch_load_dwordx4 v[160:163], off, s15
	;; [unrolled: 5-line block ×3, first 2 shown]
	s_waitcnt vmcnt(52)
	global_store_dwordx4 v[168:169], v[44:47], off
	s_nop 1
	v_accvgpr_read_b32 v45, a25
	v_accvgpr_read_b32 v44, a24
	s_waitcnt vmcnt(52)
	global_store_dwordx4 v[44:45], v[48:51], off
	v_accvgpr_read_b32 v45, a27
	v_accvgpr_read_b32 v44, a26
	s_waitcnt vmcnt(52)
	global_store_dwordx4 v[44:45], v[52:55], off
	;; [unrolled: 4-line block ×24, first 2 shown]
	s_nop 1
	v_accvgpr_read_b32 v0, a72
	v_accvgpr_read_b32 v1, a73
	s_waitcnt vmcnt(51)
	global_store_dwordx4 v[0:1], v[140:143], off
	v_accvgpr_read_b32 v0, a74
	v_accvgpr_read_b32 v1, a75
	s_waitcnt vmcnt(50)
	global_store_dwordx4 v[0:1], v[4:7], off
	;; [unrolled: 4-line block ×17, first 2 shown]
	s_endpgm
	.section	.rodata,"a",@progbits
	.p2align	6, 0x0
	.amdhsa_kernel _ZN9rocsolver6v33100L18getri_kernel_smallILi53E19rocblas_complex_numIdEPS3_EEvT1_iilPiilS6_bb
		.amdhsa_group_segment_fixed_size 1704
		.amdhsa_private_segment_fixed_size 880
		.amdhsa_kernarg_size 60
		.amdhsa_user_sgpr_count 2
		.amdhsa_user_sgpr_dispatch_ptr 0
		.amdhsa_user_sgpr_queue_ptr 0
		.amdhsa_user_sgpr_kernarg_segment_ptr 1
		.amdhsa_user_sgpr_dispatch_id 0
		.amdhsa_user_sgpr_kernarg_preload_length 0
		.amdhsa_user_sgpr_kernarg_preload_offset 0
		.amdhsa_user_sgpr_private_segment_size 0
		.amdhsa_uses_dynamic_stack 0
		.amdhsa_enable_private_segment 1
		.amdhsa_system_sgpr_workgroup_id_x 1
		.amdhsa_system_sgpr_workgroup_id_y 0
		.amdhsa_system_sgpr_workgroup_id_z 0
		.amdhsa_system_sgpr_workgroup_info 0
		.amdhsa_system_vgpr_workitem_id 0
		.amdhsa_next_free_vgpr 394
		.amdhsa_next_free_sgpr 69
		.amdhsa_accum_offset 256
		.amdhsa_reserve_vcc 1
		.amdhsa_float_round_mode_32 0
		.amdhsa_float_round_mode_16_64 0
		.amdhsa_float_denorm_mode_32 3
		.amdhsa_float_denorm_mode_16_64 3
		.amdhsa_dx10_clamp 1
		.amdhsa_ieee_mode 1
		.amdhsa_fp16_overflow 0
		.amdhsa_tg_split 0
		.amdhsa_exception_fp_ieee_invalid_op 0
		.amdhsa_exception_fp_denorm_src 0
		.amdhsa_exception_fp_ieee_div_zero 0
		.amdhsa_exception_fp_ieee_overflow 0
		.amdhsa_exception_fp_ieee_underflow 0
		.amdhsa_exception_fp_ieee_inexact 0
		.amdhsa_exception_int_div_zero 0
	.end_amdhsa_kernel
	.section	.text._ZN9rocsolver6v33100L18getri_kernel_smallILi53E19rocblas_complex_numIdEPS3_EEvT1_iilPiilS6_bb,"axG",@progbits,_ZN9rocsolver6v33100L18getri_kernel_smallILi53E19rocblas_complex_numIdEPS3_EEvT1_iilPiilS6_bb,comdat
.Lfunc_end52:
	.size	_ZN9rocsolver6v33100L18getri_kernel_smallILi53E19rocblas_complex_numIdEPS3_EEvT1_iilPiilS6_bb, .Lfunc_end52-_ZN9rocsolver6v33100L18getri_kernel_smallILi53E19rocblas_complex_numIdEPS3_EEvT1_iilPiilS6_bb
                                        ; -- End function
	.set _ZN9rocsolver6v33100L18getri_kernel_smallILi53E19rocblas_complex_numIdEPS3_EEvT1_iilPiilS6_bb.num_vgpr, 256
	.set _ZN9rocsolver6v33100L18getri_kernel_smallILi53E19rocblas_complex_numIdEPS3_EEvT1_iilPiilS6_bb.num_agpr, 138
	.set _ZN9rocsolver6v33100L18getri_kernel_smallILi53E19rocblas_complex_numIdEPS3_EEvT1_iilPiilS6_bb.numbered_sgpr, 69
	.set _ZN9rocsolver6v33100L18getri_kernel_smallILi53E19rocblas_complex_numIdEPS3_EEvT1_iilPiilS6_bb.num_named_barrier, 0
	.set _ZN9rocsolver6v33100L18getri_kernel_smallILi53E19rocblas_complex_numIdEPS3_EEvT1_iilPiilS6_bb.private_seg_size, 880
	.set _ZN9rocsolver6v33100L18getri_kernel_smallILi53E19rocblas_complex_numIdEPS3_EEvT1_iilPiilS6_bb.uses_vcc, 1
	.set _ZN9rocsolver6v33100L18getri_kernel_smallILi53E19rocblas_complex_numIdEPS3_EEvT1_iilPiilS6_bb.uses_flat_scratch, 0
	.set _ZN9rocsolver6v33100L18getri_kernel_smallILi53E19rocblas_complex_numIdEPS3_EEvT1_iilPiilS6_bb.has_dyn_sized_stack, 0
	.set _ZN9rocsolver6v33100L18getri_kernel_smallILi53E19rocblas_complex_numIdEPS3_EEvT1_iilPiilS6_bb.has_recursion, 0
	.set _ZN9rocsolver6v33100L18getri_kernel_smallILi53E19rocblas_complex_numIdEPS3_EEvT1_iilPiilS6_bb.has_indirect_call, 0
	.section	.AMDGPU.csdata,"",@progbits
; Kernel info:
; codeLenInByte = 118612
; TotalNumSgprs: 75
; NumVgprs: 256
; NumAgprs: 138
; TotalNumVgprs: 394
; ScratchSize: 880
; MemoryBound: 0
; FloatMode: 240
; IeeeMode: 1
; LDSByteSize: 1704 bytes/workgroup (compile time only)
; SGPRBlocks: 9
; VGPRBlocks: 49
; NumSGPRsForWavesPerEU: 75
; NumVGPRsForWavesPerEU: 394
; AccumOffset: 256
; Occupancy: 1
; WaveLimiterHint : 1
; COMPUTE_PGM_RSRC2:SCRATCH_EN: 1
; COMPUTE_PGM_RSRC2:USER_SGPR: 2
; COMPUTE_PGM_RSRC2:TRAP_HANDLER: 0
; COMPUTE_PGM_RSRC2:TGID_X_EN: 1
; COMPUTE_PGM_RSRC2:TGID_Y_EN: 0
; COMPUTE_PGM_RSRC2:TGID_Z_EN: 0
; COMPUTE_PGM_RSRC2:TIDIG_COMP_CNT: 0
; COMPUTE_PGM_RSRC3_GFX90A:ACCUM_OFFSET: 63
; COMPUTE_PGM_RSRC3_GFX90A:TG_SPLIT: 0
	.section	.text._ZN9rocsolver6v33100L18getri_kernel_smallILi54E19rocblas_complex_numIdEPS3_EEvT1_iilPiilS6_bb,"axG",@progbits,_ZN9rocsolver6v33100L18getri_kernel_smallILi54E19rocblas_complex_numIdEPS3_EEvT1_iilPiilS6_bb,comdat
	.globl	_ZN9rocsolver6v33100L18getri_kernel_smallILi54E19rocblas_complex_numIdEPS3_EEvT1_iilPiilS6_bb ; -- Begin function _ZN9rocsolver6v33100L18getri_kernel_smallILi54E19rocblas_complex_numIdEPS3_EEvT1_iilPiilS6_bb
	.p2align	8
	.type	_ZN9rocsolver6v33100L18getri_kernel_smallILi54E19rocblas_complex_numIdEPS3_EEvT1_iilPiilS6_bb,@function
_ZN9rocsolver6v33100L18getri_kernel_smallILi54E19rocblas_complex_numIdEPS3_EEvT1_iilPiilS6_bb: ; @_ZN9rocsolver6v33100L18getri_kernel_smallILi54E19rocblas_complex_numIdEPS3_EEvT1_iilPiilS6_bb
; %bb.0:
	v_mov_b32_e32 v248, v0
	v_cmp_gt_u32_e32 vcc, 54, v248
	s_and_saveexec_b64 s[4:5], vcc
	s_cbranch_execz .LBB53_230
; %bb.1:
	s_load_dword s8, s[0:1], 0x38
	s_load_dwordx4 s[12:15], s[0:1], 0x10
	s_load_dwordx4 s[4:7], s[0:1], 0x28
                                        ; implicit-def: $sgpr16_sgpr17
	s_waitcnt lgkmcnt(0)
	s_bitcmp1_b32 s8, 8
	s_cselect_b64 s[18:19], -1, 0
	s_ashr_i32 s3, s2, 31
	s_bfe_u32 s8, s8, 0x10008
	s_cmp_eq_u32 s8, 0
	s_cbranch_scc1 .LBB53_3
; %bb.2:
	s_load_dword s8, s[0:1], 0x20
	s_mul_i32 s9, s4, s3
	s_mul_hi_u32 s10, s4, s2
	s_mul_i32 s5, s5, s2
	s_add_i32 s10, s10, s9
	s_add_i32 s5, s10, s5
	s_mul_i32 s4, s4, s2
	s_waitcnt lgkmcnt(0)
	s_ashr_i32 s9, s8, 31
	s_lshl_b64 s[4:5], s[4:5], 2
	s_add_u32 s10, s14, s4
	s_addc_u32 s11, s15, s5
	s_lshl_b64 s[4:5], s[8:9], 2
	s_add_u32 s16, s10, s4
	s_addc_u32 s17, s11, s5
.LBB53_3:
	s_load_dwordx4 s[8:11], s[0:1], 0x0
	s_load_dword s4, s[0:1], 0x38
	s_mul_i32 s5, s12, s3
	s_mul_hi_u32 s14, s12, s2
	s_add_i32 s5, s14, s5
	s_waitcnt lgkmcnt(0)
	s_ashr_i32 s1, s10, 31
	s_mov_b32 s0, s10
	s_mul_i32 s10, s13, s2
	s_add_i32 s13, s5, s10
	s_mul_i32 s12, s12, s2
	s_lshl_b64 s[12:13], s[12:13], 4
	s_add_u32 s5, s8, s12
	s_addc_u32 s8, s9, s13
	s_lshl_b64 s[0:1], s[0:1], 4
	s_add_u32 s0, s5, s0
	s_addc_u32 s1, s8, s1
	s_add_i32 s5, s11, s11
	v_add_u32_e32 v14, s5, v248
	v_lshlrev_b32_e32 v42, 4, v248
	v_mov_b32_e32 v43, 0
	v_ashrrev_i32_e32 v15, 31, v14
	v_lshl_add_u64 v[0:1], s[0:1], 0, v[42:43]
	v_lshl_add_u64 v[10:11], v[14:15], 4, s[0:1]
	v_add_u32_e32 v14, s11, v14
	s_ashr_i32 s9, s11, 31
	s_mov_b32 s8, s11
	v_accvgpr_write_b32 a0, v0
	v_add_u32_e32 v22, s11, v14
	v_accvgpr_write_b32 a1, v1
	v_lshl_add_u64 v[0:1], s[8:9], 4, v[0:1]
	v_ashrrev_i32_e32 v23, 31, v22
	v_accvgpr_write_b32 a3, v1
	v_ashrrev_i32_e32 v15, 31, v14
	v_lshl_add_u64 v[18:19], v[22:23], 4, s[0:1]
	v_add_u32_e32 v22, s11, v22
	global_load_dwordx4 v[2:5], v42, s[0:1]
	global_load_dwordx4 v[6:9], v[0:1], off
	v_accvgpr_write_b32 a2, v0
	v_lshl_add_u64 v[0:1], v[14:15], 4, s[0:1]
	v_add_u32_e32 v30, s11, v22
	v_accvgpr_write_b32 a4, v10
	v_accvgpr_write_b32 a7, v1
	v_ashrrev_i32_e32 v23, 31, v22
	v_ashrrev_i32_e32 v31, 31, v30
	v_accvgpr_write_b32 a5, v11
	global_load_dwordx4 v[10:13], v[10:11], off
	v_accvgpr_write_b32 a6, v0
	global_load_dwordx4 v[14:17], v[0:1], off
	v_lshl_add_u64 v[0:1], v[22:23], 4, s[0:1]
	v_lshl_add_u64 v[26:27], v[30:31], 4, s[0:1]
	v_add_u32_e32 v30, s11, v30
	v_accvgpr_write_b32 a8, v18
	v_accvgpr_write_b32 a11, v1
	v_ashrrev_i32_e32 v31, 31, v30
	v_accvgpr_write_b32 a9, v19
	global_load_dwordx4 v[18:21], v[18:19], off
	v_accvgpr_write_b32 a10, v0
	global_load_dwordx4 v[22:25], v[0:1], off
	v_lshl_add_u64 v[0:1], v[30:31], 4, s[0:1]
	v_add_u32_e32 v30, s11, v30
	v_add_u32_e32 v38, s11, v30
	v_accvgpr_write_b32 a12, v26
	v_ashrrev_i32_e32 v31, 31, v30
	v_ashrrev_i32_e32 v39, 31, v38
	v_add_u32_e32 v40, s11, v38
	v_accvgpr_write_b32 a15, v1
	v_accvgpr_write_b32 a13, v27
	global_load_dwordx4 v[26:29], v[26:27], off
	v_lshl_add_u64 v[34:35], v[30:31], 4, s[0:1]
	v_accvgpr_write_b32 a14, v0
	global_load_dwordx4 v[30:33], v[0:1], off
	v_lshl_add_u64 v[0:1], v[38:39], 4, s[0:1]
	v_add_u32_e32 v48, s11, v40
	v_accvgpr_write_b32 a16, v34
	v_ashrrev_i32_e32 v41, 31, v40
	v_ashrrev_i32_e32 v49, 31, v48
	v_add_u32_e32 v50, s11, v48
	v_accvgpr_write_b32 a19, v1
	v_accvgpr_write_b32 a17, v35
	global_load_dwordx4 v[34:37], v[34:35], off
	v_lshl_add_u64 v[44:45], v[40:41], 4, s[0:1]
	v_accvgpr_write_b32 a18, v0
	global_load_dwordx4 v[38:41], v[0:1], off
	v_lshl_add_u64 v[0:1], v[48:49], 4, s[0:1]
	v_add_u32_e32 v56, s11, v50
	v_accvgpr_write_b32 a20, v44
	v_ashrrev_i32_e32 v51, 31, v50
	v_ashrrev_i32_e32 v57, 31, v56
	v_accvgpr_write_b32 a23, v1
	v_accvgpr_write_b32 a21, v45
	global_load_dwordx4 v[44:47], v[44:45], off
	v_lshl_add_u64 v[52:53], v[50:51], 4, s[0:1]
	v_accvgpr_write_b32 a22, v0
	global_load_dwordx4 v[48:51], v[0:1], off
	v_lshl_add_u64 v[0:1], v[56:57], 4, s[0:1]
	v_add_u32_e32 v56, s11, v56
	v_accvgpr_write_b32 a24, v52
	v_ashrrev_i32_e32 v57, 31, v56
	v_add_u32_e32 v64, s11, v56
	v_accvgpr_write_b32 a25, v53
	global_load_dwordx4 v[52:55], v[52:53], off
	v_lshl_add_u64 v[60:61], v[56:57], 4, s[0:1]
	v_add_u32_e32 v66, s11, v64
	v_ashrrev_i32_e32 v65, 31, v64
	v_accvgpr_write_b32 a27, v1
	global_load_dwordx4 v[56:59], v[0:1], off
	v_accvgpr_write_b32 a28, v60
	v_ashrrev_i32_e32 v67, 31, v66
	v_accvgpr_write_b32 a26, v0
	v_accvgpr_write_b32 a29, v61
	global_load_dwordx4 v[60:63], v[60:61], off
	v_lshl_add_u64 v[0:1], v[64:65], 4, s[0:1]
	v_add_u32_e32 v76, s11, v66
	v_lshl_add_u64 v[68:69], v[66:67], 4, s[0:1]
	v_ashrrev_i32_e32 v77, 31, v76
	v_accvgpr_write_b32 a31, v1
	global_load_dwordx4 v[64:67], v[0:1], off
	v_accvgpr_write_b32 a32, v68
	v_accvgpr_write_b32 a30, v0
	;; [unrolled: 1-line block ×3, first 2 shown]
	global_load_dwordx4 v[68:71], v[68:69], off
	v_lshl_add_u64 v[0:1], v[76:77], 4, s[0:1]
	global_load_dwordx4 v[72:75], v[0:1], off
	v_add_u32_e32 v80, s11, v76
	v_accvgpr_write_b32 a35, v1
	v_ashrrev_i32_e32 v81, 31, v80
	v_accvgpr_write_b32 a34, v0
	v_lshl_add_u64 v[0:1], v[80:81], 4, s[0:1]
	global_load_dwordx4 v[76:79], v[0:1], off
	s_waitcnt vmcnt(18)
	scratch_store_dwordx4 off, v[2:5], off offset:16
	s_waitcnt vmcnt(18)
	scratch_store_dwordx4 off, v[6:9], off offset:32
	;; [unrolled: 2-line block ×18, first 2 shown]
	v_add_u32_e32 v2, s11, v80
	v_add_u32_e32 v10, s11, v2
	v_ashrrev_i32_e32 v11, 31, v10
	v_lshl_add_u64 v[6:7], v[10:11], 4, s[0:1]
	v_add_u32_e32 v10, s11, v10
	v_add_u32_e32 v18, s11, v10
	v_ashrrev_i32_e32 v19, 31, v18
	v_lshl_add_u64 v[14:15], v[18:19], 4, s[0:1]
	;; [unrolled: 4-line block ×5, first 2 shown]
	v_add_u32_e32 v44, s11, v44
	v_add_u32_e32 v52, s11, v44
	v_ashrrev_i32_e32 v53, 31, v52
	v_accvgpr_write_b32 a37, v1
	v_ashrrev_i32_e32 v3, 31, v2
	v_lshl_add_u64 v[48:49], v[52:53], 4, s[0:1]
	v_add_u32_e32 v52, s11, v52
	v_accvgpr_write_b32 a36, v0
	v_lshl_add_u64 v[0:1], v[2:3], 4, s[0:1]
	v_add_u32_e32 v60, s11, v52
	v_accvgpr_write_b32 a39, v1
	v_accvgpr_write_b32 a41, v7
	v_ashrrev_i32_e32 v11, 31, v10
	v_ashrrev_i32_e32 v61, 31, v60
	v_accvgpr_write_b32 a38, v0
	global_load_dwordx4 v[2:5], v[0:1], off
	v_accvgpr_write_b32 a40, v6
	global_load_dwordx4 v[6:9], v[6:7], off
	v_lshl_add_u64 v[0:1], v[10:11], 4, s[0:1]
	v_lshl_add_u64 v[56:57], v[60:61], 4, s[0:1]
	v_add_u32_e32 v60, s11, v60
	v_accvgpr_write_b32 a43, v1
	v_accvgpr_write_b32 a45, v15
	v_ashrrev_i32_e32 v19, 31, v18
	v_add_u32_e32 v68, s11, v60
	v_accvgpr_write_b32 a42, v0
	global_load_dwordx4 v[10:13], v[0:1], off
	v_accvgpr_write_b32 a44, v14
	global_load_dwordx4 v[14:17], v[14:15], off
	v_lshl_add_u64 v[0:1], v[18:19], 4, s[0:1]
	v_ashrrev_i32_e32 v69, 31, v68
	v_accvgpr_write_b32 a47, v1
	v_accvgpr_write_b32 a49, v23
	v_ashrrev_i32_e32 v27, 31, v26
	v_lshl_add_u64 v[64:65], v[68:69], 4, s[0:1]
	v_add_u32_e32 v68, s11, v68
	s_waitcnt vmcnt(22)
	scratch_store_dwordx4 off, v[76:79], off offset:304
	v_accvgpr_write_b32 a46, v0
	global_load_dwordx4 v[18:21], v[0:1], off
	v_accvgpr_write_b32 a48, v22
	global_load_dwordx4 v[22:25], v[22:23], off
	v_lshl_add_u64 v[0:1], v[26:27], 4, s[0:1]
	v_add_u32_e32 v76, s11, v68
	v_accvgpr_write_b32 a51, v1
	v_accvgpr_write_b32 a53, v31
	v_ashrrev_i32_e32 v35, 31, v34
	v_ashrrev_i32_e32 v77, 31, v76
	v_accvgpr_write_b32 a50, v0
	global_load_dwordx4 v[26:29], v[0:1], off
	v_accvgpr_write_b32 a52, v30
	global_load_dwordx4 v[30:33], v[30:31], off
	v_lshl_add_u64 v[0:1], v[34:35], 4, s[0:1]
	v_lshl_add_u64 v[72:73], v[76:77], 4, s[0:1]
	v_add_u32_e32 v76, s11, v76
	v_accvgpr_write_b32 a55, v1
	v_accvgpr_write_b32 a57, v39
	v_ashrrev_i32_e32 v45, 31, v44
	v_add_u32_e32 v84, s11, v76
	v_accvgpr_write_b32 a54, v0
	global_load_dwordx4 v[34:37], v[0:1], off
	v_accvgpr_write_b32 a56, v38
	global_load_dwordx4 v[38:41], v[38:39], off
	v_lshl_add_u64 v[0:1], v[44:45], 4, s[0:1]
	v_ashrrev_i32_e32 v85, 31, v84
	v_accvgpr_write_b32 a59, v1
	v_accvgpr_write_b32 a61, v49
	v_ashrrev_i32_e32 v53, 31, v52
	v_lshl_add_u64 v[80:81], v[84:85], 4, s[0:1]
	v_add_u32_e32 v84, s11, v84
	v_accvgpr_write_b32 a58, v0
	global_load_dwordx4 v[44:47], v[0:1], off
	v_accvgpr_write_b32 a60, v48
	global_load_dwordx4 v[48:51], v[48:49], off
	v_lshl_add_u64 v[0:1], v[52:53], 4, s[0:1]
	v_add_u32_e32 v92, s11, v84
	v_accvgpr_write_b32 a63, v1
	v_accvgpr_write_b32 a65, v57
	v_ashrrev_i32_e32 v61, 31, v60
	v_ashrrev_i32_e32 v93, 31, v92
	v_accvgpr_write_b32 a62, v0
	global_load_dwordx4 v[52:55], v[0:1], off
	v_accvgpr_write_b32 a64, v56
	global_load_dwordx4 v[56:59], v[56:57], off
	v_lshl_add_u64 v[0:1], v[60:61], 4, s[0:1]
	v_lshl_add_u64 v[88:89], v[92:93], 4, s[0:1]
	v_add_u32_e32 v92, s11, v92
	v_accvgpr_write_b32 a67, v1
	v_accvgpr_write_b32 a69, v65
	v_ashrrev_i32_e32 v69, 31, v68
	v_add_u32_e32 v100, s11, v92
	v_accvgpr_write_b32 a66, v0
	global_load_dwordx4 v[60:63], v[0:1], off
	v_accvgpr_write_b32 a68, v64
	global_load_dwordx4 v[64:67], v[64:65], off
	v_lshl_add_u64 v[0:1], v[68:69], 4, s[0:1]
	v_ashrrev_i32_e32 v101, 31, v100
	v_accvgpr_write_b32 a71, v1
	v_accvgpr_write_b32 a72, v72
	v_ashrrev_i32_e32 v77, 31, v76
	v_lshl_add_u64 v[96:97], v[100:101], 4, s[0:1]
	v_add_u32_e32 v100, s11, v100
	;; [unrolled: 32-line block ×4, first 2 shown]
	v_accvgpr_write_b32 a94, v0
	global_load_dwordx4 v[116:119], v[0:1], off
	v_accvgpr_write_b32 a97, v121
	global_load_dwordx4 v[120:123], v[120:121], off
	v_lshl_add_u64 v[0:1], v[124:125], 4, s[0:1]
	v_add_u32_e32 v140, s11, v132
	v_accvgpr_write_b32 a99, v1
	v_accvgpr_write_b32 a100, v128
	v_ashrrev_i32_e32 v133, 31, v132
	v_ashrrev_i32_e32 v141, 31, v140
	v_accvgpr_write_b32 a98, v0
	global_load_dwordx4 v[124:127], v[0:1], off
	v_accvgpr_write_b32 a101, v129
	global_load_dwordx4 v[128:131], v[128:129], off
	v_lshl_add_u64 v[0:1], v[132:133], 4, s[0:1]
	v_lshl_add_u64 v[136:137], v[140:141], 4, s[0:1]
	v_add_u32_e32 v140, s11, v140
	v_accvgpr_write_b32 a103, v1
	v_accvgpr_write_b32 a104, v136
	v_ashrrev_i32_e32 v141, 31, v140
	v_accvgpr_write_b32 a102, v0
	global_load_dwordx4 v[132:135], v[0:1], off
	v_accvgpr_write_b32 a105, v137
	global_load_dwordx4 v[136:139], v[136:137], off
	v_lshl_add_u64 v[0:1], v[140:141], 4, s[0:1]
	s_movk_i32 s0, 0x50
	s_add_i32 s36, s0, 16
	s_movk_i32 s0, 0x60
	s_add_i32 s37, s0, 16
	;; [unrolled: 2-line block ×4, first 2 shown]
	s_movk_i32 s0, 0x90
	global_load_dwordx4 v[140:143], v[0:1], off
	s_add_i32 s40, s0, 16
	s_movk_i32 s0, 0xa0
	s_add_i32 s41, s0, 16
	s_movk_i32 s0, 0xb0
	;; [unrolled: 2-line block ×44, first 2 shown]
	v_accvgpr_write_b32 a107, v1
	s_add_i32 s66, s0, 16
	v_accvgpr_write_b32 a106, v0
	s_mov_b32 s69, 32
	s_mov_b32 s68, 48
	;; [unrolled: 1-line block ×3, first 2 shown]
	s_movk_i32 s35, 0x50
	s_bitcmp0_b32 s4, 0
	s_mov_b64 s[4:5], -1
	s_waitcnt vmcnt(35)
	scratch_store_dwordx4 off, v[2:5], off offset:320
	s_waitcnt vmcnt(35)
	scratch_store_dwordx4 off, v[6:9], off offset:336
	;; [unrolled: 2-line block ×35, first 2 shown]
	s_cbranch_scc1 .LBB53_228
; %bb.4:
	v_cmp_eq_u32_e64 s[0:1], 0, v248
	s_and_saveexec_b64 s[4:5], s[0:1]
; %bb.5:
	v_mov_b32_e32 v0, 0
	ds_write_b32 v0, v0 offset:1728
; %bb.6:
	s_or_b64 exec, exec, s[4:5]
	s_waitcnt lgkmcnt(0)
	; wave barrier
	scratch_load_dwordx4 v[2:5], v42, off offset:16
	s_waitcnt vmcnt(0)
	v_cmp_eq_f64_e32 vcc, 0, v[2:3]
	v_cmp_eq_f64_e64 s[4:5], 0, v[4:5]
	s_and_b64 s[4:5], vcc, s[4:5]
	s_and_saveexec_b64 s[8:9], s[4:5]
	s_cbranch_execz .LBB53_10
; %bb.7:
	v_mov_b32_e32 v1, 0
	ds_read_b32 v0, v1 offset:1728
	v_add_u32_e32 v2, 1, v248
	s_waitcnt lgkmcnt(0)
	v_readfirstlane_b32 s4, v0
	s_cmp_eq_u32 s4, 0
	s_cselect_b64 s[10:11], -1, 0
	v_cmp_gt_i32_e32 vcc, s4, v2
	s_or_b64 s[10:11], s[10:11], vcc
	s_and_b64 exec, exec, s[10:11]
	s_cbranch_execz .LBB53_10
; %bb.8:
	s_mov_b64 s[10:11], 0
	v_mov_b32_e32 v3, s4
.LBB53_9:                               ; =>This Inner Loop Header: Depth=1
	ds_cmpst_rtn_b32 v3, v1, v3, v2 offset:1728
	s_waitcnt lgkmcnt(0)
	v_cmp_ne_u32_e32 vcc, 0, v3
	v_cmp_le_i32_e64 s[4:5], v3, v2
	s_and_b64 s[4:5], vcc, s[4:5]
	s_and_b64 s[4:5], exec, s[4:5]
	s_or_b64 s[10:11], s[4:5], s[10:11]
	s_andn2_b64 exec, exec, s[10:11]
	s_cbranch_execnz .LBB53_9
.LBB53_10:
	s_or_b64 exec, exec, s[8:9]
	v_mov_b32_e32 v2, 0
	; wave barrier
	ds_read_b32 v1, v2 offset:1728
	s_and_saveexec_b64 s[4:5], s[0:1]
	s_cbranch_execz .LBB53_12
; %bb.11:
	s_lshl_b64 s[8:9], s[2:3], 2
	s_add_u32 s8, s6, s8
	s_addc_u32 s9, s7, s9
	s_waitcnt lgkmcnt(0)
	global_store_dword v2, v1, s[8:9]
.LBB53_12:
	s_or_b64 exec, exec, s[4:5]
	s_waitcnt lgkmcnt(0)
	v_cmp_ne_u32_e32 vcc, 0, v1
	s_mov_b64 s[4:5], 0
	s_cbranch_vccnz .LBB53_228
; %bb.13:
	v_add_u32_e32 v14, 16, v42
	scratch_load_dwordx4 v[2:5], v14, off
                                        ; implicit-def: $vgpr6_vgpr7
                                        ; implicit-def: $vgpr10_vgpr11
	s_waitcnt vmcnt(0)
	v_cmp_ngt_f64_e64 s[4:5], |v[2:3]|, |v[4:5]|
	s_and_saveexec_b64 s[8:9], s[4:5]
	s_xor_b64 s[4:5], exec, s[8:9]
	s_cbranch_execz .LBB53_15
; %bb.14:
	v_div_scale_f64 v[6:7], s[8:9], v[4:5], v[4:5], v[2:3]
	v_rcp_f64_e32 v[8:9], v[6:7]
	v_div_scale_f64 v[10:11], vcc, v[2:3], v[4:5], v[2:3]
	v_fma_f64 v[12:13], -v[6:7], v[8:9], 1.0
	v_fmac_f64_e32 v[8:9], v[8:9], v[12:13]
	v_fma_f64 v[12:13], -v[6:7], v[8:9], 1.0
	v_fmac_f64_e32 v[8:9], v[8:9], v[12:13]
	v_mul_f64 v[12:13], v[10:11], v[8:9]
	v_fma_f64 v[6:7], -v[6:7], v[12:13], v[10:11]
	v_div_fmas_f64 v[6:7], v[6:7], v[8:9], v[12:13]
	v_div_fixup_f64 v[6:7], v[6:7], v[4:5], v[2:3]
	v_fmac_f64_e32 v[4:5], v[2:3], v[6:7]
	v_div_scale_f64 v[2:3], s[8:9], v[4:5], v[4:5], 1.0
	v_rcp_f64_e32 v[8:9], v[2:3]
	s_nop 0
	v_fma_f64 v[10:11], -v[2:3], v[8:9], 1.0
	v_fmac_f64_e32 v[8:9], v[8:9], v[10:11]
	v_fma_f64 v[10:11], -v[2:3], v[8:9], 1.0
	v_fmac_f64_e32 v[8:9], v[8:9], v[10:11]
	v_div_scale_f64 v[10:11], vcc, 1.0, v[4:5], 1.0
	v_mul_f64 v[12:13], v[10:11], v[8:9]
	v_fma_f64 v[2:3], -v[2:3], v[12:13], v[10:11]
	s_nop 1
	v_div_fmas_f64 v[2:3], v[2:3], v[8:9], v[12:13]
	v_div_fixup_f64 v[8:9], v[2:3], v[4:5], 1.0
	v_mul_f64 v[6:7], v[6:7], v[8:9]
	v_xor_b32_e32 v9, 0x80000000, v9
	v_xor_b32_e32 v11, 0x80000000, v7
	v_mov_b32_e32 v10, v6
                                        ; implicit-def: $vgpr2_vgpr3
.LBB53_15:
	s_andn2_saveexec_b64 s[4:5], s[4:5]
	s_cbranch_execz .LBB53_17
; %bb.16:
	v_div_scale_f64 v[6:7], s[8:9], v[2:3], v[2:3], v[4:5]
	v_rcp_f64_e32 v[8:9], v[6:7]
	v_div_scale_f64 v[10:11], vcc, v[4:5], v[2:3], v[4:5]
	v_fma_f64 v[12:13], -v[6:7], v[8:9], 1.0
	v_fmac_f64_e32 v[8:9], v[8:9], v[12:13]
	v_fma_f64 v[12:13], -v[6:7], v[8:9], 1.0
	v_fmac_f64_e32 v[8:9], v[8:9], v[12:13]
	v_mul_f64 v[12:13], v[10:11], v[8:9]
	v_fma_f64 v[6:7], -v[6:7], v[12:13], v[10:11]
	v_div_fmas_f64 v[6:7], v[6:7], v[8:9], v[12:13]
	v_div_fixup_f64 v[8:9], v[6:7], v[2:3], v[4:5]
	v_fmac_f64_e32 v[2:3], v[4:5], v[8:9]
	v_div_scale_f64 v[4:5], s[8:9], v[2:3], v[2:3], 1.0
	v_rcp_f64_e32 v[6:7], v[4:5]
	s_nop 0
	v_fma_f64 v[10:11], -v[4:5], v[6:7], 1.0
	v_fmac_f64_e32 v[6:7], v[6:7], v[10:11]
	v_fma_f64 v[10:11], -v[4:5], v[6:7], 1.0
	v_fmac_f64_e32 v[6:7], v[6:7], v[10:11]
	v_div_scale_f64 v[10:11], vcc, 1.0, v[2:3], 1.0
	v_mul_f64 v[12:13], v[10:11], v[6:7]
	v_fma_f64 v[4:5], -v[4:5], v[12:13], v[10:11]
	s_nop 1
	v_div_fmas_f64 v[4:5], v[4:5], v[6:7], v[12:13]
	v_div_fixup_f64 v[6:7], v[4:5], v[2:3], 1.0
	v_xor_b32_e32 v11, 0x80000000, v7
	v_mov_b32_e32 v10, v6
	v_mul_f64 v[8:9], v[8:9], -v[6:7]
.LBB53_17:
	s_or_b64 exec, exec, s[4:5]
	scratch_store_dwordx4 v14, v[6:9], off
	scratch_load_dwordx4 v[2:5], off, s69
	v_xor_b32_e32 v13, 0x80000000, v9
	v_mov_b32_e32 v12, v8
	v_add_u32_e32 v1, 0x360, v42
	ds_write_b128 v42, v[10:13]
	s_waitcnt vmcnt(0)
	ds_write_b128 v42, v[2:5] offset:864
	s_waitcnt lgkmcnt(0)
	; wave barrier
	s_and_saveexec_b64 s[4:5], s[0:1]
	s_cbranch_execz .LBB53_19
; %bb.18:
	scratch_load_dwordx4 v[2:5], v14, off
	ds_read_b128 v[6:9], v1
	v_mov_b32_e32 v0, 0
	ds_read_b128 v[10:13], v0 offset:16
	s_waitcnt vmcnt(0) lgkmcnt(1)
	v_mul_f64 v[16:17], v[8:9], v[4:5]
	v_mul_f64 v[4:5], v[6:7], v[4:5]
	v_fma_f64 v[6:7], v[6:7], v[2:3], -v[16:17]
	v_fmac_f64_e32 v[4:5], v[8:9], v[2:3]
	v_add_f64 v[2:3], v[6:7], 0
	v_add_f64 v[6:7], v[4:5], 0
	s_waitcnt lgkmcnt(0)
	v_mul_f64 v[8:9], v[6:7], v[12:13]
	v_mul_f64 v[4:5], v[2:3], v[12:13]
	v_fma_f64 v[2:3], v[2:3], v[10:11], -v[8:9]
	v_fmac_f64_e32 v[4:5], v[6:7], v[10:11]
	scratch_store_dwordx4 off, v[2:5], off offset:32
.LBB53_19:
	s_or_b64 exec, exec, s[4:5]
	; wave barrier
	scratch_load_dwordx4 v[2:5], off, s68
	v_cmp_gt_u32_e32 vcc, 2, v248
	s_waitcnt vmcnt(0)
	ds_write_b128 v1, v[2:5]
	s_waitcnt lgkmcnt(0)
	; wave barrier
	s_and_saveexec_b64 s[4:5], vcc
	s_cbranch_execz .LBB53_23
; %bb.20:
	scratch_load_dwordx4 v[2:5], v14, off
	ds_read_b128 v[6:9], v1
	s_waitcnt vmcnt(0) lgkmcnt(0)
	v_mul_f64 v[10:11], v[8:9], v[4:5]
	v_mul_f64 v[12:13], v[6:7], v[4:5]
	v_fma_f64 v[4:5], v[6:7], v[2:3], -v[10:11]
	v_fmac_f64_e32 v[12:13], v[8:9], v[2:3]
	v_add_f64 v[4:5], v[4:5], 0
	v_add_f64 v[2:3], v[12:13], 0
	s_and_saveexec_b64 s[8:9], s[0:1]
	s_cbranch_execz .LBB53_22
; %bb.21:
	scratch_load_dwordx4 v[6:9], off, off offset:32
	v_mov_b32_e32 v0, 0
	ds_read_b128 v[10:13], v0 offset:880
	s_waitcnt vmcnt(0) lgkmcnt(0)
	v_mul_f64 v[14:15], v[10:11], v[8:9]
	v_mul_f64 v[8:9], v[12:13], v[8:9]
	v_fmac_f64_e32 v[14:15], v[12:13], v[6:7]
	v_fma_f64 v[6:7], v[10:11], v[6:7], -v[8:9]
	v_add_f64 v[2:3], v[2:3], v[14:15]
	v_add_f64 v[4:5], v[4:5], v[6:7]
.LBB53_22:
	s_or_b64 exec, exec, s[8:9]
	v_mov_b32_e32 v0, 0
	ds_read_b128 v[6:9], v0 offset:32
	s_waitcnt lgkmcnt(0)
	v_mul_f64 v[12:13], v[2:3], v[8:9]
	v_mul_f64 v[10:11], v[4:5], v[8:9]
	v_fma_f64 v[8:9], v[4:5], v[6:7], -v[12:13]
	v_fmac_f64_e32 v[10:11], v[2:3], v[6:7]
	scratch_store_dwordx4 off, v[8:11], off offset:48
.LBB53_23:
	s_or_b64 exec, exec, s[4:5]
	; wave barrier
	scratch_load_dwordx4 v[2:5], off, s67
	v_cmp_gt_u32_e32 vcc, 3, v248
	v_add_u32_e32 v6, -1, v248
	s_waitcnt vmcnt(0)
	ds_write_b128 v1, v[2:5]
	s_waitcnt lgkmcnt(0)
	; wave barrier
	s_and_saveexec_b64 s[0:1], vcc
	s_cbranch_execz .LBB53_27
; %bb.24:
	v_add_u32_e32 v7, -1, v248
	v_add_u32_e32 v8, 0x360, v42
	v_add_u32_e32 v9, 16, v42
	v_mov_b64_e32 v[2:3], 0
	s_mov_b64 s[4:5], 0
	v_mov_b64_e32 v[4:5], 0
.LBB53_25:                              ; =>This Inner Loop Header: Depth=1
	scratch_load_dwordx4 v[10:13], v9, off
	ds_read_b128 v[14:17], v8
	v_add_u32_e32 v7, 1, v7
	v_cmp_lt_u32_e32 vcc, 1, v7
	v_add_u32_e32 v8, 16, v8
	v_add_u32_e32 v9, 16, v9
	s_or_b64 s[4:5], vcc, s[4:5]
	s_waitcnt vmcnt(0) lgkmcnt(0)
	v_mul_f64 v[18:19], v[16:17], v[12:13]
	v_mul_f64 v[12:13], v[14:15], v[12:13]
	v_fma_f64 v[14:15], v[14:15], v[10:11], -v[18:19]
	v_fmac_f64_e32 v[12:13], v[16:17], v[10:11]
	v_add_f64 v[4:5], v[4:5], v[14:15]
	v_add_f64 v[2:3], v[2:3], v[12:13]
	s_andn2_b64 exec, exec, s[4:5]
	s_cbranch_execnz .LBB53_25
; %bb.26:
	s_or_b64 exec, exec, s[4:5]
	v_mov_b32_e32 v0, 0
	ds_read_b128 v[8:11], v0 offset:48
	s_waitcnt lgkmcnt(0)
	v_mul_f64 v[14:15], v[2:3], v[10:11]
	v_mul_f64 v[12:13], v[4:5], v[10:11]
	v_fma_f64 v[10:11], v[4:5], v[8:9], -v[14:15]
	v_fmac_f64_e32 v[12:13], v[2:3], v[8:9]
	scratch_store_dwordx4 off, v[10:13], off offset:64
.LBB53_27:
	s_or_b64 exec, exec, s[0:1]
	; wave barrier
	scratch_load_dwordx4 v[2:5], off, s35
	v_cmp_gt_u32_e32 vcc, 4, v248
	s_waitcnt vmcnt(0)
	ds_write_b128 v1, v[2:5]
	s_waitcnt lgkmcnt(0)
	; wave barrier
	s_and_saveexec_b64 s[0:1], vcc
	s_cbranch_execz .LBB53_31
; %bb.28:
	v_add_u32_e32 v7, -1, v248
	v_add_u32_e32 v8, 0x360, v42
	v_add_u32_e32 v9, 16, v42
	v_mov_b64_e32 v[2:3], 0
	s_mov_b64 s[4:5], 0
	v_mov_b64_e32 v[4:5], 0
.LBB53_29:                              ; =>This Inner Loop Header: Depth=1
	scratch_load_dwordx4 v[10:13], v9, off
	ds_read_b128 v[14:17], v8
	v_add_u32_e32 v7, 1, v7
	v_cmp_lt_u32_e32 vcc, 2, v7
	v_add_u32_e32 v8, 16, v8
	v_add_u32_e32 v9, 16, v9
	s_or_b64 s[4:5], vcc, s[4:5]
	s_waitcnt vmcnt(0) lgkmcnt(0)
	v_mul_f64 v[18:19], v[16:17], v[12:13]
	v_mul_f64 v[12:13], v[14:15], v[12:13]
	v_fma_f64 v[14:15], v[14:15], v[10:11], -v[18:19]
	v_fmac_f64_e32 v[12:13], v[16:17], v[10:11]
	v_add_f64 v[4:5], v[4:5], v[14:15]
	v_add_f64 v[2:3], v[2:3], v[12:13]
	s_andn2_b64 exec, exec, s[4:5]
	s_cbranch_execnz .LBB53_29
; %bb.30:
	s_or_b64 exec, exec, s[4:5]
	v_mov_b32_e32 v0, 0
	ds_read_b128 v[8:11], v0 offset:64
	s_waitcnt lgkmcnt(0)
	v_mul_f64 v[14:15], v[2:3], v[10:11]
	v_mul_f64 v[12:13], v[4:5], v[10:11]
	v_fma_f64 v[10:11], v[4:5], v[8:9], -v[14:15]
	v_fmac_f64_e32 v[12:13], v[2:3], v[8:9]
	scratch_store_dwordx4 off, v[10:13], off offset:80
.LBB53_31:
	s_or_b64 exec, exec, s[0:1]
	; wave barrier
	scratch_load_dwordx4 v[2:5], off, s36
	v_cmp_gt_u32_e32 vcc, 5, v248
	;; [unrolled: 45-line block ×19, first 2 shown]
	s_waitcnt vmcnt(0)
	ds_write_b128 v1, v[2:5]
	s_waitcnt lgkmcnt(0)
	; wave barrier
	s_and_saveexec_b64 s[0:1], vcc
	s_cbranch_execz .LBB53_103
; %bb.100:
	v_add_u32_e32 v7, -1, v248
	v_add_u32_e32 v8, 0x360, v42
	v_add_u32_e32 v9, 16, v42
	v_mov_b64_e32 v[2:3], 0
	s_mov_b64 s[4:5], 0
	v_mov_b64_e32 v[4:5], 0
.LBB53_101:                             ; =>This Inner Loop Header: Depth=1
	scratch_load_dwordx4 v[10:13], v9, off
	ds_read_b128 v[14:17], v8
	v_add_u32_e32 v7, 1, v7
	v_cmp_lt_u32_e32 vcc, 20, v7
	v_add_u32_e32 v8, 16, v8
	v_add_u32_e32 v9, 16, v9
	s_or_b64 s[4:5], vcc, s[4:5]
	s_waitcnt vmcnt(0) lgkmcnt(0)
	v_mul_f64 v[18:19], v[16:17], v[12:13]
	v_mul_f64 v[12:13], v[14:15], v[12:13]
	v_fma_f64 v[14:15], v[14:15], v[10:11], -v[18:19]
	v_fmac_f64_e32 v[12:13], v[16:17], v[10:11]
	v_add_f64 v[4:5], v[4:5], v[14:15]
	v_add_f64 v[2:3], v[2:3], v[12:13]
	s_andn2_b64 exec, exec, s[4:5]
	s_cbranch_execnz .LBB53_101
; %bb.102:
	s_or_b64 exec, exec, s[4:5]
	v_mov_b32_e32 v0, 0
	ds_read_b128 v[8:11], v0 offset:352
	s_waitcnt lgkmcnt(0)
	v_mul_f64 v[14:15], v[2:3], v[10:11]
	v_mul_f64 v[12:13], v[4:5], v[10:11]
	v_fma_f64 v[10:11], v[4:5], v[8:9], -v[14:15]
	v_fmac_f64_e32 v[12:13], v[2:3], v[8:9]
	scratch_store_dwordx4 off, v[10:13], off offset:368
.LBB53_103:
	s_or_b64 exec, exec, s[0:1]
	; wave barrier
	scratch_load_dwordx4 v[2:5], off, s54
	v_cmp_gt_u32_e32 vcc, 23, v248
	s_waitcnt vmcnt(0)
	ds_write_b128 v1, v[2:5]
	s_waitcnt lgkmcnt(0)
	; wave barrier
	s_and_saveexec_b64 s[0:1], vcc
	s_cbranch_execz .LBB53_107
; %bb.104:
	v_add_u32_e32 v7, -1, v248
	v_add_u32_e32 v8, 0x360, v42
	v_add_u32_e32 v9, 16, v42
	v_mov_b64_e32 v[2:3], 0
	s_mov_b64 s[4:5], 0
	v_mov_b64_e32 v[4:5], 0
.LBB53_105:                             ; =>This Inner Loop Header: Depth=1
	scratch_load_dwordx4 v[10:13], v9, off
	ds_read_b128 v[14:17], v8
	v_add_u32_e32 v7, 1, v7
	v_cmp_lt_u32_e32 vcc, 21, v7
	v_add_u32_e32 v8, 16, v8
	v_add_u32_e32 v9, 16, v9
	s_or_b64 s[4:5], vcc, s[4:5]
	s_waitcnt vmcnt(0) lgkmcnt(0)
	v_mul_f64 v[18:19], v[16:17], v[12:13]
	v_mul_f64 v[12:13], v[14:15], v[12:13]
	v_fma_f64 v[14:15], v[14:15], v[10:11], -v[18:19]
	v_fmac_f64_e32 v[12:13], v[16:17], v[10:11]
	v_add_f64 v[4:5], v[4:5], v[14:15]
	v_add_f64 v[2:3], v[2:3], v[12:13]
	s_andn2_b64 exec, exec, s[4:5]
	s_cbranch_execnz .LBB53_105
; %bb.106:
	s_or_b64 exec, exec, s[4:5]
	v_mov_b32_e32 v0, 0
	ds_read_b128 v[8:11], v0 offset:368
	s_waitcnt lgkmcnt(0)
	v_mul_f64 v[14:15], v[2:3], v[10:11]
	v_mul_f64 v[12:13], v[4:5], v[10:11]
	v_fma_f64 v[10:11], v[4:5], v[8:9], -v[14:15]
	v_fmac_f64_e32 v[12:13], v[2:3], v[8:9]
	scratch_store_dwordx4 off, v[10:13], off offset:384
.LBB53_107:
	s_or_b64 exec, exec, s[0:1]
	; wave barrier
	scratch_load_dwordx4 v[2:5], off, s55
	v_cmp_gt_u32_e32 vcc, 24, v248
	;; [unrolled: 45-line block ×30, first 2 shown]
	s_waitcnt vmcnt(0)
	ds_write_b128 v1, v[2:5]
	s_waitcnt lgkmcnt(0)
	; wave barrier
	s_and_saveexec_b64 s[0:1], vcc
	s_cbranch_execz .LBB53_223
; %bb.220:
	v_add_u32_e32 v7, -1, v248
	v_add_u32_e32 v8, 0x360, v42
	v_add_u32_e32 v9, 16, v42
	v_mov_b64_e32 v[2:3], 0
	s_mov_b64 s[4:5], 0
	v_mov_b64_e32 v[4:5], 0
.LBB53_221:                             ; =>This Inner Loop Header: Depth=1
	scratch_load_dwordx4 v[10:13], v9, off
	ds_read_b128 v[14:17], v8
	v_add_u32_e32 v7, 1, v7
	v_cmp_lt_u32_e32 vcc, 50, v7
	v_add_u32_e32 v8, 16, v8
	v_add_u32_e32 v9, 16, v9
	s_or_b64 s[4:5], vcc, s[4:5]
	s_waitcnt vmcnt(0) lgkmcnt(0)
	v_mul_f64 v[18:19], v[16:17], v[12:13]
	v_mul_f64 v[12:13], v[14:15], v[12:13]
	v_fma_f64 v[14:15], v[14:15], v[10:11], -v[18:19]
	v_fmac_f64_e32 v[12:13], v[16:17], v[10:11]
	v_add_f64 v[4:5], v[4:5], v[14:15]
	v_add_f64 v[2:3], v[2:3], v[12:13]
	s_andn2_b64 exec, exec, s[4:5]
	s_cbranch_execnz .LBB53_221
; %bb.222:
	s_or_b64 exec, exec, s[4:5]
	v_mov_b32_e32 v0, 0
	ds_read_b128 v[8:11], v0 offset:832
	s_waitcnt lgkmcnt(0)
	v_mul_f64 v[14:15], v[2:3], v[10:11]
	v_mul_f64 v[12:13], v[4:5], v[10:11]
	v_fma_f64 v[10:11], v[4:5], v[8:9], -v[14:15]
	v_fmac_f64_e32 v[12:13], v[2:3], v[8:9]
	scratch_store_dwordx4 off, v[10:13], off offset:848
.LBB53_223:
	s_or_b64 exec, exec, s[0:1]
	; wave barrier
	scratch_load_dwordx4 v[2:5], off, s66
	v_cmp_ne_u32_e32 vcc, 53, v248
	s_waitcnt vmcnt(0)
	ds_write_b128 v1, v[2:5]
	s_waitcnt lgkmcnt(0)
	; wave barrier
	s_and_saveexec_b64 s[0:1], vcc
	s_cbranch_execz .LBB53_227
; %bb.224:
	v_add_u32_e32 v1, 0x360, v42
	v_add_u32_e32 v7, 16, v42
	v_mov_b64_e32 v[2:3], 0
	s_mov_b64 s[4:5], 0
	v_mov_b64_e32 v[4:5], 0
.LBB53_225:                             ; =>This Inner Loop Header: Depth=1
	scratch_load_dwordx4 v[8:11], v7, off
	ds_read_b128 v[12:15], v1
	v_add_u32_e32 v6, 1, v6
	v_cmp_lt_u32_e32 vcc, 51, v6
	v_add_u32_e32 v1, 16, v1
	v_add_u32_e32 v7, 16, v7
	s_or_b64 s[4:5], vcc, s[4:5]
	s_waitcnt vmcnt(0) lgkmcnt(0)
	v_mul_f64 v[16:17], v[14:15], v[10:11]
	v_mul_f64 v[10:11], v[12:13], v[10:11]
	v_fma_f64 v[12:13], v[12:13], v[8:9], -v[16:17]
	v_fmac_f64_e32 v[10:11], v[14:15], v[8:9]
	v_add_f64 v[4:5], v[4:5], v[12:13]
	v_add_f64 v[2:3], v[2:3], v[10:11]
	s_andn2_b64 exec, exec, s[4:5]
	s_cbranch_execnz .LBB53_225
; %bb.226:
	s_or_b64 exec, exec, s[4:5]
	v_mov_b32_e32 v0, 0
	ds_read_b128 v[6:9], v0 offset:848
	s_waitcnt lgkmcnt(0)
	v_mul_f64 v[12:13], v[2:3], v[8:9]
	v_mul_f64 v[10:11], v[4:5], v[8:9]
	v_fma_f64 v[8:9], v[4:5], v[6:7], -v[12:13]
	v_fmac_f64_e32 v[10:11], v[2:3], v[6:7]
	scratch_store_dwordx4 off, v[8:11], off offset:864
.LBB53_227:
	s_or_b64 exec, exec, s[0:1]
	s_mov_b64 s[4:5], -1
	; wave barrier
.LBB53_228:
	s_and_b64 vcc, exec, s[4:5]
	s_cbranch_vccz .LBB53_230
; %bb.229:
	s_lshl_b64 s[0:1], s[2:3], 2
	s_add_u32 s0, s6, s0
	s_addc_u32 s1, s7, s1
	v_mov_b32_e32 v0, 0
	global_load_dword v0, v0, s[0:1]
	s_waitcnt vmcnt(0)
	v_cmp_ne_u32_e32 vcc, 0, v0
	s_cbranch_vccz .LBB53_231
.LBB53_230:
	s_endpgm
.LBB53_231:
	v_mov_b32_e32 v0, 0x360
	v_lshl_add_u32 v0, v248, 4, v0
	v_accvgpr_write_b32 a109, v0
	v_cmp_eq_u32_e32 vcc, 53, v248
	s_and_saveexec_b64 s[0:1], vcc
	s_cbranch_execz .LBB53_233
; %bb.232:
	scratch_load_dwordx4 v[2:5], off, s34
	v_mov_b32_e32 v6, 0
	v_mov_b32_e32 v7, v6
	;; [unrolled: 1-line block ×4, first 2 shown]
	v_accvgpr_read_b32 v0, a109
	scratch_store_dwordx4 off, v[6:9], off offset:848
	s_waitcnt vmcnt(1)
	ds_write_b128 v0, v[2:5]
.LBB53_233:
	s_or_b64 exec, exec, s[0:1]
	s_waitcnt lgkmcnt(0)
	; wave barrier
	scratch_load_dwordx4 v[4:7], off, off offset:864
	scratch_load_dwordx4 v[8:11], off, off offset:848
	v_mov_b32_e32 v2, 0
	ds_read_b128 v[12:15], v2 offset:1712
	v_cmp_lt_u32_e32 vcc, 51, v248
	s_waitcnt vmcnt(1) lgkmcnt(0)
	v_mul_f64 v[16:17], v[12:13], v[6:7]
	v_mul_f64 v[6:7], v[14:15], v[6:7]
	v_fmac_f64_e32 v[16:17], v[14:15], v[4:5]
	v_fma_f64 v[4:5], v[12:13], v[4:5], -v[6:7]
	v_add_f64 v[6:7], v[16:17], 0
	v_add_f64 v[4:5], v[4:5], 0
	s_waitcnt vmcnt(0)
	v_add_f64 v[4:5], v[8:9], -v[4:5]
	v_add_f64 v[6:7], v[10:11], -v[6:7]
	scratch_store_dwordx4 off, v[4:7], off offset:848
	s_and_saveexec_b64 s[0:1], vcc
	s_cbranch_execz .LBB53_235
; %bb.234:
	scratch_load_dwordx4 v[6:9], off, s33
	v_mov_b32_e32 v3, v2
	v_mov_b32_e32 v4, v2
	v_mov_b32_e32 v5, v2
	v_accvgpr_read_b32 v0, a109
	scratch_store_dwordx4 off, v[2:5], off offset:832
	s_waitcnt vmcnt(1)
	ds_write_b128 v0, v[6:9]
.LBB53_235:
	s_or_b64 exec, exec, s[0:1]
	s_waitcnt lgkmcnt(0)
	; wave barrier
	scratch_load_dwordx4 v[4:7], off, off offset:848
	scratch_load_dwordx4 v[8:11], off, off offset:864
	scratch_load_dwordx4 v[12:15], off, off offset:832
	ds_read_b128 v[16:19], v2 offset:1696
	ds_read_b128 v[20:23], v2 offset:1712
	v_cmp_lt_u32_e32 vcc, 50, v248
	s_waitcnt vmcnt(2) lgkmcnt(1)
	v_mul_f64 v[2:3], v[16:17], v[6:7]
	v_mul_f64 v[6:7], v[18:19], v[6:7]
	s_waitcnt vmcnt(1) lgkmcnt(0)
	v_mul_f64 v[24:25], v[20:21], v[10:11]
	v_mul_f64 v[10:11], v[22:23], v[10:11]
	v_fmac_f64_e32 v[2:3], v[18:19], v[4:5]
	v_fma_f64 v[4:5], v[16:17], v[4:5], -v[6:7]
	v_fmac_f64_e32 v[24:25], v[22:23], v[8:9]
	v_fma_f64 v[6:7], v[20:21], v[8:9], -v[10:11]
	v_add_f64 v[2:3], v[2:3], 0
	v_add_f64 v[4:5], v[4:5], 0
	;; [unrolled: 1-line block ×4, first 2 shown]
	s_waitcnt vmcnt(0)
	v_add_f64 v[2:3], v[12:13], -v[2:3]
	v_add_f64 v[4:5], v[14:15], -v[8:9]
	scratch_store_dwordx4 off, v[2:5], off offset:832
	s_and_saveexec_b64 s[0:1], vcc
	s_cbranch_execz .LBB53_237
; %bb.236:
	scratch_load_dwordx4 v[2:5], off, s31
	v_mov_b32_e32 v6, 0
	v_mov_b32_e32 v7, v6
	;; [unrolled: 1-line block ×4, first 2 shown]
	v_accvgpr_read_b32 v0, a109
	scratch_store_dwordx4 off, v[6:9], off offset:816
	s_waitcnt vmcnt(1)
	ds_write_b128 v0, v[2:5]
.LBB53_237:
	s_or_b64 exec, exec, s[0:1]
	s_waitcnt lgkmcnt(0)
	; wave barrier
	scratch_load_dwordx4 v[4:7], off, off offset:832
	scratch_load_dwordx4 v[8:11], off, off offset:848
	;; [unrolled: 1-line block ×4, first 2 shown]
	v_mov_b32_e32 v2, 0
	ds_read_b128 v[20:23], v2 offset:1680
	ds_read_b128 v[24:27], v2 offset:1696
	ds_read_b128 v[28:31], v2 offset:1712
	v_cmp_lt_u32_e32 vcc, 49, v248
	s_waitcnt vmcnt(3) lgkmcnt(2)
	v_mul_f64 v[32:33], v[20:21], v[6:7]
	v_mul_f64 v[6:7], v[22:23], v[6:7]
	s_waitcnt vmcnt(2) lgkmcnt(1)
	v_mul_f64 v[34:35], v[24:25], v[10:11]
	v_mul_f64 v[10:11], v[26:27], v[10:11]
	v_fmac_f64_e32 v[32:33], v[22:23], v[4:5]
	v_fma_f64 v[4:5], v[20:21], v[4:5], -v[6:7]
	s_waitcnt vmcnt(1) lgkmcnt(0)
	v_mul_f64 v[36:37], v[28:29], v[14:15]
	v_mul_f64 v[14:15], v[30:31], v[14:15]
	v_fmac_f64_e32 v[34:35], v[26:27], v[8:9]
	v_fma_f64 v[6:7], v[24:25], v[8:9], -v[10:11]
	v_add_f64 v[10:11], v[32:33], 0
	v_add_f64 v[4:5], v[4:5], 0
	v_fmac_f64_e32 v[36:37], v[30:31], v[12:13]
	v_fma_f64 v[8:9], v[28:29], v[12:13], -v[14:15]
	v_add_f64 v[10:11], v[10:11], v[34:35]
	v_add_f64 v[4:5], v[4:5], v[6:7]
	;; [unrolled: 1-line block ×4, first 2 shown]
	s_waitcnt vmcnt(0)
	v_add_f64 v[4:5], v[16:17], -v[4:5]
	v_add_f64 v[6:7], v[18:19], -v[6:7]
	scratch_store_dwordx4 off, v[4:7], off offset:816
	s_and_saveexec_b64 s[0:1], vcc
	s_cbranch_execz .LBB53_239
; %bb.238:
	scratch_load_dwordx4 v[6:9], off, s30
	v_mov_b32_e32 v3, v2
	v_mov_b32_e32 v4, v2
	;; [unrolled: 1-line block ×3, first 2 shown]
	v_accvgpr_read_b32 v0, a109
	scratch_store_dwordx4 off, v[2:5], off offset:800
	s_waitcnt vmcnt(1)
	ds_write_b128 v0, v[6:9]
.LBB53_239:
	s_or_b64 exec, exec, s[0:1]
	s_waitcnt lgkmcnt(0)
	; wave barrier
	scratch_load_dwordx4 v[4:7], off, off offset:816
	scratch_load_dwordx4 v[8:11], off, off offset:832
	;; [unrolled: 1-line block ×5, first 2 shown]
	ds_read_b128 v[24:27], v2 offset:1664
	ds_read_b128 v[28:31], v2 offset:1680
	;; [unrolled: 1-line block ×4, first 2 shown]
	v_cmp_lt_u32_e32 vcc, 48, v248
	s_waitcnt vmcnt(4) lgkmcnt(3)
	v_mul_f64 v[2:3], v[24:25], v[6:7]
	v_mul_f64 v[6:7], v[26:27], v[6:7]
	s_waitcnt vmcnt(3) lgkmcnt(2)
	v_mul_f64 v[40:41], v[28:29], v[10:11]
	v_mul_f64 v[10:11], v[30:31], v[10:11]
	v_fmac_f64_e32 v[2:3], v[26:27], v[4:5]
	v_fma_f64 v[4:5], v[24:25], v[4:5], -v[6:7]
	s_waitcnt vmcnt(2) lgkmcnt(1)
	v_mul_f64 v[42:43], v[32:33], v[14:15]
	v_mul_f64 v[14:15], v[34:35], v[14:15]
	v_fmac_f64_e32 v[40:41], v[30:31], v[8:9]
	v_fma_f64 v[6:7], v[28:29], v[8:9], -v[10:11]
	v_add_f64 v[2:3], v[2:3], 0
	v_add_f64 v[4:5], v[4:5], 0
	s_waitcnt vmcnt(1) lgkmcnt(0)
	v_mul_f64 v[44:45], v[36:37], v[18:19]
	v_mul_f64 v[18:19], v[38:39], v[18:19]
	v_fmac_f64_e32 v[42:43], v[34:35], v[12:13]
	v_fma_f64 v[8:9], v[32:33], v[12:13], -v[14:15]
	v_add_f64 v[2:3], v[2:3], v[40:41]
	v_add_f64 v[4:5], v[4:5], v[6:7]
	v_fmac_f64_e32 v[44:45], v[38:39], v[16:17]
	v_fma_f64 v[10:11], v[36:37], v[16:17], -v[18:19]
	v_add_f64 v[2:3], v[2:3], v[42:43]
	v_add_f64 v[4:5], v[4:5], v[8:9]
	;; [unrolled: 1-line block ×4, first 2 shown]
	s_waitcnt vmcnt(0)
	v_add_f64 v[2:3], v[20:21], -v[2:3]
	v_add_f64 v[4:5], v[22:23], -v[6:7]
	scratch_store_dwordx4 off, v[2:5], off offset:800
	s_and_saveexec_b64 s[0:1], vcc
	s_cbranch_execz .LBB53_241
; %bb.240:
	scratch_load_dwordx4 v[2:5], off, s29
	v_mov_b32_e32 v6, 0
	v_mov_b32_e32 v7, v6
	;; [unrolled: 1-line block ×4, first 2 shown]
	v_accvgpr_read_b32 v0, a109
	scratch_store_dwordx4 off, v[6:9], off offset:784
	s_waitcnt vmcnt(1)
	ds_write_b128 v0, v[2:5]
.LBB53_241:
	s_or_b64 exec, exec, s[0:1]
	s_waitcnt lgkmcnt(0)
	; wave barrier
	scratch_load_dwordx4 v[4:7], off, off offset:800
	scratch_load_dwordx4 v[8:11], off, off offset:816
	;; [unrolled: 1-line block ×6, first 2 shown]
	v_mov_b32_e32 v2, 0
	ds_read_b128 v[28:31], v2 offset:1648
	ds_read_b128 v[32:35], v2 offset:1664
	;; [unrolled: 1-line block ×5, first 2 shown]
	v_cmp_lt_u32_e32 vcc, 47, v248
	s_waitcnt vmcnt(5) lgkmcnt(4)
	v_mul_f64 v[48:49], v[28:29], v[6:7]
	v_mul_f64 v[6:7], v[30:31], v[6:7]
	s_waitcnt vmcnt(4) lgkmcnt(3)
	v_mul_f64 v[50:51], v[32:33], v[10:11]
	s_waitcnt vmcnt(3) lgkmcnt(2)
	v_mul_f64 v[52:53], v[36:37], v[14:15]
	v_mul_f64 v[10:11], v[34:35], v[10:11]
	;; [unrolled: 1-line block ×3, first 2 shown]
	v_fmac_f64_e32 v[48:49], v[30:31], v[4:5]
	v_fma_f64 v[4:5], v[28:29], v[4:5], -v[6:7]
	v_fmac_f64_e32 v[50:51], v[34:35], v[8:9]
	v_fma_f64 v[6:7], v[32:33], v[8:9], -v[10:11]
	v_fma_f64 v[8:9], v[36:37], v[12:13], -v[14:15]
	v_add_f64 v[14:15], v[48:49], 0
	v_add_f64 v[4:5], v[4:5], 0
	s_waitcnt vmcnt(2) lgkmcnt(1)
	v_mul_f64 v[54:55], v[40:41], v[18:19]
	v_mul_f64 v[18:19], v[42:43], v[18:19]
	v_fmac_f64_e32 v[52:53], v[38:39], v[12:13]
	v_add_f64 v[14:15], v[14:15], v[50:51]
	v_add_f64 v[4:5], v[4:5], v[6:7]
	s_waitcnt vmcnt(1) lgkmcnt(0)
	v_mul_f64 v[56:57], v[44:45], v[22:23]
	v_mul_f64 v[22:23], v[46:47], v[22:23]
	v_fmac_f64_e32 v[54:55], v[42:43], v[16:17]
	v_fma_f64 v[10:11], v[40:41], v[16:17], -v[18:19]
	v_add_f64 v[6:7], v[14:15], v[52:53]
	v_add_f64 v[4:5], v[4:5], v[8:9]
	v_fmac_f64_e32 v[56:57], v[46:47], v[20:21]
	v_fma_f64 v[12:13], v[44:45], v[20:21], -v[22:23]
	v_add_f64 v[6:7], v[6:7], v[54:55]
	v_add_f64 v[4:5], v[4:5], v[10:11]
	v_add_f64 v[6:7], v[6:7], v[56:57]
	v_add_f64 v[4:5], v[4:5], v[12:13]
	s_waitcnt vmcnt(0)
	v_add_f64 v[4:5], v[24:25], -v[4:5]
	v_add_f64 v[6:7], v[26:27], -v[6:7]
	scratch_store_dwordx4 off, v[4:7], off offset:784
	s_and_saveexec_b64 s[0:1], vcc
	s_cbranch_execz .LBB53_243
; %bb.242:
	scratch_load_dwordx4 v[6:9], off, s27
	v_mov_b32_e32 v3, v2
	v_mov_b32_e32 v4, v2
	;; [unrolled: 1-line block ×3, first 2 shown]
	v_accvgpr_read_b32 v0, a109
	scratch_store_dwordx4 off, v[2:5], off offset:768
	s_waitcnt vmcnt(1)
	ds_write_b128 v0, v[6:9]
.LBB53_243:
	s_or_b64 exec, exec, s[0:1]
	s_waitcnt lgkmcnt(0)
	; wave barrier
	ds_read_b128 v[4:7], v2 offset:1632
	ds_read_b128 v[8:11], v2 offset:1648
	;; [unrolled: 1-line block ×4, first 2 shown]
	scratch_load_dwordx4 v[20:23], off, off offset:784
	scratch_load_dwordx4 v[40:43], off, off offset:848
	v_cmp_lt_u32_e32 vcc, 46, v248
	scratch_load_dwordx4 v[48:51], off, off offset:864
	s_waitcnt vmcnt(2) lgkmcnt(3)
	v_mul_f64 v[24:25], v[4:5], v[22:23]
	v_fmac_f64_e32 v[24:25], v[6:7], v[20:21]
	v_add_f64 v[28:29], v[24:25], 0
	scratch_load_dwordx4 v[24:27], off, off offset:800
	s_waitcnt vmcnt(0) lgkmcnt(2)
	v_mul_f64 v[30:31], v[8:9], v[26:27]
	v_fmac_f64_e32 v[30:31], v[10:11], v[24:25]
	v_add_f64 v[32:33], v[28:29], v[30:31]
	;; [unrolled: 5-line block ×4, first 2 shown]
	ds_read_b128 v[36:39], v2 offset:1696
	s_waitcnt lgkmcnt(0)
	v_mul_f64 v[46:47], v[36:37], v[42:43]
	v_fmac_f64_e32 v[46:47], v[38:39], v[40:41]
	v_add_f64 v[52:53], v[44:45], v[46:47]
	ds_read_b128 v[44:47], v2 offset:1712
	s_waitcnt lgkmcnt(0)
	v_mul_f64 v[2:3], v[44:45], v[50:51]
	v_fmac_f64_e32 v[2:3], v[46:47], v[48:49]
	v_add_f64 v[52:53], v[52:53], v[2:3]
	v_mul_f64 v[2:3], v[6:7], v[22:23]
	v_fma_f64 v[2:3], v[4:5], v[20:21], -v[2:3]
	v_mul_f64 v[4:5], v[10:11], v[26:27]
	v_add_f64 v[2:3], v[2:3], 0
	v_fma_f64 v[4:5], v[8:9], v[24:25], -v[4:5]
	v_add_f64 v[2:3], v[2:3], v[4:5]
	v_mul_f64 v[4:5], v[14:15], v[30:31]
	v_fma_f64 v[4:5], v[12:13], v[28:29], -v[4:5]
	v_add_f64 v[2:3], v[2:3], v[4:5]
	v_mul_f64 v[4:5], v[18:19], v[34:35]
	;; [unrolled: 3-line block ×4, first 2 shown]
	v_fma_f64 v[4:5], v[44:45], v[48:49], -v[4:5]
	v_add_f64 v[6:7], v[2:3], v[4:5]
	scratch_load_dwordx4 v[2:5], off, off offset:768
	s_waitcnt vmcnt(0)
	v_add_f64 v[2:3], v[2:3], -v[6:7]
	v_add_f64 v[4:5], v[4:5], -v[52:53]
	scratch_store_dwordx4 off, v[2:5], off offset:768
	s_and_saveexec_b64 s[0:1], vcc
	s_cbranch_execz .LBB53_245
; %bb.244:
	scratch_load_dwordx4 v[2:5], off, s28
	v_mov_b32_e32 v6, 0
	v_mov_b32_e32 v7, v6
	;; [unrolled: 1-line block ×4, first 2 shown]
	v_accvgpr_read_b32 v0, a109
	scratch_store_dwordx4 off, v[6:9], off offset:752
	s_waitcnt vmcnt(1)
	ds_write_b128 v0, v[2:5]
.LBB53_245:
	s_or_b64 exec, exec, s[0:1]
	s_waitcnt lgkmcnt(0)
	; wave barrier
	scratch_load_dwordx4 v[4:7], off, off offset:768
	scratch_load_dwordx4 v[8:11], off, off offset:784
	;; [unrolled: 1-line block ×8, first 2 shown]
	v_mov_b32_e32 v2, 0
	ds_read_b128 v[36:39], v2 offset:1616
	ds_read_b128 v[40:43], v2 offset:1632
	;; [unrolled: 1-line block ×7, first 2 shown]
	v_cmp_lt_u32_e32 vcc, 45, v248
	s_waitcnt vmcnt(7) lgkmcnt(6)
	v_mul_f64 v[64:65], v[36:37], v[6:7]
	v_mul_f64 v[6:7], v[38:39], v[6:7]
	s_waitcnt vmcnt(6) lgkmcnt(5)
	v_mul_f64 v[66:67], v[40:41], v[10:11]
	s_waitcnt vmcnt(4) lgkmcnt(3)
	v_mul_f64 v[70:71], v[48:49], v[18:19]
	v_mul_f64 v[10:11], v[42:43], v[10:11]
	;; [unrolled: 1-line block ×3, first 2 shown]
	v_fmac_f64_e32 v[64:65], v[38:39], v[4:5]
	v_fma_f64 v[4:5], v[36:37], v[4:5], -v[6:7]
	v_mul_f64 v[68:69], v[44:45], v[14:15]
	v_mul_f64 v[14:15], v[46:47], v[14:15]
	v_fmac_f64_e32 v[66:67], v[42:43], v[8:9]
	v_fma_f64 v[6:7], v[40:41], v[8:9], -v[10:11]
	v_fma_f64 v[10:11], v[48:49], v[16:17], -v[18:19]
	v_add_f64 v[18:19], v[64:65], 0
	v_add_f64 v[4:5], v[4:5], 0
	v_fmac_f64_e32 v[68:69], v[46:47], v[12:13]
	v_fma_f64 v[8:9], v[44:45], v[12:13], -v[14:15]
	v_add_f64 v[18:19], v[18:19], v[66:67]
	v_add_f64 v[4:5], v[4:5], v[6:7]
	s_waitcnt vmcnt(3) lgkmcnt(2)
	v_mul_f64 v[72:73], v[52:53], v[22:23]
	v_mul_f64 v[22:23], v[54:55], v[22:23]
	v_fmac_f64_e32 v[70:71], v[50:51], v[16:17]
	v_add_f64 v[6:7], v[18:19], v[68:69]
	v_add_f64 v[4:5], v[4:5], v[8:9]
	s_waitcnt vmcnt(2) lgkmcnt(1)
	v_mul_f64 v[74:75], v[56:57], v[26:27]
	v_mul_f64 v[26:27], v[58:59], v[26:27]
	v_fmac_f64_e32 v[72:73], v[54:55], v[20:21]
	v_fma_f64 v[12:13], v[52:53], v[20:21], -v[22:23]
	v_add_f64 v[6:7], v[6:7], v[70:71]
	v_add_f64 v[4:5], v[4:5], v[10:11]
	s_waitcnt vmcnt(1) lgkmcnt(0)
	v_mul_f64 v[76:77], v[60:61], v[30:31]
	v_mul_f64 v[30:31], v[62:63], v[30:31]
	v_fmac_f64_e32 v[74:75], v[58:59], v[24:25]
	v_fma_f64 v[14:15], v[56:57], v[24:25], -v[26:27]
	v_add_f64 v[6:7], v[6:7], v[72:73]
	v_add_f64 v[4:5], v[4:5], v[12:13]
	v_fmac_f64_e32 v[76:77], v[62:63], v[28:29]
	v_fma_f64 v[16:17], v[60:61], v[28:29], -v[30:31]
	v_add_f64 v[6:7], v[6:7], v[74:75]
	v_add_f64 v[4:5], v[4:5], v[14:15]
	;; [unrolled: 1-line block ×4, first 2 shown]
	s_waitcnt vmcnt(0)
	v_add_f64 v[4:5], v[32:33], -v[4:5]
	v_add_f64 v[6:7], v[34:35], -v[6:7]
	scratch_store_dwordx4 off, v[4:7], off offset:752
	s_and_saveexec_b64 s[0:1], vcc
	s_cbranch_execz .LBB53_247
; %bb.246:
	scratch_load_dwordx4 v[6:9], off, s26
	v_mov_b32_e32 v3, v2
	v_mov_b32_e32 v4, v2
	;; [unrolled: 1-line block ×3, first 2 shown]
	v_accvgpr_read_b32 v0, a109
	scratch_store_dwordx4 off, v[2:5], off offset:736
	s_waitcnt vmcnt(1)
	ds_write_b128 v0, v[6:9]
.LBB53_247:
	s_or_b64 exec, exec, s[0:1]
	s_waitcnt lgkmcnt(0)
	; wave barrier
	scratch_load_dwordx4 v[4:7], off, off offset:752
	scratch_load_dwordx4 v[8:11], off, off offset:768
	;; [unrolled: 1-line block ×9, first 2 shown]
	ds_read_b128 v[40:43], v2 offset:1600
	ds_read_b128 v[44:47], v2 offset:1616
	;; [unrolled: 1-line block ×8, first 2 shown]
	v_cmp_lt_u32_e32 vcc, 44, v248
	s_waitcnt vmcnt(8) lgkmcnt(7)
	v_mul_f64 v[2:3], v[40:41], v[6:7]
	v_mul_f64 v[6:7], v[42:43], v[6:7]
	s_waitcnt vmcnt(7) lgkmcnt(6)
	v_mul_f64 v[72:73], v[44:45], v[10:11]
	v_mul_f64 v[10:11], v[46:47], v[10:11]
	v_fmac_f64_e32 v[2:3], v[42:43], v[4:5]
	v_fma_f64 v[4:5], v[40:41], v[4:5], -v[6:7]
	s_waitcnt vmcnt(6) lgkmcnt(5)
	v_mul_f64 v[74:75], v[48:49], v[14:15]
	v_mul_f64 v[14:15], v[50:51], v[14:15]
	v_fmac_f64_e32 v[72:73], v[46:47], v[8:9]
	v_fma_f64 v[6:7], v[44:45], v[8:9], -v[10:11]
	v_add_f64 v[2:3], v[2:3], 0
	v_add_f64 v[4:5], v[4:5], 0
	s_waitcnt vmcnt(5) lgkmcnt(4)
	v_mul_f64 v[76:77], v[52:53], v[18:19]
	v_mul_f64 v[18:19], v[54:55], v[18:19]
	v_fmac_f64_e32 v[74:75], v[50:51], v[12:13]
	v_fma_f64 v[8:9], v[48:49], v[12:13], -v[14:15]
	v_add_f64 v[2:3], v[2:3], v[72:73]
	v_add_f64 v[4:5], v[4:5], v[6:7]
	;; [unrolled: 7-line block ×6, first 2 shown]
	v_fmac_f64_e32 v[84:85], v[70:71], v[32:33]
	v_fma_f64 v[18:19], v[68:69], v[32:33], -v[34:35]
	v_add_f64 v[2:3], v[2:3], v[82:83]
	v_add_f64 v[4:5], v[4:5], v[16:17]
	;; [unrolled: 1-line block ×4, first 2 shown]
	s_waitcnt vmcnt(0)
	v_add_f64 v[2:3], v[36:37], -v[2:3]
	v_add_f64 v[4:5], v[38:39], -v[6:7]
	scratch_store_dwordx4 off, v[2:5], off offset:736
	s_and_saveexec_b64 s[0:1], vcc
	s_cbranch_execz .LBB53_249
; %bb.248:
	scratch_load_dwordx4 v[2:5], off, s25
	v_mov_b32_e32 v6, 0
	v_mov_b32_e32 v7, v6
	;; [unrolled: 1-line block ×4, first 2 shown]
	v_accvgpr_read_b32 v0, a109
	scratch_store_dwordx4 off, v[6:9], off offset:720
	s_waitcnt vmcnt(1)
	ds_write_b128 v0, v[2:5]
.LBB53_249:
	s_or_b64 exec, exec, s[0:1]
	s_waitcnt lgkmcnt(0)
	; wave barrier
	scratch_load_dwordx4 v[4:7], off, off offset:736
	scratch_load_dwordx4 v[8:11], off, off offset:752
	;; [unrolled: 1-line block ×10, first 2 shown]
	v_mov_b32_e32 v2, 0
	ds_read_b128 v[44:47], v2 offset:1584
	ds_read_b128 v[48:51], v2 offset:1600
	;; [unrolled: 1-line block ×9, first 2 shown]
	v_cmp_lt_u32_e32 vcc, 43, v248
	s_waitcnt vmcnt(9) lgkmcnt(8)
	v_mul_f64 v[80:81], v[44:45], v[6:7]
	v_mul_f64 v[6:7], v[46:47], v[6:7]
	s_waitcnt vmcnt(8) lgkmcnt(7)
	v_mul_f64 v[82:83], v[48:49], v[10:11]
	s_waitcnt vmcnt(7) lgkmcnt(6)
	v_mul_f64 v[84:85], v[52:53], v[14:15]
	s_waitcnt vmcnt(5) lgkmcnt(4)
	v_mul_f64 v[88:89], v[60:61], v[22:23]
	v_mul_f64 v[10:11], v[50:51], v[10:11]
	;; [unrolled: 1-line block ×4, first 2 shown]
	v_fmac_f64_e32 v[80:81], v[46:47], v[4:5]
	v_fma_f64 v[4:5], v[44:45], v[4:5], -v[6:7]
	v_fmac_f64_e32 v[82:83], v[50:51], v[8:9]
	v_fmac_f64_e32 v[84:85], v[54:55], v[12:13]
	v_fma_f64 v[6:7], v[48:49], v[8:9], -v[10:11]
	v_fma_f64 v[8:9], v[52:53], v[12:13], -v[14:15]
	;; [unrolled: 1-line block ×3, first 2 shown]
	v_add_f64 v[22:23], v[80:81], 0
	v_add_f64 v[4:5], v[4:5], 0
	v_mul_f64 v[86:87], v[56:57], v[18:19]
	v_mul_f64 v[18:19], v[58:59], v[18:19]
	v_add_f64 v[22:23], v[22:23], v[82:83]
	v_add_f64 v[4:5], v[4:5], v[6:7]
	v_fmac_f64_e32 v[86:87], v[58:59], v[16:17]
	v_fma_f64 v[10:11], v[56:57], v[16:17], -v[18:19]
	v_add_f64 v[6:7], v[22:23], v[84:85]
	v_add_f64 v[4:5], v[4:5], v[8:9]
	s_waitcnt vmcnt(4) lgkmcnt(3)
	v_mul_f64 v[90:91], v[64:65], v[26:27]
	v_mul_f64 v[26:27], v[66:67], v[26:27]
	v_fmac_f64_e32 v[88:89], v[62:63], v[20:21]
	v_add_f64 v[6:7], v[6:7], v[86:87]
	v_add_f64 v[4:5], v[4:5], v[10:11]
	s_waitcnt vmcnt(3) lgkmcnt(2)
	v_mul_f64 v[92:93], v[68:69], v[30:31]
	v_mul_f64 v[30:31], v[70:71], v[30:31]
	v_fmac_f64_e32 v[90:91], v[66:67], v[24:25]
	v_fma_f64 v[14:15], v[64:65], v[24:25], -v[26:27]
	v_add_f64 v[6:7], v[6:7], v[88:89]
	v_add_f64 v[4:5], v[4:5], v[12:13]
	s_waitcnt vmcnt(2) lgkmcnt(1)
	v_mul_f64 v[94:95], v[72:73], v[34:35]
	v_mul_f64 v[34:35], v[74:75], v[34:35]
	v_fmac_f64_e32 v[92:93], v[70:71], v[28:29]
	v_fma_f64 v[16:17], v[68:69], v[28:29], -v[30:31]
	;; [unrolled: 7-line block ×3, first 2 shown]
	v_add_f64 v[6:7], v[6:7], v[92:93]
	v_add_f64 v[4:5], v[4:5], v[16:17]
	v_fmac_f64_e32 v[96:97], v[78:79], v[36:37]
	v_fma_f64 v[20:21], v[76:77], v[36:37], -v[38:39]
	v_add_f64 v[6:7], v[6:7], v[94:95]
	v_add_f64 v[4:5], v[4:5], v[18:19]
	;; [unrolled: 1-line block ×4, first 2 shown]
	s_waitcnt vmcnt(0)
	v_add_f64 v[4:5], v[40:41], -v[4:5]
	v_add_f64 v[6:7], v[42:43], -v[6:7]
	scratch_store_dwordx4 off, v[4:7], off offset:720
	s_and_saveexec_b64 s[0:1], vcc
	s_cbranch_execz .LBB53_251
; %bb.250:
	scratch_load_dwordx4 v[6:9], off, s24
	v_mov_b32_e32 v3, v2
	v_mov_b32_e32 v4, v2
	;; [unrolled: 1-line block ×3, first 2 shown]
	v_accvgpr_read_b32 v0, a109
	scratch_store_dwordx4 off, v[2:5], off offset:704
	s_waitcnt vmcnt(1)
	ds_write_b128 v0, v[6:9]
.LBB53_251:
	s_or_b64 exec, exec, s[0:1]
	s_waitcnt lgkmcnt(0)
	; wave barrier
	scratch_load_dwordx4 v[4:7], off, off offset:720
	scratch_load_dwordx4 v[8:11], off, off offset:736
	;; [unrolled: 1-line block ×11, first 2 shown]
	ds_read_b128 v[48:51], v2 offset:1568
	ds_read_b128 v[52:55], v2 offset:1584
	;; [unrolled: 1-line block ×10, first 2 shown]
	v_cmp_lt_u32_e32 vcc, 42, v248
	s_waitcnt vmcnt(10) lgkmcnt(9)
	v_mul_f64 v[2:3], v[48:49], v[6:7]
	v_mul_f64 v[6:7], v[50:51], v[6:7]
	s_waitcnt vmcnt(9) lgkmcnt(8)
	v_mul_f64 v[88:89], v[52:53], v[10:11]
	v_mul_f64 v[10:11], v[54:55], v[10:11]
	v_fmac_f64_e32 v[2:3], v[50:51], v[4:5]
	v_fma_f64 v[4:5], v[48:49], v[4:5], -v[6:7]
	s_waitcnt vmcnt(8) lgkmcnt(7)
	v_mul_f64 v[90:91], v[56:57], v[14:15]
	v_mul_f64 v[14:15], v[58:59], v[14:15]
	v_fmac_f64_e32 v[88:89], v[54:55], v[8:9]
	v_fma_f64 v[6:7], v[52:53], v[8:9], -v[10:11]
	v_add_f64 v[2:3], v[2:3], 0
	v_add_f64 v[4:5], v[4:5], 0
	s_waitcnt vmcnt(7) lgkmcnt(6)
	v_mul_f64 v[92:93], v[60:61], v[18:19]
	v_mul_f64 v[18:19], v[62:63], v[18:19]
	v_fmac_f64_e32 v[90:91], v[58:59], v[12:13]
	v_fma_f64 v[8:9], v[56:57], v[12:13], -v[14:15]
	v_add_f64 v[2:3], v[2:3], v[88:89]
	v_add_f64 v[4:5], v[4:5], v[6:7]
	;; [unrolled: 7-line block ×8, first 2 shown]
	v_fmac_f64_e32 v[104:105], v[86:87], v[40:41]
	v_fma_f64 v[22:23], v[84:85], v[40:41], -v[42:43]
	v_add_f64 v[2:3], v[2:3], v[102:103]
	v_add_f64 v[4:5], v[4:5], v[20:21]
	;; [unrolled: 1-line block ×4, first 2 shown]
	s_waitcnt vmcnt(0)
	v_add_f64 v[2:3], v[44:45], -v[2:3]
	v_add_f64 v[4:5], v[46:47], -v[6:7]
	scratch_store_dwordx4 off, v[2:5], off offset:704
	s_and_saveexec_b64 s[0:1], vcc
	s_cbranch_execz .LBB53_253
; %bb.252:
	scratch_load_dwordx4 v[2:5], off, s23
	v_mov_b32_e32 v6, 0
	v_mov_b32_e32 v7, v6
	;; [unrolled: 1-line block ×4, first 2 shown]
	v_accvgpr_read_b32 v0, a109
	scratch_store_dwordx4 off, v[6:9], off offset:688
	s_waitcnt vmcnt(1)
	ds_write_b128 v0, v[2:5]
.LBB53_253:
	s_or_b64 exec, exec, s[0:1]
	s_waitcnt lgkmcnt(0)
	; wave barrier
	scratch_load_dwordx4 v[4:7], off, off offset:704
	scratch_load_dwordx4 v[8:11], off, off offset:720
	;; [unrolled: 1-line block ×12, first 2 shown]
	v_mov_b32_e32 v2, 0
	ds_read_b128 v[52:55], v2 offset:1552
	ds_read_b128 v[56:59], v2 offset:1568
	;; [unrolled: 1-line block ×11, first 2 shown]
	v_cmp_lt_u32_e32 vcc, 41, v248
	s_waitcnt vmcnt(11) lgkmcnt(10)
	v_mul_f64 v[96:97], v[52:53], v[6:7]
	v_mul_f64 v[6:7], v[54:55], v[6:7]
	s_waitcnt vmcnt(10) lgkmcnt(9)
	v_mul_f64 v[98:99], v[56:57], v[10:11]
	s_waitcnt vmcnt(9) lgkmcnt(8)
	v_mul_f64 v[100:101], v[60:61], v[14:15]
	v_mul_f64 v[10:11], v[58:59], v[10:11]
	s_waitcnt vmcnt(6) lgkmcnt(5)
	v_mul_f64 v[106:107], v[72:73], v[26:27]
	v_mul_f64 v[14:15], v[62:63], v[14:15]
	;; [unrolled: 1-line block ×3, first 2 shown]
	v_fmac_f64_e32 v[96:97], v[54:55], v[4:5]
	v_fma_f64 v[4:5], v[52:53], v[4:5], -v[6:7]
	v_fmac_f64_e32 v[98:99], v[58:59], v[8:9]
	v_fma_f64 v[6:7], v[56:57], v[8:9], -v[10:11]
	v_fma_f64 v[8:9], v[60:61], v[12:13], -v[14:15]
	;; [unrolled: 1-line block ×3, first 2 shown]
	v_add_f64 v[26:27], v[96:97], 0
	v_add_f64 v[4:5], v[4:5], 0
	v_mul_f64 v[102:103], v[64:65], v[18:19]
	v_mul_f64 v[18:19], v[66:67], v[18:19]
	v_fmac_f64_e32 v[100:101], v[62:63], v[12:13]
	v_add_f64 v[26:27], v[26:27], v[98:99]
	v_add_f64 v[4:5], v[4:5], v[6:7]
	v_mul_f64 v[104:105], v[68:69], v[22:23]
	v_mul_f64 v[22:23], v[70:71], v[22:23]
	v_fmac_f64_e32 v[102:103], v[66:67], v[16:17]
	v_fma_f64 v[10:11], v[64:65], v[16:17], -v[18:19]
	v_add_f64 v[6:7], v[26:27], v[100:101]
	v_add_f64 v[4:5], v[4:5], v[8:9]
	v_fmac_f64_e32 v[104:105], v[70:71], v[20:21]
	v_fma_f64 v[12:13], v[68:69], v[20:21], -v[22:23]
	v_add_f64 v[6:7], v[6:7], v[102:103]
	v_add_f64 v[4:5], v[4:5], v[10:11]
	s_waitcnt vmcnt(5) lgkmcnt(4)
	v_mul_f64 v[108:109], v[76:77], v[30:31]
	v_mul_f64 v[30:31], v[78:79], v[30:31]
	v_fmac_f64_e32 v[106:107], v[74:75], v[24:25]
	v_add_f64 v[6:7], v[6:7], v[104:105]
	v_add_f64 v[4:5], v[4:5], v[12:13]
	s_waitcnt vmcnt(4) lgkmcnt(3)
	v_mul_f64 v[110:111], v[80:81], v[34:35]
	v_mul_f64 v[34:35], v[82:83], v[34:35]
	v_fmac_f64_e32 v[108:109], v[78:79], v[28:29]
	v_fma_f64 v[16:17], v[76:77], v[28:29], -v[30:31]
	v_add_f64 v[6:7], v[6:7], v[106:107]
	v_add_f64 v[4:5], v[4:5], v[14:15]
	s_waitcnt vmcnt(3) lgkmcnt(2)
	v_mul_f64 v[112:113], v[84:85], v[38:39]
	v_mul_f64 v[38:39], v[86:87], v[38:39]
	v_fmac_f64_e32 v[110:111], v[82:83], v[32:33]
	v_fma_f64 v[18:19], v[80:81], v[32:33], -v[34:35]
	;; [unrolled: 7-line block ×4, first 2 shown]
	v_add_f64 v[6:7], v[6:7], v[112:113]
	v_add_f64 v[4:5], v[4:5], v[20:21]
	v_fmac_f64_e32 v[116:117], v[94:95], v[44:45]
	v_fma_f64 v[24:25], v[92:93], v[44:45], -v[46:47]
	v_add_f64 v[6:7], v[6:7], v[114:115]
	v_add_f64 v[4:5], v[4:5], v[22:23]
	;; [unrolled: 1-line block ×4, first 2 shown]
	s_waitcnt vmcnt(0)
	v_add_f64 v[4:5], v[48:49], -v[4:5]
	v_add_f64 v[6:7], v[50:51], -v[6:7]
	scratch_store_dwordx4 off, v[4:7], off offset:688
	s_and_saveexec_b64 s[0:1], vcc
	s_cbranch_execz .LBB53_255
; %bb.254:
	scratch_load_dwordx4 v[6:9], off, s21
	v_mov_b32_e32 v3, v2
	v_mov_b32_e32 v4, v2
	;; [unrolled: 1-line block ×3, first 2 shown]
	v_accvgpr_read_b32 v0, a109
	scratch_store_dwordx4 off, v[2:5], off offset:672
	s_waitcnt vmcnt(1)
	ds_write_b128 v0, v[6:9]
.LBB53_255:
	s_or_b64 exec, exec, s[0:1]
	s_waitcnt lgkmcnt(0)
	; wave barrier
	scratch_load_dwordx4 v[4:7], off, off offset:688
	scratch_load_dwordx4 v[8:11], off, off offset:704
	;; [unrolled: 1-line block ×12, first 2 shown]
	ds_read_b128 v[52:55], v2 offset:1536
	ds_read_b128 v[56:59], v2 offset:1552
	;; [unrolled: 1-line block ×4, first 2 shown]
	scratch_load_dwordx4 v[68:71], off, off offset:672
	ds_read_b128 v[72:75], v2 offset:1600
	ds_read_b128 v[76:79], v2 offset:1616
	;; [unrolled: 1-line block ×8, first 2 shown]
	v_cmp_lt_u32_e32 vcc, 40, v248
	s_waitcnt vmcnt(12) lgkmcnt(11)
	v_mul_f64 v[2:3], v[52:53], v[6:7]
	s_waitcnt vmcnt(11) lgkmcnt(10)
	v_mul_f64 v[104:105], v[56:57], v[10:11]
	v_fmac_f64_e32 v[2:3], v[54:55], v[4:5]
	s_waitcnt vmcnt(10) lgkmcnt(9)
	v_mul_f64 v[106:107], v[60:61], v[14:15]
	v_mul_f64 v[6:7], v[54:55], v[6:7]
	v_fmac_f64_e32 v[104:105], v[58:59], v[8:9]
	v_add_f64 v[2:3], v[2:3], 0
	s_waitcnt vmcnt(9) lgkmcnt(8)
	v_mul_f64 v[108:109], v[64:65], v[18:19]
	v_mul_f64 v[10:11], v[58:59], v[10:11]
	v_fmac_f64_e32 v[106:107], v[62:63], v[12:13]
	v_fma_f64 v[4:5], v[52:53], v[4:5], -v[6:7]
	v_add_f64 v[2:3], v[2:3], v[104:105]
	s_waitcnt vmcnt(8) lgkmcnt(7)
	v_mul_f64 v[110:111], v[72:73], v[22:23]
	v_mul_f64 v[14:15], v[62:63], v[14:15]
	v_fmac_f64_e32 v[108:109], v[66:67], v[16:17]
	v_fma_f64 v[6:7], v[56:57], v[8:9], -v[10:11]
	v_add_f64 v[4:5], v[4:5], 0
	v_add_f64 v[2:3], v[2:3], v[106:107]
	s_waitcnt vmcnt(7) lgkmcnt(6)
	v_mul_f64 v[112:113], v[76:77], v[26:27]
	v_mul_f64 v[18:19], v[66:67], v[18:19]
	v_fmac_f64_e32 v[110:111], v[74:75], v[20:21]
	v_fma_f64 v[8:9], v[60:61], v[12:13], -v[14:15]
	v_add_f64 v[4:5], v[4:5], v[6:7]
	;; [unrolled: 7-line block ×8, first 2 shown]
	v_add_f64 v[2:3], v[2:3], v[120:121]
	v_mul_f64 v[46:47], v[98:99], v[46:47]
	v_fmac_f64_e32 v[124:125], v[102:103], v[48:49]
	v_fma_f64 v[22:23], v[92:93], v[40:41], -v[42:43]
	v_add_f64 v[4:5], v[4:5], v[20:21]
	v_add_f64 v[2:3], v[2:3], v[122:123]
	v_add_f64 v[4:5], v[4:5], v[22:23]
	v_add_f64 v[6:7], v[2:3], v[124:125]
	v_fma_f64 v[2:3], v[96:97], v[44:45], -v[46:47]
	v_add_f64 v[2:3], v[4:5], v[2:3]
	v_mul_f64 v[4:5], v[102:103], v[50:51]
	v_fma_f64 v[4:5], v[100:101], v[48:49], -v[4:5]
	v_add_f64 v[2:3], v[2:3], v[4:5]
	s_waitcnt vmcnt(0)
	v_add_f64 v[2:3], v[68:69], -v[2:3]
	v_add_f64 v[4:5], v[70:71], -v[6:7]
	scratch_store_dwordx4 off, v[2:5], off offset:672
	s_and_saveexec_b64 s[0:1], vcc
	s_cbranch_execz .LBB53_257
; %bb.256:
	scratch_load_dwordx4 v[2:5], off, s22
	v_mov_b32_e32 v6, 0
	v_mov_b32_e32 v7, v6
	;; [unrolled: 1-line block ×4, first 2 shown]
	v_accvgpr_read_b32 v0, a109
	scratch_store_dwordx4 off, v[6:9], off offset:656
	s_waitcnt vmcnt(1)
	ds_write_b128 v0, v[2:5]
.LBB53_257:
	s_or_b64 exec, exec, s[0:1]
	s_waitcnt lgkmcnt(0)
	; wave barrier
	scratch_load_dwordx4 v[4:7], off, off offset:672
	scratch_load_dwordx4 v[8:11], off, off offset:688
	;; [unrolled: 1-line block ×14, first 2 shown]
	v_mov_b32_e32 v2, 0
	ds_read_b128 v[60:63], v2 offset:1520
	ds_read_b128 v[64:67], v2 offset:1536
	;; [unrolled: 1-line block ×13, first 2 shown]
	v_cmp_lt_u32_e32 vcc, 39, v248
	s_waitcnt vmcnt(13) lgkmcnt(12)
	v_mul_f64 v[112:113], v[60:61], v[6:7]
	v_mul_f64 v[6:7], v[62:63], v[6:7]
	s_waitcnt vmcnt(12) lgkmcnt(11)
	v_mul_f64 v[114:115], v[64:65], v[10:11]
	v_mul_f64 v[10:11], v[66:67], v[10:11]
	v_fmac_f64_e32 v[112:113], v[62:63], v[4:5]
	v_fma_f64 v[4:5], v[60:61], v[4:5], -v[6:7]
	s_waitcnt vmcnt(11) lgkmcnt(10)
	v_mul_f64 v[116:117], v[68:69], v[14:15]
	v_mul_f64 v[14:15], v[70:71], v[14:15]
	v_fma_f64 v[6:7], v[64:65], v[8:9], -v[10:11]
	v_add_f64 v[4:5], v[4:5], 0
	s_waitcnt vmcnt(10) lgkmcnt(9)
	v_mul_f64 v[118:119], v[72:73], v[18:19]
	v_mul_f64 v[18:19], v[74:75], v[18:19]
	v_fmac_f64_e32 v[114:115], v[66:67], v[8:9]
	v_fma_f64 v[8:9], v[68:69], v[12:13], -v[14:15]
	v_add_f64 v[4:5], v[4:5], v[6:7]
	s_waitcnt vmcnt(9) lgkmcnt(8)
	v_mul_f64 v[120:121], v[76:77], v[22:23]
	v_mul_f64 v[22:23], v[78:79], v[22:23]
	v_fma_f64 v[10:11], v[72:73], v[16:17], -v[18:19]
	v_add_f64 v[4:5], v[4:5], v[8:9]
	s_waitcnt vmcnt(8) lgkmcnt(7)
	v_mul_f64 v[122:123], v[80:81], v[26:27]
	v_mul_f64 v[26:27], v[82:83], v[26:27]
	v_fmac_f64_e32 v[116:117], v[70:71], v[12:13]
	v_fma_f64 v[12:13], v[76:77], v[20:21], -v[22:23]
	v_add_f64 v[22:23], v[112:113], 0
	v_add_f64 v[4:5], v[4:5], v[10:11]
	s_waitcnt vmcnt(7) lgkmcnt(6)
	v_mul_f64 v[124:125], v[84:85], v[30:31]
	v_mul_f64 v[30:31], v[86:87], v[30:31]
	v_fma_f64 v[14:15], v[80:81], v[24:25], -v[26:27]
	v_add_f64 v[22:23], v[22:23], v[114:115]
	v_add_f64 v[4:5], v[4:5], v[12:13]
	s_waitcnt vmcnt(6) lgkmcnt(5)
	v_mul_f64 v[126:127], v[88:89], v[34:35]
	v_mul_f64 v[34:35], v[90:91], v[34:35]
	v_fmac_f64_e32 v[118:119], v[74:75], v[16:17]
	v_fma_f64 v[16:17], v[84:85], v[28:29], -v[30:31]
	v_add_f64 v[6:7], v[22:23], v[116:117]
	v_add_f64 v[4:5], v[4:5], v[14:15]
	s_waitcnt vmcnt(5) lgkmcnt(4)
	v_mul_f64 v[128:129], v[92:93], v[38:39]
	v_mul_f64 v[38:39], v[94:95], v[38:39]
	v_fmac_f64_e32 v[120:121], v[78:79], v[20:21]
	v_fma_f64 v[18:19], v[88:89], v[32:33], -v[34:35]
	v_add_f64 v[6:7], v[6:7], v[118:119]
	v_add_f64 v[4:5], v[4:5], v[16:17]
	v_fmac_f64_e32 v[122:123], v[82:83], v[24:25]
	v_fma_f64 v[20:21], v[92:93], v[36:37], -v[38:39]
	v_add_f64 v[6:7], v[6:7], v[120:121]
	v_add_f64 v[4:5], v[4:5], v[18:19]
	s_waitcnt vmcnt(4) lgkmcnt(3)
	v_mul_f64 v[8:9], v[98:99], v[42:43]
	v_fmac_f64_e32 v[124:125], v[86:87], v[28:29]
	v_add_f64 v[6:7], v[6:7], v[122:123]
	v_add_f64 v[4:5], v[4:5], v[20:21]
	v_fma_f64 v[8:9], v[96:97], v[40:41], -v[8:9]
	v_fmac_f64_e32 v[126:127], v[90:91], v[32:33]
	v_add_f64 v[6:7], v[6:7], v[124:125]
	v_add_f64 v[4:5], v[4:5], v[8:9]
	s_waitcnt vmcnt(3) lgkmcnt(2)
	v_mul_f64 v[8:9], v[102:103], v[46:47]
	v_mul_f64 v[130:131], v[96:97], v[42:43]
	v_fmac_f64_e32 v[128:129], v[94:95], v[36:37]
	v_add_f64 v[6:7], v[6:7], v[126:127]
	v_fma_f64 v[8:9], v[100:101], v[44:45], -v[8:9]
	v_mul_f64 v[132:133], v[100:101], v[46:47]
	v_fmac_f64_e32 v[130:131], v[98:99], v[40:41]
	v_add_f64 v[6:7], v[6:7], v[128:129]
	v_add_f64 v[4:5], v[4:5], v[8:9]
	s_waitcnt vmcnt(2) lgkmcnt(1)
	v_mul_f64 v[8:9], v[106:107], v[50:51]
	v_mul_f64 v[134:135], v[104:105], v[50:51]
	v_fmac_f64_e32 v[132:133], v[102:103], v[44:45]
	v_add_f64 v[6:7], v[6:7], v[130:131]
	v_fma_f64 v[8:9], v[104:105], v[48:49], -v[8:9]
	s_waitcnt vmcnt(1) lgkmcnt(0)
	v_mul_f64 v[136:137], v[108:109], v[54:55]
	v_fmac_f64_e32 v[134:135], v[106:107], v[48:49]
	v_add_f64 v[6:7], v[6:7], v[132:133]
	v_add_f64 v[4:5], v[4:5], v[8:9]
	v_mul_f64 v[8:9], v[110:111], v[54:55]
	v_fmac_f64_e32 v[136:137], v[110:111], v[52:53]
	v_add_f64 v[6:7], v[6:7], v[134:135]
	v_fma_f64 v[8:9], v[108:109], v[52:53], -v[8:9]
	v_add_f64 v[6:7], v[6:7], v[136:137]
	v_add_f64 v[4:5], v[4:5], v[8:9]
	s_waitcnt vmcnt(0)
	v_add_f64 v[4:5], v[56:57], -v[4:5]
	v_add_f64 v[6:7], v[58:59], -v[6:7]
	scratch_store_dwordx4 off, v[4:7], off offset:656
	s_and_saveexec_b64 s[0:1], vcc
	s_cbranch_execz .LBB53_259
; %bb.258:
	scratch_load_dwordx4 v[6:9], off, s20
	v_mov_b32_e32 v3, v2
	v_mov_b32_e32 v4, v2
	;; [unrolled: 1-line block ×3, first 2 shown]
	v_accvgpr_read_b32 v0, a109
	scratch_store_dwordx4 off, v[2:5], off offset:640
	s_waitcnt vmcnt(1)
	ds_write_b128 v0, v[6:9]
.LBB53_259:
	s_or_b64 exec, exec, s[0:1]
	s_waitcnt lgkmcnt(0)
	; wave barrier
	scratch_load_dwordx4 v[4:7], off, off offset:656
	scratch_load_dwordx4 v[8:11], off, off offset:672
	;; [unrolled: 1-line block ×14, first 2 shown]
	ds_read_b128 v[60:63], v2 offset:1504
	ds_read_b128 v[64:67], v2 offset:1520
	;; [unrolled: 1-line block ×14, first 2 shown]
	scratch_load_dwordx4 v[116:119], off, off offset:640
	v_cmp_lt_u32_e32 vcc, 38, v248
	s_waitcnt vmcnt(14) lgkmcnt(13)
	v_mul_f64 v[2:3], v[60:61], v[6:7]
	s_waitcnt vmcnt(13) lgkmcnt(12)
	v_mul_f64 v[120:121], v[64:65], v[10:11]
	v_fmac_f64_e32 v[2:3], v[62:63], v[4:5]
	s_waitcnt vmcnt(12) lgkmcnt(11)
	v_mul_f64 v[122:123], v[68:69], v[14:15]
	v_fmac_f64_e32 v[120:121], v[66:67], v[8:9]
	v_add_f64 v[2:3], v[2:3], 0
	s_waitcnt vmcnt(11) lgkmcnt(10)
	v_mul_f64 v[124:125], v[72:73], v[18:19]
	v_fmac_f64_e32 v[122:123], v[70:71], v[12:13]
	v_add_f64 v[2:3], v[2:3], v[120:121]
	;; [unrolled: 4-line block ×4, first 2 shown]
	s_waitcnt vmcnt(8) lgkmcnt(7)
	v_mul_f64 v[130:131], v[84:85], v[30:31]
	v_mul_f64 v[6:7], v[62:63], v[6:7]
	v_fmac_f64_e32 v[128:129], v[82:83], v[24:25]
	v_add_f64 v[2:3], v[2:3], v[126:127]
	s_waitcnt vmcnt(7) lgkmcnt(6)
	v_mul_f64 v[132:133], v[88:89], v[34:35]
	v_mul_f64 v[10:11], v[66:67], v[10:11]
	v_fmac_f64_e32 v[130:131], v[86:87], v[28:29]
	v_fma_f64 v[4:5], v[60:61], v[4:5], -v[6:7]
	v_add_f64 v[2:3], v[2:3], v[128:129]
	s_waitcnt vmcnt(6) lgkmcnt(5)
	v_mul_f64 v[134:135], v[92:93], v[38:39]
	v_mul_f64 v[14:15], v[70:71], v[14:15]
	v_fmac_f64_e32 v[132:133], v[90:91], v[32:33]
	v_fma_f64 v[6:7], v[64:65], v[8:9], -v[10:11]
	v_add_f64 v[4:5], v[4:5], 0
	v_add_f64 v[2:3], v[2:3], v[130:131]
	s_waitcnt vmcnt(5) lgkmcnt(4)
	v_mul_f64 v[136:137], v[96:97], v[42:43]
	v_mul_f64 v[18:19], v[74:75], v[18:19]
	v_fmac_f64_e32 v[134:135], v[94:95], v[36:37]
	v_fma_f64 v[8:9], v[68:69], v[12:13], -v[14:15]
	v_add_f64 v[4:5], v[4:5], v[6:7]
	;; [unrolled: 7-line block ×6, first 2 shown]
	v_add_f64 v[2:3], v[2:3], v[140:141]
	v_fmac_f64_e32 v[144:145], v[114:115], v[56:57]
	v_fma_f64 v[18:19], v[88:89], v[32:33], -v[34:35]
	v_add_f64 v[4:5], v[4:5], v[16:17]
	v_add_f64 v[2:3], v[2:3], v[142:143]
	;; [unrolled: 1-line block ×4, first 2 shown]
	v_mul_f64 v[4:5], v[94:95], v[38:39]
	v_fma_f64 v[4:5], v[92:93], v[36:37], -v[4:5]
	v_add_f64 v[2:3], v[2:3], v[4:5]
	v_mul_f64 v[4:5], v[98:99], v[42:43]
	v_fma_f64 v[4:5], v[96:97], v[40:41], -v[4:5]
	v_add_f64 v[2:3], v[2:3], v[4:5]
	;; [unrolled: 3-line block ×6, first 2 shown]
	s_waitcnt vmcnt(0)
	v_add_f64 v[2:3], v[116:117], -v[2:3]
	v_add_f64 v[4:5], v[118:119], -v[6:7]
	scratch_store_dwordx4 off, v[2:5], off offset:640
	s_and_saveexec_b64 s[0:1], vcc
	s_cbranch_execz .LBB53_261
; %bb.260:
	scratch_load_dwordx4 v[2:5], off, s15
	v_mov_b32_e32 v6, 0
	v_mov_b32_e32 v7, v6
	;; [unrolled: 1-line block ×4, first 2 shown]
	v_accvgpr_read_b32 v0, a109
	scratch_store_dwordx4 off, v[6:9], off offset:624
	s_waitcnt vmcnt(1)
	ds_write_b128 v0, v[2:5]
.LBB53_261:
	s_or_b64 exec, exec, s[0:1]
	v_mov_b32_e32 v2, 0
	s_waitcnt lgkmcnt(0)
	; wave barrier
	ds_read_b128 v[16:19], v2 offset:1488
	ds_read_b128 v[12:15], v2 offset:1504
	;; [unrolled: 1-line block ×4, first 2 shown]
	scratch_load_dwordx4 v[20:23], off, off offset:640
	scratch_load_dwordx4 v[40:43], off, off offset:704
	;; [unrolled: 1-line block ×9, first 2 shown]
	v_cmp_lt_u32_e32 vcc, 37, v248
	scratch_load_dwordx4 v[50:53], off, off offset:720
	scratch_load_dwordx4 v[58:61], off, off offset:736
	;; [unrolled: 1-line block ×3, first 2 shown]
	s_waitcnt vmcnt(11) lgkmcnt(3)
	v_mul_f64 v[24:25], v[16:17], v[22:23]
	v_fmac_f64_e32 v[24:25], v[18:19], v[20:21]
	v_add_f64 v[28:29], v[24:25], 0
	scratch_load_dwordx4 v[24:27], off, off offset:656
	v_mul_f64 v[18:19], v[18:19], v[22:23]
	v_fma_f64 v[16:17], v[16:17], v[20:21], -v[18:19]
	v_add_f64 v[16:17], v[16:17], 0
	s_waitcnt vmcnt(0) lgkmcnt(2)
	v_mul_f64 v[30:31], v[12:13], v[26:27]
	v_fmac_f64_e32 v[30:31], v[14:15], v[24:25]
	v_add_f64 v[32:33], v[28:29], v[30:31]
	scratch_load_dwordx4 v[28:31], off, off offset:672
	v_mul_f64 v[14:15], v[14:15], v[26:27]
	v_fma_f64 v[12:13], v[12:13], v[24:25], -v[14:15]
	v_add_f64 v[12:13], v[16:17], v[12:13]
	;; [unrolled: 8-line block ×3, first 2 shown]
	s_waitcnt vmcnt(0) lgkmcnt(0)
	v_mul_f64 v[38:39], v[4:5], v[34:35]
	v_fmac_f64_e32 v[38:39], v[6:7], v[32:33]
	v_add_f64 v[44:45], v[36:37], v[38:39]
	ds_read_b128 v[36:39], v2 offset:1552
	v_mul_f64 v[6:7], v[6:7], v[34:35]
	v_fma_f64 v[4:5], v[4:5], v[32:33], -v[6:7]
	v_add_f64 v[4:5], v[8:9], v[4:5]
	s_waitcnt lgkmcnt(0)
	v_mul_f64 v[46:47], v[36:37], v[42:43]
	v_fmac_f64_e32 v[46:47], v[38:39], v[40:41]
	v_add_f64 v[48:49], v[44:45], v[46:47]
	ds_read_b128 v[44:47], v2 offset:1568
	v_mul_f64 v[6:7], v[38:39], v[42:43]
	v_fma_f64 v[6:7], v[36:37], v[40:41], -v[6:7]
	v_add_f64 v[4:5], v[4:5], v[6:7]
	s_waitcnt lgkmcnt(0)
	;; [unrolled: 8-line block ×11, first 2 shown]
	v_mul_f64 v[6:7], v[120:121], v[124:125]
	v_fma_f64 v[6:7], v[118:119], v[122:123], -v[6:7]
	v_add_f64 v[8:9], v[4:5], v[6:7]
	scratch_load_dwordx4 v[4:7], off, off offset:624
	v_mul_f64 v[126:127], v[118:119], v[124:125]
	v_fmac_f64_e32 v[126:127], v[120:121], v[122:123]
	v_add_f64 v[48:49], v[48:49], v[126:127]
	s_waitcnt vmcnt(0)
	v_add_f64 v[4:5], v[4:5], -v[8:9]
	v_add_f64 v[6:7], v[6:7], -v[48:49]
	scratch_store_dwordx4 off, v[4:7], off offset:624
	s_and_saveexec_b64 s[0:1], vcc
	s_cbranch_execz .LBB53_263
; %bb.262:
	scratch_load_dwordx4 v[6:9], off, s14
	v_mov_b32_e32 v3, v2
	v_mov_b32_e32 v4, v2
	;; [unrolled: 1-line block ×3, first 2 shown]
	v_accvgpr_read_b32 v0, a109
	scratch_store_dwordx4 off, v[2:5], off offset:608
	s_waitcnt vmcnt(1)
	ds_write_b128 v0, v[6:9]
.LBB53_263:
	s_or_b64 exec, exec, s[0:1]
	s_waitcnt lgkmcnt(0)
	; wave barrier
	ds_read_b128 v[16:19], v2 offset:1472
	ds_read_b128 v[12:15], v2 offset:1488
	;; [unrolled: 1-line block ×4, first 2 shown]
	scratch_load_dwordx4 v[20:23], off, off offset:624
	scratch_load_dwordx4 v[40:43], off, off offset:688
	;; [unrolled: 1-line block ×10, first 2 shown]
	v_cmp_lt_u32_e32 vcc, 36, v248
	scratch_load_dwordx4 v[48:51], off, off offset:704
	scratch_load_dwordx4 v[56:59], off, off offset:720
	;; [unrolled: 1-line block ×3, first 2 shown]
	s_waitcnt vmcnt(12) lgkmcnt(3)
	v_mul_f64 v[24:25], v[16:17], v[22:23]
	v_fmac_f64_e32 v[24:25], v[18:19], v[20:21]
	v_add_f64 v[28:29], v[24:25], 0
	scratch_load_dwordx4 v[24:27], off, off offset:640
	s_waitcnt vmcnt(0) lgkmcnt(2)
	v_mul_f64 v[30:31], v[12:13], v[26:27]
	v_fmac_f64_e32 v[30:31], v[14:15], v[24:25]
	v_add_f64 v[32:33], v[28:29], v[30:31]
	scratch_load_dwordx4 v[28:31], off, off offset:656
	v_mul_f64 v[14:15], v[14:15], v[26:27]
	v_fma_f64 v[12:13], v[12:13], v[24:25], -v[14:15]
	s_waitcnt vmcnt(0) lgkmcnt(1)
	v_mul_f64 v[34:35], v[8:9], v[30:31]
	v_fmac_f64_e32 v[34:35], v[10:11], v[28:29]
	v_add_f64 v[36:37], v[32:33], v[34:35]
	scratch_load_dwordx4 v[32:35], off, off offset:672
	v_mul_f64 v[10:11], v[10:11], v[30:31]
	v_fma_f64 v[8:9], v[8:9], v[28:29], -v[10:11]
	s_waitcnt vmcnt(0) lgkmcnt(0)
	v_mul_f64 v[38:39], v[4:5], v[34:35]
	v_fmac_f64_e32 v[38:39], v[6:7], v[32:33]
	v_add_f64 v[44:45], v[36:37], v[38:39]
	ds_read_b128 v[36:39], v2 offset:1536
	v_mul_f64 v[6:7], v[6:7], v[34:35]
	v_fma_f64 v[4:5], v[4:5], v[32:33], -v[6:7]
	s_waitcnt lgkmcnt(0)
	v_mul_f64 v[46:47], v[36:37], v[42:43]
	v_fmac_f64_e32 v[46:47], v[38:39], v[40:41]
	v_add_f64 v[52:53], v[44:45], v[46:47]
	ds_read_b128 v[44:47], v2 offset:1552
	s_waitcnt lgkmcnt(0)
	v_mul_f64 v[54:55], v[44:45], v[50:51]
	v_fmac_f64_e32 v[54:55], v[46:47], v[48:49]
	v_add_f64 v[60:61], v[52:53], v[54:55]
	ds_read_b128 v[52:55], v2 offset:1568
	s_waitcnt lgkmcnt(0)
	v_mul_f64 v[62:63], v[52:53], v[58:59]
	v_fmac_f64_e32 v[62:63], v[54:55], v[56:57]
	v_add_f64 v[64:65], v[60:61], v[62:63]
	ds_read_b128 v[60:63], v2 offset:1584
	s_waitcnt lgkmcnt(0)
	v_mul_f64 v[70:71], v[60:61], v[68:69]
	v_fmac_f64_e32 v[70:71], v[62:63], v[66:67]
	v_add_f64 v[64:65], v[64:65], v[70:71]
	ds_read_b128 v[70:73], v2 offset:1600
	s_waitcnt lgkmcnt(0)
	v_mul_f64 v[78:79], v[70:71], v[76:77]
	v_fmac_f64_e32 v[78:79], v[72:73], v[74:75]
	v_add_f64 v[64:65], v[64:65], v[78:79]
	ds_read_b128 v[78:81], v2 offset:1616
	s_waitcnt lgkmcnt(0)
	v_mul_f64 v[86:87], v[78:79], v[84:85]
	v_fmac_f64_e32 v[86:87], v[80:81], v[82:83]
	v_add_f64 v[64:65], v[64:65], v[86:87]
	ds_read_b128 v[86:89], v2 offset:1632
	s_waitcnt lgkmcnt(0)
	v_mul_f64 v[94:95], v[86:87], v[92:93]
	v_fmac_f64_e32 v[94:95], v[88:89], v[90:91]
	v_add_f64 v[64:65], v[64:65], v[94:95]
	ds_read_b128 v[94:97], v2 offset:1648
	s_waitcnt lgkmcnt(0)
	v_mul_f64 v[102:103], v[94:95], v[100:101]
	v_fmac_f64_e32 v[102:103], v[96:97], v[98:99]
	v_add_f64 v[64:65], v[64:65], v[102:103]
	ds_read_b128 v[102:105], v2 offset:1664
	s_waitcnt lgkmcnt(0)
	v_mul_f64 v[110:111], v[102:103], v[108:109]
	v_fmac_f64_e32 v[110:111], v[104:105], v[106:107]
	v_add_f64 v[64:65], v[64:65], v[110:111]
	ds_read_b128 v[110:113], v2 offset:1680
	s_waitcnt lgkmcnt(0)
	v_mul_f64 v[118:119], v[110:111], v[116:117]
	v_fmac_f64_e32 v[118:119], v[112:113], v[114:115]
	v_add_f64 v[64:65], v[64:65], v[118:119]
	ds_read_b128 v[118:121], v2 offset:1696
	s_waitcnt lgkmcnt(0)
	v_mul_f64 v[126:127], v[118:119], v[124:125]
	v_fmac_f64_e32 v[126:127], v[120:121], v[122:123]
	v_add_f64 v[64:65], v[64:65], v[126:127]
	ds_read_b128 v[126:129], v2 offset:1712
	s_waitcnt lgkmcnt(0)
	v_mul_f64 v[2:3], v[126:127], v[132:133]
	v_fmac_f64_e32 v[2:3], v[128:129], v[130:131]
	v_add_f64 v[64:65], v[64:65], v[2:3]
	v_mul_f64 v[2:3], v[18:19], v[22:23]
	v_fma_f64 v[2:3], v[16:17], v[20:21], -v[2:3]
	v_add_f64 v[2:3], v[2:3], 0
	v_add_f64 v[2:3], v[2:3], v[12:13]
	;; [unrolled: 1-line block ×4, first 2 shown]
	v_mul_f64 v[4:5], v[38:39], v[42:43]
	v_fma_f64 v[4:5], v[36:37], v[40:41], -v[4:5]
	v_add_f64 v[2:3], v[2:3], v[4:5]
	v_mul_f64 v[4:5], v[46:47], v[50:51]
	v_fma_f64 v[4:5], v[44:45], v[48:49], -v[4:5]
	v_add_f64 v[2:3], v[2:3], v[4:5]
	;; [unrolled: 3-line block ×12, first 2 shown]
	scratch_load_dwordx4 v[2:5], off, off offset:608
	s_waitcnt vmcnt(0)
	v_add_f64 v[2:3], v[2:3], -v[6:7]
	v_add_f64 v[4:5], v[4:5], -v[64:65]
	scratch_store_dwordx4 off, v[2:5], off offset:608
	s_and_saveexec_b64 s[0:1], vcc
	s_cbranch_execz .LBB53_265
; %bb.264:
	scratch_load_dwordx4 v[2:5], off, s13
	v_mov_b32_e32 v6, 0
	v_mov_b32_e32 v7, v6
	;; [unrolled: 1-line block ×4, first 2 shown]
	v_accvgpr_read_b32 v0, a109
	scratch_store_dwordx4 off, v[6:9], off offset:592
	s_waitcnt vmcnt(1)
	ds_write_b128 v0, v[2:5]
.LBB53_265:
	s_or_b64 exec, exec, s[0:1]
	v_mov_b32_e32 v2, 0
	s_waitcnt lgkmcnt(0)
	; wave barrier
	ds_read_b128 v[16:19], v2 offset:1456
	ds_read_b128 v[12:15], v2 offset:1472
	;; [unrolled: 1-line block ×4, first 2 shown]
	scratch_load_dwordx4 v[20:23], off, off offset:608
	scratch_load_dwordx4 v[40:43], off, off offset:672
	;; [unrolled: 1-line block ×11, first 2 shown]
	v_cmp_lt_u32_e32 vcc, 35, v248
	scratch_load_dwordx4 v[48:51], off, off offset:688
	scratch_load_dwordx4 v[56:59], off, off offset:704
	;; [unrolled: 1-line block ×3, first 2 shown]
	s_waitcnt vmcnt(13) lgkmcnt(3)
	v_mul_f64 v[24:25], v[16:17], v[22:23]
	v_fmac_f64_e32 v[24:25], v[18:19], v[20:21]
	v_add_f64 v[28:29], v[24:25], 0
	scratch_load_dwordx4 v[24:27], off, off offset:624
	v_mul_f64 v[18:19], v[18:19], v[22:23]
	v_fma_f64 v[16:17], v[16:17], v[20:21], -v[18:19]
	v_add_f64 v[16:17], v[16:17], 0
	s_waitcnt vmcnt(0) lgkmcnt(2)
	v_mul_f64 v[30:31], v[12:13], v[26:27]
	v_fmac_f64_e32 v[30:31], v[14:15], v[24:25]
	v_add_f64 v[32:33], v[28:29], v[30:31]
	scratch_load_dwordx4 v[28:31], off, off offset:640
	v_mul_f64 v[14:15], v[14:15], v[26:27]
	v_fma_f64 v[12:13], v[12:13], v[24:25], -v[14:15]
	v_add_f64 v[12:13], v[16:17], v[12:13]
	;; [unrolled: 8-line block ×3, first 2 shown]
	s_waitcnt vmcnt(0) lgkmcnt(0)
	v_mul_f64 v[38:39], v[4:5], v[34:35]
	v_fmac_f64_e32 v[38:39], v[6:7], v[32:33]
	v_add_f64 v[44:45], v[36:37], v[38:39]
	ds_read_b128 v[36:39], v2 offset:1520
	v_mul_f64 v[6:7], v[6:7], v[34:35]
	v_fma_f64 v[4:5], v[4:5], v[32:33], -v[6:7]
	v_add_f64 v[4:5], v[8:9], v[4:5]
	s_waitcnt lgkmcnt(0)
	v_mul_f64 v[46:47], v[36:37], v[42:43]
	v_fmac_f64_e32 v[46:47], v[38:39], v[40:41]
	v_add_f64 v[52:53], v[44:45], v[46:47]
	ds_read_b128 v[44:47], v2 offset:1536
	v_mul_f64 v[6:7], v[38:39], v[42:43]
	v_fma_f64 v[6:7], v[36:37], v[40:41], -v[6:7]
	v_add_f64 v[4:5], v[4:5], v[6:7]
	s_waitcnt lgkmcnt(0)
	;; [unrolled: 8-line block ×13, first 2 shown]
	v_mul_f64 v[6:7], v[136:137], v[140:141]
	v_fma_f64 v[6:7], v[134:135], v[138:139], -v[6:7]
	v_add_f64 v[8:9], v[4:5], v[6:7]
	scratch_load_dwordx4 v[4:7], off, off offset:592
	v_mul_f64 v[142:143], v[134:135], v[140:141]
	v_fmac_f64_e32 v[142:143], v[136:137], v[138:139]
	v_add_f64 v[72:73], v[72:73], v[142:143]
	s_waitcnt vmcnt(0)
	v_add_f64 v[4:5], v[4:5], -v[8:9]
	v_add_f64 v[6:7], v[6:7], -v[72:73]
	scratch_store_dwordx4 off, v[4:7], off offset:592
	s_and_saveexec_b64 s[0:1], vcc
	s_cbranch_execz .LBB53_267
; %bb.266:
	scratch_load_dwordx4 v[6:9], off, s12
	v_mov_b32_e32 v3, v2
	v_mov_b32_e32 v4, v2
	;; [unrolled: 1-line block ×3, first 2 shown]
	v_accvgpr_read_b32 v0, a109
	scratch_store_dwordx4 off, v[2:5], off offset:576
	s_waitcnt vmcnt(1)
	ds_write_b128 v0, v[6:9]
.LBB53_267:
	s_or_b64 exec, exec, s[0:1]
	s_waitcnt lgkmcnt(0)
	; wave barrier
	ds_read_b128 v[16:19], v2 offset:1440
	ds_read_b128 v[12:15], v2 offset:1456
	;; [unrolled: 1-line block ×4, first 2 shown]
	scratch_load_dwordx4 v[20:23], off, off offset:592
	scratch_load_dwordx4 v[40:43], off, off offset:656
	;; [unrolled: 1-line block ×12, first 2 shown]
	v_cmp_lt_u32_e32 vcc, 34, v248
	scratch_load_dwordx4 v[48:51], off, off offset:672
	scratch_load_dwordx4 v[56:59], off, off offset:688
	;; [unrolled: 1-line block ×3, first 2 shown]
	s_waitcnt vmcnt(14) lgkmcnt(3)
	v_mul_f64 v[24:25], v[16:17], v[22:23]
	v_fmac_f64_e32 v[24:25], v[18:19], v[20:21]
	v_add_f64 v[28:29], v[24:25], 0
	scratch_load_dwordx4 v[24:27], off, off offset:608
	s_waitcnt vmcnt(0) lgkmcnt(2)
	v_mul_f64 v[30:31], v[12:13], v[26:27]
	v_fmac_f64_e32 v[30:31], v[14:15], v[24:25]
	v_add_f64 v[32:33], v[28:29], v[30:31]
	scratch_load_dwordx4 v[28:31], off, off offset:624
	v_mul_f64 v[14:15], v[14:15], v[26:27]
	v_fma_f64 v[12:13], v[12:13], v[24:25], -v[14:15]
	s_waitcnt vmcnt(0) lgkmcnt(1)
	v_mul_f64 v[34:35], v[8:9], v[30:31]
	v_fmac_f64_e32 v[34:35], v[10:11], v[28:29]
	v_add_f64 v[36:37], v[32:33], v[34:35]
	scratch_load_dwordx4 v[32:35], off, off offset:640
	v_mul_f64 v[10:11], v[10:11], v[30:31]
	v_fma_f64 v[8:9], v[8:9], v[28:29], -v[10:11]
	s_waitcnt vmcnt(0) lgkmcnt(0)
	v_mul_f64 v[38:39], v[4:5], v[34:35]
	v_fmac_f64_e32 v[38:39], v[6:7], v[32:33]
	v_add_f64 v[44:45], v[36:37], v[38:39]
	ds_read_b128 v[36:39], v2 offset:1504
	v_mul_f64 v[6:7], v[6:7], v[34:35]
	v_fma_f64 v[4:5], v[4:5], v[32:33], -v[6:7]
	s_waitcnt lgkmcnt(0)
	v_mul_f64 v[46:47], v[36:37], v[42:43]
	v_fmac_f64_e32 v[46:47], v[38:39], v[40:41]
	v_add_f64 v[52:53], v[44:45], v[46:47]
	ds_read_b128 v[44:47], v2 offset:1520
	s_waitcnt lgkmcnt(0)
	v_mul_f64 v[54:55], v[44:45], v[50:51]
	v_fmac_f64_e32 v[54:55], v[46:47], v[48:49]
	v_add_f64 v[60:61], v[52:53], v[54:55]
	ds_read_b128 v[52:55], v2 offset:1536
	;; [unrolled: 5-line block ×13, first 2 shown]
	s_waitcnt lgkmcnt(0)
	v_mul_f64 v[2:3], v[142:143], v[148:149]
	v_fmac_f64_e32 v[2:3], v[144:145], v[146:147]
	v_add_f64 v[80:81], v[80:81], v[2:3]
	v_mul_f64 v[2:3], v[18:19], v[22:23]
	v_fma_f64 v[2:3], v[16:17], v[20:21], -v[2:3]
	v_add_f64 v[2:3], v[2:3], 0
	v_add_f64 v[2:3], v[2:3], v[12:13]
	;; [unrolled: 1-line block ×4, first 2 shown]
	v_mul_f64 v[4:5], v[38:39], v[42:43]
	v_fma_f64 v[4:5], v[36:37], v[40:41], -v[4:5]
	v_add_f64 v[2:3], v[2:3], v[4:5]
	v_mul_f64 v[4:5], v[46:47], v[50:51]
	v_fma_f64 v[4:5], v[44:45], v[48:49], -v[4:5]
	v_add_f64 v[2:3], v[2:3], v[4:5]
	;; [unrolled: 3-line block ×14, first 2 shown]
	scratch_load_dwordx4 v[2:5], off, off offset:576
	s_waitcnt vmcnt(0)
	v_add_f64 v[2:3], v[2:3], -v[6:7]
	v_add_f64 v[4:5], v[4:5], -v[80:81]
	scratch_store_dwordx4 off, v[2:5], off offset:576
	s_and_saveexec_b64 s[0:1], vcc
	s_cbranch_execz .LBB53_269
; %bb.268:
	scratch_load_dwordx4 v[2:5], off, s65
	v_mov_b32_e32 v6, 0
	v_mov_b32_e32 v7, v6
	;; [unrolled: 1-line block ×4, first 2 shown]
	v_accvgpr_read_b32 v0, a109
	scratch_store_dwordx4 off, v[6:9], off offset:560
	s_waitcnt vmcnt(1)
	ds_write_b128 v0, v[2:5]
.LBB53_269:
	s_or_b64 exec, exec, s[0:1]
	v_mov_b32_e32 v2, 0
	s_waitcnt lgkmcnt(0)
	; wave barrier
	ds_read_b128 v[16:19], v2 offset:1424
	ds_read_b128 v[12:15], v2 offset:1440
	;; [unrolled: 1-line block ×4, first 2 shown]
	scratch_load_dwordx4 v[20:23], off, off offset:576
	scratch_load_dwordx4 v[40:43], off, off offset:640
	;; [unrolled: 1-line block ×13, first 2 shown]
	v_cmp_lt_u32_e32 vcc, 33, v248
	scratch_load_dwordx4 v[48:51], off, off offset:656
	scratch_load_dwordx4 v[56:59], off, off offset:672
	;; [unrolled: 1-line block ×3, first 2 shown]
	s_waitcnt vmcnt(15) lgkmcnt(3)
	v_mul_f64 v[24:25], v[16:17], v[22:23]
	v_fmac_f64_e32 v[24:25], v[18:19], v[20:21]
	v_add_f64 v[28:29], v[24:25], 0
	scratch_load_dwordx4 v[24:27], off, off offset:592
	v_mul_f64 v[18:19], v[18:19], v[22:23]
	v_fma_f64 v[16:17], v[16:17], v[20:21], -v[18:19]
	v_add_f64 v[16:17], v[16:17], 0
	s_waitcnt vmcnt(0) lgkmcnt(2)
	v_mul_f64 v[30:31], v[12:13], v[26:27]
	v_fmac_f64_e32 v[30:31], v[14:15], v[24:25]
	v_add_f64 v[32:33], v[28:29], v[30:31]
	scratch_load_dwordx4 v[28:31], off, off offset:608
	v_mul_f64 v[14:15], v[14:15], v[26:27]
	v_fma_f64 v[12:13], v[12:13], v[24:25], -v[14:15]
	v_add_f64 v[12:13], v[16:17], v[12:13]
	;; [unrolled: 8-line block ×3, first 2 shown]
	s_waitcnt vmcnt(0) lgkmcnt(0)
	v_mul_f64 v[38:39], v[4:5], v[34:35]
	v_fmac_f64_e32 v[38:39], v[6:7], v[32:33]
	v_add_f64 v[44:45], v[36:37], v[38:39]
	ds_read_b128 v[36:39], v2 offset:1488
	v_mul_f64 v[6:7], v[6:7], v[34:35]
	v_fma_f64 v[4:5], v[4:5], v[32:33], -v[6:7]
	v_add_f64 v[4:5], v[8:9], v[4:5]
	s_waitcnt lgkmcnt(0)
	v_mul_f64 v[46:47], v[36:37], v[42:43]
	v_fmac_f64_e32 v[46:47], v[38:39], v[40:41]
	v_add_f64 v[52:53], v[44:45], v[46:47]
	ds_read_b128 v[44:47], v2 offset:1504
	v_mul_f64 v[6:7], v[38:39], v[42:43]
	v_fma_f64 v[6:7], v[36:37], v[40:41], -v[6:7]
	v_add_f64 v[4:5], v[4:5], v[6:7]
	s_waitcnt lgkmcnt(0)
	;; [unrolled: 8-line block ×15, first 2 shown]
	v_mul_f64 v[6:7], v[152:153], v[156:157]
	v_fma_f64 v[6:7], v[150:151], v[154:155], -v[6:7]
	v_add_f64 v[8:9], v[4:5], v[6:7]
	scratch_load_dwordx4 v[4:7], off, off offset:560
	v_mul_f64 v[158:159], v[150:151], v[156:157]
	v_fmac_f64_e32 v[158:159], v[152:153], v[154:155]
	v_add_f64 v[88:89], v[88:89], v[158:159]
	s_waitcnt vmcnt(0)
	v_add_f64 v[4:5], v[4:5], -v[8:9]
	v_add_f64 v[6:7], v[6:7], -v[88:89]
	scratch_store_dwordx4 off, v[4:7], off offset:560
	s_and_saveexec_b64 s[0:1], vcc
	s_cbranch_execz .LBB53_271
; %bb.270:
	scratch_load_dwordx4 v[6:9], off, s64
	v_mov_b32_e32 v3, v2
	v_mov_b32_e32 v4, v2
	;; [unrolled: 1-line block ×3, first 2 shown]
	v_accvgpr_read_b32 v0, a109
	scratch_store_dwordx4 off, v[2:5], off offset:544
	s_waitcnt vmcnt(1)
	ds_write_b128 v0, v[6:9]
.LBB53_271:
	s_or_b64 exec, exec, s[0:1]
	s_waitcnt lgkmcnt(0)
	; wave barrier
	ds_read_b128 v[16:19], v2 offset:1408
	ds_read_b128 v[12:15], v2 offset:1424
	;; [unrolled: 1-line block ×4, first 2 shown]
	scratch_load_dwordx4 v[20:23], off, off offset:560
	scratch_load_dwordx4 v[40:43], off, off offset:624
	;; [unrolled: 1-line block ×14, first 2 shown]
	v_cmp_lt_u32_e32 vcc, 32, v248
	scratch_load_dwordx4 v[48:51], off, off offset:640
	scratch_load_dwordx4 v[56:59], off, off offset:656
	;; [unrolled: 1-line block ×3, first 2 shown]
	s_waitcnt vmcnt(16) lgkmcnt(3)
	v_mul_f64 v[24:25], v[16:17], v[22:23]
	v_fmac_f64_e32 v[24:25], v[18:19], v[20:21]
	v_add_f64 v[28:29], v[24:25], 0
	scratch_load_dwordx4 v[24:27], off, off offset:576
	s_waitcnt vmcnt(0) lgkmcnt(2)
	v_mul_f64 v[30:31], v[12:13], v[26:27]
	v_fmac_f64_e32 v[30:31], v[14:15], v[24:25]
	v_add_f64 v[32:33], v[28:29], v[30:31]
	scratch_load_dwordx4 v[28:31], off, off offset:592
	v_mul_f64 v[14:15], v[14:15], v[26:27]
	v_fma_f64 v[12:13], v[12:13], v[24:25], -v[14:15]
	s_waitcnt vmcnt(0) lgkmcnt(1)
	v_mul_f64 v[34:35], v[8:9], v[30:31]
	v_fmac_f64_e32 v[34:35], v[10:11], v[28:29]
	v_add_f64 v[36:37], v[32:33], v[34:35]
	scratch_load_dwordx4 v[32:35], off, off offset:608
	v_mul_f64 v[10:11], v[10:11], v[30:31]
	v_fma_f64 v[8:9], v[8:9], v[28:29], -v[10:11]
	s_waitcnt vmcnt(0) lgkmcnt(0)
	v_mul_f64 v[38:39], v[4:5], v[34:35]
	v_fmac_f64_e32 v[38:39], v[6:7], v[32:33]
	v_add_f64 v[44:45], v[36:37], v[38:39]
	ds_read_b128 v[36:39], v2 offset:1472
	v_mul_f64 v[6:7], v[6:7], v[34:35]
	v_fma_f64 v[4:5], v[4:5], v[32:33], -v[6:7]
	s_waitcnt lgkmcnt(0)
	v_mul_f64 v[46:47], v[36:37], v[42:43]
	v_fmac_f64_e32 v[46:47], v[38:39], v[40:41]
	v_add_f64 v[52:53], v[44:45], v[46:47]
	ds_read_b128 v[44:47], v2 offset:1488
	s_waitcnt lgkmcnt(0)
	v_mul_f64 v[54:55], v[44:45], v[50:51]
	v_fmac_f64_e32 v[54:55], v[46:47], v[48:49]
	v_add_f64 v[60:61], v[52:53], v[54:55]
	ds_read_b128 v[52:55], v2 offset:1504
	;; [unrolled: 5-line block ×15, first 2 shown]
	s_waitcnt lgkmcnt(0)
	v_mul_f64 v[2:3], v[158:159], v[164:165]
	v_fmac_f64_e32 v[2:3], v[160:161], v[162:163]
	v_add_f64 v[96:97], v[96:97], v[2:3]
	v_mul_f64 v[2:3], v[18:19], v[22:23]
	v_fma_f64 v[2:3], v[16:17], v[20:21], -v[2:3]
	v_add_f64 v[2:3], v[2:3], 0
	v_add_f64 v[2:3], v[2:3], v[12:13]
	;; [unrolled: 1-line block ×4, first 2 shown]
	v_mul_f64 v[4:5], v[38:39], v[42:43]
	v_fma_f64 v[4:5], v[36:37], v[40:41], -v[4:5]
	v_add_f64 v[2:3], v[2:3], v[4:5]
	v_mul_f64 v[4:5], v[46:47], v[50:51]
	v_fma_f64 v[4:5], v[44:45], v[48:49], -v[4:5]
	v_add_f64 v[2:3], v[2:3], v[4:5]
	v_mul_f64 v[4:5], v[54:55], v[58:59]
	v_fma_f64 v[4:5], v[52:53], v[56:57], -v[4:5]
	v_add_f64 v[2:3], v[2:3], v[4:5]
	v_mul_f64 v[4:5], v[62:63], v[66:67]
	v_fma_f64 v[4:5], v[60:61], v[64:65], -v[4:5]
	v_add_f64 v[2:3], v[2:3], v[4:5]
	v_mul_f64 v[4:5], v[70:71], v[74:75]
	v_fma_f64 v[4:5], v[68:69], v[72:73], -v[4:5]
	v_add_f64 v[2:3], v[2:3], v[4:5]
	v_mul_f64 v[4:5], v[78:79], v[82:83]
	v_fma_f64 v[4:5], v[76:77], v[80:81], -v[4:5]
	v_add_f64 v[2:3], v[2:3], v[4:5]
	v_mul_f64 v[4:5], v[86:87], v[90:91]
	v_fma_f64 v[4:5], v[84:85], v[88:89], -v[4:5]
	v_add_f64 v[2:3], v[2:3], v[4:5]
	v_mul_f64 v[4:5], v[94:95], v[100:101]
	v_fma_f64 v[4:5], v[92:93], v[98:99], -v[4:5]
	v_add_f64 v[2:3], v[2:3], v[4:5]
	v_mul_f64 v[4:5], v[104:105], v[108:109]
	v_fma_f64 v[4:5], v[102:103], v[106:107], -v[4:5]
	v_add_f64 v[2:3], v[2:3], v[4:5]
	v_mul_f64 v[4:5], v[112:113], v[116:117]
	v_fma_f64 v[4:5], v[110:111], v[114:115], -v[4:5]
	v_add_f64 v[2:3], v[2:3], v[4:5]
	v_mul_f64 v[4:5], v[120:121], v[124:125]
	v_fma_f64 v[4:5], v[118:119], v[122:123], -v[4:5]
	v_add_f64 v[2:3], v[2:3], v[4:5]
	v_mul_f64 v[4:5], v[128:129], v[132:133]
	v_fma_f64 v[4:5], v[126:127], v[130:131], -v[4:5]
	v_add_f64 v[2:3], v[2:3], v[4:5]
	v_mul_f64 v[4:5], v[136:137], v[140:141]
	v_fma_f64 v[4:5], v[134:135], v[138:139], -v[4:5]
	v_add_f64 v[2:3], v[2:3], v[4:5]
	v_mul_f64 v[4:5], v[144:145], v[148:149]
	v_fma_f64 v[4:5], v[142:143], v[146:147], -v[4:5]
	v_add_f64 v[2:3], v[2:3], v[4:5]
	v_mul_f64 v[4:5], v[152:153], v[156:157]
	v_fma_f64 v[4:5], v[150:151], v[154:155], -v[4:5]
	v_add_f64 v[2:3], v[2:3], v[4:5]
	v_mul_f64 v[4:5], v[160:161], v[164:165]
	v_fma_f64 v[4:5], v[158:159], v[162:163], -v[4:5]
	v_add_f64 v[6:7], v[2:3], v[4:5]
	scratch_load_dwordx4 v[2:5], off, off offset:544
	s_waitcnt vmcnt(0)
	v_add_f64 v[2:3], v[2:3], -v[6:7]
	v_add_f64 v[4:5], v[4:5], -v[96:97]
	scratch_store_dwordx4 off, v[2:5], off offset:544
	s_and_saveexec_b64 s[0:1], vcc
	s_cbranch_execz .LBB53_273
; %bb.272:
	scratch_load_dwordx4 v[2:5], off, s63
	v_mov_b32_e32 v6, 0
	v_mov_b32_e32 v7, v6
	;; [unrolled: 1-line block ×4, first 2 shown]
	v_accvgpr_read_b32 v0, a109
	scratch_store_dwordx4 off, v[6:9], off offset:528
	s_waitcnt vmcnt(1)
	ds_write_b128 v0, v[2:5]
.LBB53_273:
	s_or_b64 exec, exec, s[0:1]
	v_mov_b32_e32 v2, 0
	s_waitcnt lgkmcnt(0)
	; wave barrier
	ds_read_b128 v[16:19], v2 offset:1392
	ds_read_b128 v[12:15], v2 offset:1408
	ds_read_b128 v[8:11], v2 offset:1424
	ds_read_b128 v[4:7], v2 offset:1440
	scratch_load_dwordx4 v[20:23], off, off offset:544
	scratch_load_dwordx4 v[40:43], off, off offset:608
	scratch_load_dwordx4 v[72:75], off, off offset:672
	scratch_load_dwordx4 v[80:83], off, off offset:688
	scratch_load_dwordx4 v[88:91], off, off offset:704
	scratch_load_dwordx4 v[96:99], off, off offset:720
	scratch_load_dwordx4 v[106:109], off, off offset:736
	scratch_load_dwordx4 v[114:117], off, off offset:752
	scratch_load_dwordx4 v[122:125], off, off offset:768
	scratch_load_dwordx4 v[130:133], off, off offset:784
	scratch_load_dwordx4 v[138:141], off, off offset:800
	scratch_load_dwordx4 v[146:149], off, off offset:816
	scratch_load_dwordx4 v[154:157], off, off offset:832
	scratch_load_dwordx4 v[162:165], off, off offset:848
	scratch_load_dwordx4 v[170:173], off, off offset:864
	v_cmp_lt_u32_e32 vcc, 31, v248
	scratch_load_dwordx4 v[48:51], off, off offset:624
	scratch_load_dwordx4 v[56:59], off, off offset:640
	;; [unrolled: 1-line block ×3, first 2 shown]
	s_waitcnt vmcnt(17) lgkmcnt(3)
	v_mul_f64 v[24:25], v[16:17], v[22:23]
	v_fmac_f64_e32 v[24:25], v[18:19], v[20:21]
	v_add_f64 v[28:29], v[24:25], 0
	scratch_load_dwordx4 v[24:27], off, off offset:560
	v_mul_f64 v[18:19], v[18:19], v[22:23]
	v_fma_f64 v[16:17], v[16:17], v[20:21], -v[18:19]
	v_add_f64 v[16:17], v[16:17], 0
	s_waitcnt vmcnt(0) lgkmcnt(2)
	v_mul_f64 v[30:31], v[12:13], v[26:27]
	v_fmac_f64_e32 v[30:31], v[14:15], v[24:25]
	v_add_f64 v[32:33], v[28:29], v[30:31]
	scratch_load_dwordx4 v[28:31], off, off offset:576
	v_mul_f64 v[14:15], v[14:15], v[26:27]
	v_fma_f64 v[12:13], v[12:13], v[24:25], -v[14:15]
	v_add_f64 v[12:13], v[16:17], v[12:13]
	;; [unrolled: 8-line block ×3, first 2 shown]
	s_waitcnt vmcnt(0) lgkmcnt(0)
	v_mul_f64 v[38:39], v[4:5], v[34:35]
	v_fmac_f64_e32 v[38:39], v[6:7], v[32:33]
	v_add_f64 v[44:45], v[36:37], v[38:39]
	ds_read_b128 v[36:39], v2 offset:1456
	v_mul_f64 v[6:7], v[6:7], v[34:35]
	v_fma_f64 v[4:5], v[4:5], v[32:33], -v[6:7]
	v_add_f64 v[4:5], v[8:9], v[4:5]
	s_waitcnt lgkmcnt(0)
	v_mul_f64 v[46:47], v[36:37], v[42:43]
	v_fmac_f64_e32 v[46:47], v[38:39], v[40:41]
	v_add_f64 v[52:53], v[44:45], v[46:47]
	ds_read_b128 v[44:47], v2 offset:1472
	v_mul_f64 v[6:7], v[38:39], v[42:43]
	v_fma_f64 v[6:7], v[36:37], v[40:41], -v[6:7]
	v_add_f64 v[4:5], v[4:5], v[6:7]
	s_waitcnt lgkmcnt(0)
	;; [unrolled: 8-line block ×17, first 2 shown]
	v_mul_f64 v[6:7], v[168:169], v[172:173]
	v_fma_f64 v[6:7], v[166:167], v[170:171], -v[6:7]
	v_add_f64 v[8:9], v[4:5], v[6:7]
	scratch_load_dwordx4 v[4:7], off, off offset:528
	v_mul_f64 v[174:175], v[166:167], v[172:173]
	v_fmac_f64_e32 v[174:175], v[168:169], v[170:171]
	v_add_f64 v[104:105], v[104:105], v[174:175]
	s_waitcnt vmcnt(0)
	v_add_f64 v[4:5], v[4:5], -v[8:9]
	v_add_f64 v[6:7], v[6:7], -v[104:105]
	scratch_store_dwordx4 off, v[4:7], off offset:528
	s_and_saveexec_b64 s[0:1], vcc
	s_cbranch_execz .LBB53_275
; %bb.274:
	scratch_load_dwordx4 v[6:9], off, s62
	v_mov_b32_e32 v3, v2
	v_mov_b32_e32 v4, v2
	;; [unrolled: 1-line block ×3, first 2 shown]
	v_accvgpr_read_b32 v0, a109
	scratch_store_dwordx4 off, v[2:5], off offset:512
	s_waitcnt vmcnt(1)
	ds_write_b128 v0, v[6:9]
.LBB53_275:
	s_or_b64 exec, exec, s[0:1]
	s_waitcnt lgkmcnt(0)
	; wave barrier
	ds_read_b128 v[16:19], v2 offset:1376
	ds_read_b128 v[12:15], v2 offset:1392
	;; [unrolled: 1-line block ×4, first 2 shown]
	scratch_load_dwordx4 v[20:23], off, off offset:528
	scratch_load_dwordx4 v[40:43], off, off offset:592
	;; [unrolled: 1-line block ×16, first 2 shown]
	v_cmp_lt_u32_e32 vcc, 30, v248
	scratch_load_dwordx4 v[48:51], off, off offset:608
	scratch_load_dwordx4 v[56:59], off, off offset:624
	;; [unrolled: 1-line block ×3, first 2 shown]
	s_waitcnt vmcnt(18) lgkmcnt(3)
	v_mul_f64 v[24:25], v[16:17], v[22:23]
	v_fmac_f64_e32 v[24:25], v[18:19], v[20:21]
	v_add_f64 v[28:29], v[24:25], 0
	scratch_load_dwordx4 v[24:27], off, off offset:544
	s_waitcnt vmcnt(0) lgkmcnt(2)
	v_mul_f64 v[30:31], v[12:13], v[26:27]
	v_fmac_f64_e32 v[30:31], v[14:15], v[24:25]
	v_add_f64 v[32:33], v[28:29], v[30:31]
	scratch_load_dwordx4 v[28:31], off, off offset:560
	v_mul_f64 v[14:15], v[14:15], v[26:27]
	v_fma_f64 v[12:13], v[12:13], v[24:25], -v[14:15]
	s_waitcnt vmcnt(0) lgkmcnt(1)
	v_mul_f64 v[34:35], v[8:9], v[30:31]
	v_fmac_f64_e32 v[34:35], v[10:11], v[28:29]
	v_add_f64 v[36:37], v[32:33], v[34:35]
	scratch_load_dwordx4 v[32:35], off, off offset:576
	v_mul_f64 v[10:11], v[10:11], v[30:31]
	v_fma_f64 v[8:9], v[8:9], v[28:29], -v[10:11]
	s_waitcnt vmcnt(0) lgkmcnt(0)
	v_mul_f64 v[38:39], v[4:5], v[34:35]
	v_fmac_f64_e32 v[38:39], v[6:7], v[32:33]
	v_add_f64 v[44:45], v[36:37], v[38:39]
	ds_read_b128 v[36:39], v2 offset:1440
	v_mul_f64 v[6:7], v[6:7], v[34:35]
	v_fma_f64 v[4:5], v[4:5], v[32:33], -v[6:7]
	s_waitcnt lgkmcnt(0)
	v_mul_f64 v[46:47], v[36:37], v[42:43]
	v_fmac_f64_e32 v[46:47], v[38:39], v[40:41]
	v_add_f64 v[52:53], v[44:45], v[46:47]
	ds_read_b128 v[44:47], v2 offset:1456
	s_waitcnt lgkmcnt(0)
	v_mul_f64 v[54:55], v[44:45], v[50:51]
	v_fmac_f64_e32 v[54:55], v[46:47], v[48:49]
	v_add_f64 v[60:61], v[52:53], v[54:55]
	ds_read_b128 v[52:55], v2 offset:1472
	s_waitcnt lgkmcnt(0)
	v_mul_f64 v[62:63], v[52:53], v[58:59]
	v_fmac_f64_e32 v[62:63], v[54:55], v[56:57]
	v_add_f64 v[68:69], v[60:61], v[62:63]
	ds_read_b128 v[60:63], v2 offset:1488
	s_waitcnt lgkmcnt(0)
	v_mul_f64 v[70:71], v[60:61], v[66:67]
	v_fmac_f64_e32 v[70:71], v[62:63], v[64:65]
	v_add_f64 v[76:77], v[68:69], v[70:71]
	ds_read_b128 v[68:71], v2 offset:1504
	s_waitcnt lgkmcnt(0)
	v_mul_f64 v[78:79], v[68:69], v[74:75]
	v_fmac_f64_e32 v[78:79], v[70:71], v[72:73]
	v_add_f64 v[84:85], v[76:77], v[78:79]
	ds_read_b128 v[76:79], v2 offset:1520
	s_waitcnt lgkmcnt(0)
	v_mul_f64 v[86:87], v[76:77], v[82:83]
	v_fmac_f64_e32 v[86:87], v[78:79], v[80:81]
	v_add_f64 v[92:93], v[84:85], v[86:87]
	ds_read_b128 v[84:87], v2 offset:1536
	s_waitcnt lgkmcnt(0)
	v_mul_f64 v[94:95], v[84:85], v[90:91]
	v_fmac_f64_e32 v[94:95], v[86:87], v[88:89]
	v_add_f64 v[100:101], v[92:93], v[94:95]
	ds_read_b128 v[92:95], v2 offset:1552
	s_waitcnt lgkmcnt(0)
	v_mul_f64 v[102:103], v[92:93], v[98:99]
	v_fmac_f64_e32 v[102:103], v[94:95], v[96:97]
	v_add_f64 v[108:109], v[100:101], v[102:103]
	ds_read_b128 v[100:103], v2 offset:1568
	s_waitcnt lgkmcnt(0)
	v_mul_f64 v[110:111], v[100:101], v[106:107]
	v_fmac_f64_e32 v[110:111], v[102:103], v[104:105]
	v_add_f64 v[116:117], v[108:109], v[110:111]
	ds_read_b128 v[108:111], v2 offset:1584
	s_waitcnt lgkmcnt(0)
	v_mul_f64 v[118:119], v[108:109], v[114:115]
	v_fmac_f64_e32 v[118:119], v[110:111], v[112:113]
	v_add_f64 v[120:121], v[116:117], v[118:119]
	ds_read_b128 v[116:119], v2 offset:1600
	s_waitcnt lgkmcnt(0)
	v_mul_f64 v[126:127], v[116:117], v[124:125]
	v_fmac_f64_e32 v[126:127], v[118:119], v[122:123]
	v_add_f64 v[120:121], v[120:121], v[126:127]
	ds_read_b128 v[126:129], v2 offset:1616
	s_waitcnt lgkmcnt(0)
	v_mul_f64 v[134:135], v[126:127], v[132:133]
	v_fmac_f64_e32 v[134:135], v[128:129], v[130:131]
	v_add_f64 v[120:121], v[120:121], v[134:135]
	ds_read_b128 v[134:137], v2 offset:1632
	s_waitcnt lgkmcnt(0)
	v_mul_f64 v[142:143], v[134:135], v[140:141]
	v_fmac_f64_e32 v[142:143], v[136:137], v[138:139]
	v_add_f64 v[120:121], v[120:121], v[142:143]
	ds_read_b128 v[142:145], v2 offset:1648
	s_waitcnt lgkmcnt(0)
	v_mul_f64 v[150:151], v[142:143], v[148:149]
	v_fmac_f64_e32 v[150:151], v[144:145], v[146:147]
	v_add_f64 v[120:121], v[120:121], v[150:151]
	ds_read_b128 v[150:153], v2 offset:1664
	s_waitcnt lgkmcnt(0)
	v_mul_f64 v[158:159], v[150:151], v[156:157]
	v_fmac_f64_e32 v[158:159], v[152:153], v[154:155]
	v_add_f64 v[120:121], v[120:121], v[158:159]
	ds_read_b128 v[158:161], v2 offset:1680
	s_waitcnt lgkmcnt(0)
	v_mul_f64 v[166:167], v[158:159], v[164:165]
	v_fmac_f64_e32 v[166:167], v[160:161], v[162:163]
	v_add_f64 v[120:121], v[120:121], v[166:167]
	ds_read_b128 v[166:169], v2 offset:1696
	s_waitcnt lgkmcnt(0)
	v_mul_f64 v[174:175], v[166:167], v[172:173]
	v_fmac_f64_e32 v[174:175], v[168:169], v[170:171]
	v_add_f64 v[120:121], v[120:121], v[174:175]
	ds_read_b128 v[174:177], v2 offset:1712
	s_waitcnt lgkmcnt(0)
	v_mul_f64 v[2:3], v[174:175], v[180:181]
	v_fmac_f64_e32 v[2:3], v[176:177], v[178:179]
	v_add_f64 v[120:121], v[120:121], v[2:3]
	v_mul_f64 v[2:3], v[18:19], v[22:23]
	v_fma_f64 v[2:3], v[16:17], v[20:21], -v[2:3]
	v_add_f64 v[2:3], v[2:3], 0
	v_add_f64 v[2:3], v[2:3], v[12:13]
	;; [unrolled: 1-line block ×4, first 2 shown]
	v_mul_f64 v[4:5], v[38:39], v[42:43]
	v_fma_f64 v[4:5], v[36:37], v[40:41], -v[4:5]
	v_add_f64 v[2:3], v[2:3], v[4:5]
	v_mul_f64 v[4:5], v[46:47], v[50:51]
	v_fma_f64 v[4:5], v[44:45], v[48:49], -v[4:5]
	v_add_f64 v[2:3], v[2:3], v[4:5]
	;; [unrolled: 3-line block ×18, first 2 shown]
	scratch_load_dwordx4 v[2:5], off, off offset:512
	s_waitcnt vmcnt(0)
	v_add_f64 v[2:3], v[2:3], -v[6:7]
	v_add_f64 v[4:5], v[4:5], -v[120:121]
	scratch_store_dwordx4 off, v[2:5], off offset:512
	s_and_saveexec_b64 s[0:1], vcc
	s_cbranch_execz .LBB53_277
; %bb.276:
	scratch_load_dwordx4 v[2:5], off, s61
	v_mov_b32_e32 v6, 0
	v_mov_b32_e32 v7, v6
	;; [unrolled: 1-line block ×4, first 2 shown]
	v_accvgpr_read_b32 v0, a109
	scratch_store_dwordx4 off, v[6:9], off offset:496
	s_waitcnt vmcnt(1)
	ds_write_b128 v0, v[2:5]
.LBB53_277:
	s_or_b64 exec, exec, s[0:1]
	v_mov_b32_e32 v2, 0
	s_waitcnt lgkmcnt(0)
	; wave barrier
	ds_read_b128 v[16:19], v2 offset:1360
	ds_read_b128 v[12:15], v2 offset:1376
	;; [unrolled: 1-line block ×4, first 2 shown]
	scratch_load_dwordx4 v[20:23], off, off offset:512
	scratch_load_dwordx4 v[40:43], off, off offset:576
	;; [unrolled: 1-line block ×17, first 2 shown]
	v_cmp_lt_u32_e32 vcc, 29, v248
	scratch_load_dwordx4 v[48:51], off, off offset:592
	scratch_load_dwordx4 v[56:59], off, off offset:608
	scratch_load_dwordx4 v[64:67], off, off offset:624
	s_waitcnt vmcnt(19) lgkmcnt(3)
	v_mul_f64 v[24:25], v[16:17], v[22:23]
	v_fmac_f64_e32 v[24:25], v[18:19], v[20:21]
	v_add_f64 v[28:29], v[24:25], 0
	scratch_load_dwordx4 v[24:27], off, off offset:528
	v_mul_f64 v[18:19], v[18:19], v[22:23]
	v_fma_f64 v[16:17], v[16:17], v[20:21], -v[18:19]
	v_add_f64 v[16:17], v[16:17], 0
	s_waitcnt vmcnt(0) lgkmcnt(2)
	v_mul_f64 v[30:31], v[12:13], v[26:27]
	v_fmac_f64_e32 v[30:31], v[14:15], v[24:25]
	v_add_f64 v[32:33], v[28:29], v[30:31]
	scratch_load_dwordx4 v[28:31], off, off offset:544
	v_mul_f64 v[14:15], v[14:15], v[26:27]
	v_fma_f64 v[12:13], v[12:13], v[24:25], -v[14:15]
	v_add_f64 v[12:13], v[16:17], v[12:13]
	;; [unrolled: 8-line block ×3, first 2 shown]
	s_waitcnt vmcnt(0) lgkmcnt(0)
	v_mul_f64 v[38:39], v[4:5], v[34:35]
	v_fmac_f64_e32 v[38:39], v[6:7], v[32:33]
	v_add_f64 v[44:45], v[36:37], v[38:39]
	ds_read_b128 v[36:39], v2 offset:1424
	v_mul_f64 v[6:7], v[6:7], v[34:35]
	v_fma_f64 v[4:5], v[4:5], v[32:33], -v[6:7]
	v_add_f64 v[4:5], v[8:9], v[4:5]
	s_waitcnt lgkmcnt(0)
	v_mul_f64 v[46:47], v[36:37], v[42:43]
	v_fmac_f64_e32 v[46:47], v[38:39], v[40:41]
	v_add_f64 v[52:53], v[44:45], v[46:47]
	ds_read_b128 v[44:47], v2 offset:1440
	v_mul_f64 v[6:7], v[38:39], v[42:43]
	v_fma_f64 v[6:7], v[36:37], v[40:41], -v[6:7]
	v_add_f64 v[4:5], v[4:5], v[6:7]
	s_waitcnt lgkmcnt(0)
	;; [unrolled: 8-line block ×19, first 2 shown]
	v_mul_f64 v[6:7], v[184:185], v[188:189]
	v_fma_f64 v[6:7], v[182:183], v[186:187], -v[6:7]
	v_add_f64 v[8:9], v[4:5], v[6:7]
	scratch_load_dwordx4 v[4:7], off, off offset:496
	v_mul_f64 v[190:191], v[182:183], v[188:189]
	v_fmac_f64_e32 v[190:191], v[184:185], v[186:187]
	v_add_f64 v[128:129], v[128:129], v[190:191]
	s_waitcnt vmcnt(0)
	v_add_f64 v[4:5], v[4:5], -v[8:9]
	v_add_f64 v[6:7], v[6:7], -v[128:129]
	scratch_store_dwordx4 off, v[4:7], off offset:496
	s_and_saveexec_b64 s[0:1], vcc
	s_cbranch_execz .LBB53_279
; %bb.278:
	scratch_load_dwordx4 v[6:9], off, s60
	v_mov_b32_e32 v3, v2
	v_mov_b32_e32 v4, v2
	;; [unrolled: 1-line block ×3, first 2 shown]
	v_accvgpr_read_b32 v0, a109
	scratch_store_dwordx4 off, v[2:5], off offset:480
	s_waitcnt vmcnt(1)
	ds_write_b128 v0, v[6:9]
.LBB53_279:
	s_or_b64 exec, exec, s[0:1]
	s_waitcnt lgkmcnt(0)
	; wave barrier
	ds_read_b128 v[16:19], v2 offset:1344
	ds_read_b128 v[12:15], v2 offset:1360
	;; [unrolled: 1-line block ×4, first 2 shown]
	scratch_load_dwordx4 v[20:23], off, off offset:496
	scratch_load_dwordx4 v[40:43], off, off offset:560
	;; [unrolled: 1-line block ×18, first 2 shown]
	v_cmp_lt_u32_e32 vcc, 28, v248
	scratch_load_dwordx4 v[48:51], off, off offset:576
	scratch_load_dwordx4 v[56:59], off, off offset:592
	;; [unrolled: 1-line block ×3, first 2 shown]
	s_waitcnt vmcnt(20) lgkmcnt(3)
	v_mul_f64 v[24:25], v[16:17], v[22:23]
	v_fmac_f64_e32 v[24:25], v[18:19], v[20:21]
	v_add_f64 v[28:29], v[24:25], 0
	scratch_load_dwordx4 v[24:27], off, off offset:512
	s_waitcnt vmcnt(0) lgkmcnt(2)
	v_mul_f64 v[30:31], v[12:13], v[26:27]
	v_fmac_f64_e32 v[30:31], v[14:15], v[24:25]
	v_add_f64 v[32:33], v[28:29], v[30:31]
	scratch_load_dwordx4 v[28:31], off, off offset:528
	v_mul_f64 v[14:15], v[14:15], v[26:27]
	v_fma_f64 v[12:13], v[12:13], v[24:25], -v[14:15]
	s_waitcnt vmcnt(0) lgkmcnt(1)
	v_mul_f64 v[34:35], v[8:9], v[30:31]
	v_fmac_f64_e32 v[34:35], v[10:11], v[28:29]
	v_add_f64 v[36:37], v[32:33], v[34:35]
	scratch_load_dwordx4 v[32:35], off, off offset:544
	v_mul_f64 v[10:11], v[10:11], v[30:31]
	v_fma_f64 v[8:9], v[8:9], v[28:29], -v[10:11]
	s_waitcnt vmcnt(0) lgkmcnt(0)
	v_mul_f64 v[38:39], v[4:5], v[34:35]
	v_fmac_f64_e32 v[38:39], v[6:7], v[32:33]
	v_add_f64 v[44:45], v[36:37], v[38:39]
	ds_read_b128 v[36:39], v2 offset:1408
	v_mul_f64 v[6:7], v[6:7], v[34:35]
	v_fma_f64 v[4:5], v[4:5], v[32:33], -v[6:7]
	s_waitcnt lgkmcnt(0)
	v_mul_f64 v[46:47], v[36:37], v[42:43]
	v_fmac_f64_e32 v[46:47], v[38:39], v[40:41]
	v_add_f64 v[52:53], v[44:45], v[46:47]
	ds_read_b128 v[44:47], v2 offset:1424
	s_waitcnt lgkmcnt(0)
	v_mul_f64 v[54:55], v[44:45], v[50:51]
	v_fmac_f64_e32 v[54:55], v[46:47], v[48:49]
	v_add_f64 v[60:61], v[52:53], v[54:55]
	ds_read_b128 v[52:55], v2 offset:1440
	;; [unrolled: 5-line block ×19, first 2 shown]
	s_waitcnt lgkmcnt(0)
	v_mul_f64 v[2:3], v[190:191], v[196:197]
	v_fmac_f64_e32 v[2:3], v[192:193], v[194:195]
	v_add_f64 v[148:149], v[148:149], v[2:3]
	v_mul_f64 v[2:3], v[18:19], v[22:23]
	v_fma_f64 v[2:3], v[16:17], v[20:21], -v[2:3]
	v_add_f64 v[2:3], v[2:3], 0
	v_add_f64 v[2:3], v[2:3], v[12:13]
	;; [unrolled: 1-line block ×4, first 2 shown]
	v_mul_f64 v[4:5], v[38:39], v[42:43]
	v_fma_f64 v[4:5], v[36:37], v[40:41], -v[4:5]
	v_add_f64 v[2:3], v[2:3], v[4:5]
	v_mul_f64 v[4:5], v[46:47], v[50:51]
	v_fma_f64 v[4:5], v[44:45], v[48:49], -v[4:5]
	v_add_f64 v[2:3], v[2:3], v[4:5]
	;; [unrolled: 3-line block ×20, first 2 shown]
	scratch_load_dwordx4 v[2:5], off, off offset:480
	s_waitcnt vmcnt(0)
	v_add_f64 v[2:3], v[2:3], -v[6:7]
	v_add_f64 v[4:5], v[4:5], -v[148:149]
	scratch_store_dwordx4 off, v[2:5], off offset:480
	s_and_saveexec_b64 s[0:1], vcc
	s_cbranch_execz .LBB53_281
; %bb.280:
	scratch_load_dwordx4 v[2:5], off, s59
	v_mov_b32_e32 v6, 0
	v_mov_b32_e32 v7, v6
	;; [unrolled: 1-line block ×4, first 2 shown]
	v_accvgpr_read_b32 v0, a109
	scratch_store_dwordx4 off, v[6:9], off offset:464
	s_waitcnt vmcnt(1)
	ds_write_b128 v0, v[2:5]
.LBB53_281:
	s_or_b64 exec, exec, s[0:1]
	v_mov_b32_e32 v2, 0
	s_waitcnt lgkmcnt(0)
	; wave barrier
	ds_read_b128 v[16:19], v2 offset:1328
	ds_read_b128 v[12:15], v2 offset:1344
	;; [unrolled: 1-line block ×4, first 2 shown]
	scratch_load_dwordx4 v[20:23], off, off offset:480
	scratch_load_dwordx4 v[40:43], off, off offset:544
	;; [unrolled: 1-line block ×19, first 2 shown]
	v_cmp_lt_u32_e32 vcc, 27, v248
	scratch_load_dwordx4 v[48:51], off, off offset:560
	scratch_load_dwordx4 v[56:59], off, off offset:576
	;; [unrolled: 1-line block ×3, first 2 shown]
	s_waitcnt vmcnt(21) lgkmcnt(3)
	v_mul_f64 v[24:25], v[16:17], v[22:23]
	v_fmac_f64_e32 v[24:25], v[18:19], v[20:21]
	v_add_f64 v[28:29], v[24:25], 0
	scratch_load_dwordx4 v[24:27], off, off offset:496
	v_mul_f64 v[18:19], v[18:19], v[22:23]
	v_fma_f64 v[16:17], v[16:17], v[20:21], -v[18:19]
	v_add_f64 v[16:17], v[16:17], 0
	s_waitcnt vmcnt(0) lgkmcnt(2)
	v_mul_f64 v[30:31], v[12:13], v[26:27]
	v_fmac_f64_e32 v[30:31], v[14:15], v[24:25]
	v_add_f64 v[32:33], v[28:29], v[30:31]
	scratch_load_dwordx4 v[28:31], off, off offset:512
	v_mul_f64 v[14:15], v[14:15], v[26:27]
	v_fma_f64 v[12:13], v[12:13], v[24:25], -v[14:15]
	v_add_f64 v[12:13], v[16:17], v[12:13]
	;; [unrolled: 8-line block ×3, first 2 shown]
	s_waitcnt vmcnt(0) lgkmcnt(0)
	v_mul_f64 v[38:39], v[4:5], v[34:35]
	v_fmac_f64_e32 v[38:39], v[6:7], v[32:33]
	v_add_f64 v[44:45], v[36:37], v[38:39]
	ds_read_b128 v[36:39], v2 offset:1392
	v_mul_f64 v[6:7], v[6:7], v[34:35]
	v_fma_f64 v[4:5], v[4:5], v[32:33], -v[6:7]
	v_add_f64 v[4:5], v[8:9], v[4:5]
	s_waitcnt lgkmcnt(0)
	v_mul_f64 v[46:47], v[36:37], v[42:43]
	v_fmac_f64_e32 v[46:47], v[38:39], v[40:41]
	v_add_f64 v[52:53], v[44:45], v[46:47]
	ds_read_b128 v[44:47], v2 offset:1408
	v_mul_f64 v[6:7], v[38:39], v[42:43]
	v_fma_f64 v[6:7], v[36:37], v[40:41], -v[6:7]
	v_add_f64 v[4:5], v[4:5], v[6:7]
	s_waitcnt lgkmcnt(0)
	;; [unrolled: 8-line block ×21, first 2 shown]
	v_mul_f64 v[6:7], v[200:201], v[204:205]
	v_fma_f64 v[6:7], v[198:199], v[202:203], -v[6:7]
	v_add_f64 v[8:9], v[4:5], v[6:7]
	scratch_load_dwordx4 v[4:7], off, off offset:464
	v_mul_f64 v[206:207], v[198:199], v[204:205]
	v_fmac_f64_e32 v[206:207], v[200:201], v[202:203]
	v_add_f64 v[144:145], v[144:145], v[206:207]
	s_waitcnt vmcnt(0)
	v_add_f64 v[4:5], v[4:5], -v[8:9]
	v_add_f64 v[6:7], v[6:7], -v[144:145]
	scratch_store_dwordx4 off, v[4:7], off offset:464
	s_and_saveexec_b64 s[0:1], vcc
	s_cbranch_execz .LBB53_283
; %bb.282:
	scratch_load_dwordx4 v[6:9], off, s58
	v_mov_b32_e32 v3, v2
	v_mov_b32_e32 v4, v2
	;; [unrolled: 1-line block ×3, first 2 shown]
	v_accvgpr_read_b32 v0, a109
	scratch_store_dwordx4 off, v[2:5], off offset:448
	s_waitcnt vmcnt(1)
	ds_write_b128 v0, v[6:9]
.LBB53_283:
	s_or_b64 exec, exec, s[0:1]
	s_waitcnt lgkmcnt(0)
	; wave barrier
	ds_read_b128 v[16:19], v2 offset:1312
	ds_read_b128 v[12:15], v2 offset:1328
	;; [unrolled: 1-line block ×4, first 2 shown]
	scratch_load_dwordx4 v[20:23], off, off offset:464
	scratch_load_dwordx4 v[40:43], off, off offset:528
	;; [unrolled: 1-line block ×20, first 2 shown]
	v_cmp_lt_u32_e32 vcc, 26, v248
	scratch_load_dwordx4 v[48:51], off, off offset:544
	scratch_load_dwordx4 v[56:59], off, off offset:560
	;; [unrolled: 1-line block ×3, first 2 shown]
	s_waitcnt vmcnt(22) lgkmcnt(3)
	v_mul_f64 v[24:25], v[16:17], v[22:23]
	v_fmac_f64_e32 v[24:25], v[18:19], v[20:21]
	v_add_f64 v[28:29], v[24:25], 0
	scratch_load_dwordx4 v[24:27], off, off offset:480
	s_waitcnt vmcnt(0) lgkmcnt(2)
	v_mul_f64 v[30:31], v[12:13], v[26:27]
	v_fmac_f64_e32 v[30:31], v[14:15], v[24:25]
	v_add_f64 v[32:33], v[28:29], v[30:31]
	scratch_load_dwordx4 v[28:31], off, off offset:496
	v_mul_f64 v[14:15], v[14:15], v[26:27]
	v_fma_f64 v[12:13], v[12:13], v[24:25], -v[14:15]
	s_waitcnt vmcnt(0) lgkmcnt(1)
	v_mul_f64 v[34:35], v[8:9], v[30:31]
	v_fmac_f64_e32 v[34:35], v[10:11], v[28:29]
	v_add_f64 v[36:37], v[32:33], v[34:35]
	scratch_load_dwordx4 v[32:35], off, off offset:512
	v_mul_f64 v[10:11], v[10:11], v[30:31]
	v_fma_f64 v[8:9], v[8:9], v[28:29], -v[10:11]
	s_waitcnt vmcnt(0) lgkmcnt(0)
	v_mul_f64 v[38:39], v[4:5], v[34:35]
	v_fmac_f64_e32 v[38:39], v[6:7], v[32:33]
	v_add_f64 v[44:45], v[36:37], v[38:39]
	ds_read_b128 v[36:39], v2 offset:1376
	v_mul_f64 v[6:7], v[6:7], v[34:35]
	v_fma_f64 v[4:5], v[4:5], v[32:33], -v[6:7]
	s_waitcnt lgkmcnt(0)
	v_mul_f64 v[46:47], v[36:37], v[42:43]
	v_fmac_f64_e32 v[46:47], v[38:39], v[40:41]
	v_add_f64 v[52:53], v[44:45], v[46:47]
	ds_read_b128 v[44:47], v2 offset:1392
	s_waitcnt lgkmcnt(0)
	v_mul_f64 v[54:55], v[44:45], v[50:51]
	v_fmac_f64_e32 v[54:55], v[46:47], v[48:49]
	v_add_f64 v[60:61], v[52:53], v[54:55]
	ds_read_b128 v[52:55], v2 offset:1408
	;; [unrolled: 5-line block ×21, first 2 shown]
	s_waitcnt lgkmcnt(0)
	v_mul_f64 v[2:3], v[206:207], v[212:213]
	v_fmac_f64_e32 v[2:3], v[208:209], v[210:211]
	v_add_f64 v[168:169], v[168:169], v[2:3]
	v_mul_f64 v[2:3], v[18:19], v[22:23]
	v_fma_f64 v[2:3], v[16:17], v[20:21], -v[2:3]
	v_add_f64 v[2:3], v[2:3], 0
	v_add_f64 v[2:3], v[2:3], v[12:13]
	;; [unrolled: 1-line block ×4, first 2 shown]
	v_mul_f64 v[4:5], v[38:39], v[42:43]
	v_fma_f64 v[4:5], v[36:37], v[40:41], -v[4:5]
	v_add_f64 v[2:3], v[2:3], v[4:5]
	v_mul_f64 v[4:5], v[46:47], v[50:51]
	v_fma_f64 v[4:5], v[44:45], v[48:49], -v[4:5]
	v_add_f64 v[2:3], v[2:3], v[4:5]
	;; [unrolled: 3-line block ×22, first 2 shown]
	scratch_load_dwordx4 v[2:5], off, off offset:448
	s_waitcnt vmcnt(0)
	v_add_f64 v[2:3], v[2:3], -v[6:7]
	v_add_f64 v[4:5], v[4:5], -v[168:169]
	scratch_store_dwordx4 off, v[2:5], off offset:448
	s_and_saveexec_b64 s[0:1], vcc
	s_cbranch_execz .LBB53_285
; %bb.284:
	scratch_load_dwordx4 v[2:5], off, s57
	v_mov_b32_e32 v6, 0
	v_mov_b32_e32 v7, v6
	;; [unrolled: 1-line block ×4, first 2 shown]
	v_accvgpr_read_b32 v0, a109
	scratch_store_dwordx4 off, v[6:9], off offset:432
	s_waitcnt vmcnt(1)
	ds_write_b128 v0, v[2:5]
.LBB53_285:
	s_or_b64 exec, exec, s[0:1]
	v_mov_b32_e32 v2, 0
	s_waitcnt lgkmcnt(0)
	; wave barrier
	ds_read_b128 v[16:19], v2 offset:1296
	ds_read_b128 v[12:15], v2 offset:1312
	;; [unrolled: 1-line block ×4, first 2 shown]
	scratch_load_dwordx4 v[20:23], off, off offset:448
	scratch_load_dwordx4 v[40:43], off, off offset:512
	;; [unrolled: 1-line block ×21, first 2 shown]
	v_cmp_lt_u32_e32 vcc, 25, v248
	scratch_load_dwordx4 v[48:51], off, off offset:528
	scratch_load_dwordx4 v[56:59], off, off offset:544
	;; [unrolled: 1-line block ×3, first 2 shown]
	s_waitcnt vmcnt(23) lgkmcnt(3)
	v_mul_f64 v[24:25], v[16:17], v[22:23]
	v_fmac_f64_e32 v[24:25], v[18:19], v[20:21]
	v_add_f64 v[28:29], v[24:25], 0
	scratch_load_dwordx4 v[24:27], off, off offset:464
	v_mul_f64 v[18:19], v[18:19], v[22:23]
	v_fma_f64 v[16:17], v[16:17], v[20:21], -v[18:19]
	v_add_f64 v[16:17], v[16:17], 0
	s_waitcnt vmcnt(0) lgkmcnt(2)
	v_mul_f64 v[30:31], v[12:13], v[26:27]
	v_fmac_f64_e32 v[30:31], v[14:15], v[24:25]
	v_add_f64 v[32:33], v[28:29], v[30:31]
	scratch_load_dwordx4 v[28:31], off, off offset:480
	v_mul_f64 v[14:15], v[14:15], v[26:27]
	v_fma_f64 v[12:13], v[12:13], v[24:25], -v[14:15]
	v_add_f64 v[12:13], v[16:17], v[12:13]
	;; [unrolled: 8-line block ×3, first 2 shown]
	s_waitcnt vmcnt(0) lgkmcnt(0)
	v_mul_f64 v[38:39], v[4:5], v[34:35]
	v_fmac_f64_e32 v[38:39], v[6:7], v[32:33]
	v_add_f64 v[44:45], v[36:37], v[38:39]
	ds_read_b128 v[36:39], v2 offset:1360
	v_mul_f64 v[6:7], v[6:7], v[34:35]
	v_fma_f64 v[4:5], v[4:5], v[32:33], -v[6:7]
	v_add_f64 v[4:5], v[8:9], v[4:5]
	s_waitcnt lgkmcnt(0)
	v_mul_f64 v[46:47], v[36:37], v[42:43]
	v_fmac_f64_e32 v[46:47], v[38:39], v[40:41]
	v_add_f64 v[52:53], v[44:45], v[46:47]
	ds_read_b128 v[44:47], v2 offset:1376
	v_mul_f64 v[6:7], v[38:39], v[42:43]
	v_fma_f64 v[6:7], v[36:37], v[40:41], -v[6:7]
	v_add_f64 v[4:5], v[4:5], v[6:7]
	s_waitcnt lgkmcnt(0)
	;; [unrolled: 8-line block ×23, first 2 shown]
	v_mul_f64 v[6:7], v[216:217], v[220:221]
	v_fma_f64 v[6:7], v[214:215], v[218:219], -v[6:7]
	v_add_f64 v[8:9], v[4:5], v[6:7]
	scratch_load_dwordx4 v[4:7], off, off offset:432
	v_mul_f64 v[222:223], v[214:215], v[220:221]
	v_fmac_f64_e32 v[222:223], v[216:217], v[218:219]
	v_add_f64 v[160:161], v[160:161], v[222:223]
	s_waitcnt vmcnt(0)
	v_add_f64 v[4:5], v[4:5], -v[8:9]
	v_add_f64 v[6:7], v[6:7], -v[160:161]
	scratch_store_dwordx4 off, v[4:7], off offset:432
	s_and_saveexec_b64 s[0:1], vcc
	s_cbranch_execz .LBB53_287
; %bb.286:
	scratch_load_dwordx4 v[6:9], off, s56
	v_mov_b32_e32 v3, v2
	v_mov_b32_e32 v4, v2
	;; [unrolled: 1-line block ×3, first 2 shown]
	v_accvgpr_read_b32 v0, a109
	scratch_store_dwordx4 off, v[2:5], off offset:416
	s_waitcnt vmcnt(1)
	ds_write_b128 v0, v[6:9]
.LBB53_287:
	s_or_b64 exec, exec, s[0:1]
	s_waitcnt lgkmcnt(0)
	; wave barrier
	ds_read_b128 v[16:19], v2 offset:1280
	ds_read_b128 v[12:15], v2 offset:1296
	;; [unrolled: 1-line block ×4, first 2 shown]
	scratch_load_dwordx4 v[20:23], off, off offset:432
	scratch_load_dwordx4 v[40:43], off, off offset:496
	;; [unrolled: 1-line block ×22, first 2 shown]
	v_cmp_lt_u32_e32 vcc, 24, v248
	scratch_load_dwordx4 v[48:51], off, off offset:512
	scratch_load_dwordx4 v[56:59], off, off offset:528
	scratch_load_dwordx4 v[64:67], off, off offset:544
	s_waitcnt vmcnt(24) lgkmcnt(3)
	v_mul_f64 v[24:25], v[16:17], v[22:23]
	v_fmac_f64_e32 v[24:25], v[18:19], v[20:21]
	v_add_f64 v[28:29], v[24:25], 0
	scratch_load_dwordx4 v[24:27], off, off offset:448
	s_waitcnt vmcnt(0) lgkmcnt(2)
	v_mul_f64 v[30:31], v[12:13], v[26:27]
	v_fmac_f64_e32 v[30:31], v[14:15], v[24:25]
	v_add_f64 v[32:33], v[28:29], v[30:31]
	scratch_load_dwordx4 v[28:31], off, off offset:464
	v_mul_f64 v[14:15], v[14:15], v[26:27]
	v_fma_f64 v[12:13], v[12:13], v[24:25], -v[14:15]
	s_waitcnt vmcnt(0) lgkmcnt(1)
	v_mul_f64 v[34:35], v[8:9], v[30:31]
	v_fmac_f64_e32 v[34:35], v[10:11], v[28:29]
	v_add_f64 v[36:37], v[32:33], v[34:35]
	scratch_load_dwordx4 v[32:35], off, off offset:480
	v_mul_f64 v[10:11], v[10:11], v[30:31]
	v_fma_f64 v[8:9], v[8:9], v[28:29], -v[10:11]
	s_waitcnt vmcnt(0) lgkmcnt(0)
	v_mul_f64 v[38:39], v[4:5], v[34:35]
	v_fmac_f64_e32 v[38:39], v[6:7], v[32:33]
	v_add_f64 v[44:45], v[36:37], v[38:39]
	ds_read_b128 v[36:39], v2 offset:1344
	v_mul_f64 v[6:7], v[6:7], v[34:35]
	v_fma_f64 v[4:5], v[4:5], v[32:33], -v[6:7]
	s_waitcnt lgkmcnt(0)
	v_mul_f64 v[46:47], v[36:37], v[42:43]
	v_fmac_f64_e32 v[46:47], v[38:39], v[40:41]
	v_add_f64 v[52:53], v[44:45], v[46:47]
	ds_read_b128 v[44:47], v2 offset:1360
	s_waitcnt lgkmcnt(0)
	v_mul_f64 v[54:55], v[44:45], v[50:51]
	v_fmac_f64_e32 v[54:55], v[46:47], v[48:49]
	v_add_f64 v[60:61], v[52:53], v[54:55]
	ds_read_b128 v[52:55], v2 offset:1376
	;; [unrolled: 5-line block ×23, first 2 shown]
	s_waitcnt lgkmcnt(0)
	v_mul_f64 v[2:3], v[222:223], v[228:229]
	v_fmac_f64_e32 v[2:3], v[224:225], v[226:227]
	v_add_f64 v[176:177], v[176:177], v[2:3]
	v_mul_f64 v[2:3], v[18:19], v[22:23]
	v_fma_f64 v[2:3], v[16:17], v[20:21], -v[2:3]
	v_add_f64 v[2:3], v[2:3], 0
	v_add_f64 v[2:3], v[2:3], v[12:13]
	v_add_f64 v[2:3], v[2:3], v[8:9]
	v_add_f64 v[2:3], v[2:3], v[4:5]
	v_mul_f64 v[4:5], v[38:39], v[42:43]
	v_fma_f64 v[4:5], v[36:37], v[40:41], -v[4:5]
	v_add_f64 v[2:3], v[2:3], v[4:5]
	v_mul_f64 v[4:5], v[46:47], v[50:51]
	v_fma_f64 v[4:5], v[44:45], v[48:49], -v[4:5]
	v_add_f64 v[2:3], v[2:3], v[4:5]
	v_mul_f64 v[4:5], v[54:55], v[58:59]
	v_fma_f64 v[4:5], v[52:53], v[56:57], -v[4:5]
	v_add_f64 v[2:3], v[2:3], v[4:5]
	v_mul_f64 v[4:5], v[62:63], v[66:67]
	v_fma_f64 v[4:5], v[60:61], v[64:65], -v[4:5]
	v_add_f64 v[2:3], v[2:3], v[4:5]
	v_mul_f64 v[4:5], v[70:71], v[74:75]
	v_fma_f64 v[4:5], v[68:69], v[72:73], -v[4:5]
	v_add_f64 v[2:3], v[2:3], v[4:5]
	v_mul_f64 v[4:5], v[78:79], v[82:83]
	v_fma_f64 v[4:5], v[76:77], v[80:81], -v[4:5]
	v_add_f64 v[2:3], v[2:3], v[4:5]
	v_mul_f64 v[4:5], v[86:87], v[90:91]
	v_fma_f64 v[4:5], v[84:85], v[88:89], -v[4:5]
	v_add_f64 v[2:3], v[2:3], v[4:5]
	v_mul_f64 v[4:5], v[94:95], v[98:99]
	v_fma_f64 v[4:5], v[92:93], v[96:97], -v[4:5]
	v_add_f64 v[2:3], v[2:3], v[4:5]
	v_mul_f64 v[4:5], v[102:103], v[106:107]
	v_fma_f64 v[4:5], v[100:101], v[104:105], -v[4:5]
	v_add_f64 v[2:3], v[2:3], v[4:5]
	v_mul_f64 v[4:5], v[110:111], v[114:115]
	v_fma_f64 v[4:5], v[108:109], v[112:113], -v[4:5]
	v_add_f64 v[2:3], v[2:3], v[4:5]
	v_mul_f64 v[4:5], v[118:119], v[122:123]
	v_fma_f64 v[4:5], v[116:117], v[120:121], -v[4:5]
	v_add_f64 v[2:3], v[2:3], v[4:5]
	v_mul_f64 v[4:5], v[126:127], v[130:131]
	v_fma_f64 v[4:5], v[124:125], v[128:129], -v[4:5]
	v_add_f64 v[2:3], v[2:3], v[4:5]
	v_mul_f64 v[4:5], v[134:135], v[138:139]
	v_fma_f64 v[4:5], v[132:133], v[136:137], -v[4:5]
	v_add_f64 v[2:3], v[2:3], v[4:5]
	v_mul_f64 v[4:5], v[142:143], v[146:147]
	v_fma_f64 v[4:5], v[140:141], v[144:145], -v[4:5]
	v_add_f64 v[2:3], v[2:3], v[4:5]
	v_mul_f64 v[4:5], v[150:151], v[154:155]
	v_fma_f64 v[4:5], v[148:149], v[152:153], -v[4:5]
	v_add_f64 v[2:3], v[2:3], v[4:5]
	v_mul_f64 v[4:5], v[158:159], v[162:163]
	v_fma_f64 v[4:5], v[156:157], v[160:161], -v[4:5]
	v_add_f64 v[2:3], v[2:3], v[4:5]
	v_mul_f64 v[4:5], v[166:167], v[170:171]
	v_fma_f64 v[4:5], v[164:165], v[168:169], -v[4:5]
	v_add_f64 v[2:3], v[2:3], v[4:5]
	v_mul_f64 v[4:5], v[174:175], v[180:181]
	v_fma_f64 v[4:5], v[172:173], v[178:179], -v[4:5]
	v_add_f64 v[2:3], v[2:3], v[4:5]
	v_mul_f64 v[4:5], v[184:185], v[188:189]
	v_fma_f64 v[4:5], v[182:183], v[186:187], -v[4:5]
	v_add_f64 v[2:3], v[2:3], v[4:5]
	v_mul_f64 v[4:5], v[192:193], v[196:197]
	v_fma_f64 v[4:5], v[190:191], v[194:195], -v[4:5]
	v_add_f64 v[2:3], v[2:3], v[4:5]
	v_mul_f64 v[4:5], v[200:201], v[204:205]
	v_fma_f64 v[4:5], v[198:199], v[202:203], -v[4:5]
	v_add_f64 v[2:3], v[2:3], v[4:5]
	v_mul_f64 v[4:5], v[208:209], v[212:213]
	v_fma_f64 v[4:5], v[206:207], v[210:211], -v[4:5]
	v_add_f64 v[2:3], v[2:3], v[4:5]
	v_mul_f64 v[4:5], v[216:217], v[220:221]
	v_fma_f64 v[4:5], v[214:215], v[218:219], -v[4:5]
	v_add_f64 v[2:3], v[2:3], v[4:5]
	v_mul_f64 v[4:5], v[224:225], v[228:229]
	v_fma_f64 v[4:5], v[222:223], v[226:227], -v[4:5]
	v_add_f64 v[6:7], v[2:3], v[4:5]
	scratch_load_dwordx4 v[2:5], off, off offset:416
	s_waitcnt vmcnt(0)
	v_add_f64 v[2:3], v[2:3], -v[6:7]
	v_add_f64 v[4:5], v[4:5], -v[176:177]
	scratch_store_dwordx4 off, v[2:5], off offset:416
	s_and_saveexec_b64 s[0:1], vcc
	s_cbranch_execz .LBB53_289
; %bb.288:
	scratch_load_dwordx4 v[2:5], off, s55
	v_mov_b32_e32 v6, 0
	v_mov_b32_e32 v7, v6
	;; [unrolled: 1-line block ×4, first 2 shown]
	v_accvgpr_read_b32 v0, a109
	scratch_store_dwordx4 off, v[6:9], off offset:400
	s_waitcnt vmcnt(1)
	ds_write_b128 v0, v[2:5]
.LBB53_289:
	s_or_b64 exec, exec, s[0:1]
	v_mov_b32_e32 v2, 0
	s_waitcnt lgkmcnt(0)
	; wave barrier
	ds_read_b128 v[16:19], v2 offset:1264
	ds_read_b128 v[12:15], v2 offset:1280
	;; [unrolled: 1-line block ×4, first 2 shown]
	scratch_load_dwordx4 v[20:23], off, off offset:416
	scratch_load_dwordx4 v[40:43], off, off offset:480
	;; [unrolled: 1-line block ×23, first 2 shown]
	v_cmp_lt_u32_e32 vcc, 23, v248
	scratch_load_dwordx4 v[48:51], off, off offset:496
	scratch_load_dwordx4 v[56:59], off, off offset:512
	;; [unrolled: 1-line block ×3, first 2 shown]
	s_waitcnt vmcnt(25) lgkmcnt(3)
	v_mul_f64 v[24:25], v[16:17], v[22:23]
	v_fmac_f64_e32 v[24:25], v[18:19], v[20:21]
	v_add_f64 v[28:29], v[24:25], 0
	scratch_load_dwordx4 v[24:27], off, off offset:432
	v_mul_f64 v[18:19], v[18:19], v[22:23]
	v_fma_f64 v[16:17], v[16:17], v[20:21], -v[18:19]
	v_add_f64 v[16:17], v[16:17], 0
	s_waitcnt vmcnt(0) lgkmcnt(2)
	v_mul_f64 v[30:31], v[12:13], v[26:27]
	v_fmac_f64_e32 v[30:31], v[14:15], v[24:25]
	v_add_f64 v[32:33], v[28:29], v[30:31]
	scratch_load_dwordx4 v[28:31], off, off offset:448
	v_mul_f64 v[14:15], v[14:15], v[26:27]
	v_fma_f64 v[12:13], v[12:13], v[24:25], -v[14:15]
	v_add_f64 v[12:13], v[16:17], v[12:13]
	;; [unrolled: 8-line block ×3, first 2 shown]
	s_waitcnt vmcnt(0) lgkmcnt(0)
	v_mul_f64 v[38:39], v[4:5], v[34:35]
	v_fmac_f64_e32 v[38:39], v[6:7], v[32:33]
	v_add_f64 v[44:45], v[36:37], v[38:39]
	ds_read_b128 v[36:39], v2 offset:1328
	v_mul_f64 v[6:7], v[6:7], v[34:35]
	v_fma_f64 v[4:5], v[4:5], v[32:33], -v[6:7]
	v_add_f64 v[4:5], v[8:9], v[4:5]
	s_waitcnt lgkmcnt(0)
	v_mul_f64 v[46:47], v[36:37], v[42:43]
	v_fmac_f64_e32 v[46:47], v[38:39], v[40:41]
	v_add_f64 v[52:53], v[44:45], v[46:47]
	ds_read_b128 v[44:47], v2 offset:1344
	v_mul_f64 v[6:7], v[38:39], v[42:43]
	v_fma_f64 v[6:7], v[36:37], v[40:41], -v[6:7]
	v_add_f64 v[4:5], v[4:5], v[6:7]
	s_waitcnt lgkmcnt(0)
	;; [unrolled: 8-line block ×25, first 2 shown]
	v_mul_f64 v[6:7], v[232:233], v[236:237]
	v_fma_f64 v[6:7], v[230:231], v[234:235], -v[6:7]
	v_add_f64 v[8:9], v[4:5], v[6:7]
	scratch_load_dwordx4 v[4:7], off, off offset:400
	v_mul_f64 v[238:239], v[230:231], v[236:237]
	v_fmac_f64_e32 v[238:239], v[232:233], v[234:235]
	v_add_f64 v[176:177], v[176:177], v[238:239]
	s_waitcnt vmcnt(0)
	v_add_f64 v[4:5], v[4:5], -v[8:9]
	v_add_f64 v[6:7], v[6:7], -v[176:177]
	scratch_store_dwordx4 off, v[4:7], off offset:400
	s_and_saveexec_b64 s[0:1], vcc
	s_cbranch_execz .LBB53_291
; %bb.290:
	scratch_load_dwordx4 v[6:9], off, s54
	v_mov_b32_e32 v3, v2
	v_mov_b32_e32 v4, v2
	;; [unrolled: 1-line block ×3, first 2 shown]
	v_accvgpr_read_b32 v0, a109
	scratch_store_dwordx4 off, v[2:5], off offset:384
	s_waitcnt vmcnt(1)
	ds_write_b128 v0, v[6:9]
.LBB53_291:
	s_or_b64 exec, exec, s[0:1]
	s_waitcnt lgkmcnt(0)
	; wave barrier
	ds_read_b128 v[16:19], v2 offset:1248
	ds_read_b128 v[12:15], v2 offset:1264
	ds_read_b128 v[8:11], v2 offset:1280
	ds_read_b128 v[4:7], v2 offset:1296
	scratch_load_dwordx4 v[20:23], off, off offset:400
	scratch_load_dwordx4 v[40:43], off, off offset:464
	scratch_load_dwordx4 v[72:75], off, off offset:528
	scratch_load_dwordx4 v[80:83], off, off offset:544
	scratch_load_dwordx4 v[88:91], off, off offset:560
	scratch_load_dwordx4 v[96:99], off, off offset:576
	scratch_load_dwordx4 v[104:107], off, off offset:592
	scratch_load_dwordx4 v[112:115], off, off offset:608
	scratch_load_dwordx4 v[120:123], off, off offset:624
	scratch_load_dwordx4 v[128:131], off, off offset:640
	scratch_load_dwordx4 v[136:139], off, off offset:656
	scratch_load_dwordx4 v[144:147], off, off offset:672
	scratch_load_dwordx4 v[152:155], off, off offset:688
	scratch_load_dwordx4 v[160:163], off, off offset:704
	scratch_load_dwordx4 v[168:171], off, off offset:720
	scratch_load_dwordx4 v[176:179], off, off offset:736
	scratch_load_dwordx4 v[186:189], off, off offset:752
	scratch_load_dwordx4 v[194:197], off, off offset:768
	scratch_load_dwordx4 v[202:205], off, off offset:784
	scratch_load_dwordx4 v[210:213], off, off offset:800
	scratch_load_dwordx4 v[218:221], off, off offset:816
	scratch_load_dwordx4 v[226:229], off, off offset:832
	scratch_load_dwordx4 v[234:237], off, off offset:848
	scratch_load_dwordx4 v[252:255], off, off offset:864
	v_cmp_lt_u32_e32 vcc, 22, v248
	scratch_load_dwordx4 v[48:51], off, off offset:480
	scratch_load_dwordx4 v[56:59], off, off offset:496
	;; [unrolled: 1-line block ×3, first 2 shown]
	s_waitcnt vmcnt(26) lgkmcnt(3)
	v_mul_f64 v[24:25], v[16:17], v[22:23]
	v_fmac_f64_e32 v[24:25], v[18:19], v[20:21]
	v_add_f64 v[28:29], v[24:25], 0
	scratch_load_dwordx4 v[24:27], off, off offset:416
	s_waitcnt vmcnt(0) lgkmcnt(2)
	v_mul_f64 v[30:31], v[12:13], v[26:27]
	v_fmac_f64_e32 v[30:31], v[14:15], v[24:25]
	v_add_f64 v[32:33], v[28:29], v[30:31]
	scratch_load_dwordx4 v[28:31], off, off offset:432
	v_mul_f64 v[14:15], v[14:15], v[26:27]
	v_fma_f64 v[12:13], v[12:13], v[24:25], -v[14:15]
	s_waitcnt vmcnt(0) lgkmcnt(1)
	v_mul_f64 v[34:35], v[8:9], v[30:31]
	v_fmac_f64_e32 v[34:35], v[10:11], v[28:29]
	v_add_f64 v[36:37], v[32:33], v[34:35]
	scratch_load_dwordx4 v[32:35], off, off offset:448
	v_mul_f64 v[10:11], v[10:11], v[30:31]
	v_fma_f64 v[8:9], v[8:9], v[28:29], -v[10:11]
	s_waitcnt vmcnt(0) lgkmcnt(0)
	v_mul_f64 v[38:39], v[4:5], v[34:35]
	v_fmac_f64_e32 v[38:39], v[6:7], v[32:33]
	v_add_f64 v[44:45], v[36:37], v[38:39]
	ds_read_b128 v[36:39], v2 offset:1312
	v_mul_f64 v[6:7], v[6:7], v[34:35]
	v_fma_f64 v[4:5], v[4:5], v[32:33], -v[6:7]
	s_waitcnt lgkmcnt(0)
	v_mul_f64 v[46:47], v[36:37], v[42:43]
	v_fmac_f64_e32 v[46:47], v[38:39], v[40:41]
	v_add_f64 v[52:53], v[44:45], v[46:47]
	ds_read_b128 v[44:47], v2 offset:1328
	s_waitcnt lgkmcnt(0)
	v_mul_f64 v[54:55], v[44:45], v[50:51]
	v_fmac_f64_e32 v[54:55], v[46:47], v[48:49]
	v_add_f64 v[60:61], v[52:53], v[54:55]
	ds_read_b128 v[52:55], v2 offset:1344
	;; [unrolled: 5-line block ×25, first 2 shown]
	s_waitcnt lgkmcnt(0)
	v_mul_f64 v[2:3], v[238:239], v[254:255]
	v_fmac_f64_e32 v[2:3], v[240:241], v[252:253]
	v_add_f64 v[184:185], v[184:185], v[2:3]
	v_mul_f64 v[2:3], v[18:19], v[22:23]
	v_fma_f64 v[2:3], v[16:17], v[20:21], -v[2:3]
	v_add_f64 v[2:3], v[2:3], 0
	v_add_f64 v[2:3], v[2:3], v[12:13]
	;; [unrolled: 1-line block ×4, first 2 shown]
	v_mul_f64 v[4:5], v[38:39], v[42:43]
	v_fma_f64 v[4:5], v[36:37], v[40:41], -v[4:5]
	v_add_f64 v[2:3], v[2:3], v[4:5]
	v_mul_f64 v[4:5], v[46:47], v[50:51]
	v_fma_f64 v[4:5], v[44:45], v[48:49], -v[4:5]
	v_add_f64 v[2:3], v[2:3], v[4:5]
	;; [unrolled: 3-line block ×26, first 2 shown]
	scratch_load_dwordx4 v[2:5], off, off offset:384
	s_waitcnt vmcnt(0)
	v_add_f64 v[2:3], v[2:3], -v[6:7]
	v_add_f64 v[4:5], v[4:5], -v[184:185]
	scratch_store_dwordx4 off, v[2:5], off offset:384
	s_and_saveexec_b64 s[0:1], vcc
	s_cbranch_execz .LBB53_293
; %bb.292:
	scratch_load_dwordx4 v[2:5], off, s53
	v_mov_b32_e32 v6, 0
	v_mov_b32_e32 v7, v6
	;; [unrolled: 1-line block ×4, first 2 shown]
	v_accvgpr_read_b32 v0, a109
	scratch_store_dwordx4 off, v[6:9], off offset:368
	s_waitcnt vmcnt(1)
	ds_write_b128 v0, v[2:5]
.LBB53_293:
	s_or_b64 exec, exec, s[0:1]
	s_waitcnt lgkmcnt(0)
	; wave barrier
	scratch_load_dwordx4 v[16:19], off, off offset:384
	scratch_load_dwordx4 v[12:15], off, off offset:400
	;; [unrolled: 1-line block ×32, first 2 shown]
	v_mov_b32_e32 v2, 0
	ds_read_b128 v[132:135], v2 offset:1232
	ds_read_b128 v[136:139], v2 offset:1248
	ds_read_b128 v[140:143], v2 offset:1264
	ds_read_b128 v[144:147], v2 offset:1280
	ds_read_b128 v[148:151], v2 offset:1296
	ds_read_b128 v[152:155], v2 offset:1312
	ds_read_b128 v[156:159], v2 offset:1328
	ds_read_b128 v[160:163], v2 offset:1344
	ds_read_b128 v[164:167], v2 offset:1360
	ds_read_b128 v[168:171], v2 offset:1376
	ds_read_b128 v[172:175], v2 offset:1392
	ds_read_b128 v[176:179], v2 offset:1408
	ds_read_b128 v[180:183], v2 offset:1424
	ds_read_b128 v[184:187], v2 offset:1440
	ds_read_b128 v[188:191], v2 offset:1456
	ds_read_b128 v[192:195], v2 offset:1472
	ds_read_b128 v[196:199], v2 offset:1488
	v_cmp_lt_u32_e32 vcc, 21, v248
	s_waitcnt vmcnt(31) lgkmcnt(14)
	v_mul_f64 v[200:201], v[132:133], v[18:19]
	s_waitcnt vmcnt(30)
	v_mul_f64 v[202:203], v[136:137], v[14:15]
	v_fmac_f64_e32 v[200:201], v[134:135], v[16:17]
	s_waitcnt vmcnt(29)
	v_mul_f64 v[204:205], v[140:141], v[10:11]
	v_fmac_f64_e32 v[202:203], v[138:139], v[12:13]
	v_add_f64 v[200:201], v[200:201], 0
	s_waitcnt vmcnt(28) lgkmcnt(13)
	v_mul_f64 v[206:207], v[144:145], v[6:7]
	v_fmac_f64_e32 v[204:205], v[142:143], v[8:9]
	v_add_f64 v[200:201], v[200:201], v[202:203]
	s_waitcnt vmcnt(27) lgkmcnt(12)
	;; [unrolled: 4-line block ×12, first 2 shown]
	v_mul_f64 v[228:229], v[188:189], v[62:63]
	v_fmac_f64_e32 v[226:227], v[186:187], v[56:57]
	v_add_f64 v[200:201], v[200:201], v[224:225]
	v_fmac_f64_e32 v[228:229], v[190:191], v[60:61]
	v_add_f64 v[200:201], v[200:201], v[226:227]
	s_waitcnt vmcnt(16) lgkmcnt(1)
	v_mul_f64 v[202:203], v[192:193], v[66:67]
	v_add_f64 v[200:201], v[200:201], v[228:229]
	v_fmac_f64_e32 v[202:203], v[194:195], v[64:65]
	s_waitcnt vmcnt(15) lgkmcnt(0)
	v_mul_f64 v[206:207], v[196:197], v[70:71]
	v_add_f64 v[204:205], v[200:201], v[202:203]
	ds_read_b128 v[200:203], v2 offset:1504
	v_fmac_f64_e32 v[206:207], v[198:199], v[68:69]
	v_add_f64 v[208:209], v[204:205], v[206:207]
	ds_read_b128 v[204:207], v2 offset:1520
	v_mul_f64 v[18:19], v[134:135], v[18:19]
	s_waitcnt vmcnt(14) lgkmcnt(1)
	v_mul_f64 v[210:211], v[200:201], v[74:75]
	v_fmac_f64_e32 v[210:211], v[202:203], v[72:73]
	v_add_f64 v[212:213], v[208:209], v[210:211]
	s_waitcnt vmcnt(13) lgkmcnt(0)
	v_mul_f64 v[214:215], v[204:205], v[78:79]
	ds_read_b128 v[208:211], v2 offset:1536
	v_fmac_f64_e32 v[214:215], v[206:207], v[76:77]
	v_add_f64 v[216:217], v[212:213], v[214:215]
	ds_read_b128 v[212:215], v2 offset:1552
	v_fma_f64 v[252:253], v[132:133], v[16:17], -v[18:19]
	s_waitcnt vmcnt(12) lgkmcnt(1)
	v_mul_f64 v[218:219], v[208:209], v[82:83]
	v_fmac_f64_e32 v[218:219], v[210:211], v[80:81]
	v_add_f64 v[220:221], v[216:217], v[218:219]
	s_waitcnt vmcnt(11) lgkmcnt(0)
	v_mul_f64 v[222:223], v[212:213], v[86:87]
	ds_read_b128 v[216:219], v2 offset:1568
	v_fmac_f64_e32 v[222:223], v[214:215], v[84:85]
	v_add_f64 v[224:225], v[220:221], v[222:223]
	ds_read_b128 v[220:223], v2 offset:1584
	ds_read_b128 v[16:19], v2 offset:1664
	s_waitcnt vmcnt(10) lgkmcnt(2)
	v_mul_f64 v[226:227], v[216:217], v[90:91]
	v_fmac_f64_e32 v[226:227], v[218:219], v[88:89]
	v_add_f64 v[228:229], v[224:225], v[226:227]
	s_waitcnt vmcnt(9) lgkmcnt(1)
	v_mul_f64 v[230:231], v[220:221], v[94:95]
	ds_read_b128 v[224:227], v2 offset:1600
	v_fmac_f64_e32 v[230:231], v[222:223], v[92:93]
	v_add_f64 v[232:233], v[228:229], v[230:231]
	ds_read_b128 v[228:231], v2 offset:1616
	v_mul_f64 v[14:15], v[138:139], v[14:15]
	s_waitcnt vmcnt(8) lgkmcnt(1)
	v_mul_f64 v[234:235], v[224:225], v[98:99]
	v_fmac_f64_e32 v[234:235], v[226:227], v[96:97]
	v_add_f64 v[236:237], v[232:233], v[234:235]
	s_waitcnt vmcnt(7) lgkmcnt(0)
	v_mul_f64 v[238:239], v[228:229], v[102:103]
	ds_read_b128 v[232:235], v2 offset:1632
	v_fmac_f64_e32 v[238:239], v[230:231], v[100:101]
	v_add_f64 v[240:241], v[236:237], v[238:239]
	ds_read_b128 v[236:239], v2 offset:1648
	v_fma_f64 v[136:137], v[136:137], v[12:13], -v[14:15]
	s_waitcnt vmcnt(6) lgkmcnt(1)
	v_mul_f64 v[132:133], v[232:233], v[106:107]
	v_fmac_f64_e32 v[132:133], v[234:235], v[104:105]
	v_add_f64 v[132:133], v[240:241], v[132:133]
	s_waitcnt vmcnt(5) lgkmcnt(0)
	v_mul_f64 v[134:135], v[236:237], v[110:111]
	v_fmac_f64_e32 v[134:135], v[238:239], v[108:109]
	v_add_f64 v[132:133], v[132:133], v[134:135]
	ds_read_b128 v[12:15], v2 offset:1680
	s_waitcnt vmcnt(4)
	v_mul_f64 v[134:135], v[16:17], v[114:115]
	v_fmac_f64_e32 v[134:135], v[18:19], v[112:113]
	v_add_f64 v[138:139], v[132:133], v[134:135]
	ds_read_b128 v[132:135], v2 offset:1696
	v_mul_f64 v[10:11], v[142:143], v[10:11]
	v_fma_f64 v[140:141], v[140:141], v[8:9], -v[10:11]
	ds_read_b128 v[8:11], v2 offset:1712
	s_waitcnt vmcnt(3) lgkmcnt(2)
	v_mul_f64 v[142:143], v[12:13], v[118:119]
	v_fmac_f64_e32 v[142:143], v[14:15], v[116:117]
	v_add_f64 v[138:139], v[138:139], v[142:143]
	s_waitcnt vmcnt(2) lgkmcnt(1)
	v_mul_f64 v[142:143], v[132:133], v[122:123]
	v_fmac_f64_e32 v[142:143], v[134:135], v[120:121]
	v_add_f64 v[138:139], v[138:139], v[142:143]
	;; [unrolled: 4-line block ×3, first 2 shown]
	v_add_f64 v[142:143], v[252:253], 0
	v_add_f64 v[136:137], v[142:143], v[136:137]
	v_mul_f64 v[6:7], v[146:147], v[6:7]
	v_add_f64 v[136:137], v[136:137], v[140:141]
	v_fma_f64 v[4:5], v[144:145], v[4:5], -v[6:7]
	v_mul_f64 v[6:7], v[150:151], v[22:23]
	v_add_f64 v[4:5], v[136:137], v[4:5]
	v_fma_f64 v[6:7], v[148:149], v[20:21], -v[6:7]
	v_add_f64 v[4:5], v[4:5], v[6:7]
	v_mul_f64 v[6:7], v[154:155], v[26:27]
	v_fma_f64 v[6:7], v[152:153], v[24:25], -v[6:7]
	v_add_f64 v[4:5], v[4:5], v[6:7]
	v_mul_f64 v[6:7], v[158:159], v[30:31]
	;; [unrolled: 3-line block ×26, first 2 shown]
	v_fma_f64 v[6:7], v[8:9], v[124:125], -v[6:7]
	v_add_f64 v[4:5], v[4:5], v[6:7]
	s_waitcnt vmcnt(0)
	v_add_f64 v[4:5], v[128:129], -v[4:5]
	v_add_f64 v[6:7], v[130:131], -v[138:139]
	scratch_store_dwordx4 off, v[4:7], off offset:368
	s_and_saveexec_b64 s[0:1], vcc
	s_cbranch_execz .LBB53_295
; %bb.294:
	scratch_load_dwordx4 v[6:9], off, s52
	v_mov_b32_e32 v3, v2
	v_mov_b32_e32 v4, v2
	;; [unrolled: 1-line block ×3, first 2 shown]
	v_accvgpr_read_b32 v0, a109
	scratch_store_dwordx4 off, v[2:5], off offset:352
	s_waitcnt vmcnt(1)
	ds_write_b128 v0, v[6:9]
.LBB53_295:
	s_or_b64 exec, exec, s[0:1]
	s_waitcnt lgkmcnt(0)
	; wave barrier
	scratch_load_dwordx4 v[140:143], off, off offset:368
	scratch_load_dwordx4 v[148:151], off, off offset:384
	;; [unrolled: 1-line block ×16, first 2 shown]
	ds_read_b128 v[188:191], v2 offset:1216
	ds_read_b128 v[184:187], v2 offset:1232
	scratch_load_dwordx4 v[56:59], off, off offset:624
	ds_read_b128 v[192:195], v2 offset:1248
	ds_read_b128 v[68:71], v2 offset:1264
	scratch_load_dwordx4 v[60:63], off, off offset:640
	ds_read_b128 v[88:91], v2 offset:1280
	ds_read_b128 v[84:87], v2 offset:1296
	;; [unrolled: 1-line block ×4, first 2 shown]
	scratch_load_dwordx4 v[64:67], off, off offset:656
	ds_read_b128 v[100:103], v2 offset:1344
	ds_read_b128 v[96:99], v2 offset:1360
	scratch_load_dwordx4 v[72:75], off, off offset:672
	ds_read_b128 v[116:119], v2 offset:1376
	ds_read_b128 v[112:115], v2 offset:1392
	;; [unrolled: 1-line block ×4, first 2 shown]
	scratch_load_dwordx4 v[92:95], off, off offset:688
	ds_read_b128 v[132:135], v2 offset:1440
	ds_read_b128 v[128:131], v2 offset:1456
	;; [unrolled: 1-line block ×3, first 2 shown]
	scratch_load_dwordx4 v[120:123], off, off offset:704
	scratch_load_dwordx4 v[136:139], off, off offset:720
	;; [unrolled: 1-line block ×11, first 2 shown]
	v_cmp_lt_u32_e32 vcc, 20, v248
	s_waitcnt vmcnt(31) lgkmcnt(14)
	v_mul_f64 v[200:201], v[188:189], v[142:143]
	s_waitcnt vmcnt(30)
	v_mul_f64 v[202:203], v[184:185], v[150:151]
	v_fmac_f64_e32 v[200:201], v[190:191], v[140:141]
	s_waitcnt vmcnt(29)
	v_mul_f64 v[204:205], v[192:193], v[154:155]
	v_fmac_f64_e32 v[202:203], v[186:187], v[148:149]
	v_add_f64 v[200:201], v[200:201], 0
	s_waitcnt vmcnt(28) lgkmcnt(13)
	v_mul_f64 v[206:207], v[68:69], v[6:7]
	v_fmac_f64_e32 v[204:205], v[194:195], v[152:153]
	v_add_f64 v[200:201], v[200:201], v[202:203]
	s_waitcnt vmcnt(27) lgkmcnt(12)
	;; [unrolled: 4-line block ×13, first 2 shown]
	v_mul_f64 v[230:231], v[128:129], v[54:55]
	v_fmac_f64_e32 v[228:229], v[134:135], v[48:49]
	v_add_f64 v[200:201], v[200:201], v[226:227]
	v_add_f64 v[200:201], v[200:201], v[228:229]
	v_fmac_f64_e32 v[230:231], v[130:131], v[52:53]
	v_add_f64 v[204:205], v[200:201], v[230:231]
	ds_read_b128 v[200:203], v2 offset:1488
	s_waitcnt vmcnt(15) lgkmcnt(1)
	v_mul_f64 v[206:207], v[124:125], v[58:59]
	v_fmac_f64_e32 v[206:207], v[126:127], v[56:57]
	v_add_f64 v[208:209], v[204:205], v[206:207]
	ds_read_b128 v[204:207], v2 offset:1504
	s_waitcnt vmcnt(14) lgkmcnt(1)
	v_mul_f64 v[210:211], v[200:201], v[62:63]
	;; [unrolled: 5-line block ×10, first 2 shown]
	v_fmac_f64_e32 v[252:253], v[234:235], v[160:161]
	v_mul_f64 v[142:143], v[190:191], v[142:143]
	v_add_f64 v[252:253], v[240:241], v[252:253]
	v_fma_f64 v[240:241], v[188:189], v[140:141], -v[142:143]
	ds_read_b128 v[140:143], v2 offset:1648
	s_waitcnt vmcnt(5) lgkmcnt(1)
	v_mul_f64 v[188:189], v[236:237], v[166:167]
	v_fmac_f64_e32 v[188:189], v[238:239], v[164:165]
	v_mul_f64 v[150:151], v[186:187], v[150:151]
	v_add_f64 v[188:189], v[252:253], v[188:189]
	v_fma_f64 v[252:253], v[184:185], v[148:149], -v[150:151]
	ds_read_b128 v[148:151], v2 offset:1664
	s_waitcnt vmcnt(4) lgkmcnt(1)
	v_mul_f64 v[184:185], v[140:141], v[170:171]
	v_fmac_f64_e32 v[184:185], v[142:143], v[168:169]
	v_add_f64 v[188:189], v[188:189], v[184:185]
	ds_read_b128 v[184:187], v2 offset:1680
	v_mul_f64 v[154:155], v[194:195], v[154:155]
	s_waitcnt vmcnt(3) lgkmcnt(1)
	v_mul_f64 v[190:191], v[148:149], v[174:175]
	v_fma_f64 v[242:243], v[192:193], v[152:153], -v[154:155]
	ds_read_b128 v[152:155], v2 offset:1696
	v_fmac_f64_e32 v[190:191], v[150:151], v[172:173]
	v_add_f64 v[254:255], v[188:189], v[190:191]
	ds_read_b128 v[188:191], v2 offset:1712
	s_waitcnt vmcnt(2) lgkmcnt(2)
	v_mul_f64 v[192:193], v[184:185], v[178:179]
	v_fmac_f64_e32 v[192:193], v[186:187], v[176:177]
	v_add_f64 v[2:3], v[254:255], v[192:193]
	s_waitcnt vmcnt(1) lgkmcnt(1)
	v_mul_f64 v[192:193], v[152:153], v[182:183]
	v_fmac_f64_e32 v[192:193], v[154:155], v[180:181]
	v_add_f64 v[2:3], v[2:3], v[192:193]
	;; [unrolled: 4-line block ×3, first 2 shown]
	scratch_load_dwordx4 v[192:195], off, off offset:352
	v_add_f64 v[240:241], v[240:241], 0
	v_add_f64 v[240:241], v[240:241], v[252:253]
	v_mul_f64 v[6:7], v[70:71], v[6:7]
	v_add_f64 v[240:241], v[240:241], v[242:243]
	v_fma_f64 v[4:5], v[68:69], v[4:5], -v[6:7]
	v_mul_f64 v[6:7], v[90:91], v[10:11]
	v_add_f64 v[4:5], v[240:241], v[4:5]
	v_fma_f64 v[6:7], v[88:89], v[8:9], -v[6:7]
	v_add_f64 v[4:5], v[4:5], v[6:7]
	v_mul_f64 v[6:7], v[86:87], v[14:15]
	v_fma_f64 v[6:7], v[84:85], v[12:13], -v[6:7]
	v_add_f64 v[4:5], v[4:5], v[6:7]
	v_mul_f64 v[6:7], v[82:83], v[18:19]
	;; [unrolled: 3-line block ×27, first 2 shown]
	v_fma_f64 v[6:7], v[188:189], v[196:197], -v[6:7]
	v_add_f64 v[4:5], v[4:5], v[6:7]
	s_waitcnt vmcnt(0)
	v_add_f64 v[4:5], v[192:193], -v[4:5]
	v_add_f64 v[6:7], v[194:195], -v[2:3]
	scratch_store_dwordx4 off, v[4:7], off offset:352
	s_and_saveexec_b64 s[0:1], vcc
	s_cbranch_execz .LBB53_297
; %bb.296:
	scratch_load_dwordx4 v[2:5], off, s51
	v_mov_b32_e32 v6, 0
	v_mov_b32_e32 v7, v6
	;; [unrolled: 1-line block ×4, first 2 shown]
	v_accvgpr_read_b32 v0, a109
	scratch_store_dwordx4 off, v[6:9], off offset:336
	s_waitcnt vmcnt(1)
	ds_write_b128 v0, v[2:5]
.LBB53_297:
	s_or_b64 exec, exec, s[0:1]
	s_waitcnt lgkmcnt(0)
	; wave barrier
	scratch_load_dwordx4 v[108:111], off, off offset:352
	scratch_load_dwordx4 v[116:119], off, off offset:368
	;; [unrolled: 1-line block ×33, first 2 shown]
	v_mov_b32_e32 v2, 0
	ds_read_b128 v[220:223], v2 offset:1200
	ds_read_b128 v[224:227], v2 offset:1216
	;; [unrolled: 1-line block ×16, first 2 shown]
	v_cmp_lt_u32_e32 vcc, 19, v248
	s_waitcnt vmcnt(32) lgkmcnt(14)
	v_mul_f64 v[180:181], v[220:221], v[110:111]
	s_waitcnt vmcnt(31)
	v_mul_f64 v[182:183], v[224:225], v[118:119]
	v_fmac_f64_e32 v[180:181], v[222:223], v[108:109]
	s_waitcnt vmcnt(30) lgkmcnt(13)
	v_mul_f64 v[184:185], v[234:235], v[122:123]
	v_fmac_f64_e32 v[182:183], v[226:227], v[116:117]
	v_add_f64 v[180:181], v[180:181], 0
	s_waitcnt vmcnt(29) lgkmcnt(12)
	v_mul_f64 v[186:187], v[238:239], v[126:127]
	v_fmac_f64_e32 v[184:185], v[236:237], v[120:121]
	v_add_f64 v[180:181], v[180:181], v[182:183]
	;; [unrolled: 4-line block ×13, first 2 shown]
	v_fmac_f64_e32 v[208:209], v[142:143], v[40:41]
	v_add_f64 v[180:181], v[180:181], v[206:207]
	v_add_f64 v[184:185], v[180:181], v[208:209]
	ds_read_b128 v[180:183], v2 offset:1456
	s_waitcnt vmcnt(17) lgkmcnt(1)
	v_mul_f64 v[186:187], v[136:137], v[46:47]
	v_fmac_f64_e32 v[186:187], v[138:139], v[44:45]
	v_add_f64 v[188:189], v[184:185], v[186:187]
	ds_read_b128 v[184:187], v2 offset:1472
	s_waitcnt vmcnt(16) lgkmcnt(1)
	v_mul_f64 v[190:191], v[180:181], v[50:51]
	v_fmac_f64_e32 v[190:191], v[182:183], v[48:49]
	;; [unrolled: 5-line block ×10, first 2 shown]
	v_mul_f64 v[110:111], v[222:223], v[110:111]
	v_add_f64 v[228:229], v[228:229], v[230:231]
	v_fma_f64 v[230:231], v[220:221], v[108:109], -v[110:111]
	ds_read_b128 v[108:111], v2 offset:1616
	s_waitcnt vmcnt(7) lgkmcnt(1)
	v_mul_f64 v[220:221], v[216:217], v[86:87]
	v_mul_f64 v[118:119], v[226:227], v[118:119]
	v_fmac_f64_e32 v[220:221], v[218:219], v[84:85]
	v_fma_f64 v[232:233], v[224:225], v[116:117], -v[118:119]
	ds_read_b128 v[116:119], v2 offset:1632
	s_waitcnt vmcnt(6) lgkmcnt(1)
	v_mul_f64 v[222:223], v[108:109], v[90:91]
	v_add_f64 v[220:221], v[228:229], v[220:221]
	v_fmac_f64_e32 v[222:223], v[110:111], v[88:89]
	v_add_f64 v[224:225], v[220:221], v[222:223]
	ds_read_b128 v[220:223], v2 offset:1648
	v_mul_f64 v[122:123], v[236:237], v[122:123]
	v_fma_f64 v[234:235], v[234:235], v[120:121], -v[122:123]
	ds_read_b128 v[120:123], v2 offset:1664
	s_waitcnt vmcnt(5) lgkmcnt(2)
	v_mul_f64 v[226:227], v[116:117], v[94:95]
	v_fmac_f64_e32 v[226:227], v[118:119], v[92:93]
	v_add_f64 v[224:225], v[224:225], v[226:227]
	s_waitcnt vmcnt(4) lgkmcnt(1)
	v_mul_f64 v[226:227], v[220:221], v[98:99]
	v_mul_f64 v[126:127], v[240:241], v[126:127]
	v_fmac_f64_e32 v[226:227], v[222:223], v[96:97]
	v_fma_f64 v[236:237], v[238:239], v[124:125], -v[126:127]
	s_waitcnt vmcnt(3) lgkmcnt(0)
	v_mul_f64 v[238:239], v[120:121], v[102:103]
	v_add_f64 v[228:229], v[224:225], v[226:227]
	v_fmac_f64_e32 v[238:239], v[122:123], v[100:101]
	v_mul_f64 v[130:131], v[254:255], v[130:131]
	v_add_f64 v[228:229], v[228:229], v[238:239]
	v_fma_f64 v[238:239], v[252:253], v[128:129], -v[130:131]
	scratch_load_dwordx4 v[252:255], off, off offset:336
	v_add_f64 v[230:231], v[230:231], 0
	v_add_f64 v[230:231], v[230:231], v[232:233]
	;; [unrolled: 1-line block ×4, first 2 shown]
	v_mul_f64 v[6:7], v[178:179], v[6:7]
	v_add_f64 v[230:231], v[230:231], v[238:239]
	v_fma_f64 v[4:5], v[176:177], v[4:5], -v[6:7]
	v_mul_f64 v[6:7], v[174:175], v[10:11]
	v_add_f64 v[4:5], v[230:231], v[4:5]
	v_fma_f64 v[6:7], v[172:173], v[8:9], -v[6:7]
	v_add_f64 v[4:5], v[4:5], v[6:7]
	v_mul_f64 v[6:7], v[170:171], v[14:15]
	v_fma_f64 v[6:7], v[168:169], v[12:13], -v[6:7]
	v_add_f64 v[4:5], v[4:5], v[6:7]
	v_mul_f64 v[6:7], v[166:167], v[18:19]
	;; [unrolled: 3-line block ×21, first 2 shown]
	ds_read_b128 v[124:127], v2 offset:1680
	ds_read_b128 v[224:227], v2 offset:1696
	v_fma_f64 v[6:7], v[116:117], v[92:93], -v[6:7]
	v_add_f64 v[4:5], v[4:5], v[6:7]
	v_mul_f64 v[6:7], v[222:223], v[98:99]
	v_fma_f64 v[6:7], v[220:221], v[96:97], -v[6:7]
	v_add_f64 v[4:5], v[4:5], v[6:7]
	v_mul_f64 v[6:7], v[122:123], v[102:103]
	ds_read_b128 v[128:131], v2 offset:1712
	v_fma_f64 v[6:7], v[120:121], v[100:101], -v[6:7]
	s_waitcnt vmcnt(3) lgkmcnt(2)
	v_mul_f64 v[240:241], v[124:125], v[106:107]
	v_add_f64 v[4:5], v[4:5], v[6:7]
	v_mul_f64 v[6:7], v[126:127], v[106:107]
	v_fmac_f64_e32 v[240:241], v[126:127], v[104:105]
	v_fma_f64 v[6:7], v[124:125], v[104:105], -v[6:7]
	v_add_f64 v[228:229], v[228:229], v[240:241]
	s_waitcnt vmcnt(2) lgkmcnt(1)
	v_mul_f64 v[240:241], v[224:225], v[114:115]
	v_add_f64 v[4:5], v[4:5], v[6:7]
	v_mul_f64 v[6:7], v[226:227], v[114:115]
	v_fmac_f64_e32 v[240:241], v[226:227], v[112:113]
	v_fma_f64 v[6:7], v[224:225], v[112:113], -v[6:7]
	v_add_f64 v[228:229], v[228:229], v[240:241]
	;; [unrolled: 7-line block ×3, first 2 shown]
	v_add_f64 v[4:5], v[4:5], v[6:7]
	s_waitcnt vmcnt(0)
	v_add_f64 v[4:5], v[252:253], -v[4:5]
	v_add_f64 v[6:7], v[254:255], -v[228:229]
	scratch_store_dwordx4 off, v[4:7], off offset:336
	s_and_saveexec_b64 s[0:1], vcc
	s_cbranch_execz .LBB53_299
; %bb.298:
	scratch_load_dwordx4 v[6:9], off, s50
	v_mov_b32_e32 v3, v2
	v_mov_b32_e32 v4, v2
	;; [unrolled: 1-line block ×3, first 2 shown]
	v_accvgpr_read_b32 v0, a109
	scratch_store_dwordx4 off, v[2:5], off offset:320
	s_waitcnt vmcnt(1)
	ds_write_b128 v0, v[6:9]
.LBB53_299:
	s_or_b64 exec, exec, s[0:1]
	s_waitcnt lgkmcnt(0)
	; wave barrier
	scratch_load_dwordx4 v[144:147], off, off offset:336
	scratch_load_dwordx4 v[152:155], off, off offset:352
	;; [unrolled: 1-line block ×16, first 2 shown]
	ds_read_b128 v[196:199], v2 offset:1184
	ds_read_b128 v[188:191], v2 offset:1200
	ds_read_b128 v[180:183], v2 offset:1216
	scratch_load_dwordx4 v[48:51], off, off offset:592
	ds_read_b128 v[192:195], v2 offset:1232
	ds_read_b128 v[184:187], v2 offset:1248
	ds_read_b128 v[64:67], v2 offset:1264
	scratch_load_dwordx4 v[52:55], off, off offset:608
	;; [unrolled: 4-line block ×5, first 2 shown]
	ds_read_b128 v[116:119], v2 offset:1424
	ds_read_b128 v[112:115], v2 offset:1440
	scratch_load_dwordx4 v[108:111], off, off offset:672
	scratch_load_dwordx4 v[120:123], off, off offset:688
	;; [unrolled: 1-line block ×12, first 2 shown]
	v_cmp_lt_u32_e32 vcc, 18, v248
	s_waitcnt vmcnt(32) lgkmcnt(14)
	v_mul_f64 v[204:205], v[196:197], v[146:147]
	s_waitcnt vmcnt(31)
	v_mul_f64 v[206:207], v[188:189], v[154:155]
	v_fmac_f64_e32 v[204:205], v[198:199], v[144:145]
	s_waitcnt vmcnt(30)
	v_mul_f64 v[208:209], v[180:181], v[158:159]
	v_fmac_f64_e32 v[206:207], v[190:191], v[152:153]
	v_add_f64 v[204:205], v[204:205], 0
	s_waitcnt vmcnt(29) lgkmcnt(13)
	v_mul_f64 v[210:211], v[192:193], v[162:163]
	v_fmac_f64_e32 v[208:209], v[182:183], v[156:157]
	v_add_f64 v[204:205], v[204:205], v[206:207]
	s_waitcnt vmcnt(28) lgkmcnt(12)
	;; [unrolled: 4-line block ×12, first 2 shown]
	v_mul_f64 v[232:233], v[96:97], v[42:43]
	v_fmac_f64_e32 v[230:231], v[102:103], v[36:37]
	v_add_f64 v[204:205], v[204:205], v[228:229]
	v_fmac_f64_e32 v[232:233], v[98:99], v[40:41]
	v_add_f64 v[204:205], v[204:205], v[230:231]
	s_waitcnt vmcnt(17) lgkmcnt(1)
	v_mul_f64 v[206:207], v[116:117], v[46:47]
	v_add_f64 v[204:205], v[204:205], v[232:233]
	v_fmac_f64_e32 v[206:207], v[118:119], v[44:45]
	s_waitcnt vmcnt(16) lgkmcnt(0)
	v_mul_f64 v[210:211], v[112:113], v[50:51]
	v_add_f64 v[208:209], v[204:205], v[206:207]
	ds_read_b128 v[204:207], v2 offset:1456
	v_fmac_f64_e32 v[210:211], v[114:115], v[48:49]
	v_add_f64 v[212:213], v[208:209], v[210:211]
	ds_read_b128 v[208:211], v2 offset:1472
	v_mul_f64 v[146:147], v[198:199], v[146:147]
	s_waitcnt vmcnt(15) lgkmcnt(1)
	v_mul_f64 v[214:215], v[204:205], v[54:55]
	v_fmac_f64_e32 v[214:215], v[206:207], v[52:53]
	v_add_f64 v[216:217], v[212:213], v[214:215]
	s_waitcnt vmcnt(14) lgkmcnt(0)
	v_mul_f64 v[218:219], v[208:209], v[58:59]
	ds_read_b128 v[212:215], v2 offset:1488
	v_fmac_f64_e32 v[218:219], v[210:211], v[56:57]
	v_add_f64 v[220:221], v[216:217], v[218:219]
	ds_read_b128 v[216:219], v2 offset:1504
	v_mul_f64 v[154:155], v[190:191], v[154:155]
	s_waitcnt vmcnt(13) lgkmcnt(1)
	v_mul_f64 v[222:223], v[212:213], v[62:63]
	v_fmac_f64_e32 v[222:223], v[214:215], v[60:61]
	v_add_f64 v[224:225], v[220:221], v[222:223]
	s_waitcnt vmcnt(12) lgkmcnt(0)
	v_mul_f64 v[226:227], v[216:217], v[94:95]
	ds_read_b128 v[220:223], v2 offset:1520
	v_fmac_f64_e32 v[226:227], v[218:219], v[92:93]
	v_add_f64 v[228:229], v[224:225], v[226:227]
	ds_read_b128 v[224:227], v2 offset:1536
	v_fma_f64 v[252:253], v[188:189], v[152:153], -v[154:155]
	s_waitcnt vmcnt(11) lgkmcnt(1)
	v_mul_f64 v[230:231], v[220:221], v[110:111]
	v_fmac_f64_e32 v[230:231], v[222:223], v[108:109]
	v_add_f64 v[232:233], v[228:229], v[230:231]
	s_waitcnt vmcnt(10) lgkmcnt(0)
	v_mul_f64 v[234:235], v[224:225], v[122:123]
	ds_read_b128 v[228:231], v2 offset:1552
	v_fmac_f64_e32 v[234:235], v[226:227], v[120:121]
	v_add_f64 v[236:237], v[232:233], v[234:235]
	ds_read_b128 v[232:235], v2 offset:1568
	ds_read_b128 v[152:155], v2 offset:1616
	s_waitcnt vmcnt(9) lgkmcnt(2)
	v_mul_f64 v[238:239], v[228:229], v[126:127]
	v_fmac_f64_e32 v[238:239], v[230:231], v[124:125]
	v_add_f64 v[240:241], v[236:237], v[238:239]
	s_waitcnt vmcnt(8) lgkmcnt(1)
	v_mul_f64 v[242:243], v[232:233], v[130:131]
	ds_read_b128 v[236:239], v2 offset:1584
	v_fmac_f64_e32 v[242:243], v[234:235], v[128:129]
	v_add_f64 v[240:241], v[240:241], v[242:243]
	v_fma_f64 v[242:243], v[196:197], v[144:145], -v[146:147]
	ds_read_b128 v[144:147], v2 offset:1600
	s_waitcnt vmcnt(7) lgkmcnt(1)
	v_mul_f64 v[196:197], v[236:237], v[134:135]
	v_fmac_f64_e32 v[196:197], v[238:239], v[132:133]
	v_add_f64 v[188:189], v[240:241], v[196:197]
	v_mul_f64 v[158:159], v[182:183], v[158:159]
	s_waitcnt vmcnt(6) lgkmcnt(0)
	v_mul_f64 v[190:191], v[144:145], v[138:139]
	v_fmac_f64_e32 v[190:191], v[146:147], v[136:137]
	v_add_f64 v[196:197], v[188:189], v[190:191]
	ds_read_b128 v[188:191], v2 offset:1632
	v_fma_f64 v[240:241], v[180:181], v[156:157], -v[158:159]
	ds_read_b128 v[156:159], v2 offset:1648
	s_waitcnt vmcnt(5)
	v_mul_f64 v[198:199], v[152:153], v[142:143]
	v_fmac_f64_e32 v[198:199], v[154:155], v[140:141]
	s_waitcnt vmcnt(4) lgkmcnt(1)
	v_mul_f64 v[180:181], v[188:189], v[150:151]
	v_add_f64 v[196:197], v[196:197], v[198:199]
	v_fmac_f64_e32 v[180:181], v[190:191], v[148:149]
	v_mul_f64 v[162:163], v[194:195], v[162:163]
	v_add_f64 v[198:199], v[196:197], v[180:181]
	v_fma_f64 v[196:197], v[192:193], v[160:161], -v[162:163]
	ds_read_b128 v[160:163], v2 offset:1664
	s_waitcnt vmcnt(3) lgkmcnt(1)
	v_mul_f64 v[192:193], v[156:157], v[166:167]
	ds_read_b128 v[180:183], v2 offset:1680
	v_fmac_f64_e32 v[192:193], v[158:159], v[164:165]
	v_mul_f64 v[170:171], v[186:187], v[170:171]
	v_add_f64 v[192:193], v[198:199], v[192:193]
	v_fma_f64 v[198:199], v[184:185], v[168:169], -v[170:171]
	ds_read_b128 v[168:171], v2 offset:1696
	s_waitcnt vmcnt(2) lgkmcnt(2)
	v_mul_f64 v[184:185], v[160:161], v[174:175]
	v_fmac_f64_e32 v[184:185], v[162:163], v[172:173]
	s_waitcnt vmcnt(1) lgkmcnt(1)
	v_mul_f64 v[186:187], v[180:181], v[178:179]
	v_add_f64 v[184:185], v[192:193], v[184:185]
	v_fmac_f64_e32 v[186:187], v[182:183], v[176:177]
	v_add_f64 v[184:185], v[184:185], v[186:187]
	s_waitcnt vmcnt(0) lgkmcnt(0)
	v_mul_f64 v[186:187], v[168:169], v[202:203]
	v_fmac_f64_e32 v[186:187], v[170:171], v[200:201]
	v_add_f64 v[254:255], v[184:185], v[186:187]
	scratch_load_dwordx4 v[184:187], off, off offset:864
	ds_read_b128 v[192:195], v2 offset:1712
	v_add_f64 v[242:243], v[242:243], 0
	v_add_f64 v[242:243], v[242:243], v[252:253]
	;; [unrolled: 1-line block ×4, first 2 shown]
	v_mul_f64 v[6:7], v[66:67], v[6:7]
	v_add_f64 v[196:197], v[196:197], v[198:199]
	v_fma_f64 v[4:5], v[64:65], v[4:5], -v[6:7]
	v_mul_f64 v[6:7], v[78:79], v[10:11]
	v_add_f64 v[4:5], v[196:197], v[4:5]
	v_fma_f64 v[6:7], v[76:77], v[8:9], -v[6:7]
	v_add_f64 v[4:5], v[4:5], v[6:7]
	v_mul_f64 v[6:7], v[74:75], v[14:15]
	v_fma_f64 v[6:7], v[72:73], v[12:13], -v[6:7]
	v_add_f64 v[4:5], v[4:5], v[6:7]
	v_mul_f64 v[6:7], v[70:71], v[18:19]
	;; [unrolled: 3-line block ×23, first 2 shown]
	s_waitcnt vmcnt(0) lgkmcnt(0)
	v_mul_f64 v[2:3], v[192:193], v[186:187]
	v_fmac_f64_e32 v[2:3], v[194:195], v[184:185]
	v_add_f64 v[2:3], v[254:255], v[2:3]
	scratch_load_dwordx4 v[252:255], off, off offset:320
	v_fma_f64 v[6:7], v[156:157], v[164:165], -v[6:7]
	v_add_f64 v[4:5], v[4:5], v[6:7]
	v_mul_f64 v[6:7], v[162:163], v[174:175]
	v_fma_f64 v[6:7], v[160:161], v[172:173], -v[6:7]
	v_add_f64 v[4:5], v[4:5], v[6:7]
	v_mul_f64 v[6:7], v[182:183], v[178:179]
	;; [unrolled: 3-line block ×4, first 2 shown]
	v_fma_f64 v[6:7], v[192:193], v[184:185], -v[6:7]
	v_add_f64 v[4:5], v[4:5], v[6:7]
	s_waitcnt vmcnt(0)
	v_add_f64 v[4:5], v[252:253], -v[4:5]
	v_add_f64 v[6:7], v[254:255], -v[2:3]
	scratch_store_dwordx4 off, v[4:7], off offset:320
	s_and_saveexec_b64 s[0:1], vcc
	s_cbranch_execz .LBB53_301
; %bb.300:
	scratch_load_dwordx4 v[2:5], off, s49
	v_mov_b32_e32 v6, 0
	v_mov_b32_e32 v7, v6
	;; [unrolled: 1-line block ×4, first 2 shown]
	v_accvgpr_read_b32 v0, a109
	scratch_store_dwordx4 off, v[6:9], off offset:304
	s_waitcnt vmcnt(1)
	ds_write_b128 v0, v[2:5]
.LBB53_301:
	s_or_b64 exec, exec, s[0:1]
	s_waitcnt lgkmcnt(0)
	; wave barrier
	scratch_load_dwordx4 v[184:187], off, off offset:320
	scratch_load_dwordx4 v[188:191], off, off offset:336
	;; [unrolled: 1-line block ×32, first 2 shown]
	v_mov_b32_e32 v2, 0
	ds_read_b128 v[192:195], v2 offset:1168
	ds_read_b128 v[204:207], v2 offset:1184
	;; [unrolled: 1-line block ×16, first 2 shown]
	v_cmp_lt_u32_e32 vcc, 17, v248
	s_waitcnt vmcnt(31) lgkmcnt(14)
	v_mul_f64 v[104:105], v[192:193], v[186:187]
	s_waitcnt vmcnt(30)
	v_mul_f64 v[106:107], v[204:205], v[190:191]
	v_fmac_f64_e32 v[104:105], v[194:195], v[184:185]
	s_waitcnt vmcnt(29) lgkmcnt(13)
	v_mul_f64 v[112:113], v[216:217], v[198:199]
	v_fmac_f64_e32 v[106:107], v[206:207], v[188:189]
	v_add_f64 v[104:105], v[104:105], 0
	s_waitcnt vmcnt(28) lgkmcnt(12)
	v_mul_f64 v[114:115], v[224:225], v[202:203]
	v_fmac_f64_e32 v[112:113], v[218:219], v[196:197]
	v_add_f64 v[104:105], v[104:105], v[106:107]
	s_waitcnt vmcnt(27) lgkmcnt(11)
	v_mul_f64 v[128:129], v[228:229], v[210:211]
	v_fmac_f64_e32 v[114:115], v[226:227], v[200:201]
	v_add_f64 v[104:105], v[104:105], v[112:113]
	s_waitcnt vmcnt(26) lgkmcnt(10)
	v_mul_f64 v[130:131], v[238:239], v[214:215]
	v_fmac_f64_e32 v[128:129], v[230:231], v[208:209]
	v_add_f64 v[104:105], v[104:105], v[114:115]
	s_waitcnt vmcnt(25) lgkmcnt(9)
	v_mul_f64 v[152:153], v[252:253], v[222:223]
	v_fmac_f64_e32 v[130:131], v[240:241], v[212:213]
	v_add_f64 v[104:105], v[104:105], v[128:129]
	s_waitcnt vmcnt(24) lgkmcnt(8)
	v_mul_f64 v[154:155], v[148:149], v[6:7]
	v_fmac_f64_e32 v[152:153], v[254:255], v[220:221]
	v_add_f64 v[104:105], v[104:105], v[130:131]
	s_waitcnt vmcnt(23) lgkmcnt(7)
	v_mul_f64 v[156:157], v[144:145], v[10:11]
	v_fmac_f64_e32 v[154:155], v[150:151], v[4:5]
	v_add_f64 v[104:105], v[104:105], v[152:153]
	s_waitcnt vmcnt(22) lgkmcnt(6)
	v_mul_f64 v[158:159], v[140:141], v[14:15]
	v_fmac_f64_e32 v[156:157], v[146:147], v[8:9]
	v_add_f64 v[104:105], v[104:105], v[154:155]
	s_waitcnt vmcnt(21) lgkmcnt(5)
	v_mul_f64 v[160:161], v[136:137], v[18:19]
	v_fmac_f64_e32 v[158:159], v[142:143], v[12:13]
	v_add_f64 v[104:105], v[104:105], v[156:157]
	s_waitcnt vmcnt(20) lgkmcnt(4)
	v_mul_f64 v[162:163], v[132:133], v[22:23]
	v_fmac_f64_e32 v[160:161], v[138:139], v[16:17]
	v_add_f64 v[104:105], v[104:105], v[158:159]
	ds_read_b128 v[152:155], v2 offset:1424
	ds_read_b128 v[156:159], v2 offset:1440
	s_waitcnt vmcnt(19) lgkmcnt(5)
	v_mul_f64 v[164:165], v[124:125], v[26:27]
	v_fmac_f64_e32 v[162:163], v[134:135], v[20:21]
	v_add_f64 v[104:105], v[104:105], v[160:161]
	s_waitcnt vmcnt(18) lgkmcnt(4)
	v_mul_f64 v[166:167], v[120:121], v[30:31]
	v_fmac_f64_e32 v[164:165], v[126:127], v[24:25]
	v_add_f64 v[104:105], v[104:105], v[162:163]
	;; [unrolled: 4-line block ×4, first 2 shown]
	v_add_f64 v[112:113], v[104:105], v[168:169]
	v_fmac_f64_e32 v[170:171], v[110:111], v[36:37]
	scratch_load_dwordx4 v[104:107], off, off offset:832
	s_waitcnt vmcnt(16) lgkmcnt(1)
	v_mul_f64 v[114:115], v[152:153], v[42:43]
	v_add_f64 v[112:113], v[112:113], v[170:171]
	v_fmac_f64_e32 v[114:115], v[154:155], v[40:41]
	v_add_f64 v[128:129], v[112:113], v[114:115]
	scratch_load_dwordx4 v[112:115], off, off offset:848
	s_waitcnt vmcnt(16) lgkmcnt(0)
	v_mul_f64 v[130:131], v[156:157], v[46:47]
	v_fmac_f64_e32 v[130:131], v[158:159], v[44:45]
	v_add_f64 v[168:169], v[128:129], v[130:131]
	scratch_load_dwordx4 v[128:131], off, off offset:864
	ds_read_b128 v[160:163], v2 offset:1456
	ds_read_b128 v[164:167], v2 offset:1472
	v_mul_f64 v[186:187], v[194:195], v[186:187]
	v_fma_f64 v[242:243], v[192:193], v[184:185], -v[186:187]
	ds_read_b128 v[184:187], v2 offset:1552
	s_waitcnt vmcnt(16) lgkmcnt(2)
	v_mul_f64 v[170:171], v[160:161], v[50:51]
	v_fmac_f64_e32 v[170:171], v[162:163], v[48:49]
	s_waitcnt vmcnt(15) lgkmcnt(1)
	v_mul_f64 v[174:175], v[164:165], v[54:55]
	v_add_f64 v[172:173], v[168:169], v[170:171]
	ds_read_b128 v[168:171], v2 offset:1488
	v_fmac_f64_e32 v[174:175], v[166:167], v[52:53]
	v_add_f64 v[176:177], v[172:173], v[174:175]
	ds_read_b128 v[172:175], v2 offset:1504
	v_mul_f64 v[190:191], v[206:207], v[190:191]
	s_waitcnt vmcnt(14) lgkmcnt(1)
	v_mul_f64 v[178:179], v[168:169], v[58:59]
	v_fmac_f64_e32 v[178:179], v[170:171], v[56:57]
	v_add_f64 v[180:181], v[176:177], v[178:179]
	s_waitcnt vmcnt(13) lgkmcnt(0)
	v_mul_f64 v[182:183], v[172:173], v[62:63]
	ds_read_b128 v[176:179], v2 offset:1520
	v_fmac_f64_e32 v[182:183], v[174:175], v[60:61]
	v_add_f64 v[232:233], v[180:181], v[182:183]
	ds_read_b128 v[180:183], v2 offset:1536
	v_fma_f64 v[244:245], v[204:205], v[188:189], -v[190:191]
	s_waitcnt vmcnt(12) lgkmcnt(1)
	v_mul_f64 v[234:235], v[176:177], v[66:67]
	v_fmac_f64_e32 v[234:235], v[178:179], v[64:65]
	v_add_f64 v[232:233], v[232:233], v[234:235]
	s_waitcnt vmcnt(11) lgkmcnt(0)
	v_mul_f64 v[192:193], v[180:181], v[70:71]
	v_fmac_f64_e32 v[192:193], v[182:183], v[68:69]
	ds_read_b128 v[188:191], v2 offset:1568
	s_waitcnt vmcnt(10)
	v_mul_f64 v[194:195], v[184:185], v[74:75]
	v_add_f64 v[192:193], v[232:233], v[192:193]
	v_fmac_f64_e32 v[194:195], v[186:187], v[72:73]
	v_add_f64 v[204:205], v[192:193], v[194:195]
	ds_read_b128 v[192:195], v2 offset:1584
	v_mul_f64 v[198:199], v[218:219], v[198:199]
	v_fma_f64 v[246:247], v[216:217], v[196:197], -v[198:199]
	ds_read_b128 v[196:199], v2 offset:1600
	s_waitcnt vmcnt(9) lgkmcnt(2)
	v_mul_f64 v[206:207], v[188:189], v[78:79]
	v_fmac_f64_e32 v[206:207], v[190:191], v[76:77]
	v_add_f64 v[204:205], v[204:205], v[206:207]
	s_waitcnt vmcnt(8) lgkmcnt(1)
	v_mul_f64 v[206:207], v[192:193], v[82:83]
	v_fmac_f64_e32 v[206:207], v[194:195], v[80:81]
	v_mul_f64 v[202:203], v[226:227], v[202:203]
	v_add_f64 v[204:205], v[204:205], v[206:207]
	v_fma_f64 v[234:235], v[224:225], v[200:201], -v[202:203]
	ds_read_b128 v[200:203], v2 offset:1616
	s_waitcnt vmcnt(7) lgkmcnt(1)
	v_mul_f64 v[206:207], v[196:197], v[86:87]
	v_fmac_f64_e32 v[206:207], v[198:199], v[84:85]
	v_add_f64 v[216:217], v[204:205], v[206:207]
	ds_read_b128 v[204:207], v2 offset:1632
	v_mul_f64 v[210:211], v[230:231], v[210:211]
	v_fma_f64 v[236:237], v[228:229], v[208:209], -v[210:211]
	ds_read_b128 v[208:211], v2 offset:1648
	s_waitcnt vmcnt(6) lgkmcnt(2)
	v_mul_f64 v[218:219], v[200:201], v[90:91]
	v_fmac_f64_e32 v[218:219], v[202:203], v[88:89]
	v_add_f64 v[216:217], v[216:217], v[218:219]
	s_waitcnt vmcnt(5) lgkmcnt(1)
	v_mul_f64 v[218:219], v[204:205], v[94:95]
	v_fmac_f64_e32 v[218:219], v[206:207], v[92:93]
	v_mul_f64 v[214:215], v[240:241], v[214:215]
	v_fma_f64 v[238:239], v[238:239], v[212:213], -v[214:215]
	ds_read_b128 v[212:215], v2 offset:1664
	v_add_f64 v[216:217], v[216:217], v[218:219]
	s_waitcnt vmcnt(4) lgkmcnt(1)
	v_mul_f64 v[218:219], v[208:209], v[102:103]
	v_fmac_f64_e32 v[218:219], v[210:211], v[100:101]
	v_add_f64 v[224:225], v[216:217], v[218:219]
	ds_read_b128 v[216:219], v2 offset:1680
	v_mul_f64 v[222:223], v[254:255], v[222:223]
	v_fma_f64 v[240:241], v[252:253], v[220:221], -v[222:223]
	ds_read_b128 v[220:223], v2 offset:1696
	s_waitcnt vmcnt(3) lgkmcnt(2)
	v_mul_f64 v[226:227], v[212:213], v[98:99]
	v_fmac_f64_e32 v[226:227], v[214:215], v[96:97]
	v_add_f64 v[224:225], v[224:225], v[226:227]
	s_waitcnt vmcnt(2) lgkmcnt(1)
	v_mul_f64 v[226:227], v[216:217], v[106:107]
	v_fmac_f64_e32 v[226:227], v[218:219], v[104:105]
	v_add_f64 v[224:225], v[224:225], v[226:227]
	;; [unrolled: 4-line block ×3, first 2 shown]
	ds_read_b128 v[224:227], v2 offset:1712
	v_mul_f64 v[6:7], v[150:151], v[6:7]
	v_fma_f64 v[4:5], v[148:149], v[4:5], -v[6:7]
	v_mul_f64 v[6:7], v[146:147], v[10:11]
	v_fma_f64 v[6:7], v[144:145], v[8:9], -v[6:7]
	s_waitcnt vmcnt(0) lgkmcnt(0)
	v_mul_f64 v[230:231], v[224:225], v[130:131]
	v_fmac_f64_e32 v[230:231], v[226:227], v[128:129]
	v_add_f64 v[232:233], v[228:229], v[230:231]
	v_add_f64 v[228:229], v[242:243], 0
	;; [unrolled: 1-line block ×4, first 2 shown]
	scratch_load_dwordx4 v[228:231], off, off offset:304
	v_add_f64 v[234:235], v[252:253], v[234:235]
	v_add_f64 v[234:235], v[234:235], v[236:237]
	v_add_f64 v[234:235], v[234:235], v[238:239]
	v_add_f64 v[234:235], v[234:235], v[240:241]
	v_add_f64 v[4:5], v[234:235], v[4:5]
	v_add_f64 v[4:5], v[4:5], v[6:7]
	v_mul_f64 v[6:7], v[142:143], v[14:15]
	v_fma_f64 v[6:7], v[140:141], v[12:13], -v[6:7]
	v_add_f64 v[4:5], v[4:5], v[6:7]
	v_mul_f64 v[6:7], v[138:139], v[18:19]
	v_fma_f64 v[6:7], v[136:137], v[16:17], -v[6:7]
	v_add_f64 v[4:5], v[4:5], v[6:7]
	;; [unrolled: 3-line block ×26, first 2 shown]
	s_waitcnt vmcnt(0)
	v_add_f64 v[4:5], v[228:229], -v[4:5]
	v_add_f64 v[6:7], v[230:231], -v[232:233]
	scratch_store_dwordx4 off, v[4:7], off offset:304
	s_and_saveexec_b64 s[0:1], vcc
	s_cbranch_execz .LBB53_303
; %bb.302:
	scratch_load_dwordx4 v[6:9], off, s48
	v_mov_b32_e32 v3, v2
	v_mov_b32_e32 v4, v2
	;; [unrolled: 1-line block ×3, first 2 shown]
	v_accvgpr_read_b32 v0, a109
	scratch_store_dwordx4 off, v[2:5], off offset:288
	s_waitcnt vmcnt(1)
	ds_write_b128 v0, v[6:9]
.LBB53_303:
	s_or_b64 exec, exec, s[0:1]
	s_waitcnt lgkmcnt(0)
	; wave barrier
	scratch_load_dwordx4 v[140:143], off, off offset:304
	scratch_load_dwordx4 v[144:147], off, off offset:320
	scratch_load_dwordx4 v[148:151], off, off offset:336
	scratch_load_dwordx4 v[152:155], off, off offset:352
	scratch_load_dwordx4 v[156:159], off, off offset:368
	scratch_load_dwordx4 v[160:163], off, off offset:384
	scratch_load_dwordx4 v[164:167], off, off offset:400
	scratch_load_dwordx4 v[4:7], off, off offset:416
	scratch_load_dwordx4 v[8:11], off, off offset:432
	scratch_load_dwordx4 v[12:15], off, off offset:448
	scratch_load_dwordx4 v[16:19], off, off offset:464
	scratch_load_dwordx4 v[20:23], off, off offset:480
	scratch_load_dwordx4 v[24:27], off, off offset:496
	scratch_load_dwordx4 v[28:31], off, off offset:512
	scratch_load_dwordx4 v[32:35], off, off offset:528
	scratch_load_dwordx4 v[36:39], off, off offset:544
	ds_read_b128 v[208:211], v2 offset:1152
	ds_read_b128 v[200:203], v2 offset:1168
	;; [unrolled: 1-line block ×3, first 2 shown]
	scratch_load_dwordx4 v[40:43], off, off offset:560
	ds_read_b128 v[204:207], v2 offset:1200
	ds_read_b128 v[192:195], v2 offset:1216
	;; [unrolled: 1-line block ×3, first 2 shown]
	scratch_load_dwordx4 v[44:47], off, off offset:576
	ds_read_b128 v[196:199], v2 offset:1248
	ds_read_b128 v[64:67], v2 offset:1264
	;; [unrolled: 1-line block ×4, first 2 shown]
	scratch_load_dwordx4 v[48:51], off, off offset:592
	ds_read_b128 v[72:75], v2 offset:1312
	ds_read_b128 v[68:71], v2 offset:1328
	scratch_load_dwordx4 v[56:59], off, off offset:608
	ds_read_b128 v[92:95], v2 offset:1344
	ds_read_b128 v[88:91], v2 offset:1360
	;; [unrolled: 1-line block ×4, first 2 shown]
	scratch_load_dwordx4 v[76:79], off, off offset:624
	scratch_load_dwordx4 v[96:99], off, off offset:640
	;; [unrolled: 1-line block ×12, first 2 shown]
	ds_read_b128 v[168:171], v2 offset:1408
	v_accvgpr_write_b32 a108, v248
	v_cmp_lt_u32_e32 vcc, 16, v248
	s_waitcnt vmcnt(31) lgkmcnt(14)
	v_mul_f64 v[172:173], v[208:209], v[142:143]
	s_waitcnt vmcnt(30)
	v_mul_f64 v[174:175], v[200:201], v[146:147]
	v_fmac_f64_e32 v[172:173], v[210:211], v[140:141]
	s_waitcnt vmcnt(29)
	v_mul_f64 v[176:177], v[188:189], v[150:151]
	v_fmac_f64_e32 v[174:175], v[202:203], v[144:145]
	v_add_f64 v[172:173], v[172:173], 0
	s_waitcnt vmcnt(28) lgkmcnt(13)
	v_mul_f64 v[178:179], v[204:205], v[154:155]
	v_fmac_f64_e32 v[176:177], v[190:191], v[148:149]
	v_add_f64 v[172:173], v[172:173], v[174:175]
	s_waitcnt vmcnt(27) lgkmcnt(12)
	;; [unrolled: 4-line block ×10, first 2 shown]
	v_mul_f64 v[224:225], v[92:93], v[26:27]
	v_fmac_f64_e32 v[222:223], v[70:71], v[20:21]
	v_add_f64 v[172:173], v[172:173], v[220:221]
	ds_read_b128 v[212:215], v2 offset:1424
	s_waitcnt vmcnt(18) lgkmcnt(4)
	v_mul_f64 v[226:227], v[88:89], v[30:31]
	v_fmac_f64_e32 v[224:225], v[94:95], v[24:25]
	v_add_f64 v[172:173], v[172:173], v[222:223]
	ds_read_b128 v[216:219], v2 offset:1440
	ds_read_b128 v[220:223], v2 offset:1456
	s_waitcnt vmcnt(17) lgkmcnt(5)
	v_mul_f64 v[228:229], v[84:85], v[34:35]
	v_fmac_f64_e32 v[226:227], v[90:91], v[28:29]
	v_add_f64 v[172:173], v[172:173], v[224:225]
	s_waitcnt vmcnt(16) lgkmcnt(4)
	v_mul_f64 v[230:231], v[80:81], v[38:39]
	v_fmac_f64_e32 v[228:229], v[86:87], v[32:33]
	v_add_f64 v[172:173], v[172:173], v[226:227]
	v_add_f64 v[176:177], v[172:173], v[228:229]
	v_fmac_f64_e32 v[230:231], v[82:83], v[36:37]
	s_waitcnt vmcnt(15) lgkmcnt(3)
	v_mul_f64 v[178:179], v[168:169], v[42:43]
	v_add_f64 v[176:177], v[176:177], v[230:231]
	v_fmac_f64_e32 v[178:179], v[170:171], v[40:41]
	s_waitcnt vmcnt(14) lgkmcnt(2)
	v_mul_f64 v[182:183], v[212:213], v[46:47]
	;; [unrolled: 4-line block ×3, first 2 shown]
	v_add_f64 v[224:225], v[180:181], v[182:183]
	v_fmac_f64_e32 v[226:227], v[218:219], v[48:49]
	v_add_f64 v[228:229], v[224:225], v[226:227]
	ds_read_b128 v[224:227], v2 offset:1472
	s_waitcnt vmcnt(12) lgkmcnt(1)
	v_mul_f64 v[230:231], v[220:221], v[58:59]
	v_fmac_f64_e32 v[230:231], v[222:223], v[56:57]
	v_add_f64 v[232:233], v[228:229], v[230:231]
	ds_read_b128 v[228:231], v2 offset:1488
	s_waitcnt vmcnt(11) lgkmcnt(1)
	v_mul_f64 v[234:235], v[224:225], v[78:79]
	;; [unrolled: 5-line block ×4, first 2 shown]
	v_fmac_f64_e32 v[242:243], v[234:235], v[100:101]
	v_mul_f64 v[142:143], v[210:211], v[142:143]
	v_add_f64 v[240:241], v[240:241], v[242:243]
	v_fma_f64 v[242:243], v[208:209], v[140:141], -v[142:143]
	ds_read_b128 v[140:143], v2 offset:1536
	s_waitcnt vmcnt(8) lgkmcnt(1)
	v_mul_f64 v[208:209], v[236:237], v[106:107]
	v_fmac_f64_e32 v[208:209], v[238:239], v[104:105]
	v_mul_f64 v[146:147], v[202:203], v[146:147]
	v_add_f64 v[208:209], v[240:241], v[208:209]
	v_fma_f64 v[240:241], v[200:201], v[144:145], -v[146:147]
	ds_read_b128 v[144:147], v2 offset:1552
	s_waitcnt vmcnt(7) lgkmcnt(1)
	v_mul_f64 v[200:201], v[140:141], v[110:111]
	scratch_load_dwordx4 v[172:175], off, off offset:816
	scratch_load_dwordx4 v[176:179], off, off offset:832
	v_fmac_f64_e32 v[200:201], v[142:143], v[108:109]
	v_add_f64 v[208:209], v[208:209], v[200:201]
	ds_read_b128 v[200:203], v2 offset:1568
	v_mul_f64 v[150:151], v[190:191], v[150:151]
	v_fma_f64 v[244:245], v[188:189], v[148:149], -v[150:151]
	ds_read_b128 v[148:151], v2 offset:1584
	s_waitcnt vmcnt(8) lgkmcnt(2)
	v_mul_f64 v[210:211], v[144:145], v[114:115]
	v_fmac_f64_e32 v[210:211], v[146:147], v[112:113]
	s_waitcnt vmcnt(7) lgkmcnt(1)
	v_mul_f64 v[188:189], v[200:201], v[118:119]
	v_add_f64 v[208:209], v[208:209], v[210:211]
	v_fmac_f64_e32 v[188:189], v[202:203], v[116:117]
	v_mul_f64 v[154:155], v[206:207], v[154:155]
	s_waitcnt vmcnt(6) lgkmcnt(0)
	v_mul_f64 v[190:191], v[148:149], v[122:123]
	v_add_f64 v[188:189], v[208:209], v[188:189]
	v_fma_f64 v[246:247], v[204:205], v[152:153], -v[154:155]
	ds_read_b128 v[152:155], v2 offset:1600
	v_fmac_f64_e32 v[190:191], v[150:151], v[120:121]
	scratch_load_dwordx4 v[180:183], off, off offset:848
	v_add_f64 v[204:205], v[188:189], v[190:191]
	ds_read_b128 v[188:191], v2 offset:1616
	s_waitcnt vmcnt(6) lgkmcnt(1)
	v_mul_f64 v[206:207], v[152:153], v[126:127]
	v_mul_f64 v[158:159], v[194:195], v[158:159]
	v_fmac_f64_e32 v[206:207], v[154:155], v[124:125]
	v_fma_f64 v[252:253], v[192:193], v[156:157], -v[158:159]
	s_waitcnt vmcnt(5) lgkmcnt(0)
	v_mul_f64 v[192:193], v[188:189], v[130:131]
	v_add_f64 v[204:205], v[204:205], v[206:207]
	v_fmac_f64_e32 v[192:193], v[190:191], v[128:129]
	v_mul_f64 v[162:163], v[186:187], v[162:163]
	v_fma_f64 v[208:209], v[184:185], v[160:161], -v[162:163]
	v_add_f64 v[184:185], v[204:205], v[192:193]
	scratch_load_dwordx4 v[204:207], off, off offset:864
	ds_read_b128 v[156:159], v2 offset:1632
	ds_read_b128 v[160:163], v2 offset:1648
	v_mul_f64 v[166:167], v[198:199], v[166:167]
	v_fma_f64 v[210:211], v[196:197], v[164:165], -v[166:167]
	ds_read_b128 v[164:167], v2 offset:1680
	s_waitcnt vmcnt(5) lgkmcnt(2)
	v_mul_f64 v[186:187], v[156:157], v[138:139]
	v_fmac_f64_e32 v[186:187], v[158:159], v[136:137]
	v_add_f64 v[192:193], v[184:185], v[186:187]
	ds_read_b128 v[184:187], v2 offset:1664
	s_waitcnt vmcnt(4) lgkmcnt(2)
	v_mul_f64 v[194:195], v[160:161], v[134:135]
	v_fmac_f64_e32 v[194:195], v[162:163], v[132:133]
	v_add_f64 v[192:193], v[192:193], v[194:195]
	v_add_f64 v[242:243], v[242:243], 0
	;; [unrolled: 1-line block ×7, first 2 shown]
	v_mul_f64 v[6:7], v[66:67], v[6:7]
	v_add_f64 v[208:209], v[208:209], v[210:211]
	v_fma_f64 v[4:5], v[64:65], v[4:5], -v[6:7]
	v_mul_f64 v[6:7], v[62:63], v[10:11]
	v_add_f64 v[4:5], v[208:209], v[4:5]
	v_fma_f64 v[6:7], v[60:61], v[8:9], -v[6:7]
	v_add_f64 v[4:5], v[4:5], v[6:7]
	v_mul_f64 v[6:7], v[54:55], v[14:15]
	v_fma_f64 v[6:7], v[52:53], v[12:13], -v[6:7]
	v_add_f64 v[4:5], v[4:5], v[6:7]
	v_mul_f64 v[6:7], v[74:75], v[18:19]
	;; [unrolled: 3-line block ×8, first 2 shown]
	s_waitcnt vmcnt(3) lgkmcnt(0)
	v_mul_f64 v[194:195], v[184:185], v[174:175]
	v_fmac_f64_e32 v[194:195], v[186:187], v[172:173]
	v_add_f64 v[192:193], v[192:193], v[194:195]
	s_waitcnt vmcnt(2)
	v_mul_f64 v[194:195], v[164:165], v[178:179]
	v_fmac_f64_e32 v[194:195], v[166:167], v[176:177]
	v_add_f64 v[196:197], v[192:193], v[194:195]
	ds_read_b128 v[192:195], v2 offset:1696
	v_fma_f64 v[6:7], v[168:169], v[40:41], -v[6:7]
	v_add_f64 v[4:5], v[4:5], v[6:7]
	v_mul_f64 v[6:7], v[214:215], v[46:47]
	v_fma_f64 v[6:7], v[212:213], v[44:45], -v[6:7]
	v_add_f64 v[4:5], v[4:5], v[6:7]
	v_mul_f64 v[6:7], v[218:219], v[50:51]
	;; [unrolled: 3-line block ×4, first 2 shown]
	s_waitcnt vmcnt(1) lgkmcnt(0)
	v_mul_f64 v[198:199], v[192:193], v[182:183]
	v_fmac_f64_e32 v[198:199], v[194:195], v[180:181]
	v_add_f64 v[254:255], v[196:197], v[198:199]
	ds_read_b128 v[196:199], v2 offset:1712
	v_fma_f64 v[6:7], v[224:225], v[76:77], -v[6:7]
	v_add_f64 v[4:5], v[4:5], v[6:7]
	v_mul_f64 v[6:7], v[230:231], v[98:99]
	v_fma_f64 v[6:7], v[228:229], v[96:97], -v[6:7]
	v_add_f64 v[4:5], v[4:5], v[6:7]
	v_mul_f64 v[6:7], v[234:235], v[102:103]
	;; [unrolled: 3-line block ×3, first 2 shown]
	s_waitcnt vmcnt(0) lgkmcnt(0)
	v_mul_f64 v[2:3], v[196:197], v[206:207]
	v_fmac_f64_e32 v[2:3], v[198:199], v[204:205]
	v_add_f64 v[2:3], v[254:255], v[2:3]
	scratch_load_dwordx4 v[252:255], off, off offset:288
	v_fma_f64 v[6:7], v[236:237], v[104:105], -v[6:7]
	v_add_f64 v[4:5], v[4:5], v[6:7]
	v_mul_f64 v[6:7], v[142:143], v[110:111]
	v_fma_f64 v[6:7], v[140:141], v[108:109], -v[6:7]
	v_add_f64 v[4:5], v[4:5], v[6:7]
	v_mul_f64 v[6:7], v[146:147], v[114:115]
	;; [unrolled: 3-line block ×12, first 2 shown]
	v_fma_f64 v[6:7], v[196:197], v[204:205], -v[6:7]
	v_add_f64 v[4:5], v[4:5], v[6:7]
	s_waitcnt vmcnt(0)
	v_add_f64 v[4:5], v[252:253], -v[4:5]
	v_add_f64 v[6:7], v[254:255], -v[2:3]
	scratch_store_dwordx4 off, v[4:7], off offset:288
	s_and_saveexec_b64 s[0:1], vcc
	s_cbranch_execz .LBB53_305
; %bb.304:
	scratch_load_dwordx4 v[2:5], off, s47
	v_mov_b32_e32 v6, 0
	v_mov_b32_e32 v7, v6
	;; [unrolled: 1-line block ×4, first 2 shown]
	v_accvgpr_read_b32 v0, a109
	scratch_store_dwordx4 off, v[6:9], off offset:272
	s_waitcnt vmcnt(1)
	ds_write_b128 v0, v[2:5]
.LBB53_305:
	s_or_b64 exec, exec, s[0:1]
	s_waitcnt lgkmcnt(0)
	; wave barrier
	scratch_load_dwordx4 v[168:171], off, off offset:288
	scratch_load_dwordx4 v[172:175], off, off offset:304
	;; [unrolled: 1-line block ×32, first 2 shown]
	v_mov_b32_e32 v2, 0
	ds_read_b128 v[176:179], v2 offset:1136
	ds_read_b128 v[188:191], v2 offset:1152
	;; [unrolled: 1-line block ×17, first 2 shown]
	v_accvgpr_read_b32 v0, a108
	v_cmp_lt_u32_e32 vcc, 15, v0
	s_waitcnt vmcnt(31) lgkmcnt(14)
	v_mul_f64 v[104:105], v[176:177], v[170:171]
	s_waitcnt vmcnt(30)
	v_mul_f64 v[106:107], v[188:189], v[174:175]
	v_fmac_f64_e32 v[104:105], v[178:179], v[168:169]
	s_waitcnt vmcnt(29)
	v_mul_f64 v[108:109], v[200:201], v[182:183]
	v_fmac_f64_e32 v[106:107], v[190:191], v[172:173]
	v_add_f64 v[104:105], v[104:105], 0
	s_waitcnt vmcnt(28) lgkmcnt(13)
	v_mul_f64 v[110:111], v[212:213], v[186:187]
	v_fmac_f64_e32 v[108:109], v[202:203], v[180:181]
	v_add_f64 v[104:105], v[104:105], v[106:107]
	s_waitcnt vmcnt(27) lgkmcnt(12)
	v_mul_f64 v[120:121], v[220:221], v[194:195]
	v_fmac_f64_e32 v[110:111], v[214:215], v[184:185]
	v_add_f64 v[104:105], v[104:105], v[108:109]
	s_waitcnt vmcnt(26) lgkmcnt(11)
	v_mul_f64 v[122:123], v[224:225], v[198:199]
	v_fmac_f64_e32 v[120:121], v[222:223], v[192:193]
	v_add_f64 v[104:105], v[104:105], v[110:111]
	s_waitcnt vmcnt(25) lgkmcnt(10)
	v_mul_f64 v[132:133], v[228:229], v[206:207]
	v_fmac_f64_e32 v[122:123], v[226:227], v[196:197]
	v_add_f64 v[104:105], v[104:105], v[120:121]
	s_waitcnt vmcnt(24) lgkmcnt(9)
	v_mul_f64 v[134:135], v[238:239], v[210:211]
	v_fmac_f64_e32 v[132:133], v[230:231], v[204:205]
	v_add_f64 v[104:105], v[104:105], v[122:123]
	s_waitcnt vmcnt(23) lgkmcnt(8)
	v_mul_f64 v[144:145], v[252:253], v[218:219]
	v_fmac_f64_e32 v[134:135], v[240:241], v[208:209]
	v_add_f64 v[104:105], v[104:105], v[132:133]
	s_waitcnt vmcnt(22) lgkmcnt(7)
	v_mul_f64 v[146:147], v[140:141], v[6:7]
	v_fmac_f64_e32 v[144:145], v[254:255], v[216:217]
	v_add_f64 v[104:105], v[104:105], v[134:135]
	s_waitcnt vmcnt(21) lgkmcnt(6)
	v_mul_f64 v[148:149], v[136:137], v[10:11]
	v_fmac_f64_e32 v[146:147], v[142:143], v[4:5]
	v_add_f64 v[104:105], v[104:105], v[144:145]
	s_waitcnt vmcnt(20) lgkmcnt(5)
	v_mul_f64 v[150:151], v[128:129], v[14:15]
	v_fmac_f64_e32 v[148:149], v[138:139], v[8:9]
	v_add_f64 v[104:105], v[104:105], v[146:147]
	s_waitcnt vmcnt(19) lgkmcnt(4)
	v_mul_f64 v[152:153], v[124:125], v[18:19]
	v_fmac_f64_e32 v[150:151], v[130:131], v[12:13]
	v_add_f64 v[104:105], v[104:105], v[148:149]
	s_waitcnt vmcnt(18) lgkmcnt(3)
	v_mul_f64 v[154:155], v[116:117], v[22:23]
	v_fmac_f64_e32 v[152:153], v[126:127], v[16:17]
	v_add_f64 v[104:105], v[104:105], v[150:151]
	s_waitcnt vmcnt(17) lgkmcnt(2)
	v_mul_f64 v[156:157], v[112:113], v[26:27]
	v_fmac_f64_e32 v[154:155], v[118:119], v[20:21]
	v_add_f64 v[104:105], v[104:105], v[152:153]
	v_fmac_f64_e32 v[156:157], v[114:115], v[24:25]
	v_add_f64 v[104:105], v[104:105], v[154:155]
	s_waitcnt vmcnt(16) lgkmcnt(1)
	v_mul_f64 v[106:107], v[100:101], v[30:31]
	v_add_f64 v[104:105], v[104:105], v[156:157]
	v_fmac_f64_e32 v[106:107], v[102:103], v[28:29]
	v_add_f64 v[108:109], v[104:105], v[106:107]
	ds_read_b128 v[144:147], v2 offset:1408
	ds_read_b128 v[148:151], v2 offset:1424
	scratch_load_dwordx4 v[104:107], off, off offset:800
	s_waitcnt vmcnt(16) lgkmcnt(2)
	v_mul_f64 v[110:111], v[96:97], v[34:35]
	v_fmac_f64_e32 v[110:111], v[98:99], v[32:33]
	v_add_f64 v[120:121], v[108:109], v[110:111]
	scratch_load_dwordx4 v[108:111], off, off offset:816
	s_waitcnt vmcnt(16) lgkmcnt(1)
	v_mul_f64 v[122:123], v[144:145], v[38:39]
	v_fmac_f64_e32 v[122:123], v[146:147], v[36:37]
	v_add_f64 v[132:133], v[120:121], v[122:123]
	s_waitcnt vmcnt(15) lgkmcnt(0)
	v_mul_f64 v[134:135], v[148:149], v[42:43]
	scratch_load_dwordx4 v[120:123], off, off offset:832
	v_fmac_f64_e32 v[134:135], v[150:151], v[40:41]
	v_add_f64 v[160:161], v[132:133], v[134:135]
	scratch_load_dwordx4 v[132:135], off, off offset:848
	ds_read_b128 v[152:155], v2 offset:1440
	ds_read_b128 v[156:159], v2 offset:1456
	v_mul_f64 v[170:171], v[178:179], v[170:171]
	v_fma_f64 v[242:243], v[176:177], v[168:169], -v[170:171]
	ds_read_b128 v[168:171], v2 offset:1504
	s_waitcnt vmcnt(16) lgkmcnt(2)
	v_mul_f64 v[162:163], v[152:153], v[46:47]
	v_fmac_f64_e32 v[162:163], v[154:155], v[44:45]
	s_waitcnt vmcnt(15) lgkmcnt(1)
	v_mul_f64 v[166:167], v[156:157], v[50:51]
	v_add_f64 v[164:165], v[160:161], v[162:163]
	ds_read_b128 v[160:163], v2 offset:1472
	v_fmac_f64_e32 v[166:167], v[158:159], v[48:49]
	v_add_f64 v[232:233], v[164:165], v[166:167]
	ds_read_b128 v[164:167], v2 offset:1488
	v_mul_f64 v[174:175], v[190:191], v[174:175]
	s_waitcnt vmcnt(14) lgkmcnt(1)
	v_mul_f64 v[234:235], v[160:161], v[54:55]
	v_fmac_f64_e32 v[234:235], v[162:163], v[52:53]
	v_add_f64 v[232:233], v[232:233], v[234:235]
	s_waitcnt vmcnt(13) lgkmcnt(0)
	v_mul_f64 v[176:177], v[164:165], v[58:59]
	v_fmac_f64_e32 v[176:177], v[166:167], v[56:57]
	v_fma_f64 v[244:245], v[188:189], v[172:173], -v[174:175]
	ds_read_b128 v[172:175], v2 offset:1520
	s_waitcnt vmcnt(12)
	v_mul_f64 v[178:179], v[168:169], v[62:63]
	v_add_f64 v[176:177], v[232:233], v[176:177]
	v_fmac_f64_e32 v[178:179], v[170:171], v[60:61]
	v_add_f64 v[188:189], v[176:177], v[178:179]
	ds_read_b128 v[176:179], v2 offset:1536
	v_mul_f64 v[182:183], v[202:203], v[182:183]
	v_fma_f64 v[246:247], v[200:201], v[180:181], -v[182:183]
	ds_read_b128 v[180:183], v2 offset:1552
	s_waitcnt vmcnt(11) lgkmcnt(2)
	v_mul_f64 v[190:191], v[172:173], v[66:67]
	v_fmac_f64_e32 v[190:191], v[174:175], v[64:65]
	v_add_f64 v[188:189], v[188:189], v[190:191]
	s_waitcnt vmcnt(10) lgkmcnt(1)
	v_mul_f64 v[190:191], v[176:177], v[70:71]
	v_fmac_f64_e32 v[190:191], v[178:179], v[68:69]
	v_mul_f64 v[186:187], v[214:215], v[186:187]
	v_fma_f64 v[248:249], v[212:213], v[184:185], -v[186:187]
	ds_read_b128 v[184:187], v2 offset:1568
	v_add_f64 v[188:189], v[188:189], v[190:191]
	s_waitcnt vmcnt(9) lgkmcnt(1)
	v_mul_f64 v[190:191], v[180:181], v[74:75]
	v_fmac_f64_e32 v[190:191], v[182:183], v[72:73]
	v_add_f64 v[200:201], v[188:189], v[190:191]
	ds_read_b128 v[188:191], v2 offset:1584
	v_mul_f64 v[194:195], v[222:223], v[194:195]
	v_fma_f64 v[250:251], v[220:221], v[192:193], -v[194:195]
	ds_read_b128 v[192:195], v2 offset:1600
	s_waitcnt vmcnt(8) lgkmcnt(2)
	v_mul_f64 v[202:203], v[184:185], v[78:79]
	v_fmac_f64_e32 v[202:203], v[186:187], v[76:77]
	v_add_f64 v[200:201], v[200:201], v[202:203]
	s_waitcnt vmcnt(7) lgkmcnt(1)
	v_mul_f64 v[202:203], v[188:189], v[82:83]
	v_fmac_f64_e32 v[202:203], v[190:191], v[80:81]
	v_mul_f64 v[198:199], v[226:227], v[198:199]
	v_add_f64 v[200:201], v[200:201], v[202:203]
	v_fma_f64 v[234:235], v[224:225], v[196:197], -v[198:199]
	ds_read_b128 v[196:199], v2 offset:1616
	s_waitcnt vmcnt(6) lgkmcnt(1)
	v_mul_f64 v[202:203], v[192:193], v[86:87]
	v_fmac_f64_e32 v[202:203], v[194:195], v[84:85]
	v_add_f64 v[212:213], v[200:201], v[202:203]
	ds_read_b128 v[200:203], v2 offset:1632
	v_mul_f64 v[206:207], v[230:231], v[206:207]
	v_fma_f64 v[236:237], v[228:229], v[204:205], -v[206:207]
	ds_read_b128 v[204:207], v2 offset:1648
	s_waitcnt vmcnt(5) lgkmcnt(2)
	v_mul_f64 v[214:215], v[196:197], v[94:95]
	v_fmac_f64_e32 v[214:215], v[198:199], v[92:93]
	v_add_f64 v[212:213], v[212:213], v[214:215]
	s_waitcnt vmcnt(4) lgkmcnt(1)
	v_mul_f64 v[214:215], v[200:201], v[90:91]
	v_fmac_f64_e32 v[214:215], v[202:203], v[88:89]
	v_mul_f64 v[210:211], v[240:241], v[210:211]
	v_fma_f64 v[238:239], v[238:239], v[208:209], -v[210:211]
	ds_read_b128 v[208:211], v2 offset:1664
	v_add_f64 v[212:213], v[212:213], v[214:215]
	s_waitcnt vmcnt(3) lgkmcnt(1)
	v_mul_f64 v[214:215], v[204:205], v[106:107]
	v_fmac_f64_e32 v[214:215], v[206:207], v[104:105]
	v_add_f64 v[220:221], v[212:213], v[214:215]
	ds_read_b128 v[212:215], v2 offset:1680
	v_mul_f64 v[218:219], v[254:255], v[218:219]
	v_fma_f64 v[240:241], v[252:253], v[216:217], -v[218:219]
	ds_read_b128 v[216:219], v2 offset:1696
	ds_read_b128 v[224:227], v2 offset:1712
	s_waitcnt vmcnt(2) lgkmcnt(3)
	v_mul_f64 v[222:223], v[208:209], v[110:111]
	v_fmac_f64_e32 v[222:223], v[210:211], v[108:109]
	v_add_f64 v[220:221], v[220:221], v[222:223]
	s_waitcnt vmcnt(1) lgkmcnt(2)
	v_mul_f64 v[222:223], v[212:213], v[122:123]
	v_fmac_f64_e32 v[222:223], v[214:215], v[120:121]
	v_add_f64 v[220:221], v[220:221], v[222:223]
	;; [unrolled: 4-line block ×3, first 2 shown]
	scratch_load_dwordx4 v[220:223], off, off offset:864
	v_mul_f64 v[6:7], v[142:143], v[6:7]
	v_fma_f64 v[4:5], v[140:141], v[4:5], -v[6:7]
	v_mul_f64 v[6:7], v[138:139], v[10:11]
	v_fma_f64 v[6:7], v[136:137], v[8:9], -v[6:7]
	s_waitcnt vmcnt(0) lgkmcnt(0)
	v_mul_f64 v[230:231], v[224:225], v[222:223]
	v_fmac_f64_e32 v[230:231], v[226:227], v[220:221]
	v_add_f64 v[232:233], v[228:229], v[230:231]
	v_add_f64 v[228:229], v[242:243], 0
	;; [unrolled: 1-line block ×6, first 2 shown]
	scratch_load_dwordx4 v[228:231], off, off offset:272
	v_add_f64 v[234:235], v[252:253], v[234:235]
	v_add_f64 v[234:235], v[234:235], v[236:237]
	v_add_f64 v[234:235], v[234:235], v[238:239]
	v_add_f64 v[234:235], v[234:235], v[240:241]
	v_add_f64 v[4:5], v[234:235], v[4:5]
	v_add_f64 v[4:5], v[4:5], v[6:7]
	v_mul_f64 v[6:7], v[130:131], v[14:15]
	v_fma_f64 v[6:7], v[128:129], v[12:13], -v[6:7]
	v_add_f64 v[4:5], v[4:5], v[6:7]
	v_mul_f64 v[6:7], v[126:127], v[18:19]
	v_fma_f64 v[6:7], v[124:125], v[16:17], -v[6:7]
	v_add_f64 v[4:5], v[4:5], v[6:7]
	;; [unrolled: 3-line block ×26, first 2 shown]
	s_waitcnt vmcnt(0)
	v_add_f64 v[4:5], v[228:229], -v[4:5]
	v_add_f64 v[6:7], v[230:231], -v[232:233]
	scratch_store_dwordx4 off, v[4:7], off offset:272
	s_and_saveexec_b64 s[0:1], vcc
	s_cbranch_execz .LBB53_307
; %bb.306:
	scratch_load_dwordx4 v[6:9], off, s46
	v_mov_b32_e32 v3, v2
	v_mov_b32_e32 v4, v2
	;; [unrolled: 1-line block ×3, first 2 shown]
	v_accvgpr_read_b32 v0, a109
	scratch_store_dwordx4 off, v[2:5], off offset:256
	s_waitcnt vmcnt(1)
	ds_write_b128 v0, v[6:9]
.LBB53_307:
	s_or_b64 exec, exec, s[0:1]
	s_waitcnt lgkmcnt(0)
	; wave barrier
	scratch_load_dwordx4 v[168:171], off, off offset:272
	scratch_load_dwordx4 v[172:175], off, off offset:288
	;; [unrolled: 1-line block ×16, first 2 shown]
	ds_read_b128 v[232:235], v2 offset:1120
	ds_read_b128 v[176:179], v2 offset:1136
	scratch_load_dwordx4 v[32:35], off, off offset:528
	ds_read_b128 v[236:239], v2 offset:1152
	ds_read_b128 v[188:191], v2 offset:1168
	;; [unrolled: 1-line block ×5, first 2 shown]
	scratch_load_dwordx4 v[36:39], off, off offset:544
	ds_read_b128 v[224:227], v2 offset:1232
	ds_read_b128 v[220:223], v2 offset:1248
	ds_read_b128 v[44:47], v2 offset:1264
	scratch_load_dwordx4 v[40:43], off, off offset:560
	ds_read_b128 v[64:67], v2 offset:1280
	ds_read_b128 v[60:63], v2 offset:1296
	;; [unrolled: 1-line block ×4, first 2 shown]
	scratch_load_dwordx4 v[48:51], off, off offset:576
	ds_read_b128 v[80:83], v2 offset:1344
	ds_read_b128 v[72:75], v2 offset:1360
	;; [unrolled: 1-line block ×3, first 2 shown]
	scratch_load_dwordx4 v[76:79], off, off offset:592
	scratch_load_dwordx4 v[84:87], off, off offset:608
	;; [unrolled: 1-line block ×12, first 2 shown]
	v_accvgpr_read_b32 v0, a108
	v_cmp_lt_u32_e32 vcc, 14, v0
	s_waitcnt vmcnt(31) lgkmcnt(14)
	v_mul_f64 v[128:129], v[232:233], v[170:171]
	s_waitcnt vmcnt(30)
	v_mul_f64 v[130:131], v[176:177], v[174:175]
	v_fmac_f64_e32 v[128:129], v[234:235], v[168:169]
	s_waitcnt vmcnt(29)
	v_mul_f64 v[132:133], v[236:237], v[182:183]
	v_fmac_f64_e32 v[130:131], v[178:179], v[172:173]
	v_add_f64 v[128:129], v[128:129], 0
	s_waitcnt vmcnt(28) lgkmcnt(13)
	v_mul_f64 v[134:135], v[188:189], v[186:187]
	v_fmac_f64_e32 v[132:133], v[238:239], v[180:181]
	v_add_f64 v[128:129], v[128:129], v[130:131]
	s_waitcnt vmcnt(27) lgkmcnt(12)
	;; [unrolled: 4-line block ×13, first 2 shown]
	v_mul_f64 v[158:159], v[72:73], v[30:31]
	v_fmac_f64_e32 v[156:157], v[82:83], v[24:25]
	v_add_f64 v[128:129], v[128:129], v[154:155]
	v_add_f64 v[128:129], v[128:129], v[156:157]
	v_fmac_f64_e32 v[158:159], v[74:75], v[28:29]
	v_add_f64 v[132:133], v[128:129], v[158:159]
	ds_read_b128 v[144:147], v2 offset:1392
	ds_read_b128 v[148:151], v2 offset:1408
	scratch_load_dwordx4 v[128:131], off, off offset:784
	s_waitcnt vmcnt(16) lgkmcnt(2)
	v_mul_f64 v[134:135], v[68:69], v[34:35]
	v_fmac_f64_e32 v[134:135], v[70:71], v[32:33]
	s_waitcnt vmcnt(15) lgkmcnt(1)
	v_mul_f64 v[138:139], v[144:145], v[38:39]
	v_add_f64 v[136:137], v[132:133], v[134:135]
	scratch_load_dwordx4 v[132:135], off, off offset:800
	v_fmac_f64_e32 v[138:139], v[146:147], v[36:37]
	v_add_f64 v[140:141], v[136:137], v[138:139]
	s_waitcnt vmcnt(15) lgkmcnt(0)
	v_mul_f64 v[142:143], v[148:149], v[42:43]
	scratch_load_dwordx4 v[136:139], off, off offset:816
	v_fmac_f64_e32 v[142:143], v[150:151], v[40:41]
	v_add_f64 v[160:161], v[140:141], v[142:143]
	scratch_load_dwordx4 v[140:143], off, off offset:832
	ds_read_b128 v[152:155], v2 offset:1424
	ds_read_b128 v[156:159], v2 offset:1440
	v_mul_f64 v[170:171], v[234:235], v[170:171]
	v_mul_f64 v[174:175], v[178:179], v[174:175]
	v_fma_f64 v[244:245], v[176:177], v[172:173], -v[174:175]
	s_waitcnt vmcnt(16) lgkmcnt(1)
	v_mul_f64 v[162:163], v[152:153], v[50:51]
	v_fmac_f64_e32 v[162:163], v[154:155], v[48:49]
	v_add_f64 v[164:165], v[160:161], v[162:163]
	ds_read_b128 v[160:163], v2 offset:1456
	s_waitcnt vmcnt(15) lgkmcnt(1)
	v_mul_f64 v[166:167], v[156:157], v[78:79]
	v_fmac_f64_e32 v[166:167], v[158:159], v[76:77]
	v_add_f64 v[240:241], v[164:165], v[166:167]
	ds_read_b128 v[164:167], v2 offset:1472
	s_waitcnt vmcnt(14) lgkmcnt(1)
	v_mul_f64 v[242:243], v[160:161], v[86:87]
	v_fmac_f64_e32 v[242:243], v[162:163], v[84:85]
	v_add_f64 v[240:241], v[240:241], v[242:243]
	v_fma_f64 v[242:243], v[232:233], v[168:169], -v[170:171]
	ds_read_b128 v[168:171], v2 offset:1488
	ds_read_b128 v[172:175], v2 offset:1504
	s_waitcnt vmcnt(13) lgkmcnt(2)
	v_mul_f64 v[232:233], v[164:165], v[90:91]
	v_fmac_f64_e32 v[232:233], v[166:167], v[88:89]
	v_add_f64 v[232:233], v[240:241], v[232:233]
	s_waitcnt vmcnt(12) lgkmcnt(1)
	v_mul_f64 v[176:177], v[168:169], v[94:95]
	v_fmac_f64_e32 v[176:177], v[170:171], v[92:93]
	v_add_f64 v[232:233], v[232:233], v[176:177]
	ds_read_b128 v[176:179], v2 offset:1520
	v_mul_f64 v[182:183], v[238:239], v[182:183]
	v_fma_f64 v[236:237], v[236:237], v[180:181], -v[182:183]
	ds_read_b128 v[180:183], v2 offset:1536
	s_waitcnt vmcnt(11) lgkmcnt(2)
	v_mul_f64 v[234:235], v[172:173], v[98:99]
	v_fmac_f64_e32 v[234:235], v[174:175], v[96:97]
	v_add_f64 v[232:233], v[232:233], v[234:235]
	s_waitcnt vmcnt(10) lgkmcnt(1)
	v_mul_f64 v[234:235], v[176:177], v[102:103]
	v_fmac_f64_e32 v[234:235], v[178:179], v[100:101]
	v_mul_f64 v[186:187], v[190:191], v[186:187]
	s_waitcnt vmcnt(9) lgkmcnt(0)
	v_mul_f64 v[190:191], v[180:181], v[106:107]
	v_fma_f64 v[238:239], v[188:189], v[184:185], -v[186:187]
	ds_read_b128 v[184:187], v2 offset:1552
	v_add_f64 v[188:189], v[232:233], v[234:235]
	v_fmac_f64_e32 v[190:191], v[182:183], v[104:105]
	v_add_f64 v[232:233], v[188:189], v[190:191]
	ds_read_b128 v[188:191], v2 offset:1568
	v_mul_f64 v[194:195], v[230:231], v[194:195]
	v_fma_f64 v[246:247], v[228:229], v[192:193], -v[194:195]
	ds_read_b128 v[192:195], v2 offset:1584
	s_waitcnt vmcnt(8) lgkmcnt(2)
	v_mul_f64 v[234:235], v[184:185], v[110:111]
	v_fmac_f64_e32 v[234:235], v[186:187], v[108:109]
	s_waitcnt vmcnt(7) lgkmcnt(1)
	v_mul_f64 v[228:229], v[188:189], v[114:115]
	v_mul_f64 v[198:199], v[202:203], v[198:199]
	v_add_f64 v[232:233], v[232:233], v[234:235]
	v_fmac_f64_e32 v[228:229], v[190:191], v[112:113]
	v_fma_f64 v[248:249], v[200:201], v[196:197], -v[198:199]
	ds_read_b128 v[196:199], v2 offset:1600
	s_waitcnt vmcnt(6) lgkmcnt(1)
	v_mul_f64 v[200:201], v[192:193], v[118:119]
	v_add_f64 v[228:229], v[232:233], v[228:229]
	v_fmac_f64_e32 v[200:201], v[194:195], v[116:117]
	v_add_f64 v[228:229], v[228:229], v[200:201]
	ds_read_b128 v[200:203], v2 offset:1616
	v_mul_f64 v[206:207], v[214:215], v[206:207]
	v_fma_f64 v[250:251], v[212:213], v[204:205], -v[206:207]
	ds_read_b128 v[204:207], v2 offset:1632
	s_waitcnt vmcnt(5) lgkmcnt(2)
	v_mul_f64 v[230:231], v[196:197], v[126:127]
	v_fmac_f64_e32 v[230:231], v[198:199], v[124:125]
	s_waitcnt vmcnt(4) lgkmcnt(1)
	v_mul_f64 v[212:213], v[200:201], v[122:123]
	v_add_f64 v[228:229], v[228:229], v[230:231]
	v_fmac_f64_e32 v[212:213], v[202:203], v[120:121]
	v_mul_f64 v[210:211], v[226:227], v[210:211]
	s_waitcnt vmcnt(3) lgkmcnt(0)
	v_mul_f64 v[214:215], v[204:205], v[130:131]
	v_fma_f64 v[240:241], v[224:225], v[208:209], -v[210:211]
	ds_read_b128 v[208:211], v2 offset:1648
	v_add_f64 v[212:213], v[228:229], v[212:213]
	v_fmac_f64_e32 v[214:215], v[206:207], v[128:129]
	v_add_f64 v[224:225], v[212:213], v[214:215]
	ds_read_b128 v[212:215], v2 offset:1664
	v_mul_f64 v[218:219], v[222:223], v[218:219]
	v_fma_f64 v[252:253], v[220:221], v[216:217], -v[218:219]
	ds_read_b128 v[216:219], v2 offset:1680
	s_waitcnt vmcnt(2) lgkmcnt(2)
	v_mul_f64 v[220:221], v[208:209], v[134:135]
	v_fmac_f64_e32 v[220:221], v[210:211], v[132:133]
	s_waitcnt vmcnt(1) lgkmcnt(1)
	v_mul_f64 v[222:223], v[212:213], v[138:139]
	v_add_f64 v[220:221], v[224:225], v[220:221]
	v_fmac_f64_e32 v[222:223], v[214:215], v[136:137]
	v_add_f64 v[220:221], v[220:221], v[222:223]
	ds_read_b128 v[224:227], v2 offset:1696
	s_waitcnt vmcnt(0) lgkmcnt(1)
	v_mul_f64 v[222:223], v[216:217], v[142:143]
	v_fmac_f64_e32 v[222:223], v[218:219], v[140:141]
	v_add_f64 v[228:229], v[220:221], v[222:223]
	scratch_load_dwordx4 v[220:223], off, off offset:848
	scratch_load_dwordx4 v[232:235], off, off offset:864
	v_add_f64 v[242:243], v[242:243], 0
	v_add_f64 v[242:243], v[242:243], v[244:245]
	;; [unrolled: 1-line block ×6, first 2 shown]
	v_mul_f64 v[6:7], v[46:47], v[6:7]
	v_fma_f64 v[4:5], v[44:45], v[4:5], -v[6:7]
	v_mul_f64 v[6:7], v[66:67], v[10:11]
	v_fma_f64 v[6:7], v[64:65], v[8:9], -v[6:7]
	s_waitcnt vmcnt(1) lgkmcnt(0)
	v_mul_f64 v[230:231], v[224:225], v[222:223]
	v_fmac_f64_e32 v[230:231], v[226:227], v[220:221]
	v_add_f64 v[254:255], v[228:229], v[230:231]
	ds_read_b128 v[228:231], v2 offset:1712
	s_waitcnt vmcnt(0) lgkmcnt(0)
	v_mul_f64 v[2:3], v[228:229], v[234:235]
	v_fmac_f64_e32 v[2:3], v[230:231], v[232:233]
	v_add_f64 v[2:3], v[254:255], v[2:3]
	v_add_f64 v[254:255], v[236:237], v[250:251]
	scratch_load_dwordx4 v[236:239], off, off offset:256
	v_add_f64 v[240:241], v[254:255], v[240:241]
	v_add_f64 v[240:241], v[240:241], v[252:253]
	v_add_f64 v[4:5], v[240:241], v[4:5]
	v_add_f64 v[4:5], v[4:5], v[6:7]
	v_mul_f64 v[6:7], v[62:63], v[14:15]
	v_fma_f64 v[6:7], v[60:61], v[12:13], -v[6:7]
	v_add_f64 v[4:5], v[4:5], v[6:7]
	v_mul_f64 v[6:7], v[58:59], v[18:19]
	v_fma_f64 v[6:7], v[56:57], v[16:17], -v[6:7]
	v_add_f64 v[4:5], v[4:5], v[6:7]
	;; [unrolled: 3-line block ×27, first 2 shown]
	s_waitcnt vmcnt(0)
	v_add_f64 v[4:5], v[236:237], -v[4:5]
	v_add_f64 v[6:7], v[238:239], -v[2:3]
	scratch_store_dwordx4 off, v[4:7], off offset:256
	s_and_saveexec_b64 s[0:1], vcc
	s_cbranch_execz .LBB53_309
; %bb.308:
	scratch_load_dwordx4 v[2:5], off, s45
	v_mov_b32_e32 v6, 0
	v_mov_b32_e32 v7, v6
	;; [unrolled: 1-line block ×4, first 2 shown]
	v_accvgpr_read_b32 v0, a109
	scratch_store_dwordx4 off, v[6:9], off offset:240
	s_waitcnt vmcnt(1)
	ds_write_b128 v0, v[2:5]
.LBB53_309:
	s_or_b64 exec, exec, s[0:1]
	s_waitcnt lgkmcnt(0)
	; wave barrier
	scratch_load_dwordx4 v[80:83], off, off offset:256
	scratch_load_dwordx4 v[84:87], off, off offset:272
	scratch_load_dwordx4 v[88:91], off, off offset:288
	scratch_load_dwordx4 v[92:95], off, off offset:304
	scratch_load_dwordx4 v[96:99], off, off offset:320
	scratch_load_dwordx4 v[100:103], off, off offset:336
	scratch_load_dwordx4 v[104:107], off, off offset:352
	scratch_load_dwordx4 v[108:111], off, off offset:368
	scratch_load_dwordx4 v[112:115], off, off offset:384
	scratch_load_dwordx4 v[116:119], off, off offset:400
	scratch_load_dwordx4 v[120:123], off, off offset:416
	scratch_load_dwordx4 v[4:7], off, off offset:432
	scratch_load_dwordx4 v[8:11], off, off offset:448
	scratch_load_dwordx4 v[12:15], off, off offset:464
	scratch_load_dwordx4 v[16:19], off, off offset:480
	scratch_load_dwordx4 v[20:23], off, off offset:496
	scratch_load_dwordx4 v[24:27], off, off offset:512
	scratch_load_dwordx4 v[28:31], off, off offset:528
	scratch_load_dwordx4 v[32:35], off, off offset:544
	scratch_load_dwordx4 v[36:39], off, off offset:560
	scratch_load_dwordx4 v[40:43], off, off offset:576
	scratch_load_dwordx4 v[44:47], off, off offset:592
	scratch_load_dwordx4 v[48:51], off, off offset:608
	scratch_load_dwordx4 v[52:55], off, off offset:624
	scratch_load_dwordx4 v[56:59], off, off offset:640
	scratch_load_dwordx4 v[60:63], off, off offset:656
	scratch_load_dwordx4 v[64:67], off, off offset:672
	scratch_load_dwordx4 v[68:71], off, off offset:688
	scratch_load_dwordx4 v[72:75], off, off offset:704
	scratch_load_dwordx4 v[76:79], off, off offset:720
	scratch_load_dwordx4 v[124:127], off, off offset:736
	v_mov_b32_e32 v2, 0
	ds_read_b128 v[196:199], v2 offset:1104
	ds_read_b128 v[200:203], v2 offset:1120
	;; [unrolled: 1-line block ×20, first 2 shown]
	s_waitcnt vmcnt(30) lgkmcnt(14)
	v_mul_f64 v[140:141], v[196:197], v[82:83]
	s_waitcnt vmcnt(29)
	v_mul_f64 v[142:143], v[200:201], v[86:87]
	v_fmac_f64_e32 v[140:141], v[198:199], v[80:81]
	s_waitcnt vmcnt(28)
	v_mul_f64 v[152:153], v[204:205], v[90:91]
	v_fmac_f64_e32 v[142:143], v[202:203], v[84:85]
	v_add_f64 v[140:141], v[140:141], 0
	s_waitcnt vmcnt(27)
	v_mul_f64 v[154:155], v[208:209], v[94:95]
	v_fmac_f64_e32 v[152:153], v[206:207], v[88:89]
	v_add_f64 v[140:141], v[140:141], v[142:143]
	;; [unrolled: 4-line block ×4, first 2 shown]
	s_waitcnt vmcnt(24) lgkmcnt(13)
	v_mul_f64 v[164:165], v[220:221], v[106:107]
	v_fmac_f64_e32 v[162:163], v[218:219], v[100:101]
	v_add_f64 v[140:141], v[140:141], v[160:161]
	s_waitcnt vmcnt(23) lgkmcnt(12)
	v_mul_f64 v[166:167], v[224:225], v[110:111]
	v_fmac_f64_e32 v[164:165], v[222:223], v[104:105]
	v_add_f64 v[140:141], v[140:141], v[162:163]
	;; [unrolled: 4-line block ×8, first 2 shown]
	v_fmac_f64_e32 v[178:179], v[146:147], v[12:13]
	v_add_f64 v[140:141], v[140:141], v[176:177]
	v_add_f64 v[140:141], v[140:141], v[178:179]
	ds_read_b128 v[176:179], v2 offset:1376
	s_waitcnt vmcnt(16) lgkmcnt(6)
	v_mul_f64 v[180:181], v[136:137], v[18:19]
	s_waitcnt vmcnt(15) lgkmcnt(5)
	v_mul_f64 v[182:183], v[132:133], v[22:23]
	v_fmac_f64_e32 v[180:181], v[138:139], v[16:17]
	v_add_f64 v[152:153], v[140:141], v[180:181]
	v_fmac_f64_e32 v[182:183], v[134:135], v[20:21]
	scratch_load_dwordx4 v[140:143], off, off offset:752
	s_waitcnt vmcnt(15) lgkmcnt(4)
	v_mul_f64 v[154:155], v[128:129], v[26:27]
	v_add_f64 v[152:153], v[152:153], v[182:183]
	v_fmac_f64_e32 v[154:155], v[130:131], v[24:25]
	v_add_f64 v[160:161], v[152:153], v[154:155]
	ds_read_b128 v[180:183], v2 offset:1392
	s_waitcnt vmcnt(14) lgkmcnt(1)
	v_mul_f64 v[162:163], v[176:177], v[30:31]
	scratch_load_dwordx4 v[152:155], off, off offset:768
	v_fmac_f64_e32 v[162:163], v[178:179], v[28:29]
	v_add_f64 v[164:165], v[160:161], v[162:163]
	scratch_load_dwordx4 v[160:163], off, off offset:784
	s_waitcnt vmcnt(15) lgkmcnt(0)
	v_mul_f64 v[166:167], v[180:181], v[34:35]
	v_fmac_f64_e32 v[166:167], v[182:183], v[32:33]
	v_add_f64 v[168:169], v[164:165], v[166:167]
	s_waitcnt vmcnt(14)
	v_mul_f64 v[170:171], v[184:185], v[38:39]
	scratch_load_dwordx4 v[164:167], off, off offset:800
	v_fmac_f64_e32 v[170:171], v[186:187], v[36:37]
	v_add_f64 v[168:169], v[168:169], v[170:171]
	s_waitcnt vmcnt(14)
	v_mul_f64 v[170:171], v[188:189], v[42:43]
	scratch_load_dwordx4 v[172:175], off, off offset:816
	v_fmac_f64_e32 v[170:171], v[190:191], v[40:41]
	v_add_f64 v[232:233], v[168:169], v[170:171]
	scratch_load_dwordx4 v[168:171], off, off offset:832
	v_mul_f64 v[82:83], v[198:199], v[82:83]
	v_fma_f64 v[242:243], v[196:197], v[80:81], -v[82:83]
	ds_read_b128 v[196:199], v2 offset:1456
	s_waitcnt vmcnt(15)
	v_mul_f64 v[80:81], v[192:193], v[46:47]
	v_fmac_f64_e32 v[80:81], v[194:195], v[44:45]
	v_add_f64 v[232:233], v[232:233], v[80:81]
	v_mul_f64 v[80:81], v[202:203], v[86:87]
	v_fma_f64 v[244:245], v[200:201], v[84:85], -v[80:81]
	scratch_load_dwordx4 v[80:83], off, off offset:848
	ds_read_b128 v[84:87], v2 offset:1472
	v_mul_f64 v[90:91], v[206:207], v[90:91]
	v_fma_f64 v[246:247], v[204:205], v[88:89], -v[90:91]
	ds_read_b128 v[88:91], v2 offset:1488
	s_waitcnt vmcnt(15) lgkmcnt(2)
	v_mul_f64 v[200:201], v[196:197], v[50:51]
	v_fmac_f64_e32 v[200:201], v[198:199], v[48:49]
	s_waitcnt vmcnt(14) lgkmcnt(1)
	v_mul_f64 v[202:203], v[84:85], v[54:55]
	v_add_f64 v[200:201], v[232:233], v[200:201]
	v_fmac_f64_e32 v[202:203], v[86:87], v[52:53]
	v_mul_f64 v[94:95], v[210:211], v[94:95]
	v_fma_f64 v[248:249], v[208:209], v[92:93], -v[94:95]
	ds_read_b128 v[92:95], v2 offset:1504
	v_add_f64 v[200:201], v[200:201], v[202:203]
	s_waitcnt vmcnt(13) lgkmcnt(1)
	v_mul_f64 v[202:203], v[88:89], v[58:59]
	v_fmac_f64_e32 v[202:203], v[90:91], v[56:57]
	v_add_f64 v[204:205], v[200:201], v[202:203]
	ds_read_b128 v[200:203], v2 offset:1520
	v_mul_f64 v[98:99], v[214:215], v[98:99]
	v_fma_f64 v[250:251], v[212:213], v[96:97], -v[98:99]
	ds_read_b128 v[96:99], v2 offset:1536
	s_waitcnt vmcnt(12) lgkmcnt(2)
	v_mul_f64 v[206:207], v[92:93], v[62:63]
	v_fmac_f64_e32 v[206:207], v[94:95], v[60:61]
	v_add_f64 v[204:205], v[204:205], v[206:207]
	s_waitcnt vmcnt(11) lgkmcnt(1)
	v_mul_f64 v[206:207], v[200:201], v[66:67]
	v_fmac_f64_e32 v[206:207], v[202:203], v[64:65]
	v_mul_f64 v[102:103], v[218:219], v[102:103]
	v_add_f64 v[204:205], v[204:205], v[206:207]
	v_fma_f64 v[232:233], v[216:217], v[100:101], -v[102:103]
	ds_read_b128 v[100:103], v2 offset:1552
	s_waitcnt vmcnt(10) lgkmcnt(1)
	v_mul_f64 v[206:207], v[96:97], v[70:71]
	v_fmac_f64_e32 v[206:207], v[98:99], v[68:69]
	v_add_f64 v[208:209], v[204:205], v[206:207]
	ds_read_b128 v[204:207], v2 offset:1568
	v_mul_f64 v[106:107], v[222:223], v[106:107]
	v_fma_f64 v[0:1], v[220:221], v[104:105], -v[106:107]
	ds_read_b128 v[104:107], v2 offset:1584
	s_waitcnt vmcnt(9) lgkmcnt(2)
	v_mul_f64 v[210:211], v[100:101], v[74:75]
	v_fmac_f64_e32 v[210:211], v[102:103], v[72:73]
	v_add_f64 v[208:209], v[208:209], v[210:211]
	s_waitcnt vmcnt(8) lgkmcnt(1)
	v_mul_f64 v[210:211], v[204:205], v[78:79]
	v_fmac_f64_e32 v[210:211], v[206:207], v[76:77]
	v_mul_f64 v[110:111], v[226:227], v[110:111]
	v_fma_f64 v[234:235], v[224:225], v[108:109], -v[110:111]
	ds_read_b128 v[108:111], v2 offset:1600
	v_add_f64 v[208:209], v[208:209], v[210:211]
	s_waitcnt vmcnt(7) lgkmcnt(1)
	v_mul_f64 v[210:211], v[104:105], v[126:127]
	v_fmac_f64_e32 v[210:211], v[106:107], v[124:125]
	v_add_f64 v[212:213], v[208:209], v[210:211]
	ds_read_b128 v[208:211], v2 offset:1616
	v_mul_f64 v[114:115], v[230:231], v[114:115]
	v_fma_f64 v[236:237], v[228:229], v[112:113], -v[114:115]
	ds_read_b128 v[112:115], v2 offset:1632
	s_waitcnt vmcnt(6) lgkmcnt(2)
	v_mul_f64 v[214:215], v[108:109], v[142:143]
	v_fmac_f64_e32 v[214:215], v[110:111], v[140:141]
	v_add_f64 v[212:213], v[212:213], v[214:215]
	s_waitcnt vmcnt(5) lgkmcnt(1)
	v_mul_f64 v[214:215], v[208:209], v[154:155]
	v_fmac_f64_e32 v[214:215], v[210:211], v[152:153]
	v_mul_f64 v[118:119], v[240:241], v[118:119]
	v_add_f64 v[212:213], v[212:213], v[214:215]
	v_fma_f64 v[238:239], v[238:239], v[116:117], -v[118:119]
	ds_read_b128 v[116:119], v2 offset:1648
	s_waitcnt vmcnt(4) lgkmcnt(1)
	v_mul_f64 v[214:215], v[112:113], v[162:163]
	v_fmac_f64_e32 v[214:215], v[114:115], v[160:161]
	v_add_f64 v[216:217], v[212:213], v[214:215]
	ds_read_b128 v[212:215], v2 offset:1664
	v_mul_f64 v[122:123], v[254:255], v[122:123]
	v_fma_f64 v[240:241], v[252:253], v[120:121], -v[122:123]
	ds_read_b128 v[120:123], v2 offset:1680
	s_waitcnt vmcnt(3) lgkmcnt(2)
	v_mul_f64 v[218:219], v[116:117], v[166:167]
	v_fmac_f64_e32 v[218:219], v[118:119], v[164:165]
	v_add_f64 v[216:217], v[216:217], v[218:219]
	s_waitcnt vmcnt(2) lgkmcnt(1)
	v_mul_f64 v[218:219], v[212:213], v[174:175]
	v_fmac_f64_e32 v[218:219], v[214:215], v[172:173]
	v_add_f64 v[216:217], v[216:217], v[218:219]
	;; [unrolled: 4-line block ×3, first 2 shown]
	ds_read_b128 v[216:219], v2 offset:1696
	ds_read_b128 v[224:227], v2 offset:1712
	v_mul_f64 v[6:7], v[158:159], v[6:7]
	v_fma_f64 v[4:5], v[156:157], v[4:5], -v[6:7]
	s_waitcnt vmcnt(0) lgkmcnt(1)
	v_mul_f64 v[222:223], v[216:217], v[82:83]
	v_fmac_f64_e32 v[222:223], v[218:219], v[80:81]
	v_add_f64 v[228:229], v[220:221], v[222:223]
	scratch_load_dwordx4 v[220:223], off, off offset:864
	s_waitcnt vmcnt(0) lgkmcnt(0)
	v_mul_f64 v[230:231], v[224:225], v[222:223]
	v_fmac_f64_e32 v[230:231], v[226:227], v[220:221]
	v_add_f64 v[254:255], v[228:229], v[230:231]
	v_add_f64 v[228:229], v[242:243], 0
	;; [unrolled: 1-line block ×8, first 2 shown]
	scratch_load_dwordx4 v[228:231], off, off offset:240
	v_add_f64 v[0:1], v[252:253], v[234:235]
	v_add_f64 v[0:1], v[0:1], v[236:237]
	;; [unrolled: 1-line block ×5, first 2 shown]
	v_mul_f64 v[4:5], v[150:151], v[10:11]
	v_fma_f64 v[4:5], v[148:149], v[8:9], -v[4:5]
	v_add_f64 v[0:1], v[0:1], v[4:5]
	v_mul_f64 v[4:5], v[146:147], v[14:15]
	v_fma_f64 v[4:5], v[144:145], v[12:13], -v[4:5]
	v_add_f64 v[0:1], v[0:1], v[4:5]
	;; [unrolled: 3-line block ×27, first 2 shown]
	s_waitcnt vmcnt(0)
	v_add_f64 v[4:5], v[228:229], -v[0:1]
	v_accvgpr_read_b32 v0, a108
	v_add_f64 v[6:7], v[230:231], -v[254:255]
	v_cmp_lt_u32_e32 vcc, 13, v0
	scratch_store_dwordx4 off, v[4:7], off offset:240
	s_and_saveexec_b64 s[0:1], vcc
	s_cbranch_execz .LBB53_311
; %bb.310:
	scratch_load_dwordx4 v[6:9], off, s44
	v_mov_b32_e32 v3, v2
	v_mov_b32_e32 v4, v2
	v_mov_b32_e32 v5, v2
	v_accvgpr_read_b32 v0, a109
	scratch_store_dwordx4 off, v[2:5], off offset:224
	s_waitcnt vmcnt(1)
	ds_write_b128 v0, v[6:9]
.LBB53_311:
	s_or_b64 exec, exec, s[0:1]
	s_waitcnt lgkmcnt(0)
	; wave barrier
	scratch_load_dwordx4 v[132:135], off, off offset:240
	scratch_load_dwordx4 v[160:163], off, off offset:256
	;; [unrolled: 1-line block ×16, first 2 shown]
	ds_read_b128 v[156:159], v2 offset:1088
	ds_read_b128 v[172:175], v2 offset:1104
	scratch_load_dwordx4 v[24:27], off, off offset:496
	ds_read_b128 v[232:235], v2 offset:1120
	ds_read_b128 v[228:231], v2 offset:1136
	scratch_load_dwordx4 v[28:31], off, off offset:512
	ds_read_b128 v[236:239], v2 offset:1152
	ds_read_b128 v[184:187], v2 offset:1168
	;; [unrolled: 1-line block ×5, first 2 shown]
	scratch_load_dwordx4 v[32:35], off, off offset:528
	ds_read_b128 v[220:223], v2 offset:1232
	ds_read_b128 v[216:219], v2 offset:1248
	;; [unrolled: 1-line block ×3, first 2 shown]
	scratch_load_dwordx4 v[36:39], off, off offset:544
	ds_read_b128 v[64:67], v2 offset:1280
	ds_read_b128 v[60:63], v2 offset:1296
	;; [unrolled: 1-line block ×5, first 2 shown]
	scratch_load_dwordx4 v[52:55], off, off offset:560
	scratch_load_dwordx4 v[68:71], off, off offset:576
	;; [unrolled: 1-line block ×11, first 2 shown]
	ds_read_b128 v[144:147], v2 offset:1392
	ds_read_b128 v[148:151], v2 offset:1408
	;; [unrolled: 1-line block ×3, first 2 shown]
	s_waitcnt vmcnt(30) lgkmcnt(14)
	v_mul_f64 v[0:1], v[156:157], v[134:135]
	s_waitcnt vmcnt(29)
	v_mul_f64 v[108:109], v[172:173], v[162:163]
	v_fmac_f64_e32 v[0:1], v[158:159], v[132:133]
	s_waitcnt vmcnt(28)
	v_mul_f64 v[110:111], v[232:233], v[166:167]
	v_fmac_f64_e32 v[108:109], v[174:175], v[160:161]
	v_add_f64 v[0:1], v[0:1], 0
	s_waitcnt vmcnt(27)
	v_mul_f64 v[112:113], v[228:229], v[170:171]
	v_fmac_f64_e32 v[110:111], v[234:235], v[164:165]
	v_add_f64 v[0:1], v[0:1], v[108:109]
	;; [unrolled: 4-line block ×4, first 2 shown]
	s_waitcnt vmcnt(24) lgkmcnt(13)
	v_mul_f64 v[118:119], v[224:225], v[190:191]
	v_fmac_f64_e32 v[116:117], v[186:187], v[180:181]
	v_add_f64 v[0:1], v[0:1], v[114:115]
	s_waitcnt vmcnt(23) lgkmcnt(12)
	v_mul_f64 v[120:121], v[196:197], v[194:195]
	v_fmac_f64_e32 v[118:119], v[226:227], v[188:189]
	v_add_f64 v[0:1], v[0:1], v[116:117]
	;; [unrolled: 4-line block ×9, first 2 shown]
	v_fmac_f64_e32 v[138:139], v[58:59], v[16:17]
	v_add_f64 v[0:1], v[0:1], v[136:137]
	v_add_f64 v[0:1], v[0:1], v[138:139]
	ds_read_b128 v[136:139], v2 offset:1360
	s_waitcnt vmcnt(15) lgkmcnt(5)
	v_mul_f64 v[140:141], v[48:49], v[22:23]
	v_fmac_f64_e32 v[140:141], v[50:51], v[20:21]
	s_waitcnt vmcnt(14) lgkmcnt(4)
	v_mul_f64 v[112:113], v[44:45], v[26:27]
	scratch_load_dwordx4 v[108:111], off, off offset:736
	v_add_f64 v[0:1], v[0:1], v[140:141]
	v_fmac_f64_e32 v[112:113], v[46:47], v[24:25]
	v_add_f64 v[0:1], v[0:1], v[112:113]
	scratch_load_dwordx4 v[112:115], off, off offset:752
	ds_read_b128 v[140:143], v2 offset:1376
	s_waitcnt vmcnt(15) lgkmcnt(1)
	v_mul_f64 v[116:117], v[136:137], v[30:31]
	v_fmac_f64_e32 v[116:117], v[138:139], v[28:29]
	v_add_f64 v[0:1], v[0:1], v[116:117]
	scratch_load_dwordx4 v[116:119], off, off offset:768
	s_waitcnt vmcnt(15) lgkmcnt(0)
	v_mul_f64 v[120:121], v[140:141], v[34:35]
	v_fmac_f64_e32 v[120:121], v[142:143], v[32:33]
	s_waitcnt vmcnt(14)
	v_mul_f64 v[124:125], v[144:145], v[38:39]
	v_add_f64 v[0:1], v[0:1], v[120:121]
	scratch_load_dwordx4 v[120:123], off, off offset:784
	v_fmac_f64_e32 v[124:125], v[146:147], v[36:37]
	v_add_f64 v[0:1], v[0:1], v[124:125]
	s_waitcnt vmcnt(14)
	v_mul_f64 v[124:125], v[148:149], v[54:55]
	scratch_load_dwordx4 v[128:131], off, off offset:800
	v_fmac_f64_e32 v[124:125], v[150:151], v[52:53]
	v_add_f64 v[0:1], v[0:1], v[124:125]
	scratch_load_dwordx4 v[124:127], off, off offset:816
	v_mul_f64 v[134:135], v[158:159], v[134:135]
	v_fma_f64 v[242:243], v[156:157], v[132:133], -v[134:135]
	ds_read_b128 v[156:159], v2 offset:1440
	s_waitcnt vmcnt(15)
	v_mul_f64 v[132:133], v[152:153], v[70:71]
	v_fmac_f64_e32 v[132:133], v[154:155], v[68:69]
	v_add_f64 v[0:1], v[0:1], v[132:133]
	v_mul_f64 v[132:133], v[174:175], v[162:163]
	v_fma_f64 v[244:245], v[172:173], v[160:161], -v[132:133]
	scratch_load_dwordx4 v[132:135], off, off offset:832
	ds_read_b128 v[160:163], v2 offset:1456
	v_mul_f64 v[166:167], v[234:235], v[166:167]
	v_fma_f64 v[246:247], v[232:233], v[164:165], -v[166:167]
	ds_read_b128 v[164:167], v2 offset:1472
	s_waitcnt vmcnt(15) lgkmcnt(2)
	v_mul_f64 v[172:173], v[156:157], v[74:75]
	v_fmac_f64_e32 v[172:173], v[158:159], v[72:73]
	v_add_f64 v[0:1], v[0:1], v[172:173]
	s_waitcnt vmcnt(14) lgkmcnt(1)
	v_mul_f64 v[172:173], v[160:161], v[78:79]
	v_fmac_f64_e32 v[172:173], v[162:163], v[76:77]
	v_mul_f64 v[170:171], v[230:231], v[170:171]
	v_fma_f64 v[248:249], v[228:229], v[168:169], -v[170:171]
	ds_read_b128 v[168:171], v2 offset:1488
	v_add_f64 v[0:1], v[0:1], v[172:173]
	s_waitcnt vmcnt(13) lgkmcnt(1)
	v_mul_f64 v[172:173], v[164:165], v[82:83]
	v_fmac_f64_e32 v[172:173], v[166:167], v[80:81]
	v_add_f64 v[0:1], v[0:1], v[172:173]
	ds_read_b128 v[172:175], v2 offset:1504
	v_mul_f64 v[178:179], v[238:239], v[178:179]
	v_fma_f64 v[236:237], v[236:237], v[176:177], -v[178:179]
	ds_read_b128 v[176:179], v2 offset:1520
	s_waitcnt vmcnt(12) lgkmcnt(2)
	v_mul_f64 v[228:229], v[168:169], v[86:87]
	v_fmac_f64_e32 v[228:229], v[170:171], v[84:85]
	v_add_f64 v[0:1], v[0:1], v[228:229]
	s_waitcnt vmcnt(11) lgkmcnt(1)
	v_mul_f64 v[228:229], v[172:173], v[90:91]
	v_mul_f64 v[182:183], v[186:187], v[182:183]
	v_fmac_f64_e32 v[228:229], v[174:175], v[88:89]
	v_fma_f64 v[238:239], v[184:185], v[180:181], -v[182:183]
	ds_read_b128 v[180:183], v2 offset:1536
	s_waitcnt vmcnt(10) lgkmcnt(1)
	v_mul_f64 v[184:185], v[176:177], v[94:95]
	v_add_f64 v[0:1], v[0:1], v[228:229]
	v_fmac_f64_e32 v[184:185], v[178:179], v[92:93]
	v_add_f64 v[0:1], v[0:1], v[184:185]
	ds_read_b128 v[184:187], v2 offset:1552
	v_mul_f64 v[190:191], v[226:227], v[190:191]
	v_fma_f64 v[250:251], v[224:225], v[188:189], -v[190:191]
	ds_read_b128 v[188:191], v2 offset:1568
	s_waitcnt vmcnt(9) lgkmcnt(2)
	v_mul_f64 v[228:229], v[180:181], v[98:99]
	v_fmac_f64_e32 v[228:229], v[182:183], v[96:97]
	s_waitcnt vmcnt(8) lgkmcnt(1)
	v_mul_f64 v[224:225], v[184:185], v[102:103]
	v_mul_f64 v[194:195], v[198:199], v[194:195]
	v_add_f64 v[0:1], v[0:1], v[228:229]
	v_fmac_f64_e32 v[224:225], v[186:187], v[100:101]
	v_fma_f64 v[254:255], v[196:197], v[192:193], -v[194:195]
	s_waitcnt vmcnt(7) lgkmcnt(0)
	v_mul_f64 v[196:197], v[188:189], v[106:107]
	ds_read_b128 v[192:195], v2 offset:1584
	v_add_f64 v[0:1], v[0:1], v[224:225]
	v_fmac_f64_e32 v[196:197], v[190:191], v[104:105]
	v_add_f64 v[0:1], v[0:1], v[196:197]
	ds_read_b128 v[196:199], v2 offset:1600
	v_mul_f64 v[202:203], v[210:211], v[202:203]
	v_fma_f64 v[240:241], v[208:209], v[200:201], -v[202:203]
	ds_read_b128 v[200:203], v2 offset:1616
	s_waitcnt vmcnt(6) lgkmcnt(2)
	v_mul_f64 v[224:225], v[192:193], v[110:111]
	v_fmac_f64_e32 v[224:225], v[194:195], v[108:109]
	s_waitcnt vmcnt(5) lgkmcnt(1)
	v_mul_f64 v[208:209], v[196:197], v[114:115]
	v_add_f64 v[0:1], v[0:1], v[224:225]
	v_fmac_f64_e32 v[208:209], v[198:199], v[112:113]
	v_add_f64 v[208:209], v[0:1], v[208:209]
	v_mul_f64 v[0:1], v[222:223], v[206:207]
	v_fma_f64 v[0:1], v[220:221], v[204:205], -v[0:1]
	ds_read_b128 v[204:207], v2 offset:1632
	s_waitcnt vmcnt(4) lgkmcnt(1)
	v_mul_f64 v[210:211], v[200:201], v[118:119]
	v_fmac_f64_e32 v[210:211], v[202:203], v[116:117]
	v_add_f64 v[220:221], v[208:209], v[210:211]
	ds_read_b128 v[208:211], v2 offset:1648
	v_mul_f64 v[214:215], v[218:219], v[214:215]
	v_fma_f64 v[252:253], v[216:217], v[212:213], -v[214:215]
	ds_read_b128 v[212:215], v2 offset:1664
	s_waitcnt vmcnt(3) lgkmcnt(2)
	v_mul_f64 v[216:217], v[204:205], v[122:123]
	v_fmac_f64_e32 v[216:217], v[206:207], v[120:121]
	s_waitcnt vmcnt(2) lgkmcnt(1)
	v_mul_f64 v[218:219], v[208:209], v[130:131]
	v_add_f64 v[216:217], v[220:221], v[216:217]
	v_fmac_f64_e32 v[218:219], v[210:211], v[128:129]
	v_add_f64 v[216:217], v[216:217], v[218:219]
	s_waitcnt vmcnt(1) lgkmcnt(0)
	v_mul_f64 v[218:219], v[212:213], v[126:127]
	v_fmac_f64_e32 v[218:219], v[214:215], v[124:125]
	v_add_f64 v[220:221], v[216:217], v[218:219]
	ds_read_b128 v[216:219], v2 offset:1680
	ds_read_b128 v[224:227], v2 offset:1696
	scratch_load_dwordx4 v[232:235], off, off offset:864
	v_accvgpr_write_b32 a111, v1
	v_accvgpr_write_b32 a110, v0
	s_waitcnt vmcnt(1) lgkmcnt(1)
	v_mul_f64 v[222:223], v[216:217], v[134:135]
	v_fmac_f64_e32 v[222:223], v[218:219], v[132:133]
	v_add_f64 v[228:229], v[220:221], v[222:223]
	scratch_load_dwordx4 v[220:223], off, off offset:848
	v_mul_f64 v[6:7], v[42:43], v[6:7]
	v_fma_f64 v[4:5], v[40:41], v[4:5], -v[6:7]
	s_waitcnt vmcnt(0) lgkmcnt(0)
	v_mul_f64 v[230:231], v[224:225], v[222:223]
	v_fmac_f64_e32 v[230:231], v[226:227], v[220:221]
	v_add_f64 v[0:1], v[228:229], v[230:231]
	ds_read_b128 v[228:231], v2 offset:1712
	s_waitcnt lgkmcnt(0)
	v_mul_f64 v[2:3], v[228:229], v[234:235]
	v_fmac_f64_e32 v[2:3], v[230:231], v[232:233]
	v_add_f64 v[2:3], v[0:1], v[2:3]
	v_add_f64 v[0:1], v[242:243], 0
	v_add_f64 v[0:1], v[0:1], v[244:245]
	v_add_f64 v[0:1], v[0:1], v[246:247]
	v_add_f64 v[0:1], v[0:1], v[248:249]
	v_add_f64 v[0:1], v[0:1], v[236:237]
	v_add_f64 v[0:1], v[0:1], v[238:239]
	scratch_load_dwordx4 v[236:239], off, off offset:224
	v_add_f64 v[0:1], v[0:1], v[250:251]
	v_add_f64 v[0:1], v[0:1], v[254:255]
	;; [unrolled: 1-line block ×3, first 2 shown]
	v_accvgpr_read_b32 v0, a110
	v_accvgpr_read_b32 v1, a111
	v_add_f64 v[0:1], v[254:255], v[0:1]
	v_add_f64 v[0:1], v[0:1], v[252:253]
	;; [unrolled: 1-line block ×3, first 2 shown]
	v_mul_f64 v[4:5], v[66:67], v[10:11]
	v_fma_f64 v[4:5], v[64:65], v[8:9], -v[4:5]
	v_add_f64 v[0:1], v[0:1], v[4:5]
	v_mul_f64 v[4:5], v[62:63], v[14:15]
	v_fma_f64 v[4:5], v[60:61], v[12:13], -v[4:5]
	v_add_f64 v[0:1], v[0:1], v[4:5]
	;; [unrolled: 3-line block ×28, first 2 shown]
	s_waitcnt vmcnt(0)
	v_add_f64 v[4:5], v[236:237], -v[0:1]
	v_accvgpr_read_b32 v0, a108
	v_add_f64 v[6:7], v[238:239], -v[2:3]
	v_cmp_lt_u32_e32 vcc, 12, v0
	scratch_store_dwordx4 off, v[4:7], off offset:224
	s_and_saveexec_b64 s[0:1], vcc
	s_cbranch_execz .LBB53_313
; %bb.312:
	scratch_load_dwordx4 v[2:5], off, s43
	v_mov_b32_e32 v6, 0
	v_mov_b32_e32 v7, v6
	;; [unrolled: 1-line block ×4, first 2 shown]
	v_accvgpr_read_b32 v0, a109
	scratch_store_dwordx4 off, v[6:9], off offset:208
	s_waitcnt vmcnt(1)
	ds_write_b128 v0, v[2:5]
.LBB53_313:
	s_or_b64 exec, exec, s[0:1]
	s_waitcnt lgkmcnt(0)
	; wave barrier
	scratch_load_dwordx4 v[112:115], off, off offset:224
	scratch_load_dwordx4 v[116:119], off, off offset:240
	;; [unrolled: 1-line block ×30, first 2 shown]
	v_mov_b32_e32 v2, 0
	ds_read_b128 v[144:147], v2 offset:1072
	ds_read_b128 v[156:159], v2 offset:1088
	;; [unrolled: 1-line block ×20, first 2 shown]
	s_waitcnt vmcnt(29) lgkmcnt(14)
	v_mul_f64 v[0:1], v[144:145], v[114:115]
	s_waitcnt vmcnt(28)
	v_mul_f64 v[88:89], v[156:157], v[118:119]
	v_fmac_f64_e32 v[0:1], v[146:147], v[112:113]
	s_waitcnt vmcnt(27)
	v_mul_f64 v[90:91], v[168:169], v[122:123]
	v_fmac_f64_e32 v[88:89], v[158:159], v[116:117]
	v_add_f64 v[0:1], v[0:1], 0
	s_waitcnt vmcnt(26)
	v_mul_f64 v[92:93], v[180:181], v[154:155]
	v_fmac_f64_e32 v[90:91], v[170:171], v[120:121]
	v_add_f64 v[0:1], v[0:1], v[88:89]
	s_waitcnt vmcnt(25)
	v_mul_f64 v[94:95], v[192:193], v[162:163]
	v_fmac_f64_e32 v[92:93], v[182:183], v[152:153]
	v_add_f64 v[0:1], v[0:1], v[90:91]
	s_waitcnt vmcnt(24)
	v_mul_f64 v[96:97], v[204:205], v[166:167]
	v_fmac_f64_e32 v[94:95], v[194:195], v[160:161]
	v_add_f64 v[0:1], v[0:1], v[92:93]
	s_waitcnt vmcnt(23) lgkmcnt(13)
	v_mul_f64 v[98:99], v[212:213], v[174:175]
	v_fmac_f64_e32 v[96:97], v[206:207], v[164:165]
	v_add_f64 v[0:1], v[0:1], v[94:95]
	s_waitcnt vmcnt(22) lgkmcnt(12)
	v_mul_f64 v[100:101], v[216:217], v[178:179]
	v_fmac_f64_e32 v[98:99], v[214:215], v[172:173]
	v_add_f64 v[0:1], v[0:1], v[96:97]
	;; [unrolled: 4-line block ×9, first 2 shown]
	v_fmac_f64_e32 v[126:127], v[82:83], v[234:235]
	v_add_f64 v[0:1], v[0:1], v[124:125]
	scratch_load_dwordx4 v[88:91], off, off offset:704
	s_waitcnt vmcnt(15) lgkmcnt(4)
	v_mul_f64 v[128:129], v[76:77], v[14:15]
	v_add_f64 v[0:1], v[0:1], v[126:127]
	ds_read_b128 v[124:127], v2 offset:1344
	v_fmac_f64_e32 v[128:129], v[78:79], v[12:13]
	v_add_f64 v[0:1], v[0:1], v[128:129]
	ds_read_b128 v[128:131], v2 offset:1360
	s_waitcnt vmcnt(14) lgkmcnt(5)
	v_mul_f64 v[92:93], v[72:73], v[18:19]
	v_fmac_f64_e32 v[92:93], v[74:75], v[16:17]
	v_add_f64 v[0:1], v[0:1], v[92:93]
	s_waitcnt vmcnt(13) lgkmcnt(1)
	v_mul_f64 v[96:97], v[124:125], v[22:23]
	scratch_load_dwordx4 v[92:95], off, off offset:720
	v_fmac_f64_e32 v[96:97], v[126:127], v[20:21]
	v_add_f64 v[0:1], v[0:1], v[96:97]
	s_waitcnt vmcnt(13) lgkmcnt(0)
	v_mul_f64 v[100:101], v[128:129], v[26:27]
	scratch_load_dwordx4 v[96:99], off, off offset:736
	v_fmac_f64_e32 v[100:101], v[130:131], v[24:25]
	v_add_f64 v[0:1], v[0:1], v[100:101]
	scratch_load_dwordx4 v[100:103], off, off offset:752
	s_waitcnt vmcnt(14)
	v_mul_f64 v[104:105], v[132:133], v[30:31]
	v_fmac_f64_e32 v[104:105], v[134:135], v[28:29]
	v_add_f64 v[0:1], v[0:1], v[104:105]
	s_waitcnt vmcnt(13)
	v_mul_f64 v[104:105], v[136:137], v[34:35]
	v_fmac_f64_e32 v[104:105], v[138:139], v[32:33]
	v_add_f64 v[0:1], v[0:1], v[104:105]
	scratch_load_dwordx4 v[104:107], off, off offset:768
	s_waitcnt vmcnt(13)
	v_mul_f64 v[108:109], v[140:141], v[38:39]
	v_fmac_f64_e32 v[108:109], v[142:143], v[36:37]
	v_add_f64 v[0:1], v[0:1], v[108:109]
	scratch_load_dwordx4 v[108:111], off, off offset:784
	v_mul_f64 v[114:115], v[146:147], v[114:115]
	v_fma_f64 v[242:243], v[144:145], v[112:113], -v[114:115]
	v_mul_f64 v[112:113], v[158:159], v[118:119]
	ds_read_b128 v[148:151], v2 offset:1424
	ds_read_b128 v[144:147], v2 offset:1440
	v_fma_f64 v[244:245], v[156:157], v[116:117], -v[112:113]
	scratch_load_dwordx4 v[116:119], off, off offset:800
	scratch_load_dwordx4 v[112:115], off, off offset:816
	v_mul_f64 v[122:123], v[170:171], v[122:123]
	v_fma_f64 v[246:247], v[168:169], v[120:121], -v[122:123]
	scratch_load_dwordx4 v[120:123], off, off offset:832
	s_waitcnt vmcnt(16) lgkmcnt(1)
	v_mul_f64 v[156:157], v[148:149], v[42:43]
	v_fmac_f64_e32 v[156:157], v[150:151], v[40:41]
	v_mul_f64 v[154:155], v[182:183], v[154:155]
	v_add_f64 v[0:1], v[0:1], v[156:157]
	v_fma_f64 v[248:249], v[180:181], v[152:153], -v[154:155]
	ds_read_b128 v[152:155], v2 offset:1456
	s_waitcnt vmcnt(15) lgkmcnt(1)
	v_mul_f64 v[156:157], v[144:145], v[46:47]
	v_fmac_f64_e32 v[156:157], v[146:147], v[44:45]
	v_add_f64 v[0:1], v[0:1], v[156:157]
	ds_read_b128 v[156:159], v2 offset:1472
	v_mul_f64 v[162:163], v[194:195], v[162:163]
	v_fma_f64 v[250:251], v[192:193], v[160:161], -v[162:163]
	ds_read_b128 v[160:163], v2 offset:1488
	s_waitcnt vmcnt(14) lgkmcnt(2)
	v_mul_f64 v[168:169], v[152:153], v[50:51]
	v_fmac_f64_e32 v[168:169], v[154:155], v[48:49]
	v_add_f64 v[0:1], v[0:1], v[168:169]
	s_waitcnt vmcnt(13) lgkmcnt(1)
	v_mul_f64 v[168:169], v[156:157], v[54:55]
	v_fmac_f64_e32 v[168:169], v[158:159], v[52:53]
	v_mul_f64 v[166:167], v[206:207], v[166:167]
	v_add_f64 v[0:1], v[0:1], v[168:169]
	v_fma_f64 v[232:233], v[204:205], v[164:165], -v[166:167]
	ds_read_b128 v[164:167], v2 offset:1504
	s_waitcnt vmcnt(12) lgkmcnt(1)
	v_mul_f64 v[168:169], v[160:161], v[58:59]
	v_fmac_f64_e32 v[168:169], v[162:163], v[56:57]
	v_add_f64 v[0:1], v[0:1], v[168:169]
	ds_read_b128 v[168:171], v2 offset:1520
	v_accvgpr_write_b32 a113, v7
	v_accvgpr_write_b32 a112, v6
	;; [unrolled: 1-line block ×4, first 2 shown]
	s_waitcnt vmcnt(11) lgkmcnt(1)
	v_mul_f64 v[6:7], v[164:165], v[62:63]
	v_mul_f64 v[174:175], v[214:215], v[174:175]
	v_fmac_f64_e32 v[6:7], v[166:167], v[60:61]
	v_fma_f64 v[8:9], v[212:213], v[172:173], -v[174:175]
	ds_read_b128 v[172:175], v2 offset:1536
	v_add_f64 v[0:1], v[0:1], v[6:7]
	s_waitcnt vmcnt(10) lgkmcnt(1)
	v_mul_f64 v[6:7], v[168:169], v[66:67]
	v_fmac_f64_e32 v[6:7], v[170:171], v[64:65]
	v_add_f64 v[0:1], v[0:1], v[6:7]
	v_mul_f64 v[6:7], v[218:219], v[178:179]
	v_fma_f64 v[4:5], v[216:217], v[176:177], -v[6:7]
	ds_read_b128 v[176:179], v2 offset:1552
	ds_read_b128 v[180:183], v2 offset:1568
	s_waitcnt vmcnt(9) lgkmcnt(2)
	v_mul_f64 v[6:7], v[172:173], v[70:71]
	v_fmac_f64_e32 v[6:7], v[174:175], v[68:69]
	v_add_f64 v[0:1], v[0:1], v[6:7]
	s_waitcnt vmcnt(8) lgkmcnt(1)
	v_mul_f64 v[6:7], v[176:177], v[90:91]
	v_fmac_f64_e32 v[6:7], v[178:179], v[88:89]
	v_add_f64 v[0:1], v[0:1], v[6:7]
	v_mul_f64 v[6:7], v[222:223], v[186:187]
	v_fma_f64 v[10:11], v[220:221], v[184:185], -v[6:7]
	ds_read_b128 v[184:187], v2 offset:1584
	v_mul_f64 v[6:7], v[226:227], v[190:191]
	v_fma_f64 v[6:7], v[224:225], v[188:189], -v[6:7]
	ds_read_b128 v[188:191], v2 offset:1600
	s_waitcnt vmcnt(7) lgkmcnt(2)
	v_mul_f64 v[192:193], v[180:181], v[94:95]
	v_fmac_f64_e32 v[192:193], v[182:183], v[92:93]
	v_add_f64 v[0:1], v[0:1], v[192:193]
	s_waitcnt vmcnt(6) lgkmcnt(1)
	v_mul_f64 v[192:193], v[184:185], v[98:99]
	v_fmac_f64_e32 v[192:193], v[186:187], v[96:97]
	v_add_f64 v[0:1], v[0:1], v[192:193]
	s_waitcnt vmcnt(5) lgkmcnt(0)
	v_mul_f64 v[204:205], v[188:189], v[102:103]
	ds_read_b128 v[192:195], v2 offset:1616
	v_fmac_f64_e32 v[204:205], v[190:191], v[100:101]
	v_add_f64 v[204:205], v[0:1], v[204:205]
	v_mul_f64 v[0:1], v[230:231], v[198:199]
	v_fma_f64 v[0:1], v[228:229], v[196:197], -v[0:1]
	ds_read_b128 v[196:199], v2 offset:1632
	v_mul_f64 v[202:203], v[240:241], v[202:203]
	s_waitcnt vmcnt(4) lgkmcnt(1)
	v_mul_f64 v[206:207], v[192:193], v[106:107]
	v_fma_f64 v[238:239], v[238:239], v[200:201], -v[202:203]
	ds_read_b128 v[200:203], v2 offset:1648
	v_fmac_f64_e32 v[206:207], v[194:195], v[104:105]
	v_add_f64 v[212:213], v[204:205], v[206:207]
	ds_read_b128 v[204:207], v2 offset:1664
	s_waitcnt vmcnt(3) lgkmcnt(2)
	v_mul_f64 v[214:215], v[196:197], v[110:111]
	v_mul_f64 v[210:211], v[254:255], v[210:211]
	v_fmac_f64_e32 v[214:215], v[198:199], v[108:109]
	v_fma_f64 v[240:241], v[252:253], v[208:209], -v[210:211]
	ds_read_b128 v[208:211], v2 offset:1680
	ds_read_b128 v[216:219], v2 offset:1696
	v_add_f64 v[212:213], v[212:213], v[214:215]
	s_waitcnt vmcnt(2) lgkmcnt(3)
	v_mul_f64 v[214:215], v[200:201], v[118:119]
	v_fmac_f64_e32 v[214:215], v[202:203], v[116:117]
	v_add_f64 v[212:213], v[212:213], v[214:215]
	s_waitcnt vmcnt(1) lgkmcnt(2)
	v_mul_f64 v[214:215], v[204:205], v[114:115]
	v_fmac_f64_e32 v[214:215], v[206:207], v[112:113]
	;; [unrolled: 4-line block ×3, first 2 shown]
	v_add_f64 v[220:221], v[212:213], v[214:215]
	scratch_load_dwordx4 v[212:215], off, off offset:848
	ds_read_b128 v[224:227], v2 offset:1712
	s_waitcnt vmcnt(0) lgkmcnt(1)
	v_mul_f64 v[222:223], v[216:217], v[214:215]
	v_fmac_f64_e32 v[222:223], v[218:219], v[212:213]
	v_add_f64 v[228:229], v[220:221], v[222:223]
	scratch_load_dwordx4 v[220:223], off, off offset:864
	s_waitcnt vmcnt(0) lgkmcnt(0)
	v_mul_f64 v[230:231], v[224:225], v[222:223]
	v_fmac_f64_e32 v[230:231], v[226:227], v[220:221]
	v_add_f64 v[254:255], v[228:229], v[230:231]
	v_add_f64 v[228:229], v[242:243], 0
	;; [unrolled: 1-line block ×8, first 2 shown]
	scratch_load_dwordx4 v[228:231], off, off offset:208
	v_add_f64 v[4:5], v[8:9], v[4:5]
	v_add_f64 v[252:253], v[4:5], v[10:11]
	;; [unrolled: 1-line block ×3, first 2 shown]
	v_accvgpr_read_b32 v6, a110
	v_add_f64 v[0:1], v[4:5], v[0:1]
	v_accvgpr_read_b32 v8, a112
	v_accvgpr_read_b32 v9, a113
	v_add_f64 v[0:1], v[0:1], v[238:239]
	v_accvgpr_read_b32 v7, a111
	v_mul_f64 v[4:5], v[86:87], v[8:9]
	v_add_f64 v[0:1], v[0:1], v[240:241]
	v_fma_f64 v[4:5], v[84:85], v[6:7], -v[4:5]
	v_add_f64 v[0:1], v[0:1], v[4:5]
	v_mul_f64 v[4:5], v[82:83], v[236:237]
	v_fma_f64 v[4:5], v[80:81], v[234:235], -v[4:5]
	v_add_f64 v[0:1], v[0:1], v[4:5]
	v_mul_f64 v[4:5], v[78:79], v[14:15]
	;; [unrolled: 3-line block ×27, first 2 shown]
	v_fma_f64 v[4:5], v[224:225], v[220:221], -v[4:5]
	v_add_f64 v[0:1], v[0:1], v[4:5]
	s_waitcnt vmcnt(0)
	v_add_f64 v[4:5], v[228:229], -v[0:1]
	v_accvgpr_read_b32 v0, a108
	v_add_f64 v[6:7], v[230:231], -v[254:255]
	v_cmp_lt_u32_e32 vcc, 11, v0
	scratch_store_dwordx4 off, v[4:7], off offset:208
	s_and_saveexec_b64 s[0:1], vcc
	s_cbranch_execz .LBB53_315
; %bb.314:
	scratch_load_dwordx4 v[6:9], off, s42
	v_mov_b32_e32 v3, v2
	v_mov_b32_e32 v4, v2
	;; [unrolled: 1-line block ×3, first 2 shown]
	v_accvgpr_read_b32 v0, a109
	scratch_store_dwordx4 off, v[2:5], off offset:192
	s_waitcnt vmcnt(1)
	ds_write_b128 v0, v[6:9]
.LBB53_315:
	s_or_b64 exec, exec, s[0:1]
	s_waitcnt lgkmcnt(0)
	; wave barrier
	scratch_load_dwordx4 v[88:91], off, off offset:208
	scratch_load_dwordx4 v[92:95], off, off offset:224
	;; [unrolled: 1-line block ×17, first 2 shown]
	ds_read_b128 v[212:215], v2 offset:1056
	ds_read_b128 v[204:207], v2 offset:1072
	;; [unrolled: 1-line block ×3, first 2 shown]
	scratch_load_dwordx4 v[20:23], off, off offset:480
	ds_read_b128 v[216:219], v2 offset:1104
	ds_read_b128 v[208:211], v2 offset:1120
	;; [unrolled: 1-line block ×5, first 2 shown]
	scratch_load_dwordx4 v[24:27], off, off offset:496
	ds_read_b128 v[180:183], v2 offset:1184
	ds_read_b128 v[160:163], v2 offset:1200
	;; [unrolled: 1-line block ×3, first 2 shown]
	scratch_load_dwordx4 v[28:31], off, off offset:512
	ds_read_b128 v[172:175], v2 offset:1232
	ds_read_b128 v[148:151], v2 offset:1248
	ds_read_b128 v[44:47], v2 offset:1264
	ds_read_b128 v[40:43], v2 offset:1280
	ds_read_b128 v[32:35], v2 offset:1296
	scratch_load_dwordx4 v[36:39], off, off offset:528
	ds_read_b128 v[48:51], v2 offset:1312
	scratch_load_dwordx4 v[52:55], off, off offset:544
	scratch_load_dwordx4 v[56:59], off, off offset:560
	;; [unrolled: 1-line block ×9, first 2 shown]
	ds_read_b128 v[140:143], v2 offset:1328
	ds_read_b128 v[232:235], v2 offset:1392
	ds_read_b128 v[228:231], v2 offset:1376
	s_waitcnt vmcnt(29) lgkmcnt(14)
	v_mul_f64 v[0:1], v[212:213], v[90:91]
	s_waitcnt vmcnt(28)
	v_mul_f64 v[152:153], v[204:205], v[94:95]
	v_fmac_f64_e32 v[0:1], v[214:215], v[88:89]
	s_waitcnt vmcnt(27)
	v_mul_f64 v[154:155], v[196:197], v[98:99]
	v_fmac_f64_e32 v[152:153], v[206:207], v[92:93]
	v_add_f64 v[0:1], v[0:1], 0
	s_waitcnt vmcnt(26)
	v_mul_f64 v[164:165], v[216:217], v[102:103]
	v_fmac_f64_e32 v[154:155], v[198:199], v[96:97]
	v_add_f64 v[0:1], v[0:1], v[152:153]
	;; [unrolled: 4-line block ×4, first 2 shown]
	s_waitcnt vmcnt(23) lgkmcnt(13)
	v_mul_f64 v[170:171], v[184:185], v[114:115]
	v_fmac_f64_e32 v[168:169], v[202:203], v[108:109]
	v_add_f64 v[0:1], v[0:1], v[166:167]
	s_waitcnt vmcnt(22) lgkmcnt(12)
	v_mul_f64 v[176:177], v[156:157], v[118:119]
	v_fmac_f64_e32 v[170:171], v[186:187], v[112:113]
	v_add_f64 v[0:1], v[0:1], v[168:169]
	;; [unrolled: 4-line block ×10, first 2 shown]
	v_fmac_f64_e32 v[224:225], v[34:35], v[12:13]
	v_add_f64 v[0:1], v[0:1], v[222:223]
	ds_read_b128 v[220:223], v2 offset:1344
	v_add_f64 v[0:1], v[0:1], v[224:225]
	ds_read_b128 v[224:227], v2 offset:1360
	s_waitcnt vmcnt(13) lgkmcnt(5)
	v_mul_f64 v[164:165], v[48:49], v[18:19]
	scratch_load_dwordx4 v[152:155], off, off offset:688
	v_fmac_f64_e32 v[164:165], v[50:51], v[16:17]
	s_waitcnt vmcnt(13) lgkmcnt(4)
	v_mul_f64 v[168:169], v[140:141], v[22:23]
	v_add_f64 v[0:1], v[0:1], v[164:165]
	v_fmac_f64_e32 v[168:169], v[142:143], v[20:21]
	scratch_load_dwordx4 v[164:167], off, off offset:704
	v_add_f64 v[0:1], v[0:1], v[168:169]
	s_waitcnt vmcnt(13) lgkmcnt(1)
	v_mul_f64 v[176:177], v[220:221], v[26:27]
	scratch_load_dwordx4 v[168:171], off, off offset:720
	v_fmac_f64_e32 v[176:177], v[222:223], v[24:25]
	s_waitcnt vmcnt(13) lgkmcnt(0)
	v_mul_f64 v[188:189], v[224:225], v[30:31]
	v_add_f64 v[0:1], v[0:1], v[176:177]
	scratch_load_dwordx4 v[176:179], off, off offset:736
	v_fmac_f64_e32 v[188:189], v[226:227], v[28:29]
	v_add_f64 v[0:1], v[0:1], v[188:189]
	s_waitcnt vmcnt(13)
	v_mul_f64 v[188:189], v[228:229], v[38:39]
	v_fmac_f64_e32 v[188:189], v[230:231], v[36:37]
	v_add_f64 v[0:1], v[0:1], v[188:189]
	scratch_load_dwordx4 v[188:191], off, off offset:752
	s_waitcnt vmcnt(13)
	v_mul_f64 v[192:193], v[232:233], v[54:55]
	v_fmac_f64_e32 v[192:193], v[234:235], v[52:53]
	v_mul_f64 v[90:91], v[214:215], v[90:91]
	v_add_f64 v[0:1], v[0:1], v[192:193]
	scratch_load_dwordx4 v[192:195], off, off offset:768
	v_fma_f64 v[242:243], v[212:213], v[88:89], -v[90:91]
	v_mul_f64 v[88:89], v[206:207], v[94:95]
	ds_read_b128 v[236:239], v2 offset:1408
	ds_read_b128 v[212:215], v2 offset:1424
	v_fma_f64 v[244:245], v[204:205], v[92:93], -v[88:89]
	scratch_load_dwordx4 v[92:95], off, off offset:784
	scratch_load_dwordx4 v[88:91], off, off offset:800
	v_mul_f64 v[98:99], v[198:199], v[98:99]
	v_fma_f64 v[246:247], v[196:197], v[96:97], -v[98:99]
	scratch_load_dwordx4 v[96:99], off, off offset:816
	s_waitcnt vmcnt(16) lgkmcnt(1)
	v_mul_f64 v[204:205], v[236:237], v[58:59]
	v_mul_f64 v[102:103], v[218:219], v[102:103]
	v_fmac_f64_e32 v[204:205], v[238:239], v[56:57]
	v_fma_f64 v[216:217], v[216:217], v[100:101], -v[102:103]
	ds_read_b128 v[100:103], v2 offset:1440
	s_waitcnt vmcnt(15) lgkmcnt(1)
	v_mul_f64 v[196:197], v[212:213], v[62:63]
	v_add_f64 v[0:1], v[0:1], v[204:205]
	v_fmac_f64_e32 v[196:197], v[214:215], v[60:61]
	v_add_f64 v[0:1], v[0:1], v[196:197]
	ds_read_b128 v[196:199], v2 offset:1456
	v_mul_f64 v[106:107], v[210:211], v[106:107]
	v_fma_f64 v[218:219], v[208:209], v[104:105], -v[106:107]
	ds_read_b128 v[104:107], v2 offset:1472
	s_waitcnt vmcnt(14) lgkmcnt(2)
	v_mul_f64 v[204:205], v[100:101], v[66:67]
	v_fmac_f64_e32 v[204:205], v[102:103], v[64:65]
	v_add_f64 v[0:1], v[0:1], v[204:205]
	s_waitcnt vmcnt(13) lgkmcnt(1)
	v_mul_f64 v[204:205], v[196:197], v[70:71]
	v_mul_f64 v[110:111], v[202:203], v[110:111]
	v_fmac_f64_e32 v[204:205], v[198:199], v[68:69]
	v_fma_f64 v[248:249], v[200:201], v[108:109], -v[110:111]
	ds_read_b128 v[108:111], v2 offset:1488
	s_waitcnt vmcnt(12) lgkmcnt(1)
	v_mul_f64 v[200:201], v[104:105], v[74:75]
	v_add_f64 v[0:1], v[0:1], v[204:205]
	v_fmac_f64_e32 v[200:201], v[106:107], v[72:73]
	v_add_f64 v[0:1], v[0:1], v[200:201]
	ds_read_b128 v[200:203], v2 offset:1504
	v_mul_f64 v[114:115], v[186:187], v[114:115]
	v_fma_f64 v[250:251], v[184:185], v[112:113], -v[114:115]
	ds_read_b128 v[112:115], v2 offset:1520
	s_waitcnt vmcnt(11) lgkmcnt(2)
	v_mul_f64 v[184:185], v[108:109], v[78:79]
	v_fmac_f64_e32 v[184:185], v[110:111], v[76:77]
	v_add_f64 v[0:1], v[0:1], v[184:185]
	s_waitcnt vmcnt(10) lgkmcnt(1)
	v_mul_f64 v[184:185], v[200:201], v[82:83]
	v_mul_f64 v[118:119], v[158:159], v[118:119]
	v_fmac_f64_e32 v[184:185], v[202:203], v[80:81]
	v_fma_f64 v[254:255], v[156:157], v[116:117], -v[118:119]
	s_waitcnt vmcnt(9) lgkmcnt(0)
	v_mul_f64 v[156:157], v[112:113], v[86:87]
	v_add_f64 v[0:1], v[0:1], v[184:185]
	ds_read_b128 v[116:119], v2 offset:1536
	v_fmac_f64_e32 v[156:157], v[114:115], v[84:85]
	v_add_f64 v[0:1], v[0:1], v[156:157]
	ds_read_b128 v[156:159], v2 offset:1552
	v_mul_f64 v[122:123], v[182:183], v[122:123]
	v_fma_f64 v[240:241], v[180:181], v[120:121], -v[122:123]
	ds_read_b128 v[120:123], v2 offset:1568
	v_accvgpr_write_b32 a113, v7
	v_mul_f64 v[126:127], v[162:163], v[126:127]
	v_accvgpr_write_b32 a112, v6
	v_accvgpr_write_b32 a111, v5
	;; [unrolled: 1-line block ×3, first 2 shown]
	v_fma_f64 v[4:5], v[160:161], v[124:125], -v[126:127]
	ds_read_b128 v[124:127], v2 offset:1584
	s_waitcnt vmcnt(8) lgkmcnt(3)
	v_mul_f64 v[184:185], v[116:117], v[154:155]
	v_fmac_f64_e32 v[184:185], v[118:119], v[152:153]
	s_waitcnt vmcnt(7) lgkmcnt(2)
	v_mul_f64 v[180:181], v[156:157], v[166:167]
	v_add_f64 v[0:1], v[0:1], v[184:185]
	v_fmac_f64_e32 v[180:181], v[158:159], v[164:165]
	s_waitcnt vmcnt(6) lgkmcnt(1)
	v_mul_f64 v[6:7], v[120:121], v[170:171]
	ds_read_b128 v[160:163], v2 offset:1600
	v_add_f64 v[0:1], v[0:1], v[180:181]
	v_fmac_f64_e32 v[6:7], v[122:123], v[168:169]
	v_add_f64 v[0:1], v[0:1], v[6:7]
	s_waitcnt vmcnt(5) lgkmcnt(1)
	v_mul_f64 v[6:7], v[124:125], v[178:179]
	v_fmac_f64_e32 v[6:7], v[126:127], v[176:177]
	v_add_f64 v[0:1], v[0:1], v[6:7]
	v_mul_f64 v[6:7], v[146:147], v[130:131]
	v_fma_f64 v[6:7], v[144:145], v[128:129], -v[6:7]
	ds_read_b128 v[128:131], v2 offset:1616
	s_waitcnt vmcnt(4) lgkmcnt(1)
	v_mul_f64 v[144:145], v[160:161], v[190:191]
	v_fmac_f64_e32 v[144:145], v[162:163], v[188:189]
	v_add_f64 v[180:181], v[0:1], v[144:145]
	v_mul_f64 v[0:1], v[174:175], v[134:135]
	v_fma_f64 v[0:1], v[172:173], v[132:133], -v[0:1]
	ds_read_b128 v[132:135], v2 offset:1632
	ds_read_b128 v[144:147], v2 offset:1648
	v_mul_f64 v[138:139], v[150:151], v[138:139]
	v_fma_f64 v[252:253], v[148:149], v[136:137], -v[138:139]
	ds_read_b128 v[136:139], v2 offset:1664
	s_waitcnt vmcnt(3) lgkmcnt(3)
	v_mul_f64 v[172:173], v[128:129], v[194:195]
	v_fmac_f64_e32 v[172:173], v[130:131], v[192:193]
	s_waitcnt vmcnt(2) lgkmcnt(2)
	v_mul_f64 v[148:149], v[132:133], v[94:95]
	v_add_f64 v[172:173], v[180:181], v[172:173]
	v_fmac_f64_e32 v[148:149], v[134:135], v[92:93]
	s_waitcnt vmcnt(1) lgkmcnt(1)
	v_mul_f64 v[150:151], v[144:145], v[90:91]
	v_add_f64 v[148:149], v[172:173], v[148:149]
	v_fmac_f64_e32 v[150:151], v[146:147], v[88:89]
	v_add_f64 v[148:149], v[148:149], v[150:151]
	ds_read_b128 v[172:175], v2 offset:1680
	scratch_load_dwordx4 v[208:211], off, off offset:864
	s_waitcnt vmcnt(1) lgkmcnt(1)
	v_mul_f64 v[150:151], v[136:137], v[98:99]
	v_fmac_f64_e32 v[150:151], v[138:139], v[96:97]
	v_add_f64 v[180:181], v[148:149], v[150:151]
	scratch_load_dwordx4 v[148:151], off, off offset:832
	ds_read_b128 v[184:187], v2 offset:1696
	v_accvgpr_write_b32 a115, v1
	v_accvgpr_write_b32 a114, v0
	s_waitcnt vmcnt(0) lgkmcnt(1)
	v_mul_f64 v[182:183], v[172:173], v[150:151]
	v_fmac_f64_e32 v[182:183], v[174:175], v[148:149]
	v_add_f64 v[204:205], v[180:181], v[182:183]
	scratch_load_dwordx4 v[180:183], off, off offset:848
	s_waitcnt vmcnt(0) lgkmcnt(0)
	v_mul_f64 v[206:207], v[184:185], v[182:183]
	v_fmac_f64_e32 v[206:207], v[186:187], v[180:181]
	v_add_f64 v[0:1], v[204:205], v[206:207]
	ds_read_b128 v[204:207], v2 offset:1712
	s_waitcnt lgkmcnt(0)
	v_mul_f64 v[2:3], v[204:205], v[210:211]
	v_fmac_f64_e32 v[2:3], v[206:207], v[208:209]
	v_add_f64 v[2:3], v[0:1], v[2:3]
	v_add_f64 v[0:1], v[242:243], 0
	;; [unrolled: 1-line block ×6, first 2 shown]
	scratch_load_dwordx4 v[216:219], off, off offset:192
	v_add_f64 v[0:1], v[0:1], v[248:249]
	v_add_f64 v[0:1], v[0:1], v[250:251]
	;; [unrolled: 1-line block ×6, first 2 shown]
	v_accvgpr_read_b32 v0, a114
	v_accvgpr_read_b32 v243, a113
	;; [unrolled: 1-line block ×4, first 2 shown]
	v_add_f64 v[0:1], v[254:255], v[0:1]
	v_accvgpr_read_b32 v241, a111
	v_accvgpr_read_b32 v240, a110
	v_mul_f64 v[4:5], v[46:47], v[242:243]
	v_add_f64 v[0:1], v[0:1], v[252:253]
	v_fma_f64 v[4:5], v[44:45], v[240:241], -v[4:5]
	v_add_f64 v[0:1], v[0:1], v[4:5]
	v_mul_f64 v[4:5], v[42:43], v[10:11]
	v_fma_f64 v[4:5], v[40:41], v[8:9], -v[4:5]
	v_add_f64 v[0:1], v[0:1], v[4:5]
	v_mul_f64 v[4:5], v[34:35], v[14:15]
	;; [unrolled: 3-line block ×28, first 2 shown]
	v_fma_f64 v[4:5], v[204:205], v[208:209], -v[4:5]
	v_add_f64 v[0:1], v[0:1], v[4:5]
	s_waitcnt vmcnt(0)
	v_add_f64 v[4:5], v[216:217], -v[0:1]
	v_accvgpr_read_b32 v0, a108
	v_add_f64 v[6:7], v[218:219], -v[2:3]
	v_cmp_lt_u32_e32 vcc, 10, v0
	scratch_store_dwordx4 off, v[4:7], off offset:192
	s_and_saveexec_b64 s[0:1], vcc
	s_cbranch_execz .LBB53_317
; %bb.316:
	scratch_load_dwordx4 v[2:5], off, s41
	v_mov_b32_e32 v6, 0
	v_mov_b32_e32 v7, v6
	;; [unrolled: 1-line block ×4, first 2 shown]
	v_accvgpr_read_b32 v0, a109
	scratch_store_dwordx4 off, v[6:9], off offset:176
	s_waitcnt vmcnt(1)
	ds_write_b128 v0, v[2:5]
.LBB53_317:
	s_or_b64 exec, exec, s[0:1]
	s_waitcnt lgkmcnt(0)
	; wave barrier
	scratch_load_dwordx4 v[96:99], off, off offset:192
	scratch_load_dwordx4 v[100:103], off, off offset:208
	;; [unrolled: 1-line block ×30, first 2 shown]
	v_mov_b32_e32 v2, 0
	ds_read_b128 v[136:139], v2 offset:1040
	ds_read_b128 v[144:147], v2 offset:1056
	;; [unrolled: 1-line block ×20, first 2 shown]
	s_waitcnt vmcnt(29) lgkmcnt(14)
	v_mul_f64 v[0:1], v[136:137], v[98:99]
	s_waitcnt vmcnt(28)
	v_mul_f64 v[72:73], v[144:145], v[102:103]
	v_fmac_f64_e32 v[0:1], v[138:139], v[96:97]
	s_waitcnt vmcnt(27)
	v_mul_f64 v[74:75], v[148:149], v[106:107]
	v_fmac_f64_e32 v[72:73], v[146:147], v[100:101]
	v_add_f64 v[0:1], v[0:1], 0
	s_waitcnt vmcnt(26)
	v_mul_f64 v[76:77], v[164:165], v[110:111]
	v_fmac_f64_e32 v[74:75], v[150:151], v[104:105]
	v_add_f64 v[0:1], v[0:1], v[72:73]
	;; [unrolled: 4-line block ×4, first 2 shown]
	s_waitcnt vmcnt(23) lgkmcnt(13)
	v_mul_f64 v[82:83], v[200:201], v[158:159]
	v_fmac_f64_e32 v[80:81], v[190:191], v[152:153]
	v_add_f64 v[0:1], v[0:1], v[78:79]
	s_waitcnt vmcnt(22) lgkmcnt(12)
	v_mul_f64 v[84:85], v[208:209], v[162:163]
	v_fmac_f64_e32 v[82:83], v[202:203], v[156:157]
	v_add_f64 v[0:1], v[0:1], v[80:81]
	;; [unrolled: 4-line block ×9, first 2 shown]
	s_waitcnt vmcnt(14) lgkmcnt(4)
	v_mul_f64 v[120:121], v[68:69], v[6:7]
	v_fmac_f64_e32 v[118:119], v[254:255], v[204:205]
	v_accvgpr_write_b32 a113, v7
	v_add_f64 v[0:1], v[0:1], v[116:117]
	v_fmac_f64_e32 v[120:121], v[70:71], v[4:5]
	v_accvgpr_write_b32 a112, v6
	v_accvgpr_write_b32 a111, v5
	;; [unrolled: 1-line block ×3, first 2 shown]
	v_add_f64 v[0:1], v[0:1], v[118:119]
	ds_read_b128 v[116:119], v2 offset:1312
	s_waitcnt vmcnt(13)
	v_mov_b64_e32 v[4:5], v[8:9]
	v_mov_b64_e32 v[6:7], v[10:11]
	s_waitcnt lgkmcnt(4)
	v_mul_f64 v[76:77], v[64:65], v[6:7]
	scratch_load_dwordx4 v[72:75], off, off offset:672
	v_add_f64 v[0:1], v[0:1], v[120:121]
	v_fmac_f64_e32 v[76:77], v[66:67], v[4:5]
	v_add_f64 v[0:1], v[0:1], v[76:77]
	scratch_load_dwordx4 v[76:79], off, off offset:688
	ds_read_b128 v[120:123], v2 offset:1328
	s_waitcnt vmcnt(14) lgkmcnt(1)
	v_mul_f64 v[80:81], v[116:117], v[236:237]
	v_fmac_f64_e32 v[80:81], v[118:119], v[234:235]
	v_add_f64 v[0:1], v[0:1], v[80:81]
	scratch_load_dwordx4 v[80:83], off, off offset:704
	s_waitcnt vmcnt(14) lgkmcnt(0)
	v_mul_f64 v[84:85], v[120:121], v[18:19]
	v_fmac_f64_e32 v[84:85], v[122:123], v[16:17]
	s_waitcnt vmcnt(13)
	v_mul_f64 v[88:89], v[124:125], v[22:23]
	v_add_f64 v[0:1], v[0:1], v[84:85]
	v_fmac_f64_e32 v[88:89], v[126:127], v[20:21]
	scratch_load_dwordx4 v[84:87], off, off offset:720
	v_add_f64 v[0:1], v[0:1], v[88:89]
	s_waitcnt vmcnt(13)
	v_mul_f64 v[88:89], v[128:129], v[26:27]
	v_fmac_f64_e32 v[88:89], v[130:131], v[24:25]
	v_add_f64 v[0:1], v[0:1], v[88:89]
	scratch_load_dwordx4 v[88:91], off, off offset:736
	s_waitcnt vmcnt(13)
	v_mul_f64 v[92:93], v[132:133], v[30:31]
	v_fmac_f64_e32 v[92:93], v[134:135], v[28:29]
	v_add_f64 v[0:1], v[0:1], v[92:93]
	scratch_load_dwordx4 v[92:95], off, off offset:752
	v_mul_f64 v[98:99], v[138:139], v[98:99]
	v_fma_f64 v[242:243], v[136:137], v[96:97], -v[98:99]
	v_mul_f64 v[96:97], v[146:147], v[102:103]
	ds_read_b128 v[140:143], v2 offset:1392
	ds_read_b128 v[136:139], v2 offset:1408
	v_fma_f64 v[244:245], v[144:145], v[100:101], -v[96:97]
	scratch_load_dwordx4 v[100:103], off, off offset:768
	scratch_load_dwordx4 v[96:99], off, off offset:784
	s_waitcnt vmcnt(15) lgkmcnt(1)
	v_mul_f64 v[144:145], v[140:141], v[34:35]
	v_fmac_f64_e32 v[144:145], v[142:143], v[32:33]
	v_mul_f64 v[106:107], v[150:151], v[106:107]
	v_add_f64 v[0:1], v[0:1], v[144:145]
	s_waitcnt vmcnt(14) lgkmcnt(0)
	v_mul_f64 v[144:145], v[136:137], v[38:39]
	v_fma_f64 v[246:247], v[148:149], v[104:105], -v[106:107]
	v_mul_f64 v[104:105], v[166:167], v[110:111]
	v_fmac_f64_e32 v[144:145], v[138:139], v[36:37]
	v_fma_f64 v[248:249], v[164:165], v[108:109], -v[104:105]
	scratch_load_dwordx4 v[104:107], off, off offset:800
	v_add_f64 v[0:1], v[0:1], v[144:145]
	ds_read_b128 v[144:147], v2 offset:1424
	ds_read_b128 v[148:151], v2 offset:1440
	v_mul_f64 v[108:109], v[178:179], v[114:115]
	v_fma_f64 v[250:251], v[176:177], v[112:113], -v[108:109]
	scratch_load_dwordx4 v[108:111], off, off offset:816
	s_waitcnt vmcnt(15) lgkmcnt(1)
	v_mul_f64 v[112:113], v[144:145], v[42:43]
	v_fmac_f64_e32 v[112:113], v[146:147], v[40:41]
	v_add_f64 v[0:1], v[0:1], v[112:113]
	v_mul_f64 v[112:113], v[190:191], v[154:155]
	v_fma_f64 v[232:233], v[188:189], v[152:153], -v[112:113]
	scratch_load_dwordx4 v[112:115], off, off offset:832
	ds_read_b128 v[152:155], v2 offset:1456
	s_waitcnt vmcnt(15) lgkmcnt(1)
	v_mul_f64 v[164:165], v[148:149], v[46:47]
	v_mul_f64 v[158:159], v[202:203], v[158:159]
	v_fmac_f64_e32 v[164:165], v[150:151], v[44:45]
	v_fma_f64 v[12:13], v[200:201], v[156:157], -v[158:159]
	ds_read_b128 v[156:159], v2 offset:1472
	s_waitcnt vmcnt(14) lgkmcnt(1)
	v_mul_f64 v[6:7], v[152:153], v[50:51]
	v_add_f64 v[0:1], v[0:1], v[164:165]
	v_fmac_f64_e32 v[6:7], v[154:155], v[48:49]
	v_accvgpr_write_b32 a117, v11
	v_add_f64 v[0:1], v[0:1], v[6:7]
	v_mul_f64 v[6:7], v[210:211], v[162:163]
	v_accvgpr_write_b32 a116, v10
	v_accvgpr_write_b32 a115, v9
	;; [unrolled: 1-line block ×3, first 2 shown]
	v_fma_f64 v[8:9], v[208:209], v[160:161], -v[6:7]
	ds_read_b128 v[160:163], v2 offset:1488
	ds_read_b128 v[164:167], v2 offset:1504
	s_waitcnt vmcnt(13) lgkmcnt(2)
	v_mul_f64 v[6:7], v[156:157], v[54:55]
	v_fmac_f64_e32 v[6:7], v[158:159], v[52:53]
	v_add_f64 v[0:1], v[0:1], v[6:7]
	s_waitcnt vmcnt(12) lgkmcnt(1)
	v_mul_f64 v[6:7], v[160:161], v[62:63]
	v_fmac_f64_e32 v[6:7], v[162:163], v[60:61]
	v_add_f64 v[0:1], v[0:1], v[6:7]
	v_mul_f64 v[6:7], v[214:215], v[170:171]
	v_fma_f64 v[10:11], v[212:213], v[168:169], -v[6:7]
	s_waitcnt vmcnt(11) lgkmcnt(0)
	v_mul_f64 v[6:7], v[164:165], v[58:59]
	v_fmac_f64_e32 v[6:7], v[166:167], v[56:57]
	ds_read_b128 v[168:171], v2 offset:1520
	v_add_f64 v[0:1], v[0:1], v[6:7]
	v_mul_f64 v[6:7], v[218:219], v[174:175]
	v_fma_f64 v[4:5], v[216:217], v[172:173], -v[6:7]
	ds_read_b128 v[172:175], v2 offset:1536
	s_waitcnt vmcnt(10) lgkmcnt(1)
	v_mul_f64 v[6:7], v[168:169], v[74:75]
	ds_read_b128 v[176:179], v2 offset:1552
	v_fmac_f64_e32 v[6:7], v[170:171], v[72:73]
	v_add_f64 v[0:1], v[0:1], v[6:7]
	s_waitcnt vmcnt(9) lgkmcnt(1)
	v_mul_f64 v[6:7], v[172:173], v[78:79]
	v_fmac_f64_e32 v[6:7], v[174:175], v[76:77]
	v_add_f64 v[0:1], v[0:1], v[6:7]
	v_mul_f64 v[6:7], v[222:223], v[182:183]
	v_fma_f64 v[14:15], v[220:221], v[180:181], -v[6:7]
	ds_read_b128 v[180:183], v2 offset:1568
	s_waitcnt vmcnt(8) lgkmcnt(1)
	v_mul_f64 v[6:7], v[176:177], v[82:83]
	v_fmac_f64_e32 v[6:7], v[178:179], v[80:81]
	v_add_f64 v[0:1], v[0:1], v[6:7]
	v_mul_f64 v[6:7], v[226:227], v[186:187]
	v_fma_f64 v[6:7], v[224:225], v[184:185], -v[6:7]
	ds_read_b128 v[184:187], v2 offset:1584
	s_waitcnt vmcnt(7) lgkmcnt(1)
	v_mul_f64 v[188:189], v[180:181], v[86:87]
	v_fmac_f64_e32 v[188:189], v[182:183], v[84:85]
	v_add_f64 v[0:1], v[0:1], v[188:189]
	ds_read_b128 v[188:191], v2 offset:1600
	s_waitcnt vmcnt(6) lgkmcnt(1)
	v_mul_f64 v[200:201], v[184:185], v[90:91]
	v_fmac_f64_e32 v[200:201], v[186:187], v[88:89]
	v_add_f64 v[200:201], v[0:1], v[200:201]
	v_mul_f64 v[0:1], v[230:231], v[194:195]
	v_fma_f64 v[0:1], v[228:229], v[192:193], -v[0:1]
	ds_read_b128 v[192:195], v2 offset:1616
	s_waitcnt vmcnt(5) lgkmcnt(1)
	v_mul_f64 v[202:203], v[188:189], v[94:95]
	v_fmac_f64_e32 v[202:203], v[190:191], v[92:93]
	v_mul_f64 v[198:199], v[240:241], v[198:199]
	v_fma_f64 v[238:239], v[238:239], v[196:197], -v[198:199]
	ds_read_b128 v[196:199], v2 offset:1632
	v_add_f64 v[200:201], v[200:201], v[202:203]
	s_waitcnt vmcnt(4) lgkmcnt(1)
	v_mul_f64 v[202:203], v[192:193], v[102:103]
	v_fmac_f64_e32 v[202:203], v[194:195], v[100:101]
	v_add_f64 v[208:209], v[200:201], v[202:203]
	ds_read_b128 v[200:203], v2 offset:1648
	v_mul_f64 v[206:207], v[254:255], v[206:207]
	v_fma_f64 v[240:241], v[252:253], v[204:205], -v[206:207]
	ds_read_b128 v[204:207], v2 offset:1664
	s_waitcnt vmcnt(3) lgkmcnt(2)
	v_mul_f64 v[210:211], v[196:197], v[98:99]
	v_fmac_f64_e32 v[210:211], v[198:199], v[96:97]
	v_add_f64 v[208:209], v[208:209], v[210:211]
	s_waitcnt vmcnt(2) lgkmcnt(1)
	v_mul_f64 v[210:211], v[200:201], v[106:107]
	v_fmac_f64_e32 v[210:211], v[202:203], v[104:105]
	v_add_f64 v[208:209], v[208:209], v[210:211]
	;; [unrolled: 4-line block ×3, first 2 shown]
	ds_read_b128 v[208:211], v2 offset:1680
	ds_read_b128 v[216:219], v2 offset:1696
	ds_read_b128 v[224:227], v2 offset:1712
	s_waitcnt vmcnt(0) lgkmcnt(2)
	v_mul_f64 v[214:215], v[208:209], v[114:115]
	v_fmac_f64_e32 v[214:215], v[210:211], v[112:113]
	v_add_f64 v[220:221], v[212:213], v[214:215]
	scratch_load_dwordx4 v[212:215], off, off offset:848
	s_waitcnt vmcnt(0) lgkmcnt(1)
	v_mul_f64 v[222:223], v[216:217], v[214:215]
	v_fmac_f64_e32 v[222:223], v[218:219], v[212:213]
	v_add_f64 v[228:229], v[220:221], v[222:223]
	scratch_load_dwordx4 v[220:223], off, off offset:864
	s_waitcnt vmcnt(0) lgkmcnt(0)
	v_mul_f64 v[230:231], v[224:225], v[222:223]
	v_fmac_f64_e32 v[230:231], v[226:227], v[220:221]
	v_add_f64 v[254:255], v[228:229], v[230:231]
	v_add_f64 v[228:229], v[242:243], 0
	;; [unrolled: 1-line block ×8, first 2 shown]
	scratch_load_dwordx4 v[228:231], off, off offset:176
	v_add_f64 v[8:9], v[12:13], v[8:9]
	v_add_f64 v[8:9], v[8:9], v[10:11]
	;; [unrolled: 1-line block ×5, first 2 shown]
	v_accvgpr_read_b32 v6, a110
	v_accvgpr_read_b32 v8, a112
	;; [unrolled: 1-line block ×3, first 2 shown]
	v_add_f64 v[0:1], v[4:5], v[0:1]
	v_accvgpr_read_b32 v7, a111
	v_mul_f64 v[4:5], v[70:71], v[8:9]
	v_add_f64 v[0:1], v[0:1], v[238:239]
	v_fma_f64 v[4:5], v[68:69], v[6:7], -v[4:5]
	v_accvgpr_read_b32 v6, a114
	v_add_f64 v[0:1], v[0:1], v[240:241]
	v_accvgpr_read_b32 v8, a116
	v_accvgpr_read_b32 v9, a117
	v_add_f64 v[0:1], v[0:1], v[4:5]
	v_accvgpr_read_b32 v7, a115
	v_mul_f64 v[4:5], v[66:67], v[8:9]
	v_fma_f64 v[4:5], v[64:65], v[6:7], -v[4:5]
	v_add_f64 v[0:1], v[0:1], v[4:5]
	v_mul_f64 v[4:5], v[118:119], v[236:237]
	v_fma_f64 v[4:5], v[116:117], v[234:235], -v[4:5]
	v_add_f64 v[0:1], v[0:1], v[4:5]
	;; [unrolled: 3-line block ×27, first 2 shown]
	s_waitcnt vmcnt(0)
	v_add_f64 v[4:5], v[228:229], -v[0:1]
	v_accvgpr_read_b32 v0, a108
	v_add_f64 v[6:7], v[230:231], -v[254:255]
	v_cmp_lt_u32_e32 vcc, 9, v0
	scratch_store_dwordx4 off, v[4:7], off offset:176
	s_and_saveexec_b64 s[0:1], vcc
	s_cbranch_execz .LBB53_319
; %bb.318:
	scratch_load_dwordx4 v[6:9], off, s40
	v_mov_b32_e32 v3, v2
	v_mov_b32_e32 v4, v2
	;; [unrolled: 1-line block ×3, first 2 shown]
	v_accvgpr_read_b32 v0, a109
	scratch_store_dwordx4 off, v[2:5], off offset:160
	s_waitcnt vmcnt(1)
	ds_write_b128 v0, v[6:9]
.LBB53_319:
	s_or_b64 exec, exec, s[0:1]
	s_waitcnt lgkmcnt(0)
	; wave barrier
	scratch_load_dwordx4 v[72:75], off, off offset:176
	scratch_load_dwordx4 v[76:79], off, off offset:192
	scratch_load_dwordx4 v[80:83], off, off offset:208
	scratch_load_dwordx4 v[84:87], off, off offset:224
	scratch_load_dwordx4 v[88:91], off, off offset:240
	scratch_load_dwordx4 v[92:95], off, off offset:256
	scratch_load_dwordx4 v[96:99], off, off offset:272
	scratch_load_dwordx4 v[100:103], off, off offset:288
	scratch_load_dwordx4 v[104:107], off, off offset:304
	scratch_load_dwordx4 v[108:111], off, off offset:320
	scratch_load_dwordx4 v[112:115], off, off offset:336
	scratch_load_dwordx4 v[116:119], off, off offset:352
	scratch_load_dwordx4 v[120:123], off, off offset:368
	scratch_load_dwordx4 v[124:127], off, off offset:384
	scratch_load_dwordx4 v[128:131], off, off offset:400
	scratch_load_dwordx4 v[4:7], off, off offset:416
	scratch_load_dwordx4 v[24:27], off, off offset:432
	ds_read_b128 v[176:179], v2 offset:1024
	ds_read_b128 v[192:195], v2 offset:1040
	;; [unrolled: 1-line block ×3, first 2 shown]
	scratch_load_dwordx4 v[20:23], off, off offset:448
	ds_read_b128 v[236:239], v2 offset:1072
	ds_read_b128 v[232:235], v2 offset:1088
	;; [unrolled: 1-line block ×5, first 2 shown]
	scratch_load_dwordx4 v[168:171], off, off offset:464
	ds_read_b128 v[224:227], v2 offset:1152
	ds_read_b128 v[212:215], v2 offset:1168
	;; [unrolled: 1-line block ×3, first 2 shown]
	scratch_load_dwordx4 v[12:15], off, off offset:480
	ds_read_b128 v[216:219], v2 offset:1200
	ds_read_b128 v[204:207], v2 offset:1216
	;; [unrolled: 1-line block ×5, first 2 shown]
	scratch_load_dwordx4 v[28:31], off, off offset:496
	ds_read_b128 v[32:35], v2 offset:1280
	scratch_load_dwordx4 v[36:39], off, off offset:512
	scratch_load_dwordx4 v[40:43], off, off offset:528
	;; [unrolled: 1-line block ×9, first 2 shown]
	ds_read_b128 v[132:135], v2 offset:1296
	s_waitcnt lgkmcnt(2)
	v_accvgpr_write_b32 a117, v19
	v_accvgpr_write_b32 a116, v18
	;; [unrolled: 1-line block ×4, first 2 shown]
	ds_read_b128 v[172:175], v2 offset:1360
	s_waitcnt vmcnt(29)
	v_mul_f64 v[0:1], v[176:177], v[74:75]
	s_waitcnt vmcnt(28)
	v_mul_f64 v[136:137], v[192:193], v[78:79]
	v_fmac_f64_e32 v[0:1], v[178:179], v[72:73]
	s_waitcnt vmcnt(27)
	v_mul_f64 v[138:139], v[188:189], v[82:83]
	v_fmac_f64_e32 v[136:137], v[194:195], v[76:77]
	v_add_f64 v[0:1], v[0:1], 0
	s_waitcnt vmcnt(26)
	v_mul_f64 v[140:141], v[236:237], v[86:87]
	v_fmac_f64_e32 v[138:139], v[190:191], v[80:81]
	v_add_f64 v[0:1], v[0:1], v[136:137]
	;; [unrolled: 4-line block ×14, first 2 shown]
	v_fmac_f64_e32 v[164:165], v[18:19], v[4:5]
	v_add_f64 v[0:1], v[0:1], v[162:163]
	s_waitcnt vmcnt(13) lgkmcnt(2)
	v_mul_f64 v[140:141], v[32:33], v[26:27]
	scratch_load_dwordx4 v[136:139], off, off offset:656
	v_add_f64 v[0:1], v[0:1], v[164:165]
	v_fmac_f64_e32 v[140:141], v[34:35], v[24:25]
	v_add_f64 v[0:1], v[0:1], v[140:141]
	ds_read_b128 v[160:163], v2 offset:1312
	scratch_load_dwordx4 v[140:143], off, off offset:672
	ds_read_b128 v[164:167], v2 offset:1328
	s_waitcnt vmcnt(13)
	v_mov_b64_e32 v[16:17], v[168:169]
	v_mov_b64_e32 v[18:19], v[170:171]
	ds_read_b128 v[168:171], v2 offset:1344
	s_waitcnt lgkmcnt(4)
	v_mul_f64 v[144:145], v[132:133], v[22:23]
	v_fmac_f64_e32 v[144:145], v[134:135], v[20:21]
	s_waitcnt lgkmcnt(2)
	v_mul_f64 v[148:149], v[160:161], v[18:19]
	v_add_f64 v[0:1], v[0:1], v[144:145]
	v_fmac_f64_e32 v[148:149], v[162:163], v[16:17]
	s_waitcnt vmcnt(12) lgkmcnt(1)
	v_mul_f64 v[152:153], v[164:165], v[14:15]
	scratch_load_dwordx4 v[144:147], off, off offset:688
	v_add_f64 v[0:1], v[0:1], v[148:149]
	v_fmac_f64_e32 v[152:153], v[166:167], v[12:13]
	scratch_load_dwordx4 v[148:151], off, off offset:704
	v_add_f64 v[0:1], v[0:1], v[152:153]
	s_waitcnt vmcnt(13) lgkmcnt(0)
	v_mul_f64 v[152:153], v[168:169], v[30:31]
	v_fmac_f64_e32 v[152:153], v[170:171], v[28:29]
	v_add_f64 v[0:1], v[0:1], v[152:153]
	scratch_load_dwordx4 v[152:155], off, off offset:720
	s_waitcnt vmcnt(13)
	v_mul_f64 v[156:157], v[172:173], v[38:39]
	v_fmac_f64_e32 v[156:157], v[174:175], v[36:37]
	v_mul_f64 v[74:75], v[178:179], v[74:75]
	v_add_f64 v[0:1], v[0:1], v[156:157]
	scratch_load_dwordx4 v[156:159], off, off offset:736
	v_fma_f64 v[242:243], v[176:177], v[72:73], -v[74:75]
	v_mul_f64 v[72:73], v[194:195], v[78:79]
	ds_read_b128 v[180:183], v2 offset:1376
	ds_read_b128 v[176:179], v2 offset:1392
	v_fma_f64 v[244:245], v[192:193], v[76:77], -v[72:73]
	scratch_load_dwordx4 v[76:79], off, off offset:752
	scratch_load_dwordx4 v[72:75], off, off offset:768
	v_mul_f64 v[82:83], v[190:191], v[82:83]
	v_fma_f64 v[246:247], v[188:189], v[80:81], -v[82:83]
	v_mul_f64 v[80:81], v[238:239], v[86:87]
	v_fma_f64 v[236:237], v[236:237], v[84:85], -v[80:81]
	scratch_load_dwordx4 v[80:83], off, off offset:784
	ds_read_b128 v[188:191], v2 offset:1408
	v_mul_f64 v[84:85], v[234:235], v[90:91]
	s_waitcnt vmcnt(16) lgkmcnt(2)
	v_mul_f64 v[192:193], v[180:181], v[42:43]
	v_fma_f64 v[238:239], v[232:233], v[88:89], -v[84:85]
	scratch_load_dwordx4 v[84:87], off, off offset:800
	v_fmac_f64_e32 v[192:193], v[182:183], v[40:41]
	v_add_f64 v[0:1], v[0:1], v[192:193]
	s_waitcnt vmcnt(16) lgkmcnt(1)
	v_mul_f64 v[192:193], v[176:177], v[46:47]
	v_fmac_f64_e32 v[192:193], v[178:179], v[44:45]
	v_add_f64 v[0:1], v[0:1], v[192:193]
	ds_read_b128 v[192:195], v2 offset:1424
	s_waitcnt vmcnt(15) lgkmcnt(1)
	v_mul_f64 v[88:89], v[188:189], v[50:51]
	v_fmac_f64_e32 v[88:89], v[190:191], v[48:49]
	v_add_f64 v[0:1], v[0:1], v[88:89]
	v_mul_f64 v[88:89], v[230:231], v[94:95]
	v_fma_f64 v[248:249], v[228:229], v[92:93], -v[88:89]
	scratch_load_dwordx4 v[88:91], off, off offset:816
	scratch_load_dwordx4 v[232:235], off, off offset:864
	ds_read_b128 v[92:95], v2 offset:1440
	v_mul_f64 v[98:99], v[222:223], v[98:99]
	v_fma_f64 v[250:251], v[220:221], v[96:97], -v[98:99]
	ds_read_b128 v[96:99], v2 offset:1456
	v_mul_f64 v[102:103], v[210:211], v[102:103]
	s_waitcnt vmcnt(16) lgkmcnt(2)
	v_mul_f64 v[228:229], v[192:193], v[54:55]
	v_fma_f64 v[254:255], v[208:209], v[100:101], -v[102:103]
	ds_read_b128 v[100:103], v2 offset:1472
	ds_read_b128 v[208:211], v2 offset:1488
	v_fmac_f64_e32 v[228:229], v[194:195], v[52:53]
	s_waitcnt vmcnt(15) lgkmcnt(3)
	v_mul_f64 v[220:221], v[92:93], v[58:59]
	v_add_f64 v[0:1], v[0:1], v[228:229]
	v_fmac_f64_e32 v[220:221], v[94:95], v[56:57]
	v_mul_f64 v[106:107], v[226:227], v[106:107]
	v_add_f64 v[0:1], v[0:1], v[220:221]
	s_waitcnt vmcnt(14) lgkmcnt(2)
	v_mul_f64 v[220:221], v[96:97], v[62:63]
	v_fma_f64 v[240:241], v[224:225], v[104:105], -v[106:107]
	ds_read_b128 v[104:107], v2 offset:1504
	v_fmac_f64_e32 v[220:221], v[98:99], v[60:61]
	v_mul_f64 v[110:111], v[214:215], v[110:111]
	v_add_f64 v[0:1], v[0:1], v[220:221]
	s_waitcnt vmcnt(13) lgkmcnt(2)
	v_mul_f64 v[220:221], v[100:101], v[70:71]
	v_fma_f64 v[8:9], v[212:213], v[108:109], -v[110:111]
	ds_read_b128 v[108:111], v2 offset:1520
	v_fmac_f64_e32 v[220:221], v[102:103], v[68:69]
	v_accvgpr_write_b32 a113, v7
	v_add_f64 v[0:1], v[0:1], v[220:221]
	s_waitcnt vmcnt(12) lgkmcnt(2)
	v_mul_f64 v[220:221], v[208:209], v[66:67]
	v_accvgpr_write_b32 a112, v6
	v_accvgpr_write_b32 a111, v5
	;; [unrolled: 1-line block ×3, first 2 shown]
	v_fmac_f64_e32 v[220:221], v[210:211], v[64:65]
	s_waitcnt vmcnt(11) lgkmcnt(1)
	v_mul_f64 v[6:7], v[104:105], v[138:139]
	v_add_f64 v[0:1], v[0:1], v[220:221]
	v_fmac_f64_e32 v[6:7], v[106:107], v[136:137]
	v_add_f64 v[0:1], v[0:1], v[6:7]
	s_waitcnt vmcnt(10) lgkmcnt(0)
	v_mul_f64 v[6:7], v[108:109], v[142:143]
	v_fmac_f64_e32 v[6:7], v[110:111], v[140:141]
	ds_read_b128 v[212:215], v2 offset:1536
	v_add_f64 v[0:1], v[0:1], v[6:7]
	v_mul_f64 v[6:7], v[202:203], v[114:115]
	v_fma_f64 v[6:7], v[200:201], v[112:113], -v[6:7]
	ds_read_b128 v[112:115], v2 offset:1552
	v_mul_f64 v[118:119], v[218:219], v[118:119]
	v_fma_f64 v[4:5], v[216:217], v[116:117], -v[118:119]
	ds_read_b128 v[116:119], v2 offset:1568
	s_waitcnt vmcnt(9) lgkmcnt(2)
	v_mul_f64 v[200:201], v[212:213], v[146:147]
	v_fmac_f64_e32 v[200:201], v[214:215], v[144:145]
	s_waitcnt vmcnt(8) lgkmcnt(1)
	v_mul_f64 v[10:11], v[112:113], v[150:151]
	v_add_f64 v[0:1], v[0:1], v[200:201]
	v_fmac_f64_e32 v[10:11], v[114:115], v[148:149]
	v_add_f64 v[0:1], v[0:1], v[10:11]
	ds_read_b128 v[200:203], v2 offset:1584
	s_waitcnt vmcnt(7) lgkmcnt(1)
	v_mul_f64 v[10:11], v[116:117], v[154:155]
	v_fmac_f64_e32 v[10:11], v[118:119], v[152:153]
	v_add_f64 v[10:11], v[0:1], v[10:11]
	v_mul_f64 v[0:1], v[206:207], v[122:123]
	v_fma_f64 v[0:1], v[204:205], v[120:121], -v[0:1]
	ds_read_b128 v[120:123], v2 offset:1600
	v_mul_f64 v[126:127], v[198:199], v[126:127]
	v_fma_f64 v[124:125], v[196:197], v[124:125], -v[126:127]
	s_waitcnt vmcnt(6) lgkmcnt(1)
	v_mul_f64 v[204:205], v[200:201], v[158:159]
	v_accvgpr_write_b32 a118, v124
	v_fmac_f64_e32 v[204:205], v[202:203], v[156:157]
	v_accvgpr_write_b32 a119, v125
	ds_read_b128 v[124:127], v2 offset:1616
	s_waitcnt vmcnt(5) lgkmcnt(1)
	v_mul_f64 v[196:197], v[120:121], v[78:79]
	v_add_f64 v[10:11], v[10:11], v[204:205]
	v_fmac_f64_e32 v[196:197], v[122:123], v[76:77]
	v_add_f64 v[10:11], v[10:11], v[196:197]
	ds_read_b128 v[196:199], v2 offset:1632
	v_mul_f64 v[130:131], v[186:187], v[130:131]
	v_fma_f64 v[252:253], v[184:185], v[128:129], -v[130:131]
	ds_read_b128 v[128:131], v2 offset:1648
	s_waitcnt vmcnt(4) lgkmcnt(2)
	v_mul_f64 v[184:185], v[124:125], v[74:75]
	v_fmac_f64_e32 v[184:185], v[126:127], v[72:73]
	v_add_f64 v[10:11], v[10:11], v[184:185]
	s_waitcnt vmcnt(3) lgkmcnt(1)
	v_mul_f64 v[184:185], v[196:197], v[82:83]
	v_fmac_f64_e32 v[184:185], v[198:199], v[80:81]
	v_add_f64 v[10:11], v[10:11], v[184:185]
	;; [unrolled: 4-line block ×3, first 2 shown]
	ds_read_b128 v[184:187], v2 offset:1664
	ds_read_b128 v[216:219], v2 offset:1680
	;; [unrolled: 1-line block ×3, first 2 shown]
	s_waitcnt vmcnt(1) lgkmcnt(2)
	v_mul_f64 v[204:205], v[184:185], v[90:91]
	v_fmac_f64_e32 v[204:205], v[186:187], v[88:89]
	v_add_f64 v[10:11], v[10:11], v[204:205]
	scratch_load_dwordx4 v[204:207], off, off offset:832
	s_waitcnt vmcnt(0) lgkmcnt(1)
	v_mul_f64 v[220:221], v[216:217], v[206:207]
	v_fmac_f64_e32 v[220:221], v[218:219], v[204:205]
	v_add_f64 v[10:11], v[10:11], v[220:221]
	scratch_load_dwordx4 v[220:223], off, off offset:848
	s_waitcnt vmcnt(0) lgkmcnt(0)
	v_mul_f64 v[228:229], v[224:225], v[222:223]
	v_fmac_f64_e32 v[228:229], v[226:227], v[220:221]
	v_add_f64 v[10:11], v[10:11], v[228:229]
	ds_read_b128 v[228:231], v2 offset:1712
	s_waitcnt lgkmcnt(0)
	v_mul_f64 v[2:3], v[228:229], v[234:235]
	v_fmac_f64_e32 v[2:3], v[230:231], v[232:233]
	v_add_f64 v[2:3], v[10:11], v[2:3]
	v_add_f64 v[10:11], v[242:243], 0
	;; [unrolled: 1-line block ×6, first 2 shown]
	scratch_load_dwordx4 v[236:239], off, off offset:160
	v_add_f64 v[10:11], v[10:11], v[248:249]
	v_add_f64 v[10:11], v[10:11], v[250:251]
	;; [unrolled: 1-line block ×8, first 2 shown]
	v_accvgpr_read_b32 v0, a118
	v_accvgpr_read_b32 v6, a110
	;; [unrolled: 1-line block ×7, first 2 shown]
	v_add_f64 v[0:1], v[254:255], v[0:1]
	v_accvgpr_read_b32 v7, a111
	v_accvgpr_read_b32 v241, a115
	;; [unrolled: 1-line block ×3, first 2 shown]
	v_mul_f64 v[4:5], v[242:243], v[8:9]
	v_add_f64 v[0:1], v[0:1], v[252:253]
	v_fma_f64 v[4:5], v[240:241], v[6:7], -v[4:5]
	v_add_f64 v[0:1], v[0:1], v[4:5]
	v_mul_f64 v[4:5], v[34:35], v[26:27]
	v_fma_f64 v[4:5], v[32:33], v[24:25], -v[4:5]
	v_add_f64 v[0:1], v[0:1], v[4:5]
	v_mul_f64 v[4:5], v[134:135], v[22:23]
	;; [unrolled: 3-line block ×28, first 2 shown]
	v_fma_f64 v[4:5], v[228:229], v[232:233], -v[4:5]
	v_add_f64 v[0:1], v[0:1], v[4:5]
	s_waitcnt vmcnt(0)
	v_add_f64 v[4:5], v[236:237], -v[0:1]
	v_accvgpr_read_b32 v0, a108
	v_add_f64 v[6:7], v[238:239], -v[2:3]
	v_cmp_lt_u32_e32 vcc, 8, v0
	scratch_store_dwordx4 off, v[4:7], off offset:160
	s_and_saveexec_b64 s[0:1], vcc
	s_cbranch_execz .LBB53_321
; %bb.320:
	scratch_load_dwordx4 v[2:5], off, s39
	v_mov_b32_e32 v6, 0
	v_mov_b32_e32 v7, v6
	;; [unrolled: 1-line block ×4, first 2 shown]
	v_accvgpr_read_b32 v0, a109
	scratch_store_dwordx4 off, v[6:9], off offset:144
	s_waitcnt vmcnt(1)
	ds_write_b128 v0, v[2:5]
.LBB53_321:
	s_or_b64 exec, exec, s[0:1]
	s_waitcnt lgkmcnt(0)
	; wave barrier
	scratch_load_dwordx4 v[80:83], off, off offset:160
	scratch_load_dwordx4 v[84:87], off, off offset:176
	;; [unrolled: 1-line block ×29, first 2 shown]
	v_mov_b32_e32 v2, 0
	ds_read_b128 v[132:135], v2 offset:1008
	ds_read_b128 v[136:139], v2 offset:1024
	;; [unrolled: 1-line block ×22, first 2 shown]
	s_waitcnt vmcnt(28) lgkmcnt(14)
	v_mul_f64 v[0:1], v[132:133], v[82:83]
	s_waitcnt vmcnt(27)
	v_mul_f64 v[56:57], v[136:137], v[86:87]
	v_fmac_f64_e32 v[0:1], v[134:135], v[80:81]
	s_waitcnt vmcnt(26)
	v_mul_f64 v[58:59], v[140:141], v[90:91]
	v_fmac_f64_e32 v[56:57], v[138:139], v[84:85]
	v_add_f64 v[0:1], v[0:1], 0
	s_waitcnt vmcnt(25)
	v_mul_f64 v[60:61], v[148:149], v[94:95]
	v_fmac_f64_e32 v[58:59], v[142:143], v[88:89]
	v_add_f64 v[0:1], v[0:1], v[56:57]
	;; [unrolled: 4-line block ×6, first 2 shown]
	s_waitcnt vmcnt(20) lgkmcnt(13)
	v_mul_f64 v[70:71], v[204:205], v[154:155]
	v_fmac_f64_e32 v[68:69], v[198:199], v[144:145]
	v_add_f64 v[0:1], v[0:1], v[66:67]
	s_waitcnt vmcnt(19) lgkmcnt(12)
	v_mul_f64 v[72:73], v[208:209], v[158:159]
	v_fmac_f64_e32 v[70:71], v[206:207], v[152:153]
	v_add_f64 v[0:1], v[0:1], v[68:69]
	s_waitcnt vmcnt(18) lgkmcnt(11)
	v_mul_f64 v[74:75], v[212:213], v[166:167]
	v_fmac_f64_e32 v[72:73], v[210:211], v[156:157]
	v_add_f64 v[0:1], v[0:1], v[70:71]
	s_waitcnt vmcnt(17) lgkmcnt(10)
	v_mul_f64 v[76:77], v[216:217], v[170:171]
	v_fmac_f64_e32 v[74:75], v[214:215], v[164:165]
	v_add_f64 v[0:1], v[0:1], v[72:73]
	s_waitcnt vmcnt(16) lgkmcnt(9)
	v_mul_f64 v[78:79], v[220:221], v[178:179]
	v_fmac_f64_e32 v[76:77], v[218:219], v[168:169]
	v_add_f64 v[0:1], v[0:1], v[74:75]
	s_waitcnt vmcnt(15) lgkmcnt(8)
	v_mul_f64 v[108:109], v[224:225], v[182:183]
	v_fmac_f64_e32 v[78:79], v[222:223], v[176:177]
	v_add_f64 v[0:1], v[0:1], v[76:77]
	s_waitcnt vmcnt(14) lgkmcnt(7)
	v_mul_f64 v[110:111], v[228:229], v[190:191]
	v_fmac_f64_e32 v[108:109], v[226:227], v[180:181]
	v_add_f64 v[0:1], v[0:1], v[78:79]
	s_waitcnt vmcnt(13) lgkmcnt(6)
	v_mul_f64 v[112:113], v[238:239], v[194:195]
	v_fmac_f64_e32 v[110:111], v[230:231], v[188:189]
	v_add_f64 v[0:1], v[0:1], v[108:109]
	v_fmac_f64_e32 v[112:113], v[240:241], v[192:193]
	v_add_f64 v[0:1], v[0:1], v[110:111]
	s_waitcnt vmcnt(12) lgkmcnt(5)
	v_mul_f64 v[60:61], v[252:253], v[202:203]
	scratch_load_dwordx4 v[56:59], off, off offset:624
	ds_read_b128 v[108:111], v2 offset:1296
	v_add_f64 v[0:1], v[0:1], v[112:113]
	v_fmac_f64_e32 v[60:61], v[254:255], v[200:201]
	v_add_f64 v[0:1], v[0:1], v[60:61]
	s_waitcnt vmcnt(12) lgkmcnt(5)
	v_mul_f64 v[64:65], v[52:53], v[6:7]
	scratch_load_dwordx4 v[60:63], off, off offset:640
	v_accvgpr_write_b32 a113, v7
	v_fmac_f64_e32 v[64:65], v[54:55], v[4:5]
	v_accvgpr_write_b32 a112, v6
	v_accvgpr_write_b32 a111, v5
	;; [unrolled: 1-line block ×3, first 2 shown]
	ds_read_b128 v[112:115], v2 offset:1312
	s_waitcnt vmcnt(12)
	v_mov_b64_e32 v[4:5], v[8:9]
	v_mov_b64_e32 v[6:7], v[10:11]
	s_waitcnt lgkmcnt(1)
	v_mul_f64 v[68:69], v[108:109], v[6:7]
	v_fmac_f64_e32 v[68:69], v[110:111], v[4:5]
	s_waitcnt vmcnt(11)
	v_mov_b64_e32 v[4:5], v[12:13]
	v_add_f64 v[0:1], v[0:1], v[64:65]
	v_mov_b64_e32 v[6:7], v[14:15]
	scratch_load_dwordx4 v[64:67], off, off offset:656
	v_add_f64 v[0:1], v[0:1], v[68:69]
	s_waitcnt lgkmcnt(0)
	v_mul_f64 v[68:69], v[112:113], v[6:7]
	v_fmac_f64_e32 v[68:69], v[114:115], v[4:5]
	v_add_f64 v[0:1], v[0:1], v[68:69]
	scratch_load_dwordx4 v[68:71], off, off offset:672
	s_waitcnt vmcnt(12)
	v_mul_f64 v[76:77], v[116:117], v[236:237]
	scratch_load_dwordx4 v[72:75], off, off offset:688
	v_fmac_f64_e32 v[76:77], v[118:119], v[234:235]
	v_add_f64 v[0:1], v[0:1], v[76:77]
	s_waitcnt vmcnt(12)
	v_mul_f64 v[76:77], v[120:121], v[22:23]
	v_fmac_f64_e32 v[76:77], v[122:123], v[20:21]
	v_add_f64 v[0:1], v[0:1], v[76:77]
	scratch_load_dwordx4 v[76:79], off, off offset:704
	v_mul_f64 v[82:83], v[134:135], v[82:83]
	v_fma_f64 v[242:243], v[132:133], v[80:81], -v[82:83]
	scratch_load_dwordx4 v[80:83], off, off offset:720
	v_mul_f64 v[86:87], v[138:139], v[86:87]
	v_fma_f64 v[244:245], v[136:137], v[84:85], -v[86:87]
	scratch_load_dwordx4 v[84:87], off, off offset:736
	v_mul_f64 v[90:91], v[142:143], v[90:91]
	s_waitcnt vmcnt(14)
	v_mul_f64 v[132:133], v[124:125], v[26:27]
	v_fma_f64 v[246:247], v[140:141], v[88:89], -v[90:91]
	scratch_load_dwordx4 v[88:91], off, off offset:752
	v_fmac_f64_e32 v[132:133], v[126:127], v[24:25]
	s_waitcnt vmcnt(14)
	v_mul_f64 v[136:137], v[128:129], v[30:31]
	v_mul_f64 v[94:95], v[150:151], v[94:95]
	v_add_f64 v[0:1], v[0:1], v[132:133]
	v_fmac_f64_e32 v[136:137], v[130:131], v[28:29]
	v_fma_f64 v[248:249], v[148:149], v[92:93], -v[94:95]
	v_mul_f64 v[92:93], v[162:163], v[98:99]
	ds_read_b128 v[132:135], v2 offset:1392
	v_add_f64 v[0:1], v[0:1], v[136:137]
	ds_read_b128 v[136:139], v2 offset:1408
	v_fma_f64 v[250:251], v[160:161], v[96:97], -v[92:93]
	scratch_load_dwordx4 v[96:99], off, off offset:768
	scratch_load_dwordx4 v[92:95], off, off offset:784
	v_mul_f64 v[102:103], v[174:175], v[102:103]
	v_fma_f64 v[232:233], v[172:173], v[100:101], -v[102:103]
	scratch_load_dwordx4 v[100:103], off, off offset:800
	v_mul_f64 v[106:107], v[186:187], v[106:107]
	v_fma_f64 v[16:17], v[184:185], v[104:105], -v[106:107]
	scratch_load_dwordx4 v[104:107], off, off offset:816
	s_waitcnt vmcnt(17) lgkmcnt(1)
	v_mul_f64 v[140:141], v[132:133], v[34:35]
	v_fmac_f64_e32 v[140:141], v[134:135], v[32:33]
	v_add_f64 v[0:1], v[0:1], v[140:141]
	ds_read_b128 v[140:143], v2 offset:1424
	v_accvgpr_write_b32 a121, v15
	v_mul_f64 v[6:7], v[198:199], v[146:147]
	v_accvgpr_write_b32 a120, v14
	v_accvgpr_write_b32 a119, v13
	;; [unrolled: 1-line block ×3, first 2 shown]
	v_fma_f64 v[12:13], v[196:197], v[144:145], -v[6:7]
	ds_read_b128 v[144:147], v2 offset:1440
	s_waitcnt vmcnt(16) lgkmcnt(2)
	v_mul_f64 v[148:149], v[136:137], v[38:39]
	v_fmac_f64_e32 v[148:149], v[138:139], v[36:37]
	v_add_f64 v[0:1], v[0:1], v[148:149]
	s_waitcnt vmcnt(15) lgkmcnt(1)
	v_mul_f64 v[6:7], v[140:141], v[42:43]
	ds_read_b128 v[148:151], v2 offset:1456
	v_fmac_f64_e32 v[6:7], v[142:143], v[40:41]
	v_add_f64 v[0:1], v[0:1], v[6:7]
	s_waitcnt vmcnt(14) lgkmcnt(1)
	v_mul_f64 v[6:7], v[144:145], v[46:47]
	v_fmac_f64_e32 v[6:7], v[146:147], v[44:45]
	v_accvgpr_write_b32 a117, v11
	v_add_f64 v[0:1], v[0:1], v[6:7]
	v_mul_f64 v[6:7], v[206:207], v[154:155]
	v_accvgpr_write_b32 a116, v10
	v_accvgpr_write_b32 a115, v9
	;; [unrolled: 1-line block ×3, first 2 shown]
	v_fma_f64 v[10:11], v[204:205], v[152:153], -v[6:7]
	ds_read_b128 v[152:155], v2 offset:1472
	s_waitcnt vmcnt(13) lgkmcnt(1)
	v_mul_f64 v[6:7], v[148:149], v[50:51]
	v_fmac_f64_e32 v[6:7], v[150:151], v[48:49]
	v_add_f64 v[0:1], v[0:1], v[6:7]
	v_mul_f64 v[6:7], v[210:211], v[158:159]
	v_fma_f64 v[8:9], v[208:209], v[156:157], -v[6:7]
	ds_read_b128 v[156:159], v2 offset:1488
	ds_read_b128 v[160:163], v2 offset:1504
	s_waitcnt vmcnt(12) lgkmcnt(2)
	v_mul_f64 v[6:7], v[152:153], v[58:59]
	v_fmac_f64_e32 v[6:7], v[154:155], v[56:57]
	v_add_f64 v[0:1], v[0:1], v[6:7]
	s_waitcnt vmcnt(11) lgkmcnt(1)
	v_mul_f64 v[6:7], v[156:157], v[62:63]
	v_fmac_f64_e32 v[6:7], v[158:159], v[60:61]
	v_add_f64 v[0:1], v[0:1], v[6:7]
	v_mul_f64 v[6:7], v[214:215], v[166:167]
	v_fma_f64 v[14:15], v[212:213], v[164:165], -v[6:7]
	ds_read_b128 v[164:167], v2 offset:1520
	v_mul_f64 v[170:171], v[218:219], v[170:171]
	v_fma_f64 v[4:5], v[216:217], v[168:169], -v[170:171]
	ds_read_b128 v[168:171], v2 offset:1536
	s_waitcnt vmcnt(10) lgkmcnt(2)
	v_mul_f64 v[6:7], v[160:161], v[66:67]
	v_fmac_f64_e32 v[6:7], v[162:163], v[64:65]
	v_add_f64 v[0:1], v[0:1], v[6:7]
	s_waitcnt vmcnt(9) lgkmcnt(1)
	v_mul_f64 v[6:7], v[164:165], v[70:71]
	ds_read_b128 v[172:175], v2 offset:1552
	v_fmac_f64_e32 v[6:7], v[166:167], v[68:69]
	v_add_f64 v[0:1], v[0:1], v[6:7]
	s_waitcnt vmcnt(8) lgkmcnt(1)
	v_mul_f64 v[6:7], v[168:169], v[74:75]
	v_fmac_f64_e32 v[6:7], v[170:171], v[72:73]
	v_add_f64 v[0:1], v[0:1], v[6:7]
	v_mul_f64 v[6:7], v[222:223], v[178:179]
	v_fma_f64 v[18:19], v[220:221], v[176:177], -v[6:7]
	ds_read_b128 v[176:179], v2 offset:1568
	s_waitcnt vmcnt(7) lgkmcnt(1)
	v_mul_f64 v[6:7], v[172:173], v[78:79]
	v_fmac_f64_e32 v[6:7], v[174:175], v[76:77]
	v_add_f64 v[0:1], v[0:1], v[6:7]
	v_mul_f64 v[6:7], v[226:227], v[182:183]
	v_fma_f64 v[6:7], v[224:225], v[180:181], -v[6:7]
	ds_read_b128 v[180:183], v2 offset:1584
	s_waitcnt vmcnt(6) lgkmcnt(1)
	v_mul_f64 v[184:185], v[176:177], v[82:83]
	v_fmac_f64_e32 v[184:185], v[178:179], v[80:81]
	v_add_f64 v[0:1], v[0:1], v[184:185]
	ds_read_b128 v[184:187], v2 offset:1600
	s_waitcnt vmcnt(5) lgkmcnt(1)
	v_mul_f64 v[196:197], v[180:181], v[86:87]
	v_fmac_f64_e32 v[196:197], v[182:183], v[84:85]
	v_add_f64 v[196:197], v[0:1], v[196:197]
	v_mul_f64 v[0:1], v[230:231], v[190:191]
	v_fma_f64 v[0:1], v[228:229], v[188:189], -v[0:1]
	ds_read_b128 v[188:191], v2 offset:1616
	s_waitcnt vmcnt(4) lgkmcnt(1)
	v_mul_f64 v[198:199], v[184:185], v[90:91]
	v_fmac_f64_e32 v[198:199], v[186:187], v[88:89]
	v_mul_f64 v[194:195], v[240:241], v[194:195]
	v_fma_f64 v[238:239], v[238:239], v[192:193], -v[194:195]
	ds_read_b128 v[192:195], v2 offset:1632
	v_add_f64 v[196:197], v[196:197], v[198:199]
	s_waitcnt vmcnt(3) lgkmcnt(1)
	v_mul_f64 v[198:199], v[188:189], v[98:99]
	v_fmac_f64_e32 v[198:199], v[190:191], v[96:97]
	v_add_f64 v[204:205], v[196:197], v[198:199]
	ds_read_b128 v[196:199], v2 offset:1648
	v_mul_f64 v[202:203], v[254:255], v[202:203]
	v_fma_f64 v[240:241], v[252:253], v[200:201], -v[202:203]
	ds_read_b128 v[200:203], v2 offset:1664
	s_waitcnt vmcnt(2) lgkmcnt(2)
	v_mul_f64 v[206:207], v[192:193], v[94:95]
	v_fmac_f64_e32 v[206:207], v[194:195], v[92:93]
	v_add_f64 v[204:205], v[204:205], v[206:207]
	s_waitcnt vmcnt(1) lgkmcnt(1)
	v_mul_f64 v[206:207], v[196:197], v[102:103]
	v_fmac_f64_e32 v[206:207], v[198:199], v[100:101]
	v_add_f64 v[204:205], v[204:205], v[206:207]
	;; [unrolled: 4-line block ×3, first 2 shown]
	scratch_load_dwordx4 v[204:207], off, off offset:832
	ds_read_b128 v[208:211], v2 offset:1680
	ds_read_b128 v[216:219], v2 offset:1696
	;; [unrolled: 1-line block ×3, first 2 shown]
	s_waitcnt vmcnt(0) lgkmcnt(2)
	v_mul_f64 v[214:215], v[208:209], v[206:207]
	v_fmac_f64_e32 v[214:215], v[210:211], v[204:205]
	v_add_f64 v[220:221], v[212:213], v[214:215]
	scratch_load_dwordx4 v[212:215], off, off offset:848
	s_waitcnt vmcnt(0) lgkmcnt(1)
	v_mul_f64 v[222:223], v[216:217], v[214:215]
	v_fmac_f64_e32 v[222:223], v[218:219], v[212:213]
	v_add_f64 v[228:229], v[220:221], v[222:223]
	scratch_load_dwordx4 v[220:223], off, off offset:864
	s_waitcnt vmcnt(0) lgkmcnt(0)
	v_mul_f64 v[230:231], v[224:225], v[222:223]
	v_fmac_f64_e32 v[230:231], v[226:227], v[220:221]
	v_add_f64 v[254:255], v[228:229], v[230:231]
	v_add_f64 v[228:229], v[242:243], 0
	;; [unrolled: 1-line block ×8, first 2 shown]
	scratch_load_dwordx4 v[228:231], off, off offset:144
	v_add_f64 v[12:13], v[16:17], v[12:13]
	v_add_f64 v[10:11], v[12:13], v[10:11]
	;; [unrolled: 1-line block ×7, first 2 shown]
	v_accvgpr_read_b32 v6, a110
	v_accvgpr_read_b32 v8, a112
	;; [unrolled: 1-line block ×3, first 2 shown]
	v_add_f64 v[0:1], v[4:5], v[0:1]
	v_accvgpr_read_b32 v7, a111
	v_mul_f64 v[4:5], v[54:55], v[8:9]
	v_add_f64 v[0:1], v[0:1], v[238:239]
	v_fma_f64 v[4:5], v[52:53], v[6:7], -v[4:5]
	v_accvgpr_read_b32 v6, a114
	v_add_f64 v[0:1], v[0:1], v[240:241]
	v_accvgpr_read_b32 v8, a116
	v_accvgpr_read_b32 v9, a117
	v_add_f64 v[0:1], v[0:1], v[4:5]
	v_accvgpr_read_b32 v7, a115
	v_mul_f64 v[4:5], v[110:111], v[8:9]
	v_fma_f64 v[4:5], v[108:109], v[6:7], -v[4:5]
	v_accvgpr_read_b32 v6, a118
	v_accvgpr_read_b32 v8, a120
	;; [unrolled: 1-line block ×3, first 2 shown]
	v_add_f64 v[0:1], v[0:1], v[4:5]
	v_accvgpr_read_b32 v7, a119
	v_mul_f64 v[4:5], v[114:115], v[8:9]
	v_fma_f64 v[4:5], v[112:113], v[6:7], -v[4:5]
	v_add_f64 v[0:1], v[0:1], v[4:5]
	v_mul_f64 v[4:5], v[118:119], v[236:237]
	v_fma_f64 v[4:5], v[116:117], v[234:235], -v[4:5]
	v_add_f64 v[0:1], v[0:1], v[4:5]
	;; [unrolled: 3-line block ×26, first 2 shown]
	s_waitcnt vmcnt(0)
	v_add_f64 v[4:5], v[228:229], -v[0:1]
	v_accvgpr_read_b32 v0, a108
	v_add_f64 v[6:7], v[230:231], -v[254:255]
	v_cmp_lt_u32_e32 vcc, 7, v0
	scratch_store_dwordx4 off, v[4:7], off offset:144
	s_and_saveexec_b64 s[0:1], vcc
	s_cbranch_execz .LBB53_323
; %bb.322:
	scratch_load_dwordx4 v[6:9], off, s38
	v_mov_b32_e32 v3, v2
	v_mov_b32_e32 v4, v2
	;; [unrolled: 1-line block ×3, first 2 shown]
	v_accvgpr_read_b32 v0, a109
	scratch_store_dwordx4 off, v[2:5], off offset:128
	s_waitcnt vmcnt(1)
	ds_write_b128 v0, v[6:9]
.LBB53_323:
	s_or_b64 exec, exec, s[0:1]
	s_waitcnt lgkmcnt(0)
	; wave barrier
	scratch_load_dwordx4 v[80:83], off, off offset:144
	scratch_load_dwordx4 v[84:87], off, off offset:160
	;; [unrolled: 1-line block ×17, first 2 shown]
	ds_read_b128 v[136:139], v2 offset:992
	ds_read_b128 v[132:135], v2 offset:1008
	scratch_load_dwordx4 v[4:7], off, off offset:416
	ds_read_b128 v[236:239], v2 offset:1024
	ds_read_b128 v[228:231], v2 offset:1040
	ds_read_b128 v[224:227], v2 offset:1056
	ds_read_b128 v[148:151], v2 offset:1072
	ds_read_b128 v[140:143], v2 offset:1088
	scratch_load_dwordx4 v[8:11], off, off offset:432
	ds_read_b128 v[232:235], v2 offset:1104
	ds_read_b128 v[216:219], v2 offset:1120
	;; [unrolled: 1-line block ×3, first 2 shown]
	scratch_load_dwordx4 v[12:15], off, off offset:448
	ds_read_b128 v[220:223], v2 offset:1152
	ds_read_b128 v[172:175], v2 offset:1168
	;; [unrolled: 1-line block ×5, first 2 shown]
	scratch_load_dwordx4 v[16:19], off, off offset:464
	ds_read_b128 v[208:211], v2 offset:1232
	ds_read_b128 v[204:207], v2 offset:1248
	;; [unrolled: 1-line block ×3, first 2 shown]
	scratch_load_dwordx4 v[24:27], off, off offset:480
	scratch_load_dwordx4 v[28:31], off, off offset:496
	;; [unrolled: 1-line block ×8, first 2 shown]
	ds_read_b128 v[116:119], v2 offset:1312
	ds_read_b128 v[120:123], v2 offset:1328
	;; [unrolled: 1-line block ×4, first 2 shown]
	s_waitcnt vmcnt(28) lgkmcnt(14)
	v_mul_f64 v[0:1], v[136:137], v[82:83]
	s_waitcnt vmcnt(27)
	v_mul_f64 v[56:57], v[132:133], v[86:87]
	v_fmac_f64_e32 v[0:1], v[138:139], v[80:81]
	s_waitcnt vmcnt(26)
	v_mul_f64 v[58:59], v[236:237], v[90:91]
	v_fmac_f64_e32 v[56:57], v[134:135], v[84:85]
	v_add_f64 v[0:1], v[0:1], 0
	s_waitcnt vmcnt(25)
	v_mul_f64 v[60:61], v[228:229], v[94:95]
	v_fmac_f64_e32 v[58:59], v[238:239], v[88:89]
	v_add_f64 v[0:1], v[0:1], v[56:57]
	;; [unrolled: 4-line block ×6, first 2 shown]
	s_waitcnt vmcnt(20) lgkmcnt(13)
	v_mul_f64 v[70:71], v[216:217], v[154:155]
	v_fmac_f64_e32 v[68:69], v[234:235], v[144:145]
	v_add_f64 v[0:1], v[0:1], v[66:67]
	s_waitcnt vmcnt(19) lgkmcnt(12)
	v_mul_f64 v[72:73], v[160:161], v[158:159]
	v_fmac_f64_e32 v[70:71], v[218:219], v[152:153]
	v_add_f64 v[0:1], v[0:1], v[68:69]
	;; [unrolled: 4-line block ×7, first 2 shown]
	v_fmac_f64_e32 v[110:111], v[198:199], v[188:189]
	v_add_f64 v[0:1], v[0:1], v[108:109]
	s_waitcnt vmcnt(13) lgkmcnt(6)
	v_mul_f64 v[112:113], v[208:209], v[194:195]
	v_add_f64 v[0:1], v[0:1], v[110:111]
	scratch_load_dwordx4 v[56:59], off, off offset:608
	scratch_load_dwordx4 v[60:63], off, off offset:624
	ds_read_b128 v[108:111], v2 offset:1280
	s_waitcnt vmcnt(14) lgkmcnt(6)
	v_mul_f64 v[114:115], v[204:205], v[202:203]
	v_fmac_f64_e32 v[112:113], v[210:211], v[192:193]
	v_add_f64 v[0:1], v[0:1], v[112:113]
	v_fmac_f64_e32 v[114:115], v[206:207], v[200:201]
	s_waitcnt vmcnt(13) lgkmcnt(5)
	v_mul_f64 v[64:65], v[20:21], v[6:7]
	v_accvgpr_write_b32 a113, v7
	v_add_f64 v[0:1], v[0:1], v[114:115]
	v_fmac_f64_e32 v[64:65], v[22:23], v[4:5]
	v_accvgpr_write_b32 a112, v6
	v_accvgpr_write_b32 a111, v5
	;; [unrolled: 1-line block ×3, first 2 shown]
	ds_read_b128 v[112:115], v2 offset:1296
	s_waitcnt vmcnt(12)
	v_mov_b64_e32 v[4:5], v[8:9]
	v_mov_b64_e32 v[6:7], v[10:11]
	s_waitcnt lgkmcnt(1)
	v_mul_f64 v[68:69], v[108:109], v[6:7]
	v_fmac_f64_e32 v[68:69], v[110:111], v[4:5]
	s_waitcnt vmcnt(11)
	v_mov_b64_e32 v[4:5], v[12:13]
	v_add_f64 v[0:1], v[0:1], v[64:65]
	v_mov_b64_e32 v[6:7], v[14:15]
	v_add_f64 v[0:1], v[0:1], v[68:69]
	s_waitcnt lgkmcnt(0)
	v_mul_f64 v[68:69], v[112:113], v[6:7]
	scratch_load_dwordx4 v[64:67], off, off offset:640
	v_fmac_f64_e32 v[68:69], v[114:115], v[4:5]
	v_add_f64 v[0:1], v[0:1], v[68:69]
	scratch_load_dwordx4 v[68:71], off, off offset:656
	scratch_load_dwordx4 v[72:75], off, off offset:672
	s_waitcnt vmcnt(13)
	v_mul_f64 v[76:77], v[116:117], v[18:19]
	v_fmac_f64_e32 v[76:77], v[118:119], v[16:17]
	v_add_f64 v[0:1], v[0:1], v[76:77]
	s_waitcnt vmcnt(12)
	v_mul_f64 v[76:77], v[120:121], v[26:27]
	v_fmac_f64_e32 v[76:77], v[122:123], v[24:25]
	v_add_f64 v[0:1], v[0:1], v[76:77]
	scratch_load_dwordx4 v[76:79], off, off offset:688
	v_mul_f64 v[82:83], v[138:139], v[82:83]
	v_fma_f64 v[242:243], v[136:137], v[80:81], -v[82:83]
	scratch_load_dwordx4 v[80:83], off, off offset:704
	v_mul_f64 v[86:87], v[134:135], v[86:87]
	v_fma_f64 v[244:245], v[132:133], v[84:85], -v[86:87]
	scratch_load_dwordx4 v[84:87], off, off offset:720
	s_waitcnt vmcnt(14)
	v_mul_f64 v[136:137], v[124:125], v[30:31]
	v_mul_f64 v[90:91], v[238:239], v[90:91]
	v_fmac_f64_e32 v[136:137], v[126:127], v[28:29]
	v_fma_f64 v[236:237], v[236:237], v[88:89], -v[90:91]
	scratch_load_dwordx4 v[88:91], off, off offset:736
	v_add_f64 v[0:1], v[0:1], v[136:137]
	s_waitcnt vmcnt(14)
	v_mul_f64 v[136:137], v[128:129], v[34:35]
	v_mul_f64 v[94:95], v[230:231], v[94:95]
	v_fmac_f64_e32 v[136:137], v[130:131], v[32:33]
	v_fma_f64 v[238:239], v[228:229], v[92:93], -v[94:95]
	v_mul_f64 v[92:93], v[226:227], v[98:99]
	ds_read_b128 v[132:135], v2 offset:1376
	v_add_f64 v[0:1], v[0:1], v[136:137]
	ds_read_b128 v[136:139], v2 offset:1392
	v_fma_f64 v[246:247], v[224:225], v[96:97], -v[92:93]
	scratch_load_dwordx4 v[96:99], off, off offset:752
	scratch_load_dwordx4 v[92:95], off, off offset:768
	v_mul_f64 v[102:103], v[150:151], v[102:103]
	v_fma_f64 v[248:249], v[148:149], v[100:101], -v[102:103]
	scratch_load_dwordx4 v[100:103], off, off offset:784
	v_mul_f64 v[106:107], v[142:143], v[106:107]
	v_fma_f64 v[250:251], v[140:141], v[104:105], -v[106:107]
	v_mul_f64 v[104:105], v[234:235], v[146:147]
	v_fma_f64 v[254:255], v[232:233], v[144:145], -v[104:105]
	scratch_load_dwordx4 v[104:107], off, off offset:800
	ds_read_b128 v[140:143], v2 offset:1408
	ds_read_b128 v[144:147], v2 offset:1424
	s_waitcnt vmcnt(17) lgkmcnt(3)
	v_mul_f64 v[228:229], v[132:133], v[38:39]
	v_fmac_f64_e32 v[228:229], v[134:135], v[36:37]
	s_waitcnt vmcnt(16) lgkmcnt(2)
	v_mul_f64 v[224:225], v[136:137], v[42:43]
	v_add_f64 v[0:1], v[0:1], v[228:229]
	v_fmac_f64_e32 v[224:225], v[138:139], v[40:41]
	s_waitcnt vmcnt(15) lgkmcnt(1)
	v_mul_f64 v[148:149], v[140:141], v[46:47]
	v_add_f64 v[0:1], v[0:1], v[224:225]
	v_fmac_f64_e32 v[148:149], v[142:143], v[44:45]
	v_add_f64 v[0:1], v[0:1], v[148:149]
	ds_read_b128 v[148:151], v2 offset:1440
	v_mul_f64 v[154:155], v[218:219], v[154:155]
	v_fma_f64 v[240:241], v[216:217], v[152:153], -v[154:155]
	ds_read_b128 v[152:155], v2 offset:1456
	v_accvgpr_write_b32 a121, v15
	v_mul_f64 v[158:159], v[162:163], v[158:159]
	v_accvgpr_write_b32 a120, v14
	v_accvgpr_write_b32 a119, v13
	v_accvgpr_write_b32 a118, v12
	v_fma_f64 v[12:13], v[160:161], v[156:157], -v[158:159]
	ds_read_b128 v[156:159], v2 offset:1472
	ds_read_b128 v[160:163], v2 offset:1488
	s_waitcnt vmcnt(14) lgkmcnt(4)
	v_mul_f64 v[224:225], v[144:145], v[50:51]
	v_fmac_f64_e32 v[224:225], v[146:147], v[48:49]
	s_waitcnt vmcnt(13) lgkmcnt(3)
	v_mul_f64 v[216:217], v[148:149], v[54:55]
	v_add_f64 v[0:1], v[0:1], v[224:225]
	v_fmac_f64_e32 v[216:217], v[150:151], v[52:53]
	s_waitcnt vmcnt(12) lgkmcnt(2)
	v_mul_f64 v[6:7], v[152:153], v[58:59]
	v_add_f64 v[0:1], v[0:1], v[216:217]
	v_fmac_f64_e32 v[6:7], v[154:155], v[56:57]
	v_add_f64 v[0:1], v[0:1], v[6:7]
	s_waitcnt vmcnt(11) lgkmcnt(1)
	v_mul_f64 v[6:7], v[156:157], v[62:63]
	v_fmac_f64_e32 v[6:7], v[158:159], v[60:61]
	v_accvgpr_write_b32 a117, v11
	v_add_f64 v[0:1], v[0:1], v[6:7]
	v_mul_f64 v[6:7], v[222:223], v[166:167]
	v_accvgpr_write_b32 a116, v10
	v_accvgpr_write_b32 a115, v9
	;; [unrolled: 1-line block ×3, first 2 shown]
	v_fma_f64 v[8:9], v[220:221], v[164:165], -v[6:7]
	ds_read_b128 v[164:167], v2 offset:1504
	v_mul_f64 v[170:171], v[174:175], v[170:171]
	v_fma_f64 v[6:7], v[172:173], v[168:169], -v[170:171]
	ds_read_b128 v[168:171], v2 offset:1520
	s_waitcnt vmcnt(10) lgkmcnt(2)
	v_mul_f64 v[216:217], v[160:161], v[66:67]
	v_fmac_f64_e32 v[216:217], v[162:163], v[64:65]
	s_waitcnt vmcnt(9) lgkmcnt(1)
	v_mul_f64 v[10:11], v[164:165], v[70:71]
	v_add_f64 v[0:1], v[0:1], v[216:217]
	v_fmac_f64_e32 v[10:11], v[166:167], v[68:69]
	v_add_f64 v[0:1], v[0:1], v[10:11]
	s_waitcnt vmcnt(8) lgkmcnt(0)
	v_mul_f64 v[10:11], v[168:169], v[74:75]
	v_fmac_f64_e32 v[10:11], v[170:171], v[72:73]
	ds_read_b128 v[172:175], v2 offset:1536
	v_add_f64 v[0:1], v[0:1], v[10:11]
	v_mul_f64 v[10:11], v[214:215], v[178:179]
	v_fma_f64 v[10:11], v[212:213], v[176:177], -v[10:11]
	ds_read_b128 v[176:179], v2 offset:1552
	v_mul_f64 v[182:183], v[186:187], v[182:183]
	v_fma_f64 v[4:5], v[184:185], v[180:181], -v[182:183]
	ds_read_b128 v[180:183], v2 offset:1568
	ds_read_b128 v[184:187], v2 offset:1584
	s_waitcnt vmcnt(7) lgkmcnt(3)
	v_mul_f64 v[212:213], v[172:173], v[78:79]
	v_fmac_f64_e32 v[212:213], v[174:175], v[76:77]
	s_waitcnt vmcnt(6) lgkmcnt(2)
	v_mul_f64 v[14:15], v[176:177], v[82:83]
	v_add_f64 v[0:1], v[0:1], v[212:213]
	v_fmac_f64_e32 v[14:15], v[178:179], v[80:81]
	v_add_f64 v[0:1], v[0:1], v[14:15]
	s_waitcnt vmcnt(5) lgkmcnt(1)
	v_mul_f64 v[14:15], v[180:181], v[86:87]
	v_fmac_f64_e32 v[14:15], v[182:183], v[84:85]
	v_add_f64 v[14:15], v[0:1], v[14:15]
	v_mul_f64 v[0:1], v[198:199], v[190:191]
	v_fma_f64 v[0:1], v[196:197], v[188:189], -v[0:1]
	ds_read_b128 v[188:191], v2 offset:1600
	v_mul_f64 v[194:195], v[210:211], v[194:195]
	s_waitcnt vmcnt(4) lgkmcnt(1)
	v_mul_f64 v[196:197], v[184:185], v[90:91]
	v_fma_f64 v[192:193], v[208:209], v[192:193], -v[194:195]
	v_fmac_f64_e32 v[196:197], v[186:187], v[88:89]
	v_accvgpr_write_b32 a122, v192
	v_accvgpr_write_b32 a123, v193
	ds_read_b128 v[192:195], v2 offset:1616
	v_add_f64 v[14:15], v[14:15], v[196:197]
	s_waitcnt vmcnt(3) lgkmcnt(1)
	v_mul_f64 v[196:197], v[188:189], v[98:99]
	v_fmac_f64_e32 v[196:197], v[190:191], v[96:97]
	v_add_f64 v[14:15], v[14:15], v[196:197]
	ds_read_b128 v[196:199], v2 offset:1632
	v_mul_f64 v[202:203], v[206:207], v[202:203]
	v_fma_f64 v[252:253], v[204:205], v[200:201], -v[202:203]
	ds_read_b128 v[200:203], v2 offset:1648
	s_waitcnt vmcnt(2) lgkmcnt(2)
	v_mul_f64 v[204:205], v[192:193], v[94:95]
	v_fmac_f64_e32 v[204:205], v[194:195], v[92:93]
	v_add_f64 v[14:15], v[14:15], v[204:205]
	s_waitcnt vmcnt(1) lgkmcnt(1)
	v_mul_f64 v[204:205], v[196:197], v[102:103]
	v_fmac_f64_e32 v[204:205], v[198:199], v[100:101]
	v_add_f64 v[14:15], v[14:15], v[204:205]
	;; [unrolled: 4-line block ×3, first 2 shown]
	scratch_load_dwordx4 v[204:207], off, off offset:816
	scratch_load_dwordx4 v[232:235], off, off offset:864
	ds_read_b128 v[208:211], v2 offset:1664
	ds_read_b128 v[216:219], v2 offset:1680
	;; [unrolled: 1-line block ×3, first 2 shown]
	s_waitcnt vmcnt(1) lgkmcnt(2)
	v_mul_f64 v[212:213], v[208:209], v[206:207]
	v_fmac_f64_e32 v[212:213], v[210:211], v[204:205]
	v_add_f64 v[14:15], v[14:15], v[212:213]
	scratch_load_dwordx4 v[212:215], off, off offset:832
	s_waitcnt vmcnt(0) lgkmcnt(1)
	v_mul_f64 v[220:221], v[216:217], v[214:215]
	v_fmac_f64_e32 v[220:221], v[218:219], v[212:213]
	v_add_f64 v[14:15], v[14:15], v[220:221]
	scratch_load_dwordx4 v[220:223], off, off offset:848
	s_waitcnt vmcnt(0) lgkmcnt(0)
	v_mul_f64 v[228:229], v[224:225], v[222:223]
	v_fmac_f64_e32 v[228:229], v[226:227], v[220:221]
	v_add_f64 v[14:15], v[14:15], v[228:229]
	ds_read_b128 v[228:231], v2 offset:1712
	s_waitcnt lgkmcnt(0)
	v_mul_f64 v[2:3], v[228:229], v[234:235]
	v_fmac_f64_e32 v[2:3], v[230:231], v[232:233]
	v_add_f64 v[2:3], v[14:15], v[2:3]
	v_add_f64 v[14:15], v[242:243], 0
	;; [unrolled: 1-line block ×5, first 2 shown]
	scratch_load_dwordx4 v[236:239], off, off offset:128
	v_add_f64 v[14:15], v[14:15], v[246:247]
	v_add_f64 v[14:15], v[14:15], v[248:249]
	v_add_f64 v[14:15], v[14:15], v[250:251]
	v_add_f64 v[14:15], v[14:15], v[254:255]
	v_add_f64 v[14:15], v[14:15], v[240:241]
	v_add_f64 v[12:13], v[14:15], v[12:13]
	v_add_f64 v[8:9], v[12:13], v[8:9]
	v_add_f64 v[6:7], v[8:9], v[6:7]
	v_add_f64 v[6:7], v[6:7], v[10:11]
	v_add_f64 v[4:5], v[6:7], v[4:5]
	v_accvgpr_read_b32 v6, a110
	v_add_f64 v[254:255], v[4:5], v[0:1]
	v_accvgpr_read_b32 v0, a122
	v_accvgpr_read_b32 v8, a112
	;; [unrolled: 1-line block ×5, first 2 shown]
	v_mul_f64 v[4:5], v[22:23], v[8:9]
	v_add_f64 v[0:1], v[254:255], v[0:1]
	v_fma_f64 v[4:5], v[20:21], v[6:7], -v[4:5]
	v_accvgpr_read_b32 v6, a114
	v_add_f64 v[0:1], v[0:1], v[252:253]
	v_accvgpr_read_b32 v8, a116
	v_accvgpr_read_b32 v9, a117
	v_add_f64 v[0:1], v[0:1], v[4:5]
	v_accvgpr_read_b32 v7, a115
	v_mul_f64 v[4:5], v[110:111], v[8:9]
	v_fma_f64 v[4:5], v[108:109], v[6:7], -v[4:5]
	v_accvgpr_read_b32 v6, a118
	v_accvgpr_read_b32 v8, a120
	v_accvgpr_read_b32 v9, a121
	v_add_f64 v[0:1], v[0:1], v[4:5]
	v_accvgpr_read_b32 v7, a119
	v_mul_f64 v[4:5], v[114:115], v[8:9]
	v_fma_f64 v[4:5], v[112:113], v[6:7], -v[4:5]
	v_add_f64 v[0:1], v[0:1], v[4:5]
	v_mul_f64 v[4:5], v[118:119], v[18:19]
	v_fma_f64 v[4:5], v[116:117], v[16:17], -v[4:5]
	v_add_f64 v[0:1], v[0:1], v[4:5]
	;; [unrolled: 3-line block ×27, first 2 shown]
	s_waitcnt vmcnt(0)
	v_add_f64 v[4:5], v[236:237], -v[0:1]
	v_accvgpr_read_b32 v0, a108
	v_add_f64 v[6:7], v[238:239], -v[2:3]
	v_cmp_lt_u32_e32 vcc, 6, v0
	scratch_store_dwordx4 off, v[4:7], off offset:128
	s_and_saveexec_b64 s[0:1], vcc
	s_cbranch_execz .LBB53_325
; %bb.324:
	scratch_load_dwordx4 v[2:5], off, s37
	v_mov_b32_e32 v6, 0
	v_mov_b32_e32 v7, v6
	;; [unrolled: 1-line block ×4, first 2 shown]
	v_accvgpr_read_b32 v0, a109
	scratch_store_dwordx4 off, v[6:9], off offset:112
	s_waitcnt vmcnt(1)
	ds_write_b128 v0, v[2:5]
.LBB53_325:
	s_or_b64 exec, exec, s[0:1]
	s_waitcnt lgkmcnt(0)
	; wave barrier
	scratch_load_dwordx4 v[68:71], off, off offset:128
	scratch_load_dwordx4 v[72:75], off, off offset:144
	;; [unrolled: 1-line block ×28, first 2 shown]
	v_mov_b32_e32 v2, 0
	ds_read_b128 v[124:127], v2 offset:976
	ds_read_b128 v[128:131], v2 offset:992
	;; [unrolled: 1-line block ×23, first 2 shown]
	s_waitcnt vmcnt(27) lgkmcnt(14)
	v_mul_f64 v[0:1], v[124:125], v[70:71]
	s_waitcnt vmcnt(26)
	v_mul_f64 v[40:41], v[128:129], v[74:75]
	v_fmac_f64_e32 v[0:1], v[126:127], v[68:69]
	s_waitcnt vmcnt(25)
	v_mul_f64 v[42:43], v[132:133], v[78:79]
	v_fmac_f64_e32 v[40:41], v[130:131], v[72:73]
	v_add_f64 v[0:1], v[0:1], 0
	s_waitcnt vmcnt(24)
	v_mul_f64 v[44:45], v[136:137], v[82:83]
	v_fmac_f64_e32 v[42:43], v[134:135], v[76:77]
	v_add_f64 v[0:1], v[0:1], v[40:41]
	;; [unrolled: 4-line block ×7, first 2 shown]
	s_waitcnt vmcnt(18) lgkmcnt(13)
	v_mul_f64 v[56:57], v[200:201], v[146:147]
	v_fmac_f64_e32 v[54:55], v[194:195], v[112:113]
	v_add_f64 v[0:1], v[0:1], v[52:53]
	s_waitcnt vmcnt(17) lgkmcnt(12)
	v_mul_f64 v[58:59], v[204:205], v[150:151]
	v_fmac_f64_e32 v[56:57], v[202:203], v[144:145]
	v_add_f64 v[0:1], v[0:1], v[54:55]
	;; [unrolled: 4-line block ×7, first 2 shown]
	scratch_load_dwordx4 v[40:43], off, off offset:576
	scratch_load_dwordx4 v[44:47], off, off offset:592
	s_waitcnt vmcnt(13) lgkmcnt(6)
	v_mul_f64 v[102:103], v[228:229], v[186:187]
	v_fmac_f64_e32 v[100:101], v[226:227], v[176:177]
	v_add_f64 v[0:1], v[0:1], v[66:67]
	v_add_f64 v[0:1], v[0:1], v[100:101]
	v_fmac_f64_e32 v[102:103], v[230:231], v[184:185]
	v_add_f64 v[0:1], v[0:1], v[102:103]
	ds_read_b128 v[100:103], v2 offset:1280
	s_waitcnt vmcnt(12) lgkmcnt(6)
	v_mul_f64 v[48:49], v[238:239], v[190:191]
	v_fmac_f64_e32 v[48:49], v[240:241], v[188:189]
	v_add_f64 v[0:1], v[0:1], v[48:49]
	s_waitcnt vmcnt(11) lgkmcnt(5)
	v_mul_f64 v[48:49], v[252:253], v[198:199]
	v_fmac_f64_e32 v[48:49], v[254:255], v[196:197]
	v_add_f64 v[0:1], v[0:1], v[48:49]
	scratch_load_dwordx4 v[48:51], off, off offset:608
	scratch_load_dwordx4 v[52:55], off, off offset:624
	s_waitcnt vmcnt(12) lgkmcnt(0)
	v_mul_f64 v[56:57], v[100:101], v[6:7]
	v_accvgpr_write_b32 a113, v7
	v_fmac_f64_e32 v[56:57], v[102:103], v[4:5]
	v_accvgpr_write_b32 a112, v6
	v_accvgpr_write_b32 a111, v5
	;; [unrolled: 1-line block ×3, first 2 shown]
	s_waitcnt vmcnt(11)
	v_mov_b64_e32 v[4:5], v[8:9]
	v_mov_b64_e32 v[6:7], v[10:11]
	v_add_f64 v[0:1], v[0:1], v[56:57]
	v_mul_f64 v[56:57], v[104:105], v[6:7]
	v_fmac_f64_e32 v[56:57], v[106:107], v[4:5]
	v_add_f64 v[0:1], v[0:1], v[56:57]
	scratch_load_dwordx4 v[56:59], off, off offset:640
	s_waitcnt vmcnt(11)
	v_mov_b64_e32 v[4:5], v[12:13]
	v_mov_b64_e32 v[6:7], v[14:15]
	v_mul_f64 v[60:61], v[108:109], v[6:7]
	v_fmac_f64_e32 v[60:61], v[110:111], v[4:5]
	s_waitcnt vmcnt(10)
	v_mov_b64_e32 v[4:5], v[16:17]
	v_mov_b64_e32 v[6:7], v[18:19]
	v_add_f64 v[0:1], v[0:1], v[60:61]
	scratch_load_dwordx4 v[60:63], off, off offset:656
	v_mul_f64 v[64:65], v[116:117], v[6:7]
	v_fmac_f64_e32 v[64:65], v[118:119], v[4:5]
	v_add_f64 v[0:1], v[0:1], v[64:65]
	scratch_load_dwordx4 v[64:67], off, off offset:672
	v_mul_f64 v[70:71], v[126:127], v[70:71]
	v_fma_f64 v[242:243], v[124:125], v[68:69], -v[70:71]
	s_waitcnt vmcnt(11)
	v_mul_f64 v[124:125], v[120:121], v[236:237]
	scratch_load_dwordx4 v[68:71], off, off offset:688
	v_fmac_f64_e32 v[124:125], v[122:123], v[234:235]
	v_mul_f64 v[74:75], v[130:131], v[74:75]
	v_mul_f64 v[78:79], v[134:135], v[78:79]
	v_add_f64 v[0:1], v[0:1], v[124:125]
	v_fma_f64 v[244:245], v[128:129], v[72:73], -v[74:75]
	ds_read_b128 v[124:127], v2 offset:1360
	ds_read_b128 v[128:131], v2 offset:1376
	scratch_load_dwordx4 v[72:75], off, off offset:704
	v_fma_f64 v[246:247], v[132:133], v[76:77], -v[78:79]
	v_mul_f64 v[76:77], v[138:139], v[82:83]
	v_fma_f64 v[248:249], v[136:137], v[80:81], -v[76:77]
	scratch_load_dwordx4 v[76:79], off, off offset:720
	s_waitcnt vmcnt(13) lgkmcnt(1)
	v_mul_f64 v[132:133], v[124:125], v[26:27]
	v_fmac_f64_e32 v[132:133], v[126:127], v[24:25]
	v_add_f64 v[0:1], v[0:1], v[132:133]
	s_waitcnt vmcnt(12) lgkmcnt(0)
	v_mul_f64 v[132:133], v[128:129], v[30:31]
	scratch_load_dwordx4 v[80:83], off, off offset:736
	v_fmac_f64_e32 v[132:133], v[130:131], v[28:29]
	v_mul_f64 v[86:87], v[142:143], v[86:87]
	v_add_f64 v[0:1], v[0:1], v[132:133]
	v_fma_f64 v[250:251], v[140:141], v[84:85], -v[86:87]
	ds_read_b128 v[132:135], v2 offset:1392
	v_mul_f64 v[84:85], v[158:159], v[90:91]
	v_fma_f64 v[232:233], v[156:157], v[88:89], -v[84:85]
	scratch_load_dwordx4 v[88:91], off, off offset:752
	scratch_load_dwordx4 v[84:87], off, off offset:768
	v_accvgpr_write_b32 a125, v19
	s_waitcnt vmcnt(14) lgkmcnt(0)
	v_mul_f64 v[6:7], v[132:133], v[34:35]
	v_fmac_f64_e32 v[6:7], v[134:135], v[32:33]
	v_mul_f64 v[94:95], v[170:171], v[94:95]
	v_add_f64 v[0:1], v[0:1], v[6:7]
	v_mul_f64 v[6:7], v[182:183], v[98:99]
	v_accvgpr_write_b32 a124, v18
	v_accvgpr_write_b32 a123, v17
	;; [unrolled: 1-line block ×3, first 2 shown]
	v_fma_f64 v[20:21], v[168:169], v[92:93], -v[94:95]
	ds_read_b128 v[136:139], v2 offset:1408
	v_fma_f64 v[16:17], v[180:181], v[96:97], -v[6:7]
	scratch_load_dwordx4 v[96:99], off, off offset:784
	scratch_load_dwordx4 v[92:95], off, off offset:800
	v_accvgpr_write_b32 a121, v15
	v_mul_f64 v[6:7], v[194:195], v[114:115]
	v_accvgpr_write_b32 a120, v14
	v_accvgpr_write_b32 a119, v13
	;; [unrolled: 1-line block ×3, first 2 shown]
	v_fma_f64 v[12:13], v[192:193], v[112:113], -v[6:7]
	scratch_load_dwordx4 v[112:115], off, off offset:816
	ds_read_b128 v[140:143], v2 offset:1424
	s_waitcnt vmcnt(16) lgkmcnt(1)
	v_mul_f64 v[6:7], v[136:137], v[38:39]
	v_fmac_f64_e32 v[6:7], v[138:139], v[36:37]
	v_accvgpr_write_b32 a117, v11
	v_add_f64 v[0:1], v[0:1], v[6:7]
	v_mul_f64 v[6:7], v[202:203], v[146:147]
	v_accvgpr_write_b32 a116, v10
	v_accvgpr_write_b32 a115, v9
	;; [unrolled: 1-line block ×3, first 2 shown]
	v_fma_f64 v[10:11], v[200:201], v[144:145], -v[6:7]
	ds_read_b128 v[144:147], v2 offset:1440
	s_waitcnt vmcnt(15) lgkmcnt(1)
	v_mul_f64 v[6:7], v[140:141], v[42:43]
	v_fmac_f64_e32 v[6:7], v[142:143], v[40:41]
	v_add_f64 v[0:1], v[0:1], v[6:7]
	v_mul_f64 v[6:7], v[206:207], v[150:151]
	v_fma_f64 v[14:15], v[204:205], v[148:149], -v[6:7]
	ds_read_b128 v[148:151], v2 offset:1456
	v_mul_f64 v[154:155], v[210:211], v[154:155]
	v_fma_f64 v[8:9], v[208:209], v[152:153], -v[154:155]
	ds_read_b128 v[152:155], v2 offset:1472
	s_waitcnt vmcnt(14) lgkmcnt(2)
	v_mul_f64 v[6:7], v[144:145], v[46:47]
	v_fmac_f64_e32 v[6:7], v[146:147], v[44:45]
	v_add_f64 v[0:1], v[0:1], v[6:7]
	s_waitcnt vmcnt(13) lgkmcnt(1)
	v_mul_f64 v[6:7], v[148:149], v[50:51]
	ds_read_b128 v[156:159], v2 offset:1488
	v_fmac_f64_e32 v[6:7], v[150:151], v[48:49]
	v_add_f64 v[0:1], v[0:1], v[6:7]
	s_waitcnt vmcnt(12) lgkmcnt(1)
	v_mul_f64 v[6:7], v[152:153], v[54:55]
	v_fmac_f64_e32 v[6:7], v[154:155], v[52:53]
	v_add_f64 v[0:1], v[0:1], v[6:7]
	v_mul_f64 v[6:7], v[214:215], v[162:163]
	v_fma_f64 v[18:19], v[212:213], v[160:161], -v[6:7]
	ds_read_b128 v[160:163], v2 offset:1504
	s_waitcnt vmcnt(11) lgkmcnt(1)
	v_mul_f64 v[6:7], v[156:157], v[58:59]
	v_fmac_f64_e32 v[6:7], v[158:159], v[56:57]
	v_add_f64 v[0:1], v[0:1], v[6:7]
	v_mul_f64 v[6:7], v[218:219], v[166:167]
	v_fma_f64 v[4:5], v[216:217], v[164:165], -v[6:7]
	ds_read_b128 v[164:167], v2 offset:1520
	ds_read_b128 v[168:171], v2 offset:1536
	s_waitcnt vmcnt(10) lgkmcnt(2)
	v_mul_f64 v[6:7], v[160:161], v[62:63]
	v_fmac_f64_e32 v[6:7], v[162:163], v[60:61]
	v_add_f64 v[0:1], v[0:1], v[6:7]
	s_waitcnt vmcnt(9) lgkmcnt(1)
	v_mul_f64 v[6:7], v[164:165], v[66:67]
	v_fmac_f64_e32 v[6:7], v[166:167], v[64:65]
	v_add_f64 v[0:1], v[0:1], v[6:7]
	v_mul_f64 v[6:7], v[222:223], v[174:175]
	v_fma_f64 v[22:23], v[220:221], v[172:173], -v[6:7]
	ds_read_b128 v[172:175], v2 offset:1552
	v_mul_f64 v[6:7], v[226:227], v[178:179]
	v_fma_f64 v[6:7], v[224:225], v[176:177], -v[6:7]
	ds_read_b128 v[176:179], v2 offset:1568
	s_waitcnt vmcnt(8) lgkmcnt(2)
	v_mul_f64 v[180:181], v[168:169], v[70:71]
	v_fmac_f64_e32 v[180:181], v[170:171], v[68:69]
	v_add_f64 v[0:1], v[0:1], v[180:181]
	s_waitcnt vmcnt(7) lgkmcnt(1)
	v_mul_f64 v[180:181], v[172:173], v[74:75]
	v_fmac_f64_e32 v[180:181], v[174:175], v[72:73]
	s_waitcnt vmcnt(6) lgkmcnt(0)
	v_mul_f64 v[192:193], v[176:177], v[78:79]
	v_add_f64 v[0:1], v[0:1], v[180:181]
	v_fmac_f64_e32 v[192:193], v[178:179], v[76:77]
	ds_read_b128 v[180:183], v2 offset:1584
	v_add_f64 v[192:193], v[0:1], v[192:193]
	v_mul_f64 v[0:1], v[230:231], v[186:187]
	v_fma_f64 v[0:1], v[228:229], v[184:185], -v[0:1]
	ds_read_b128 v[184:187], v2 offset:1600
	s_waitcnt vmcnt(5) lgkmcnt(1)
	v_mul_f64 v[194:195], v[180:181], v[82:83]
	v_fmac_f64_e32 v[194:195], v[182:183], v[80:81]
	v_mul_f64 v[190:191], v[240:241], v[190:191]
	v_add_f64 v[192:193], v[192:193], v[194:195]
	v_fma_f64 v[238:239], v[238:239], v[188:189], -v[190:191]
	ds_read_b128 v[188:191], v2 offset:1616
	s_waitcnt vmcnt(4) lgkmcnt(1)
	v_mul_f64 v[194:195], v[184:185], v[90:91]
	v_fmac_f64_e32 v[194:195], v[186:187], v[88:89]
	v_add_f64 v[200:201], v[192:193], v[194:195]
	ds_read_b128 v[192:195], v2 offset:1632
	v_mul_f64 v[198:199], v[254:255], v[198:199]
	v_fma_f64 v[240:241], v[252:253], v[196:197], -v[198:199]
	ds_read_b128 v[196:199], v2 offset:1648
	ds_read_b128 v[208:211], v2 offset:1680
	s_waitcnt vmcnt(3) lgkmcnt(3)
	v_mul_f64 v[202:203], v[188:189], v[86:87]
	v_fmac_f64_e32 v[202:203], v[190:191], v[84:85]
	v_add_f64 v[200:201], v[200:201], v[202:203]
	s_waitcnt vmcnt(2) lgkmcnt(2)
	v_mul_f64 v[202:203], v[192:193], v[98:99]
	v_fmac_f64_e32 v[202:203], v[194:195], v[96:97]
	v_add_f64 v[200:201], v[200:201], v[202:203]
	;; [unrolled: 4-line block ×3, first 2 shown]
	ds_read_b128 v[200:203], v2 offset:1664
	ds_read_b128 v[216:219], v2 offset:1696
	;; [unrolled: 1-line block ×3, first 2 shown]
	s_waitcnt vmcnt(0) lgkmcnt(2)
	v_mul_f64 v[206:207], v[200:201], v[114:115]
	v_fmac_f64_e32 v[206:207], v[202:203], v[112:113]
	v_add_f64 v[212:213], v[204:205], v[206:207]
	scratch_load_dwordx4 v[204:207], off, off offset:832
	s_waitcnt vmcnt(0)
	v_mul_f64 v[214:215], v[208:209], v[206:207]
	v_fmac_f64_e32 v[214:215], v[210:211], v[204:205]
	v_add_f64 v[220:221], v[212:213], v[214:215]
	scratch_load_dwordx4 v[212:215], off, off offset:848
	s_waitcnt vmcnt(0) lgkmcnt(1)
	v_mul_f64 v[222:223], v[216:217], v[214:215]
	v_fmac_f64_e32 v[222:223], v[218:219], v[212:213]
	v_add_f64 v[228:229], v[220:221], v[222:223]
	scratch_load_dwordx4 v[220:223], off, off offset:864
	s_waitcnt vmcnt(0) lgkmcnt(0)
	v_mul_f64 v[230:231], v[224:225], v[222:223]
	v_fmac_f64_e32 v[230:231], v[226:227], v[220:221]
	v_add_f64 v[254:255], v[228:229], v[230:231]
	v_add_f64 v[228:229], v[242:243], 0
	;; [unrolled: 1-line block ×8, first 2 shown]
	scratch_load_dwordx4 v[228:231], off, off offset:112
	v_add_f64 v[16:17], v[20:21], v[16:17]
	v_add_f64 v[12:13], v[16:17], v[12:13]
	;; [unrolled: 1-line block ×9, first 2 shown]
	v_accvgpr_read_b32 v6, a110
	v_accvgpr_read_b32 v8, a112
	;; [unrolled: 1-line block ×3, first 2 shown]
	v_add_f64 v[0:1], v[4:5], v[0:1]
	v_accvgpr_read_b32 v7, a111
	v_mul_f64 v[4:5], v[102:103], v[8:9]
	v_add_f64 v[0:1], v[0:1], v[238:239]
	v_fma_f64 v[4:5], v[100:101], v[6:7], -v[4:5]
	v_accvgpr_read_b32 v6, a114
	v_add_f64 v[0:1], v[0:1], v[240:241]
	v_accvgpr_read_b32 v8, a116
	v_accvgpr_read_b32 v9, a117
	v_add_f64 v[0:1], v[0:1], v[4:5]
	v_accvgpr_read_b32 v7, a115
	v_mul_f64 v[4:5], v[106:107], v[8:9]
	v_fma_f64 v[4:5], v[104:105], v[6:7], -v[4:5]
	v_accvgpr_read_b32 v6, a118
	v_accvgpr_read_b32 v8, a120
	v_accvgpr_read_b32 v9, a121
	v_add_f64 v[0:1], v[0:1], v[4:5]
	v_accvgpr_read_b32 v7, a119
	v_mul_f64 v[4:5], v[110:111], v[8:9]
	v_fma_f64 v[4:5], v[108:109], v[6:7], -v[4:5]
	v_accvgpr_read_b32 v6, a122
	v_accvgpr_read_b32 v8, a124
	;; [unrolled: 1-line block ×3, first 2 shown]
	v_add_f64 v[0:1], v[0:1], v[4:5]
	v_accvgpr_read_b32 v7, a123
	v_mul_f64 v[4:5], v[118:119], v[8:9]
	v_fma_f64 v[4:5], v[116:117], v[6:7], -v[4:5]
	v_add_f64 v[0:1], v[0:1], v[4:5]
	v_mul_f64 v[4:5], v[122:123], v[236:237]
	v_fma_f64 v[4:5], v[120:121], v[234:235], -v[4:5]
	v_add_f64 v[0:1], v[0:1], v[4:5]
	;; [unrolled: 3-line block ×25, first 2 shown]
	s_waitcnt vmcnt(0)
	v_add_f64 v[4:5], v[228:229], -v[0:1]
	v_accvgpr_read_b32 v0, a108
	v_add_f64 v[6:7], v[230:231], -v[254:255]
	v_cmp_lt_u32_e32 vcc, 5, v0
	scratch_store_dwordx4 off, v[4:7], off offset:112
	s_and_saveexec_b64 s[0:1], vcc
	s_cbranch_execz .LBB53_327
; %bb.326:
	scratch_load_dwordx4 v[6:9], off, s36
	v_mov_b32_e32 v3, v2
	v_mov_b32_e32 v4, v2
	;; [unrolled: 1-line block ×3, first 2 shown]
	v_accvgpr_read_b32 v0, a109
	scratch_store_dwordx4 off, v[2:5], off offset:96
	s_waitcnt vmcnt(1)
	ds_write_b128 v0, v[6:9]
.LBB53_327:
	s_or_b64 exec, exec, s[0:1]
	s_waitcnt lgkmcnt(0)
	; wave barrier
	scratch_load_dwordx4 v[40:43], off, off offset:112
	scratch_load_dwordx4 v[44:47], off, off offset:128
	;; [unrolled: 1-line block ×18, first 2 shown]
	ds_read_b128 v[164:167], v2 offset:960
	ds_read_b128 v[232:235], v2 offset:976
	;; [unrolled: 1-line block ×6, first 2 shown]
	scratch_load_dwordx4 v[140:143], off, off offset:400
	ds_read_b128 v[224:227], v2 offset:1056
	ds_read_b128 v[212:215], v2 offset:1072
	;; [unrolled: 1-line block ×3, first 2 shown]
	scratch_load_dwordx4 v[4:7], off, off offset:416
	ds_read_b128 v[228:231], v2 offset:1104
	ds_read_b128 v[216:219], v2 offset:1120
	;; [unrolled: 1-line block ×5, first 2 shown]
	scratch_load_dwordx4 v[8:11], off, off offset:432
	ds_read_b128 v[208:211], v2 offset:1184
	ds_read_b128 v[196:199], v2 offset:1200
	;; [unrolled: 1-line block ×3, first 2 shown]
	scratch_load_dwordx4 v[12:15], off, off offset:448
	ds_read_b128 v[200:203], v2 offset:1232
	scratch_load_dwordx4 v[16:19], off, off offset:464
	scratch_load_dwordx4 v[20:23], off, off offset:480
	;; [unrolled: 1-line block ×7, first 2 shown]
	ds_read_b128 v[236:239], v2 offset:1248
	ds_read_b128 v[156:159], v2 offset:1312
	;; [unrolled: 1-line block ×4, first 2 shown]
	s_waitcnt vmcnt(28) lgkmcnt(14)
	v_mul_f64 v[0:1], v[164:165], v[42:43]
	s_waitcnt vmcnt(27)
	v_mul_f64 v[108:109], v[232:233], v[46:47]
	v_fmac_f64_e32 v[0:1], v[166:167], v[40:41]
	s_waitcnt vmcnt(26)
	v_mul_f64 v[110:111], v[168:169], v[50:51]
	v_fmac_f64_e32 v[108:109], v[234:235], v[44:45]
	v_add_f64 v[0:1], v[0:1], 0
	s_waitcnt vmcnt(25)
	v_mul_f64 v[116:117], v[220:221], v[54:55]
	v_fmac_f64_e32 v[110:111], v[170:171], v[48:49]
	v_add_f64 v[0:1], v[0:1], v[108:109]
	;; [unrolled: 4-line block ×6, first 2 shown]
	s_waitcnt vmcnt(20) lgkmcnt(13)
	v_mul_f64 v[126:127], v[180:181], v[78:79]
	v_fmac_f64_e32 v[124:125], v[214:215], v[68:69]
	v_add_f64 v[0:1], v[0:1], v[122:123]
	s_waitcnt vmcnt(19) lgkmcnt(12)
	v_mul_f64 v[128:129], v[228:229], v[82:83]
	v_fmac_f64_e32 v[126:127], v[182:183], v[76:77]
	v_add_f64 v[0:1], v[0:1], v[124:125]
	;; [unrolled: 4-line block ×9, first 2 shown]
	v_add_f64 v[0:1], v[0:1], v[148:149]
	v_fmac_f64_e32 v[150:151], v[186:187], v[112:113]
	s_waitcnt vmcnt(11) lgkmcnt(4)
	v_mul_f64 v[116:117], v[200:201], v[138:139]
	v_add_f64 v[0:1], v[0:1], v[150:151]
	v_fmac_f64_e32 v[116:117], v[202:203], v[136:137]
	v_add_f64 v[0:1], v[0:1], v[116:117]
	ds_read_b128 v[144:147], v2 offset:1264
	s_waitcnt vmcnt(10) lgkmcnt(4)
	v_mul_f64 v[116:117], v[236:237], v[142:143]
	scratch_load_dwordx4 v[108:111], off, off offset:576
	v_fmac_f64_e32 v[116:117], v[238:239], v[140:141]
	v_add_f64 v[0:1], v[0:1], v[116:117]
	scratch_load_dwordx4 v[116:119], off, off offset:592
	ds_read_b128 v[148:151], v2 offset:1280
	scratch_load_dwordx4 v[120:123], off, off offset:608
	s_waitcnt vmcnt(12) lgkmcnt(1)
	v_mul_f64 v[124:125], v[144:145], v[6:7]
	v_fmac_f64_e32 v[124:125], v[146:147], v[4:5]
	v_add_f64 v[0:1], v[0:1], v[124:125]
	s_waitcnt vmcnt(11) lgkmcnt(0)
	v_mul_f64 v[124:125], v[148:149], v[10:11]
	v_fmac_f64_e32 v[124:125], v[150:151], v[8:9]
	s_waitcnt vmcnt(10)
	v_mul_f64 v[128:129], v[152:153], v[14:15]
	v_add_f64 v[0:1], v[0:1], v[124:125]
	scratch_load_dwordx4 v[124:127], off, off offset:624
	v_fmac_f64_e32 v[128:129], v[154:155], v[12:13]
	v_add_f64 v[0:1], v[0:1], v[128:129]
	scratch_load_dwordx4 v[128:131], off, off offset:640
	s_waitcnt vmcnt(11)
	v_mul_f64 v[132:133], v[156:157], v[18:19]
	v_fmac_f64_e32 v[132:133], v[158:159], v[16:17]
	v_add_f64 v[0:1], v[0:1], v[132:133]
	scratch_load_dwordx4 v[132:135], off, off offset:656
	v_mul_f64 v[42:43], v[166:167], v[42:43]
	v_fma_f64 v[242:243], v[164:165], v[40:41], -v[42:43]
	scratch_load_dwordx4 v[40:43], off, off offset:672
	v_mul_f64 v[46:47], v[234:235], v[46:47]
	v_fma_f64 v[244:245], v[232:233], v[44:45], -v[46:47]
	;; [unrolled: 3-line block ×3, first 2 shown]
	v_mul_f64 v[48:49], v[222:223], v[54:55]
	v_fma_f64 v[248:249], v[220:221], v[52:53], -v[48:49]
	scratch_load_dwordx4 v[48:51], off, off offset:704
	scratch_load_dwordx4 v[52:55], off, off offset:720
	s_waitcnt vmcnt(15)
	v_mul_f64 v[164:165], v[160:161], v[22:23]
	v_fmac_f64_e32 v[164:165], v[162:163], v[20:21]
	v_add_f64 v[0:1], v[0:1], v[164:165]
	ds_read_b128 v[164:167], v2 offset:1344
	ds_read_b128 v[168:171], v2 offset:1360
	v_mul_f64 v[58:59], v[174:175], v[58:59]
	v_fma_f64 v[250:251], v[172:173], v[56:57], -v[58:59]
	ds_read_b128 v[172:175], v2 offset:1376
	v_mul_f64 v[56:57], v[178:179], v[62:63]
	v_fma_f64 v[254:255], v[176:177], v[60:61], -v[56:57]
	scratch_load_dwordx4 v[60:63], off, off offset:736
	scratch_load_dwordx4 v[56:59], off, off offset:752
	s_waitcnt vmcnt(16) lgkmcnt(2)
	v_mul_f64 v[232:233], v[164:165], v[34:35]
	v_fmac_f64_e32 v[232:233], v[166:167], v[32:33]
	s_waitcnt vmcnt(15) lgkmcnt(1)
	v_mul_f64 v[220:221], v[168:169], v[38:39]
	v_mul_f64 v[66:67], v[226:227], v[66:67]
	v_add_f64 v[0:1], v[0:1], v[232:233]
	v_fmac_f64_e32 v[220:221], v[170:171], v[36:37]
	v_fma_f64 v[240:241], v[224:225], v[64:65], -v[66:67]
	s_waitcnt vmcnt(14) lgkmcnt(0)
	v_mul_f64 v[64:65], v[172:173], v[30:31]
	v_add_f64 v[0:1], v[0:1], v[220:221]
	v_fmac_f64_e32 v[64:65], v[174:175], v[28:29]
	v_accvgpr_write_b32 a137, v23
	v_add_f64 v[0:1], v[0:1], v[64:65]
	v_mul_f64 v[64:65], v[214:215], v[70:71]
	v_accvgpr_write_b32 a136, v22
	v_accvgpr_write_b32 a135, v21
	v_accvgpr_write_b32 a134, v20
	ds_read_b128 v[176:179], v2 offset:1392
	v_fma_f64 v[20:21], v[212:213], v[68:69], -v[64:65]
	scratch_load_dwordx4 v[68:71], off, off offset:768
	scratch_load_dwordx4 v[64:67], off, off offset:784
	v_accvgpr_write_b32 a121, v7
	v_accvgpr_write_b32 a120, v6
	;; [unrolled: 1-line block ×5, first 2 shown]
	v_mul_f64 v[6:7], v[182:183], v[78:79]
	v_accvgpr_write_b32 a132, v18
	v_accvgpr_write_b32 a131, v17
	;; [unrolled: 1-line block ×3, first 2 shown]
	v_fma_f64 v[16:17], v[180:181], v[76:77], -v[6:7]
	s_waitcnt vmcnt(15) lgkmcnt(0)
	v_mul_f64 v[76:77], v[176:177], v[26:27]
	v_fmac_f64_e32 v[76:77], v[178:179], v[24:25]
	v_accvgpr_write_b32 a129, v15
	v_add_f64 v[0:1], v[0:1], v[76:77]
	v_mul_f64 v[76:77], v[230:231], v[82:83]
	v_accvgpr_write_b32 a128, v14
	v_accvgpr_write_b32 a127, v13
	;; [unrolled: 1-line block ×3, first 2 shown]
	v_fma_f64 v[12:13], v[228:229], v[80:81], -v[76:77]
	scratch_load_dwordx4 v[76:79], off, off offset:800
	scratch_load_dwordx4 v[232:235], off, off offset:864
	ds_read_b128 v[180:183], v2 offset:1408
	ds_read_b128 v[80:83], v2 offset:1424
	v_accvgpr_write_b32 a125, v11
	v_accvgpr_write_b32 a124, v10
	;; [unrolled: 1-line block ×4, first 2 shown]
	s_waitcnt vmcnt(16) lgkmcnt(1)
	v_mul_f64 v[10:11], v[180:181], v[74:75]
	v_fmac_f64_e32 v[10:11], v[182:183], v[72:73]
	v_add_f64 v[0:1], v[0:1], v[10:11]
	v_mul_f64 v[10:11], v[218:219], v[86:87]
	v_fma_f64 v[10:11], v[216:217], v[84:85], -v[10:11]
	ds_read_b128 v[84:87], v2 offset:1440
	v_mul_f64 v[90:91], v[190:191], v[90:91]
	v_fma_f64 v[8:9], v[188:189], v[88:89], -v[90:91]
	ds_read_b128 v[88:91], v2 offset:1456
	s_waitcnt vmcnt(15) lgkmcnt(2)
	v_mul_f64 v[212:213], v[80:81], v[110:111]
	v_fmac_f64_e32 v[212:213], v[82:83], v[108:109]
	s_waitcnt vmcnt(14) lgkmcnt(1)
	v_mul_f64 v[14:15], v[84:85], v[118:119]
	v_add_f64 v[0:1], v[0:1], v[212:213]
	v_fmac_f64_e32 v[14:15], v[86:87], v[116:117]
	v_add_f64 v[0:1], v[0:1], v[14:15]
	s_waitcnt vmcnt(13) lgkmcnt(0)
	v_mul_f64 v[14:15], v[88:89], v[122:123]
	v_fmac_f64_e32 v[14:15], v[90:91], v[120:121]
	ds_read_b128 v[188:191], v2 offset:1472
	v_add_f64 v[0:1], v[0:1], v[14:15]
	v_mul_f64 v[14:15], v[206:207], v[94:95]
	v_fma_f64 v[14:15], v[204:205], v[92:93], -v[14:15]
	ds_read_b128 v[92:95], v2 offset:1488
	v_mul_f64 v[98:99], v[194:195], v[98:99]
	v_fma_f64 v[6:7], v[192:193], v[96:97], -v[98:99]
	ds_read_b128 v[96:99], v2 offset:1504
	ds_read_b128 v[192:195], v2 offset:1520
	s_waitcnt vmcnt(12) lgkmcnt(3)
	v_mul_f64 v[204:205], v[188:189], v[126:127]
	v_fmac_f64_e32 v[204:205], v[190:191], v[124:125]
	s_waitcnt vmcnt(11) lgkmcnt(2)
	v_mul_f64 v[18:19], v[92:93], v[130:131]
	v_add_f64 v[0:1], v[0:1], v[204:205]
	v_fmac_f64_e32 v[18:19], v[94:95], v[128:129]
	v_add_f64 v[0:1], v[0:1], v[18:19]
	s_waitcnt vmcnt(10) lgkmcnt(1)
	v_mul_f64 v[18:19], v[96:97], v[134:135]
	v_fmac_f64_e32 v[18:19], v[98:99], v[132:133]
	v_add_f64 v[0:1], v[0:1], v[18:19]
	v_mul_f64 v[18:19], v[210:211], v[102:103]
	v_fma_f64 v[18:19], v[208:209], v[100:101], -v[18:19]
	ds_read_b128 v[100:103], v2 offset:1536
	v_mul_f64 v[106:107], v[198:199], v[106:107]
	v_fma_f64 v[4:5], v[196:197], v[104:105], -v[106:107]
	ds_read_b128 v[104:107], v2 offset:1552
	s_waitcnt vmcnt(9) lgkmcnt(2)
	v_mul_f64 v[204:205], v[192:193], v[42:43]
	v_fmac_f64_e32 v[204:205], v[194:195], v[40:41]
	s_waitcnt vmcnt(8) lgkmcnt(1)
	v_mul_f64 v[22:23], v[100:101], v[46:47]
	v_add_f64 v[0:1], v[0:1], v[204:205]
	v_fmac_f64_e32 v[22:23], v[102:103], v[44:45]
	v_add_f64 v[0:1], v[0:1], v[22:23]
	s_waitcnt vmcnt(7) lgkmcnt(0)
	v_mul_f64 v[22:23], v[104:105], v[50:51]
	ds_read_b128 v[196:199], v2 offset:1568
	v_fmac_f64_e32 v[22:23], v[106:107], v[48:49]
	v_add_f64 v[0:1], v[0:1], v[22:23]
	v_mul_f64 v[22:23], v[186:187], v[114:115]
	v_fma_f64 v[22:23], v[184:185], v[112:113], -v[22:23]
	ds_read_b128 v[112:115], v2 offset:1584
	s_waitcnt vmcnt(6) lgkmcnt(1)
	v_mul_f64 v[184:185], v[196:197], v[54:55]
	v_fmac_f64_e32 v[184:185], v[198:199], v[52:53]
	v_add_f64 v[184:185], v[0:1], v[184:185]
	v_mul_f64 v[0:1], v[202:203], v[138:139]
	v_fma_f64 v[0:1], v[200:201], v[136:137], -v[0:1]
	ds_read_b128 v[136:139], v2 offset:1600
	s_waitcnt vmcnt(5) lgkmcnt(1)
	v_mul_f64 v[186:187], v[112:113], v[62:63]
	v_fmac_f64_e32 v[186:187], v[114:115], v[60:61]
	v_add_f64 v[200:201], v[184:185], v[186:187]
	ds_read_b128 v[184:187], v2 offset:1616
	v_mul_f64 v[142:143], v[238:239], v[142:143]
	v_fma_f64 v[252:253], v[236:237], v[140:141], -v[142:143]
	ds_read_b128 v[140:143], v2 offset:1632
	ds_read_b128 v[208:211], v2 offset:1664
	s_waitcnt vmcnt(4) lgkmcnt(3)
	v_mul_f64 v[202:203], v[136:137], v[58:59]
	v_fmac_f64_e32 v[202:203], v[138:139], v[56:57]
	v_add_f64 v[200:201], v[200:201], v[202:203]
	s_waitcnt vmcnt(3) lgkmcnt(2)
	v_mul_f64 v[202:203], v[184:185], v[70:71]
	v_fmac_f64_e32 v[202:203], v[186:187], v[68:69]
	v_add_f64 v[200:201], v[200:201], v[202:203]
	;; [unrolled: 4-line block ×3, first 2 shown]
	ds_read_b128 v[200:203], v2 offset:1648
	ds_read_b128 v[216:219], v2 offset:1680
	;; [unrolled: 1-line block ×3, first 2 shown]
	s_waitcnt vmcnt(1) lgkmcnt(2)
	v_mul_f64 v[206:207], v[200:201], v[78:79]
	v_fmac_f64_e32 v[206:207], v[202:203], v[76:77]
	v_add_f64 v[212:213], v[204:205], v[206:207]
	scratch_load_dwordx4 v[204:207], off, off offset:816
	s_waitcnt vmcnt(0)
	v_mul_f64 v[214:215], v[208:209], v[206:207]
	v_fmac_f64_e32 v[214:215], v[210:211], v[204:205]
	v_add_f64 v[220:221], v[212:213], v[214:215]
	scratch_load_dwordx4 v[212:215], off, off offset:832
	s_waitcnt vmcnt(0) lgkmcnt(1)
	v_mul_f64 v[222:223], v[216:217], v[214:215]
	v_fmac_f64_e32 v[222:223], v[218:219], v[212:213]
	v_add_f64 v[228:229], v[220:221], v[222:223]
	scratch_load_dwordx4 v[220:223], off, off offset:848
	s_waitcnt vmcnt(0) lgkmcnt(0)
	v_mul_f64 v[230:231], v[224:225], v[222:223]
	v_fmac_f64_e32 v[230:231], v[226:227], v[220:221]
	v_add_f64 v[236:237], v[228:229], v[230:231]
	ds_read_b128 v[228:231], v2 offset:1712
	s_waitcnt lgkmcnt(0)
	v_mul_f64 v[2:3], v[228:229], v[234:235]
	v_fmac_f64_e32 v[2:3], v[230:231], v[232:233]
	v_add_f64 v[2:3], v[236:237], v[2:3]
	v_add_f64 v[236:237], v[242:243], 0
	;; [unrolled: 1-line block ×9, first 2 shown]
	scratch_load_dwordx4 v[236:239], off, off offset:96
	v_add_f64 v[16:17], v[20:21], v[16:17]
	v_add_f64 v[12:13], v[16:17], v[12:13]
	;; [unrolled: 1-line block ×8, first 2 shown]
	v_accvgpr_read_b32 v6, a118
	v_accvgpr_read_b32 v8, a120
	;; [unrolled: 1-line block ×3, first 2 shown]
	v_add_f64 v[254:255], v[4:5], v[22:23]
	v_accvgpr_read_b32 v7, a119
	v_mul_f64 v[4:5], v[146:147], v[8:9]
	v_add_f64 v[0:1], v[254:255], v[0:1]
	v_fma_f64 v[4:5], v[144:145], v[6:7], -v[4:5]
	v_accvgpr_read_b32 v6, a122
	v_add_f64 v[0:1], v[0:1], v[252:253]
	v_accvgpr_read_b32 v8, a124
	v_accvgpr_read_b32 v9, a125
	v_add_f64 v[0:1], v[0:1], v[4:5]
	v_accvgpr_read_b32 v7, a123
	v_mul_f64 v[4:5], v[150:151], v[8:9]
	v_fma_f64 v[4:5], v[148:149], v[6:7], -v[4:5]
	v_accvgpr_read_b32 v6, a126
	v_accvgpr_read_b32 v8, a128
	v_accvgpr_read_b32 v9, a129
	v_add_f64 v[0:1], v[0:1], v[4:5]
	v_accvgpr_read_b32 v7, a127
	v_mul_f64 v[4:5], v[154:155], v[8:9]
	v_fma_f64 v[4:5], v[152:153], v[6:7], -v[4:5]
	v_accvgpr_read_b32 v6, a130
	;; [unrolled: 7-line block ×3, first 2 shown]
	v_accvgpr_read_b32 v8, a136
	v_accvgpr_read_b32 v9, a137
	v_add_f64 v[0:1], v[0:1], v[4:5]
	v_accvgpr_read_b32 v7, a135
	v_mul_f64 v[4:5], v[162:163], v[8:9]
	v_fma_f64 v[4:5], v[160:161], v[6:7], -v[4:5]
	v_add_f64 v[0:1], v[0:1], v[4:5]
	v_mul_f64 v[4:5], v[166:167], v[34:35]
	v_fma_f64 v[4:5], v[164:165], v[32:33], -v[4:5]
	v_add_f64 v[0:1], v[0:1], v[4:5]
	;; [unrolled: 3-line block ×25, first 2 shown]
	s_waitcnt vmcnt(0)
	v_add_f64 v[4:5], v[236:237], -v[0:1]
	v_accvgpr_read_b32 v0, a108
	v_add_f64 v[6:7], v[238:239], -v[2:3]
	v_cmp_lt_u32_e32 vcc, 4, v0
	scratch_store_dwordx4 off, v[4:7], off offset:96
	s_and_saveexec_b64 s[0:1], vcc
	s_cbranch_execz .LBB53_329
; %bb.328:
	scratch_load_dwordx4 v[2:5], off, s35
	v_mov_b32_e32 v6, 0
	v_mov_b32_e32 v7, v6
	;; [unrolled: 1-line block ×4, first 2 shown]
	v_accvgpr_read_b32 v0, a109
	scratch_store_dwordx4 off, v[6:9], off offset:80
	s_waitcnt vmcnt(1)
	ds_write_b128 v0, v[2:5]
.LBB53_329:
	s_or_b64 exec, exec, s[0:1]
	s_waitcnt lgkmcnt(0)
	; wave barrier
	scratch_load_dwordx4 v[56:59], off, off offset:96
	scratch_load_dwordx4 v[60:63], off, off offset:112
	;; [unrolled: 1-line block ×28, first 2 shown]
	v_mov_b32_e32 v2, 0
	ds_read_b128 v[116:119], v2 offset:944
	ds_read_b128 v[120:123], v2 offset:960
	;; [unrolled: 1-line block ×22, first 2 shown]
	s_waitcnt vmcnt(27) lgkmcnt(14)
	v_mul_f64 v[0:1], v[116:117], v[58:59]
	s_waitcnt vmcnt(26)
	v_mul_f64 v[32:33], v[120:121], v[62:63]
	v_fmac_f64_e32 v[0:1], v[118:119], v[56:57]
	s_waitcnt vmcnt(25)
	v_mul_f64 v[34:35], v[124:125], v[66:67]
	v_fmac_f64_e32 v[32:33], v[122:123], v[60:61]
	v_add_f64 v[0:1], v[0:1], 0
	v_fmac_f64_e32 v[34:35], v[126:127], v[64:65]
	v_add_f64 v[0:1], v[0:1], v[32:33]
	v_add_f64 v[0:1], v[0:1], v[34:35]
	scratch_load_dwordx4 v[32:35], off, off offset:544
	s_waitcnt vmcnt(25)
	v_mul_f64 v[36:37], v[128:129], v[70:71]
	s_waitcnt vmcnt(24)
	v_mul_f64 v[38:39], v[132:133], v[74:75]
	v_fmac_f64_e32 v[36:37], v[130:131], v[68:69]
	s_waitcnt vmcnt(23)
	v_mul_f64 v[40:41], v[140:141], v[78:79]
	v_fmac_f64_e32 v[38:39], v[134:135], v[72:73]
	v_add_f64 v[0:1], v[0:1], v[36:37]
	s_waitcnt vmcnt(22)
	v_mul_f64 v[42:43], v[152:153], v[82:83]
	v_fmac_f64_e32 v[40:41], v[142:143], v[76:77]
	v_add_f64 v[0:1], v[0:1], v[38:39]
	;; [unrolled: 4-line block ×3, first 2 shown]
	s_waitcnt vmcnt(20) lgkmcnt(13)
	v_mul_f64 v[46:47], v[176:177], v[94:95]
	v_fmac_f64_e32 v[44:45], v[166:167], v[84:85]
	v_add_f64 v[0:1], v[0:1], v[42:43]
	s_waitcnt vmcnt(19) lgkmcnt(12)
	v_mul_f64 v[48:49], v[188:189], v[98:99]
	v_fmac_f64_e32 v[46:47], v[178:179], v[92:93]
	v_add_f64 v[0:1], v[0:1], v[44:45]
	s_waitcnt vmcnt(18) lgkmcnt(11)
	v_mul_f64 v[50:51], v[196:197], v[102:103]
	v_fmac_f64_e32 v[48:49], v[190:191], v[96:97]
	v_add_f64 v[0:1], v[0:1], v[46:47]
	s_waitcnt vmcnt(17) lgkmcnt(10)
	v_mul_f64 v[52:53], v[200:201], v[138:139]
	v_fmac_f64_e32 v[50:51], v[198:199], v[100:101]
	v_add_f64 v[0:1], v[0:1], v[48:49]
	s_waitcnt vmcnt(16) lgkmcnt(9)
	v_mul_f64 v[54:55], v[204:205], v[146:147]
	v_fmac_f64_e32 v[52:53], v[202:203], v[136:137]
	v_add_f64 v[0:1], v[0:1], v[50:51]
	s_waitcnt vmcnt(15) lgkmcnt(8)
	v_mul_f64 v[88:89], v[208:209], v[150:151]
	v_fmac_f64_e32 v[54:55], v[206:207], v[144:145]
	v_add_f64 v[0:1], v[0:1], v[52:53]
	s_waitcnt vmcnt(14) lgkmcnt(7)
	v_mul_f64 v[90:91], v[212:213], v[158:159]
	v_fmac_f64_e32 v[88:89], v[210:211], v[148:149]
	v_add_f64 v[0:1], v[0:1], v[54:55]
	s_waitcnt vmcnt(13) lgkmcnt(6)
	v_mul_f64 v[104:105], v[216:217], v[162:163]
	v_fmac_f64_e32 v[90:91], v[214:215], v[156:157]
	v_add_f64 v[0:1], v[0:1], v[88:89]
	s_waitcnt vmcnt(12) lgkmcnt(5)
	v_mul_f64 v[106:107], v[220:221], v[170:171]
	v_fmac_f64_e32 v[104:105], v[218:219], v[160:161]
	v_add_f64 v[0:1], v[0:1], v[90:91]
	v_add_f64 v[0:1], v[0:1], v[104:105]
	v_fmac_f64_e32 v[106:107], v[222:223], v[168:169]
	s_waitcnt vmcnt(11) lgkmcnt(4)
	v_mul_f64 v[40:41], v[224:225], v[174:175]
	v_add_f64 v[0:1], v[0:1], v[106:107]
	v_fmac_f64_e32 v[40:41], v[226:227], v[172:173]
	scratch_load_dwordx4 v[36:39], off, off offset:560
	v_add_f64 v[0:1], v[0:1], v[40:41]
	s_waitcnt vmcnt(11) lgkmcnt(3)
	v_mul_f64 v[40:41], v[228:229], v[182:183]
	v_fmac_f64_e32 v[40:41], v[230:231], v[180:181]
	s_waitcnt vmcnt(10) lgkmcnt(2)
	v_mul_f64 v[44:45], v[238:239], v[186:187]
	v_add_f64 v[0:1], v[0:1], v[40:41]
	v_fmac_f64_e32 v[44:45], v[240:241], v[184:185]
	scratch_load_dwordx4 v[40:43], off, off offset:576
	ds_read_b128 v[88:91], v2 offset:1280
	v_add_f64 v[0:1], v[0:1], v[44:45]
	s_waitcnt vmcnt(10) lgkmcnt(2)
	v_mul_f64 v[44:45], v[252:253], v[194:195]
	v_fmac_f64_e32 v[44:45], v[254:255], v[192:193]
	v_add_f64 v[0:1], v[0:1], v[44:45]
	scratch_load_dwordx4 v[44:47], off, off offset:592
	ds_read_b128 v[104:107], v2 offset:1296
	s_waitcnt vmcnt(10) lgkmcnt(1)
	v_mul_f64 v[48:49], v[88:89], v[6:7]
	v_accvgpr_write_b32 a113, v7
	v_fmac_f64_e32 v[48:49], v[90:91], v[4:5]
	v_accvgpr_write_b32 a112, v6
	v_accvgpr_write_b32 a111, v5
	;; [unrolled: 1-line block ×3, first 2 shown]
	s_waitcnt vmcnt(9)
	v_mov_b64_e32 v[4:5], v[8:9]
	v_add_f64 v[0:1], v[0:1], v[48:49]
	scratch_load_dwordx4 v[48:51], off, off offset:608
	v_mov_b64_e32 v[6:7], v[10:11]
	s_waitcnt lgkmcnt(0)
	v_mul_f64 v[52:53], v[104:105], v[6:7]
	v_fmac_f64_e32 v[52:53], v[106:107], v[4:5]
	v_add_f64 v[0:1], v[0:1], v[52:53]
	scratch_load_dwordx4 v[52:55], off, off offset:624
	v_mul_f64 v[58:59], v[118:119], v[58:59]
	v_fma_f64 v[242:243], v[116:117], v[56:57], -v[58:59]
	scratch_load_dwordx4 v[56:59], off, off offset:640
	s_waitcnt vmcnt(11)
	v_mov_b64_e32 v[4:5], v[12:13]
	v_mov_b64_e32 v[6:7], v[14:15]
	v_mul_f64 v[112:113], v[108:109], v[6:7]
	v_fmac_f64_e32 v[112:113], v[110:111], v[4:5]
	v_mul_f64 v[62:63], v[122:123], v[62:63]
	v_add_f64 v[0:1], v[0:1], v[112:113]
	ds_read_b128 v[112:115], v2 offset:1328
	ds_read_b128 v[116:119], v2 offset:1344
	v_fma_f64 v[244:245], v[120:121], v[60:61], -v[62:63]
	scratch_load_dwordx4 v[60:63], off, off offset:656
	v_mul_f64 v[66:67], v[126:127], v[66:67]
	v_fma_f64 v[246:247], v[124:125], v[64:65], -v[66:67]
	scratch_load_dwordx4 v[64:67], off, off offset:672
	s_waitcnt vmcnt(12)
	v_mov_b64_e32 v[4:5], v[16:17]
	v_mov_b64_e32 v[6:7], v[18:19]
	s_waitcnt lgkmcnt(1)
	v_mul_f64 v[120:121], v[112:113], v[6:7]
	v_fmac_f64_e32 v[120:121], v[114:115], v[4:5]
	s_waitcnt vmcnt(11)
	v_mov_b64_e32 v[4:5], v[20:21]
	v_mov_b64_e32 v[6:7], v[22:23]
	v_mul_f64 v[70:71], v[130:131], v[70:71]
	v_add_f64 v[0:1], v[0:1], v[120:121]
	s_waitcnt lgkmcnt(0)
	v_mul_f64 v[120:121], v[116:117], v[6:7]
	v_fma_f64 v[248:249], v[128:129], v[68:69], -v[70:71]
	scratch_load_dwordx4 v[68:71], off, off offset:688
	v_fmac_f64_e32 v[120:121], v[118:119], v[4:5]
	v_mul_f64 v[74:75], v[134:135], v[74:75]
	v_add_f64 v[0:1], v[0:1], v[120:121]
	ds_read_b128 v[120:123], v2 offset:1360
	ds_read_b128 v[124:127], v2 offset:1376
	v_fma_f64 v[250:251], v[132:133], v[72:73], -v[74:75]
	scratch_load_dwordx4 v[72:75], off, off offset:704
	v_mul_f64 v[78:79], v[142:143], v[78:79]
	v_fma_f64 v[232:233], v[140:141], v[76:77], -v[78:79]
	scratch_load_dwordx4 v[76:79], off, off offset:720
	s_waitcnt vmcnt(13) lgkmcnt(1)
	v_mul_f64 v[128:129], v[120:121], v[236:237]
	v_fmac_f64_e32 v[128:129], v[122:123], v[234:235]
	v_mul_f64 v[82:83], v[154:155], v[82:83]
	s_waitcnt vmcnt(12) lgkmcnt(0)
	v_mul_f64 v[6:7], v[124:125], v[30:31]
	v_add_f64 v[0:1], v[0:1], v[128:129]
	v_fma_f64 v[24:25], v[152:153], v[80:81], -v[82:83]
	v_fmac_f64_e32 v[6:7], v[126:127], v[28:29]
	scratch_load_dwordx4 v[80:83], off, off offset:736
	v_accvgpr_write_b32 a129, v23
	v_add_f64 v[0:1], v[0:1], v[6:7]
	v_mul_f64 v[6:7], v[166:167], v[86:87]
	v_accvgpr_write_b32 a128, v22
	v_accvgpr_write_b32 a127, v21
	;; [unrolled: 1-line block ×3, first 2 shown]
	v_fma_f64 v[20:21], v[164:165], v[84:85], -v[6:7]
	scratch_load_dwordx4 v[84:87], off, off offset:752
	ds_read_b128 v[132:135], v2 offset:1392
	ds_read_b128 v[128:131], v2 offset:1408
	v_accvgpr_write_b32 a125, v19
	v_mul_f64 v[6:7], v[178:179], v[94:95]
	v_accvgpr_write_b32 a121, v15
	v_accvgpr_write_b32 a124, v18
	;; [unrolled: 1-line block ×4, first 2 shown]
	v_fma_f64 v[16:17], v[176:177], v[92:93], -v[6:7]
	v_mul_f64 v[6:7], v[190:191], v[98:99]
	v_accvgpr_write_b32 a120, v14
	v_accvgpr_write_b32 a119, v13
	;; [unrolled: 1-line block ×3, first 2 shown]
	v_fma_f64 v[12:13], v[188:189], v[96:97], -v[6:7]
	scratch_load_dwordx4 v[96:99], off, off offset:768
	scratch_load_dwordx4 v[92:95], off, off offset:784
	s_waitcnt vmcnt(15) lgkmcnt(1)
	v_mul_f64 v[6:7], v[132:133], v[34:35]
	v_fmac_f64_e32 v[6:7], v[134:135], v[32:33]
	v_add_f64 v[0:1], v[0:1], v[6:7]
	v_mul_f64 v[6:7], v[198:199], v[102:103]
	v_fma_f64 v[14:15], v[196:197], v[100:101], -v[6:7]
	scratch_load_dwordx4 v[100:103], off, off offset:800
	v_accvgpr_write_b32 a117, v11
	v_mul_f64 v[6:7], v[202:203], v[138:139]
	v_accvgpr_write_b32 a116, v10
	v_accvgpr_write_b32 a115, v9
	;; [unrolled: 1-line block ×3, first 2 shown]
	v_fma_f64 v[10:11], v[200:201], v[136:137], -v[6:7]
	ds_read_b128 v[136:139], v2 offset:1424
	ds_read_b128 v[140:143], v2 offset:1440
	s_waitcnt vmcnt(15) lgkmcnt(2)
	v_mul_f64 v[6:7], v[128:129], v[38:39]
	v_fmac_f64_e32 v[6:7], v[130:131], v[36:37]
	v_add_f64 v[0:1], v[0:1], v[6:7]
	s_waitcnt vmcnt(14) lgkmcnt(1)
	v_mul_f64 v[6:7], v[136:137], v[42:43]
	v_fmac_f64_e32 v[6:7], v[138:139], v[40:41]
	v_add_f64 v[0:1], v[0:1], v[6:7]
	v_mul_f64 v[6:7], v[206:207], v[146:147]
	v_fma_f64 v[18:19], v[204:205], v[144:145], -v[6:7]
	ds_read_b128 v[144:147], v2 offset:1456
	s_waitcnt vmcnt(13) lgkmcnt(1)
	v_mul_f64 v[6:7], v[140:141], v[46:47]
	v_fmac_f64_e32 v[6:7], v[142:143], v[44:45]
	v_add_f64 v[0:1], v[0:1], v[6:7]
	v_mul_f64 v[6:7], v[210:211], v[150:151]
	v_fma_f64 v[8:9], v[208:209], v[148:149], -v[6:7]
	ds_read_b128 v[148:151], v2 offset:1472
	s_waitcnt vmcnt(12) lgkmcnt(1)
	v_mul_f64 v[6:7], v[144:145], v[50:51]
	ds_read_b128 v[152:155], v2 offset:1488
	v_fmac_f64_e32 v[6:7], v[146:147], v[48:49]
	v_add_f64 v[0:1], v[0:1], v[6:7]
	v_mul_f64 v[6:7], v[214:215], v[158:159]
	v_fma_f64 v[22:23], v[212:213], v[156:157], -v[6:7]
	s_waitcnt vmcnt(11) lgkmcnt(1)
	v_mul_f64 v[6:7], v[148:149], v[54:55]
	v_fmac_f64_e32 v[6:7], v[150:151], v[52:53]
	ds_read_b128 v[156:159], v2 offset:1504
	v_add_f64 v[0:1], v[0:1], v[6:7]
	s_waitcnt vmcnt(10) lgkmcnt(1)
	v_mul_f64 v[6:7], v[152:153], v[58:59]
	v_fmac_f64_e32 v[6:7], v[154:155], v[56:57]
	v_add_f64 v[0:1], v[0:1], v[6:7]
	v_mul_f64 v[6:7], v[218:219], v[162:163]
	v_fma_f64 v[4:5], v[216:217], v[160:161], -v[6:7]
	ds_read_b128 v[160:163], v2 offset:1520
	ds_read_b128 v[164:167], v2 offset:1536
	s_waitcnt vmcnt(9) lgkmcnt(2)
	v_mul_f64 v[6:7], v[156:157], v[62:63]
	v_fmac_f64_e32 v[6:7], v[158:159], v[60:61]
	v_add_f64 v[0:1], v[0:1], v[6:7]
	s_waitcnt vmcnt(8) lgkmcnt(1)
	v_mul_f64 v[6:7], v[160:161], v[66:67]
	v_fmac_f64_e32 v[6:7], v[162:163], v[64:65]
	v_add_f64 v[0:1], v[0:1], v[6:7]
	v_mul_f64 v[6:7], v[222:223], v[170:171]
	v_fma_f64 v[26:27], v[220:221], v[168:169], -v[6:7]
	ds_read_b128 v[168:171], v2 offset:1552
	v_mul_f64 v[6:7], v[226:227], v[174:175]
	v_fma_f64 v[6:7], v[224:225], v[172:173], -v[6:7]
	ds_read_b128 v[172:175], v2 offset:1568
	s_waitcnt vmcnt(7) lgkmcnt(2)
	v_mul_f64 v[176:177], v[164:165], v[70:71]
	v_fmac_f64_e32 v[176:177], v[166:167], v[68:69]
	v_add_f64 v[0:1], v[0:1], v[176:177]
	s_waitcnt vmcnt(6) lgkmcnt(1)
	v_mul_f64 v[176:177], v[168:169], v[74:75]
	v_fmac_f64_e32 v[176:177], v[170:171], v[72:73]
	v_add_f64 v[0:1], v[0:1], v[176:177]
	s_waitcnt vmcnt(5) lgkmcnt(0)
	v_mul_f64 v[188:189], v[172:173], v[78:79]
	ds_read_b128 v[176:179], v2 offset:1584
	v_fmac_f64_e32 v[188:189], v[174:175], v[76:77]
	v_add_f64 v[188:189], v[0:1], v[188:189]
	v_mul_f64 v[0:1], v[230:231], v[182:183]
	v_fma_f64 v[0:1], v[228:229], v[180:181], -v[0:1]
	ds_read_b128 v[180:183], v2 offset:1600
	v_mul_f64 v[186:187], v[240:241], v[186:187]
	s_waitcnt vmcnt(4) lgkmcnt(1)
	v_mul_f64 v[190:191], v[176:177], v[82:83]
	v_fma_f64 v[238:239], v[238:239], v[184:185], -v[186:187]
	ds_read_b128 v[184:187], v2 offset:1616
	v_fmac_f64_e32 v[190:191], v[178:179], v[80:81]
	v_add_f64 v[196:197], v[188:189], v[190:191]
	ds_read_b128 v[188:191], v2 offset:1632
	s_waitcnt vmcnt(3) lgkmcnt(2)
	v_mul_f64 v[198:199], v[180:181], v[86:87]
	v_mul_f64 v[194:195], v[254:255], v[194:195]
	v_fmac_f64_e32 v[198:199], v[182:183], v[84:85]
	v_fma_f64 v[240:241], v[252:253], v[192:193], -v[194:195]
	ds_read_b128 v[192:195], v2 offset:1648
	ds_read_b128 v[200:203], v2 offset:1664
	v_add_f64 v[196:197], v[196:197], v[198:199]
	s_waitcnt vmcnt(2) lgkmcnt(3)
	v_mul_f64 v[198:199], v[184:185], v[98:99]
	v_fmac_f64_e32 v[198:199], v[186:187], v[96:97]
	v_add_f64 v[196:197], v[196:197], v[198:199]
	s_waitcnt vmcnt(1) lgkmcnt(2)
	v_mul_f64 v[198:199], v[188:189], v[94:95]
	v_fmac_f64_e32 v[198:199], v[190:191], v[92:93]
	;; [unrolled: 4-line block ×3, first 2 shown]
	v_add_f64 v[204:205], v[196:197], v[198:199]
	scratch_load_dwordx4 v[196:199], off, off offset:816
	ds_read_b128 v[208:211], v2 offset:1680
	ds_read_b128 v[216:219], v2 offset:1696
	;; [unrolled: 1-line block ×3, first 2 shown]
	s_waitcnt vmcnt(0) lgkmcnt(3)
	v_mul_f64 v[206:207], v[200:201], v[198:199]
	v_fmac_f64_e32 v[206:207], v[202:203], v[196:197]
	v_add_f64 v[212:213], v[204:205], v[206:207]
	scratch_load_dwordx4 v[204:207], off, off offset:832
	s_waitcnt vmcnt(0) lgkmcnt(2)
	v_mul_f64 v[214:215], v[208:209], v[206:207]
	v_fmac_f64_e32 v[214:215], v[210:211], v[204:205]
	v_add_f64 v[220:221], v[212:213], v[214:215]
	scratch_load_dwordx4 v[212:215], off, off offset:848
	;; [unrolled: 5-line block ×3, first 2 shown]
	s_waitcnt vmcnt(0) lgkmcnt(0)
	v_mul_f64 v[230:231], v[224:225], v[222:223]
	v_fmac_f64_e32 v[230:231], v[226:227], v[220:221]
	v_add_f64 v[254:255], v[228:229], v[230:231]
	v_add_f64 v[228:229], v[242:243], 0
	;; [unrolled: 1-line block ×8, first 2 shown]
	scratch_load_dwordx4 v[228:231], off, off offset:80
	v_add_f64 v[20:21], v[24:25], v[20:21]
	v_add_f64 v[16:17], v[20:21], v[16:17]
	;; [unrolled: 1-line block ×11, first 2 shown]
	v_accvgpr_read_b32 v6, a110
	v_accvgpr_read_b32 v8, a112
	;; [unrolled: 1-line block ×3, first 2 shown]
	v_add_f64 v[0:1], v[4:5], v[0:1]
	v_accvgpr_read_b32 v7, a111
	v_mul_f64 v[4:5], v[90:91], v[8:9]
	v_add_f64 v[0:1], v[0:1], v[238:239]
	v_fma_f64 v[4:5], v[88:89], v[6:7], -v[4:5]
	v_accvgpr_read_b32 v6, a114
	v_add_f64 v[0:1], v[0:1], v[240:241]
	v_accvgpr_read_b32 v8, a116
	v_accvgpr_read_b32 v9, a117
	v_add_f64 v[0:1], v[0:1], v[4:5]
	v_accvgpr_read_b32 v7, a115
	v_mul_f64 v[4:5], v[106:107], v[8:9]
	v_fma_f64 v[4:5], v[104:105], v[6:7], -v[4:5]
	v_accvgpr_read_b32 v6, a118
	v_accvgpr_read_b32 v8, a120
	v_accvgpr_read_b32 v9, a121
	v_add_f64 v[0:1], v[0:1], v[4:5]
	v_accvgpr_read_b32 v7, a119
	v_mul_f64 v[4:5], v[110:111], v[8:9]
	v_fma_f64 v[4:5], v[108:109], v[6:7], -v[4:5]
	v_accvgpr_read_b32 v6, a122
	;; [unrolled: 7-line block ×3, first 2 shown]
	v_accvgpr_read_b32 v8, a128
	v_accvgpr_read_b32 v9, a129
	v_add_f64 v[0:1], v[0:1], v[4:5]
	v_accvgpr_read_b32 v7, a127
	v_mul_f64 v[4:5], v[118:119], v[8:9]
	v_fma_f64 v[4:5], v[116:117], v[6:7], -v[4:5]
	v_add_f64 v[0:1], v[0:1], v[4:5]
	v_mul_f64 v[4:5], v[122:123], v[236:237]
	v_fma_f64 v[4:5], v[120:121], v[234:235], -v[4:5]
	v_add_f64 v[0:1], v[0:1], v[4:5]
	;; [unrolled: 3-line block ×24, first 2 shown]
	s_waitcnt vmcnt(0)
	v_add_f64 v[4:5], v[228:229], -v[0:1]
	v_accvgpr_read_b32 v0, a108
	v_add_f64 v[6:7], v[230:231], -v[254:255]
	v_cmp_lt_u32_e32 vcc, 3, v0
	scratch_store_dwordx4 off, v[4:7], off offset:80
	s_and_saveexec_b64 s[0:1], vcc
	s_cbranch_execz .LBB53_331
; %bb.330:
	scratch_load_dwordx4 v[6:9], off, s67
	v_mov_b32_e32 v3, v2
	v_mov_b32_e32 v4, v2
	;; [unrolled: 1-line block ×3, first 2 shown]
	v_accvgpr_read_b32 v0, a109
	scratch_store_dwordx4 off, v[2:5], off offset:64
	s_waitcnt vmcnt(1)
	ds_write_b128 v0, v[6:9]
.LBB53_331:
	s_or_b64 exec, exec, s[0:1]
	s_waitcnt lgkmcnt(0)
	; wave barrier
	scratch_load_dwordx4 v[56:59], off, off offset:80
	scratch_load_dwordx4 v[60:63], off, off offset:96
	scratch_load_dwordx4 v[64:67], off, off offset:112
	scratch_load_dwordx4 v[68:71], off, off offset:128
	scratch_load_dwordx4 v[72:75], off, off offset:144
	scratch_load_dwordx4 v[76:79], off, off offset:160
	scratch_load_dwordx4 v[80:83], off, off offset:176
	scratch_load_dwordx4 v[84:87], off, off offset:192
	scratch_load_dwordx4 v[92:95], off, off offset:208
	scratch_load_dwordx4 v[96:99], off, off offset:224
	scratch_load_dwordx4 v[100:103], off, off offset:240
	scratch_load_dwordx4 v[136:139], off, off offset:256
	scratch_load_dwordx4 v[144:147], off, off offset:272
	scratch_load_dwordx4 v[148:151], off, off offset:288
	scratch_load_dwordx4 v[156:159], off, off offset:304
	scratch_load_dwordx4 v[160:163], off, off offset:320
	scratch_load_dwordx4 v[168:171], off, off offset:336
	scratch_load_dwordx4 v[172:175], off, off offset:352
	ds_read_b128 v[116:119], v2 offset:928
	ds_read_b128 v[220:223], v2 offset:944
	;; [unrolled: 1-line block ×6, first 2 shown]
	scratch_load_dwordx4 v[180:183], off, off offset:368
	ds_read_b128 v[204:207], v2 offset:1024
	ds_read_b128 v[132:135], v2 offset:1040
	scratch_load_dwordx4 v[184:187], off, off offset:384
	ds_read_b128 v[224:227], v2 offset:1056
	ds_read_b128 v[216:219], v2 offset:1072
	;; [unrolled: 1-line block ×5, first 2 shown]
	scratch_load_dwordx4 v[192:195], off, off offset:400
	ds_read_b128 v[200:203], v2 offset:1136
	ds_read_b128 v[164:167], v2 offset:1152
	scratch_load_dwordx4 v[4:7], off, off offset:416
	ds_read_b128 v[212:215], v2 offset:1168
	ds_read_b128 v[188:191], v2 offset:1184
	;; [unrolled: 1-line block ×3, first 2 shown]
	scratch_load_dwordx4 v[8:11], off, off offset:432
	scratch_load_dwordx4 v[12:15], off, off offset:448
	;; [unrolled: 1-line block ×6, first 2 shown]
	ds_read_b128 v[228:231], v2 offset:1216
	ds_read_b128 v[232:235], v2 offset:1232
	;; [unrolled: 1-line block ×4, first 2 shown]
	s_waitcnt vmcnt(27) lgkmcnt(14)
	v_mul_f64 v[0:1], v[116:117], v[58:59]
	s_waitcnt vmcnt(26)
	v_mul_f64 v[32:33], v[220:221], v[62:63]
	v_fmac_f64_e32 v[0:1], v[118:119], v[56:57]
	s_waitcnt vmcnt(25)
	v_mul_f64 v[34:35], v[208:209], v[66:67]
	v_fmac_f64_e32 v[32:33], v[222:223], v[60:61]
	v_add_f64 v[0:1], v[0:1], 0
	v_fmac_f64_e32 v[34:35], v[210:211], v[64:65]
	v_add_f64 v[0:1], v[0:1], v[32:33]
	v_add_f64 v[0:1], v[0:1], v[34:35]
	scratch_load_dwordx4 v[32:35], off, off offset:528
	s_waitcnt vmcnt(25)
	v_mul_f64 v[36:37], v[120:121], v[70:71]
	s_waitcnt vmcnt(24)
	v_mul_f64 v[38:39], v[128:129], v[74:75]
	v_fmac_f64_e32 v[36:37], v[122:123], v[68:69]
	s_waitcnt vmcnt(23)
	v_mul_f64 v[40:41], v[124:125], v[78:79]
	v_fmac_f64_e32 v[38:39], v[130:131], v[72:73]
	v_add_f64 v[0:1], v[0:1], v[36:37]
	s_waitcnt vmcnt(22)
	v_mul_f64 v[42:43], v[204:205], v[82:83]
	v_fmac_f64_e32 v[40:41], v[126:127], v[76:77]
	v_add_f64 v[0:1], v[0:1], v[38:39]
	;; [unrolled: 4-line block ×3, first 2 shown]
	s_waitcnt vmcnt(20) lgkmcnt(13)
	v_mul_f64 v[46:47], v[224:225], v[94:95]
	v_fmac_f64_e32 v[44:45], v[134:135], v[84:85]
	v_add_f64 v[0:1], v[0:1], v[42:43]
	s_waitcnt vmcnt(19) lgkmcnt(12)
	v_mul_f64 v[48:49], v[216:217], v[98:99]
	v_fmac_f64_e32 v[46:47], v[226:227], v[92:93]
	v_add_f64 v[0:1], v[0:1], v[44:45]
	;; [unrolled: 4-line block ×9, first 2 shown]
	v_fmac_f64_e32 v[106:107], v[190:191], v[168:169]
	v_add_f64 v[0:1], v[0:1], v[104:105]
	s_waitcnt vmcnt(11) lgkmcnt(4)
	v_mul_f64 v[40:41], v[176:177], v[174:175]
	v_add_f64 v[0:1], v[0:1], v[106:107]
	v_fmac_f64_e32 v[40:41], v[178:179], v[172:173]
	scratch_load_dwordx4 v[36:39], off, off offset:544
	v_add_f64 v[0:1], v[0:1], v[40:41]
	s_waitcnt vmcnt(11) lgkmcnt(3)
	v_mul_f64 v[40:41], v[228:229], v[182:183]
	v_fmac_f64_e32 v[40:41], v[230:231], v[180:181]
	v_add_f64 v[0:1], v[0:1], v[40:41]
	scratch_load_dwordx4 v[40:43], off, off offset:560
	ds_read_b128 v[88:91], v2 offset:1264
	s_waitcnt vmcnt(11) lgkmcnt(3)
	v_mul_f64 v[44:45], v[232:233], v[186:187]
	v_fmac_f64_e32 v[44:45], v[234:235], v[184:185]
	v_add_f64 v[0:1], v[0:1], v[44:45]
	s_waitcnt vmcnt(10) lgkmcnt(2)
	v_mul_f64 v[44:45], v[236:237], v[194:195]
	v_fmac_f64_e32 v[44:45], v[238:239], v[192:193]
	s_waitcnt vmcnt(9) lgkmcnt(0)
	v_mul_f64 v[48:49], v[88:89], v[6:7]
	ds_read_b128 v[104:107], v2 offset:1280
	v_add_f64 v[0:1], v[0:1], v[44:45]
	scratch_load_dwordx4 v[44:47], off, off offset:576
	v_fmac_f64_e32 v[48:49], v[90:91], v[4:5]
	v_accvgpr_write_b32 a113, v7
	v_add_f64 v[0:1], v[0:1], v[48:49]
	scratch_load_dwordx4 v[48:51], off, off offset:592
	v_accvgpr_write_b32 a112, v6
	v_accvgpr_write_b32 a111, v5
	;; [unrolled: 1-line block ×3, first 2 shown]
	s_waitcnt vmcnt(10)
	v_mov_b64_e32 v[4:5], v[8:9]
	v_mov_b64_e32 v[6:7], v[10:11]
	s_waitcnt lgkmcnt(0)
	v_mul_f64 v[52:53], v[104:105], v[6:7]
	v_fmac_f64_e32 v[52:53], v[106:107], v[4:5]
	v_add_f64 v[0:1], v[0:1], v[52:53]
	scratch_load_dwordx4 v[52:55], off, off offset:608
	v_mul_f64 v[58:59], v[118:119], v[58:59]
	v_fma_f64 v[242:243], v[116:117], v[56:57], -v[58:59]
	scratch_load_dwordx4 v[56:59], off, off offset:624
	v_mul_f64 v[62:63], v[222:223], v[62:63]
	v_fma_f64 v[244:245], v[220:221], v[60:61], -v[62:63]
	scratch_load_dwordx4 v[60:63], off, off offset:640
	s_waitcnt vmcnt(12)
	v_mov_b64_e32 v[4:5], v[12:13]
	v_mul_f64 v[66:67], v[210:211], v[66:67]
	v_mov_b64_e32 v[6:7], v[14:15]
	v_fma_f64 v[246:247], v[208:209], v[64:65], -v[66:67]
	scratch_load_dwordx4 v[64:67], off, off offset:656
	v_mul_f64 v[112:113], v[108:109], v[6:7]
	v_fmac_f64_e32 v[112:113], v[110:111], v[4:5]
	v_add_f64 v[0:1], v[0:1], v[112:113]
	ds_read_b128 v[112:115], v2 offset:1312
	ds_read_b128 v[116:119], v2 offset:1328
	s_waitcnt vmcnt(12)
	v_mov_b64_e32 v[4:5], v[16:17]
	v_mul_f64 v[70:71], v[122:123], v[70:71]
	v_mov_b64_e32 v[6:7], v[18:19]
	v_fma_f64 v[248:249], v[120:121], v[68:69], -v[70:71]
	scratch_load_dwordx4 v[68:71], off, off offset:672
	v_mul_f64 v[74:75], v[130:131], v[74:75]
	s_waitcnt lgkmcnt(1)
	v_mul_f64 v[220:221], v[112:113], v[6:7]
	v_fma_f64 v[250:251], v[128:129], v[72:73], -v[74:75]
	scratch_load_dwordx4 v[72:75], off, off offset:688
	v_fmac_f64_e32 v[220:221], v[114:115], v[4:5]
	s_waitcnt vmcnt(13)
	v_mov_b64_e32 v[4:5], v[20:21]
	ds_read_b128 v[120:123], v2 offset:1344
	v_mul_f64 v[78:79], v[126:127], v[78:79]
	v_mov_b64_e32 v[6:7], v[22:23]
	v_fma_f64 v[254:255], v[124:125], v[76:77], -v[78:79]
	scratch_load_dwordx4 v[76:79], off, off offset:704
	s_waitcnt lgkmcnt(1)
	v_mul_f64 v[208:209], v[116:117], v[6:7]
	ds_read_b128 v[124:127], v2 offset:1360
	v_fmac_f64_e32 v[208:209], v[118:119], v[4:5]
	s_waitcnt vmcnt(13)
	v_mov_b64_e32 v[4:5], v[24:25]
	v_mul_f64 v[82:83], v[206:207], v[82:83]
	v_mov_b64_e32 v[6:7], v[26:27]
	v_fma_f64 v[240:241], v[204:205], v[80:81], -v[82:83]
	scratch_load_dwordx4 v[80:83], off, off offset:720
	v_add_f64 v[0:1], v[0:1], v[220:221]
	s_waitcnt lgkmcnt(1)
	v_mul_f64 v[128:129], v[120:121], v[6:7]
	v_add_f64 v[0:1], v[0:1], v[208:209]
	v_fmac_f64_e32 v[128:129], v[122:123], v[4:5]
	v_add_f64 v[0:1], v[0:1], v[128:129]
	s_waitcnt vmcnt(13) lgkmcnt(0)
	v_mul_f64 v[128:129], v[124:125], v[30:31]
	v_accvgpr_write_b32 a133, v27
	v_fmac_f64_e32 v[128:129], v[126:127], v[28:29]
	v_mul_f64 v[86:87], v[134:135], v[86:87]
	v_accvgpr_write_b32 a132, v26
	v_accvgpr_write_b32 a131, v25
	;; [unrolled: 1-line block ×3, first 2 shown]
	v_add_f64 v[0:1], v[0:1], v[128:129]
	v_fma_f64 v[24:25], v[132:133], v[84:85], -v[86:87]
	scratch_load_dwordx4 v[84:87], off, off offset:736
	ds_read_b128 v[132:135], v2 offset:1376
	ds_read_b128 v[128:131], v2 offset:1392
	v_accvgpr_write_b32 a129, v23
	v_mul_f64 v[6:7], v[226:227], v[94:95]
	v_accvgpr_write_b32 a125, v19
	v_accvgpr_write_b32 a128, v22
	;; [unrolled: 1-line block ×4, first 2 shown]
	v_fma_f64 v[20:21], v[224:225], v[92:93], -v[6:7]
	v_mul_f64 v[92:93], v[218:219], v[98:99]
	v_accvgpr_write_b32 a117, v11
	v_accvgpr_write_b32 a124, v18
	;; [unrolled: 1-line block ×4, first 2 shown]
	v_fma_f64 v[16:17], v[216:217], v[96:97], -v[92:93]
	scratch_load_dwordx4 v[96:99], off, off offset:752
	scratch_load_dwordx4 v[92:95], off, off offset:768
	v_accvgpr_write_b32 a116, v10
	v_accvgpr_write_b32 a115, v9
	;; [unrolled: 1-line block ×3, first 2 shown]
	s_waitcnt vmcnt(15) lgkmcnt(1)
	v_mul_f64 v[10:11], v[132:133], v[34:35]
	v_fmac_f64_e32 v[10:11], v[134:135], v[32:33]
	v_accvgpr_write_b32 a121, v15
	v_add_f64 v[0:1], v[0:1], v[10:11]
	v_mul_f64 v[10:11], v[198:199], v[102:103]
	v_accvgpr_write_b32 a120, v14
	v_accvgpr_write_b32 a119, v13
	;; [unrolled: 1-line block ×3, first 2 shown]
	v_fma_f64 v[12:13], v[196:197], v[100:101], -v[10:11]
	scratch_load_dwordx4 v[100:103], off, off offset:784
	v_mul_f64 v[138:139], v[142:143], v[138:139]
	v_fma_f64 v[10:11], v[140:141], v[136:137], -v[138:139]
	ds_read_b128 v[136:139], v2 offset:1408
	ds_read_b128 v[140:143], v2 offset:1424
	s_waitcnt vmcnt(15) lgkmcnt(2)
	v_mul_f64 v[14:15], v[128:129], v[38:39]
	v_fmac_f64_e32 v[14:15], v[130:131], v[36:37]
	v_add_f64 v[0:1], v[0:1], v[14:15]
	s_waitcnt vmcnt(14) lgkmcnt(1)
	v_mul_f64 v[14:15], v[136:137], v[42:43]
	v_fmac_f64_e32 v[14:15], v[138:139], v[40:41]
	v_add_f64 v[0:1], v[0:1], v[14:15]
	v_mul_f64 v[14:15], v[154:155], v[146:147]
	v_fma_f64 v[14:15], v[152:153], v[144:145], -v[14:15]
	ds_read_b128 v[144:147], v2 offset:1440
	s_waitcnt vmcnt(13) lgkmcnt(1)
	v_mul_f64 v[152:153], v[140:141], v[46:47]
	v_mul_f64 v[150:151], v[202:203], v[150:151]
	v_fmac_f64_e32 v[152:153], v[142:143], v[44:45]
	v_fma_f64 v[8:9], v[200:201], v[148:149], -v[150:151]
	ds_read_b128 v[148:151], v2 offset:1456
	s_waitcnt vmcnt(12) lgkmcnt(1)
	v_mul_f64 v[18:19], v[144:145], v[50:51]
	v_add_f64 v[0:1], v[0:1], v[152:153]
	v_fmac_f64_e32 v[18:19], v[146:147], v[48:49]
	v_add_f64 v[0:1], v[0:1], v[18:19]
	ds_read_b128 v[152:155], v2 offset:1472
	v_mul_f64 v[18:19], v[166:167], v[158:159]
	v_fma_f64 v[18:19], v[164:165], v[156:157], -v[18:19]
	ds_read_b128 v[156:159], v2 offset:1488
	v_mul_f64 v[162:163], v[214:215], v[162:163]
	s_waitcnt vmcnt(11) lgkmcnt(2)
	v_mul_f64 v[164:165], v[148:149], v[54:55]
	v_fma_f64 v[6:7], v[212:213], v[160:161], -v[162:163]
	ds_read_b128 v[160:163], v2 offset:1504
	v_fmac_f64_e32 v[164:165], v[150:151], v[52:53]
	v_add_f64 v[0:1], v[0:1], v[164:165]
	s_waitcnt vmcnt(10) lgkmcnt(2)
	v_mul_f64 v[164:165], v[152:153], v[58:59]
	v_fmac_f64_e32 v[164:165], v[154:155], v[56:57]
	s_waitcnt vmcnt(9) lgkmcnt(1)
	v_mul_f64 v[22:23], v[156:157], v[62:63]
	v_add_f64 v[0:1], v[0:1], v[164:165]
	v_fmac_f64_e32 v[22:23], v[158:159], v[60:61]
	v_add_f64 v[0:1], v[0:1], v[22:23]
	ds_read_b128 v[164:167], v2 offset:1520
	s_waitcnt vmcnt(8) lgkmcnt(1)
	v_mul_f64 v[22:23], v[160:161], v[66:67]
	v_fmac_f64_e32 v[22:23], v[162:163], v[64:65]
	v_add_f64 v[0:1], v[0:1], v[22:23]
	v_mul_f64 v[22:23], v[190:191], v[170:171]
	v_fma_f64 v[22:23], v[188:189], v[168:169], -v[22:23]
	ds_read_b128 v[168:171], v2 offset:1536
	v_mul_f64 v[174:175], v[178:179], v[174:175]
	v_fma_f64 v[4:5], v[176:177], v[172:173], -v[174:175]
	ds_read_b128 v[172:175], v2 offset:1552
	s_waitcnt vmcnt(7) lgkmcnt(2)
	v_mul_f64 v[188:189], v[164:165], v[70:71]
	v_fmac_f64_e32 v[188:189], v[166:167], v[68:69]
	s_waitcnt vmcnt(6) lgkmcnt(1)
	v_mul_f64 v[26:27], v[168:169], v[74:75]
	ds_read_b128 v[176:179], v2 offset:1568
	v_add_f64 v[0:1], v[0:1], v[188:189]
	v_fmac_f64_e32 v[26:27], v[170:171], v[72:73]
	v_add_f64 v[0:1], v[0:1], v[26:27]
	s_waitcnt vmcnt(5) lgkmcnt(1)
	v_mul_f64 v[26:27], v[172:173], v[78:79]
	v_fmac_f64_e32 v[26:27], v[174:175], v[76:77]
	v_add_f64 v[0:1], v[0:1], v[26:27]
	v_mul_f64 v[26:27], v[230:231], v[182:183]
	v_fma_f64 v[26:27], v[228:229], v[180:181], -v[26:27]
	ds_read_b128 v[180:183], v2 offset:1584
	s_waitcnt vmcnt(4) lgkmcnt(1)
	v_mul_f64 v[188:189], v[176:177], v[82:83]
	v_fmac_f64_e32 v[188:189], v[178:179], v[80:81]
	v_add_f64 v[196:197], v[0:1], v[188:189]
	v_mul_f64 v[0:1], v[234:235], v[186:187]
	v_fma_f64 v[0:1], v[232:233], v[184:185], -v[0:1]
	ds_read_b128 v[184:187], v2 offset:1600
	ds_read_b128 v[188:191], v2 offset:1616
	s_waitcnt vmcnt(3) lgkmcnt(2)
	v_mul_f64 v[198:199], v[180:181], v[86:87]
	v_mul_f64 v[194:195], v[238:239], v[194:195]
	v_fmac_f64_e32 v[198:199], v[182:183], v[84:85]
	v_fma_f64 v[252:253], v[236:237], v[192:193], -v[194:195]
	ds_read_b128 v[192:195], v2 offset:1632
	ds_read_b128 v[200:203], v2 offset:1648
	v_add_f64 v[196:197], v[196:197], v[198:199]
	s_waitcnt vmcnt(2) lgkmcnt(3)
	v_mul_f64 v[198:199], v[184:185], v[98:99]
	v_fmac_f64_e32 v[198:199], v[186:187], v[96:97]
	v_add_f64 v[196:197], v[196:197], v[198:199]
	s_waitcnt vmcnt(1) lgkmcnt(2)
	v_mul_f64 v[198:199], v[188:189], v[94:95]
	v_fmac_f64_e32 v[198:199], v[190:191], v[92:93]
	v_add_f64 v[196:197], v[196:197], v[198:199]
	scratch_load_dwordx4 v[232:235], off, off offset:864
	s_waitcnt vmcnt(1) lgkmcnt(1)
	v_mul_f64 v[198:199], v[192:193], v[102:103]
	v_fmac_f64_e32 v[198:199], v[194:195], v[100:101]
	v_add_f64 v[204:205], v[196:197], v[198:199]
	scratch_load_dwordx4 v[196:199], off, off offset:800
	ds_read_b128 v[208:211], v2 offset:1664
	ds_read_b128 v[216:219], v2 offset:1680
	;; [unrolled: 1-line block ×3, first 2 shown]
	s_waitcnt vmcnt(0) lgkmcnt(3)
	v_mul_f64 v[206:207], v[200:201], v[198:199]
	v_fmac_f64_e32 v[206:207], v[202:203], v[196:197]
	v_add_f64 v[212:213], v[204:205], v[206:207]
	scratch_load_dwordx4 v[204:207], off, off offset:816
	s_waitcnt vmcnt(0) lgkmcnt(2)
	v_mul_f64 v[214:215], v[208:209], v[206:207]
	v_fmac_f64_e32 v[214:215], v[210:211], v[204:205]
	v_add_f64 v[220:221], v[212:213], v[214:215]
	scratch_load_dwordx4 v[212:215], off, off offset:832
	;; [unrolled: 5-line block ×3, first 2 shown]
	s_waitcnt vmcnt(0) lgkmcnt(0)
	v_mul_f64 v[230:231], v[224:225], v[222:223]
	v_fmac_f64_e32 v[230:231], v[226:227], v[220:221]
	v_add_f64 v[236:237], v[228:229], v[230:231]
	ds_read_b128 v[228:231], v2 offset:1712
	s_waitcnt lgkmcnt(0)
	v_mul_f64 v[2:3], v[228:229], v[234:235]
	v_fmac_f64_e32 v[2:3], v[230:231], v[232:233]
	v_add_f64 v[2:3], v[236:237], v[2:3]
	v_add_f64 v[236:237], v[242:243], 0
	;; [unrolled: 1-line block ×9, first 2 shown]
	scratch_load_dwordx4 v[236:239], off, off offset:64
	v_add_f64 v[20:21], v[24:25], v[20:21]
	v_add_f64 v[16:17], v[20:21], v[16:17]
	;; [unrolled: 1-line block ×10, first 2 shown]
	v_accvgpr_read_b32 v6, a110
	v_accvgpr_read_b32 v8, a112
	;; [unrolled: 1-line block ×3, first 2 shown]
	v_add_f64 v[254:255], v[4:5], v[26:27]
	v_accvgpr_read_b32 v7, a111
	v_mul_f64 v[4:5], v[90:91], v[8:9]
	v_add_f64 v[0:1], v[254:255], v[0:1]
	v_fma_f64 v[4:5], v[88:89], v[6:7], -v[4:5]
	v_accvgpr_read_b32 v6, a114
	v_add_f64 v[0:1], v[0:1], v[252:253]
	v_accvgpr_read_b32 v8, a116
	v_accvgpr_read_b32 v9, a117
	v_add_f64 v[0:1], v[0:1], v[4:5]
	v_accvgpr_read_b32 v7, a115
	v_mul_f64 v[4:5], v[106:107], v[8:9]
	v_fma_f64 v[4:5], v[104:105], v[6:7], -v[4:5]
	v_accvgpr_read_b32 v6, a118
	v_accvgpr_read_b32 v8, a120
	v_accvgpr_read_b32 v9, a121
	v_add_f64 v[0:1], v[0:1], v[4:5]
	v_accvgpr_read_b32 v7, a119
	v_mul_f64 v[4:5], v[110:111], v[8:9]
	v_fma_f64 v[4:5], v[108:109], v[6:7], -v[4:5]
	v_accvgpr_read_b32 v6, a122
	;; [unrolled: 7-line block ×4, first 2 shown]
	v_accvgpr_read_b32 v8, a132
	v_accvgpr_read_b32 v9, a133
	v_add_f64 v[0:1], v[0:1], v[4:5]
	v_accvgpr_read_b32 v7, a131
	v_mul_f64 v[4:5], v[122:123], v[8:9]
	v_fma_f64 v[4:5], v[120:121], v[6:7], -v[4:5]
	v_add_f64 v[0:1], v[0:1], v[4:5]
	v_mul_f64 v[4:5], v[126:127], v[30:31]
	v_fma_f64 v[4:5], v[124:125], v[28:29], -v[4:5]
	v_add_f64 v[0:1], v[0:1], v[4:5]
	v_mul_f64 v[4:5], v[134:135], v[34:35]
	v_fma_f64 v[4:5], v[132:133], v[32:33], -v[4:5]
	v_add_f64 v[0:1], v[0:1], v[4:5]
	v_mul_f64 v[4:5], v[130:131], v[38:39]
	v_fma_f64 v[4:5], v[128:129], v[36:37], -v[4:5]
	v_add_f64 v[0:1], v[0:1], v[4:5]
	v_mul_f64 v[4:5], v[138:139], v[42:43]
	v_fma_f64 v[4:5], v[136:137], v[40:41], -v[4:5]
	v_add_f64 v[0:1], v[0:1], v[4:5]
	v_mul_f64 v[4:5], v[142:143], v[46:47]
	v_fma_f64 v[4:5], v[140:141], v[44:45], -v[4:5]
	v_add_f64 v[0:1], v[0:1], v[4:5]
	v_mul_f64 v[4:5], v[146:147], v[50:51]
	v_fma_f64 v[4:5], v[144:145], v[48:49], -v[4:5]
	v_add_f64 v[0:1], v[0:1], v[4:5]
	v_mul_f64 v[4:5], v[150:151], v[54:55]
	v_fma_f64 v[4:5], v[148:149], v[52:53], -v[4:5]
	v_add_f64 v[0:1], v[0:1], v[4:5]
	v_mul_f64 v[4:5], v[154:155], v[58:59]
	v_fma_f64 v[4:5], v[152:153], v[56:57], -v[4:5]
	v_add_f64 v[0:1], v[0:1], v[4:5]
	v_mul_f64 v[4:5], v[158:159], v[62:63]
	v_fma_f64 v[4:5], v[156:157], v[60:61], -v[4:5]
	v_add_f64 v[0:1], v[0:1], v[4:5]
	v_mul_f64 v[4:5], v[162:163], v[66:67]
	v_fma_f64 v[4:5], v[160:161], v[64:65], -v[4:5]
	v_add_f64 v[0:1], v[0:1], v[4:5]
	v_mul_f64 v[4:5], v[166:167], v[70:71]
	v_fma_f64 v[4:5], v[164:165], v[68:69], -v[4:5]
	v_add_f64 v[0:1], v[0:1], v[4:5]
	v_mul_f64 v[4:5], v[170:171], v[74:75]
	v_fma_f64 v[4:5], v[168:169], v[72:73], -v[4:5]
	v_add_f64 v[0:1], v[0:1], v[4:5]
	v_mul_f64 v[4:5], v[174:175], v[78:79]
	v_fma_f64 v[4:5], v[172:173], v[76:77], -v[4:5]
	v_add_f64 v[0:1], v[0:1], v[4:5]
	v_mul_f64 v[4:5], v[178:179], v[82:83]
	v_fma_f64 v[4:5], v[176:177], v[80:81], -v[4:5]
	v_add_f64 v[0:1], v[0:1], v[4:5]
	v_mul_f64 v[4:5], v[182:183], v[86:87]
	v_fma_f64 v[4:5], v[180:181], v[84:85], -v[4:5]
	v_add_f64 v[0:1], v[0:1], v[4:5]
	v_mul_f64 v[4:5], v[186:187], v[98:99]
	v_fma_f64 v[4:5], v[184:185], v[96:97], -v[4:5]
	v_add_f64 v[0:1], v[0:1], v[4:5]
	v_mul_f64 v[4:5], v[190:191], v[94:95]
	v_fma_f64 v[4:5], v[188:189], v[92:93], -v[4:5]
	v_add_f64 v[0:1], v[0:1], v[4:5]
	v_mul_f64 v[4:5], v[194:195], v[102:103]
	v_fma_f64 v[4:5], v[192:193], v[100:101], -v[4:5]
	v_add_f64 v[0:1], v[0:1], v[4:5]
	v_mul_f64 v[4:5], v[202:203], v[198:199]
	v_fma_f64 v[4:5], v[200:201], v[196:197], -v[4:5]
	v_add_f64 v[0:1], v[0:1], v[4:5]
	v_mul_f64 v[4:5], v[210:211], v[206:207]
	v_fma_f64 v[4:5], v[208:209], v[204:205], -v[4:5]
	v_add_f64 v[0:1], v[0:1], v[4:5]
	v_mul_f64 v[4:5], v[218:219], v[214:215]
	v_fma_f64 v[4:5], v[216:217], v[212:213], -v[4:5]
	v_add_f64 v[0:1], v[0:1], v[4:5]
	v_mul_f64 v[4:5], v[226:227], v[222:223]
	v_fma_f64 v[4:5], v[224:225], v[220:221], -v[4:5]
	v_add_f64 v[0:1], v[0:1], v[4:5]
	v_mul_f64 v[4:5], v[230:231], v[234:235]
	v_fma_f64 v[4:5], v[228:229], v[232:233], -v[4:5]
	v_add_f64 v[0:1], v[0:1], v[4:5]
	s_waitcnt vmcnt(0)
	v_add_f64 v[4:5], v[236:237], -v[0:1]
	v_accvgpr_read_b32 v0, a108
	v_add_f64 v[6:7], v[238:239], -v[2:3]
	v_cmp_lt_u32_e32 vcc, 2, v0
	scratch_store_dwordx4 off, v[4:7], off offset:64
	s_and_saveexec_b64 s[0:1], vcc
	s_cbranch_execz .LBB53_333
; %bb.332:
	scratch_load_dwordx4 v[2:5], off, s68
	v_mov_b32_e32 v6, 0
	v_mov_b32_e32 v7, v6
	;; [unrolled: 1-line block ×4, first 2 shown]
	v_accvgpr_read_b32 v0, a109
	scratch_store_dwordx4 off, v[6:9], off offset:48
	s_waitcnt vmcnt(1)
	ds_write_b128 v0, v[2:5]
.LBB53_333:
	s_or_b64 exec, exec, s[0:1]
	s_waitcnt lgkmcnt(0)
	; wave barrier
	scratch_load_dwordx4 v[48:51], off, off offset:64
	scratch_load_dwordx4 v[52:55], off, off offset:80
	;; [unrolled: 1-line block ×28, first 2 shown]
	v_mov_b32_e32 v2, 0
	ds_read_b128 v[104:107], v2 offset:912
	ds_read_b128 v[112:115], v2 offset:928
	;; [unrolled: 1-line block ×18, first 2 shown]
	scratch_load_dwordx4 a[110:113], off, off offset:512
	scratch_load_dwordx4 v[234:237], off, off offset:528
	ds_read_b128 v[220:223], v2 offset:1200
	ds_read_b128 v[224:227], v2 offset:1216
	;; [unrolled: 1-line block ×5, first 2 shown]
	s_waitcnt vmcnt(29) lgkmcnt(14)
	v_mul_f64 v[0:1], v[104:105], v[50:51]
	s_waitcnt vmcnt(28)
	v_mul_f64 v[24:25], v[112:113], v[54:55]
	v_fmac_f64_e32 v[0:1], v[106:107], v[48:49]
	s_waitcnt vmcnt(27)
	v_mul_f64 v[26:27], v[116:117], v[58:59]
	v_fmac_f64_e32 v[24:25], v[114:115], v[52:53]
	v_add_f64 v[0:1], v[0:1], 0
	s_waitcnt vmcnt(26)
	v_mul_f64 v[28:29], v[120:121], v[62:63]
	v_fmac_f64_e32 v[26:27], v[118:119], v[56:57]
	v_add_f64 v[0:1], v[0:1], v[24:25]
	;; [unrolled: 4-line block ×7, first 2 shown]
	s_waitcnt vmcnt(20) lgkmcnt(13)
	v_mul_f64 v[40:41], v[172:173], v[86:87]
	v_fmac_f64_e32 v[38:39], v[162:163], v[80:81]
	v_add_f64 v[0:1], v[0:1], v[36:37]
	s_waitcnt vmcnt(19) lgkmcnt(12)
	v_mul_f64 v[42:43], v[184:185], v[94:95]
	v_fmac_f64_e32 v[40:41], v[174:175], v[84:85]
	v_add_f64 v[0:1], v[0:1], v[38:39]
	;; [unrolled: 4-line block ×8, first 2 shown]
	v_add_f64 v[0:1], v[0:1], v[96:97]
	v_fmac_f64_e32 v[98:99], v[214:215], v[152:153]
	s_waitcnt vmcnt(12) lgkmcnt(5)
	v_mul_f64 v[32:33], v[216:217], v[158:159]
	v_add_f64 v[0:1], v[0:1], v[98:99]
	v_fmac_f64_e32 v[32:33], v[218:219], v[156:157]
	v_add_f64 v[0:1], v[0:1], v[32:33]
	s_waitcnt vmcnt(11) lgkmcnt(4)
	v_mul_f64 v[32:33], v[220:221], v[166:167]
	v_fmac_f64_e32 v[32:33], v[222:223], v[164:165]
	v_add_f64 v[0:1], v[0:1], v[32:33]
	scratch_load_dwordx4 v[32:35], off, off offset:544
	s_waitcnt vmcnt(11) lgkmcnt(3)
	v_mul_f64 v[36:37], v[224:225], v[170:171]
	v_fmac_f64_e32 v[36:37], v[226:227], v[168:169]
	v_add_f64 v[0:1], v[0:1], v[36:37]
	s_waitcnt vmcnt(10) lgkmcnt(2)
	v_mul_f64 v[36:37], v[228:229], v[178:179]
	v_fmac_f64_e32 v[36:37], v[230:231], v[176:177]
	v_add_f64 v[0:1], v[0:1], v[36:37]
	scratch_load_dwordx4 v[36:39], off, off offset:560
	s_waitcnt vmcnt(10) lgkmcnt(1)
	v_mul_f64 v[40:41], v[238:239], v[182:183]
	v_fmac_f64_e32 v[40:41], v[240:241], v[180:181]
	v_add_f64 v[0:1], v[0:1], v[40:41]
	scratch_load_dwordx4 v[40:43], off, off offset:576
	ds_read_b128 v[88:91], v2 offset:1280
	s_waitcnt vmcnt(10) lgkmcnt(1)
	v_mul_f64 v[44:45], v[252:253], v[190:191]
	v_fmac_f64_e32 v[44:45], v[254:255], v[188:189]
	v_add_f64 v[0:1], v[0:1], v[44:45]
	scratch_load_dwordx4 v[44:47], off, off offset:592
	v_mul_f64 v[50:51], v[106:107], v[50:51]
	v_fma_f64 v[242:243], v[104:105], v[48:49], -v[50:51]
	scratch_load_dwordx4 v[48:51], off, off offset:608
	v_mul_f64 v[54:55], v[114:115], v[54:55]
	v_fma_f64 v[244:245], v[112:113], v[52:53], -v[54:55]
	scratch_load_dwordx4 v[52:55], off, off offset:624
	s_waitcnt vmcnt(12) lgkmcnt(0)
	v_mul_f64 v[96:97], v[88:89], v[6:7]
	v_fmac_f64_e32 v[96:97], v[90:91], v[4:5]
	v_mul_f64 v[58:59], v[118:119], v[58:59]
	v_add_f64 v[0:1], v[0:1], v[96:97]
	ds_read_b128 v[96:99], v2 offset:1296
	ds_read_b128 v[104:107], v2 offset:1312
	v_fma_f64 v[246:247], v[116:117], v[56:57], -v[58:59]
	scratch_load_dwordx4 v[56:59], off, off offset:640
	v_mul_f64 v[62:63], v[122:123], v[62:63]
	v_accvgpr_write_b32 a117, v7
	v_fma_f64 v[248:249], v[120:121], v[60:61], -v[62:63]
	scratch_load_dwordx4 v[60:63], off, off offset:656
	v_accvgpr_write_b32 a116, v6
	v_accvgpr_write_b32 a115, v5
	;; [unrolled: 1-line block ×3, first 2 shown]
	s_waitcnt vmcnt(13)
	v_mov_b64_e32 v[4:5], v[8:9]
	v_mov_b64_e32 v[6:7], v[10:11]
	v_mul_f64 v[66:67], v[126:127], v[66:67]
	s_waitcnt lgkmcnt(1)
	v_mul_f64 v[112:113], v[96:97], v[6:7]
	v_fma_f64 v[250:251], v[124:125], v[64:65], -v[66:67]
	scratch_load_dwordx4 v[64:67], off, off offset:672
	v_fmac_f64_e32 v[112:113], v[98:99], v[4:5]
	s_waitcnt vmcnt(13)
	v_mov_b64_e32 v[4:5], v[12:13]
	v_mov_b64_e32 v[6:7], v[14:15]
	v_add_f64 v[0:1], v[0:1], v[112:113]
	s_waitcnt lgkmcnt(0)
	v_mul_f64 v[112:113], v[104:105], v[6:7]
	v_fmac_f64_e32 v[112:113], v[106:107], v[4:5]
	v_add_f64 v[0:1], v[0:1], v[112:113]
	ds_read_b128 v[112:115], v2 offset:1328
	ds_read_b128 v[116:119], v2 offset:1344
	v_mul_f64 v[70:71], v[130:131], v[70:71]
	v_fma_f64 v[232:233], v[128:129], v[68:69], -v[70:71]
	scratch_load_dwordx4 v[68:71], off, off offset:688
	v_mul_f64 v[74:75], v[134:135], v[74:75]
	v_accvgpr_write_b32 a121, v11
	s_waitcnt vmcnt(13)
	v_mov_b64_e32 v[4:5], v[16:17]
	v_fma_f64 v[28:29], v[132:133], v[72:73], -v[74:75]
	scratch_load_dwordx4 v[72:75], off, off offset:704
	v_accvgpr_write_b32 a120, v10
	v_accvgpr_write_b32 a119, v9
	;; [unrolled: 1-line block ×3, first 2 shown]
	v_mov_b64_e32 v[6:7], v[18:19]
	s_waitcnt vmcnt(13)
	v_mov_b64_e32 v[8:9], v[20:21]
	s_waitcnt lgkmcnt(1)
	v_mul_f64 v[120:121], v[112:113], v[6:7]
	v_mov_b64_e32 v[10:11], v[22:23]
	v_fmac_f64_e32 v[120:121], v[114:115], v[4:5]
	s_waitcnt lgkmcnt(0)
	v_mul_f64 v[6:7], v[116:117], v[10:11]
	v_add_f64 v[0:1], v[0:1], v[120:121]
	v_fmac_f64_e32 v[6:7], v[118:119], v[8:9]
	v_add_f64 v[0:1], v[0:1], v[6:7]
	v_mul_f64 v[6:7], v[150:151], v[78:79]
	v_accvgpr_write_b32 a133, v23
	v_fma_f64 v[24:25], v[148:149], v[76:77], -v[6:7]
	scratch_load_dwordx4 v[76:79], off, off offset:720
	v_mul_f64 v[6:7], v[162:163], v[82:83]
	ds_read_b128 v[124:127], v2 offset:1360
	ds_read_b128 v[120:123], v2 offset:1376
	v_accvgpr_write_b32 a129, v19
	v_accvgpr_write_b32 a132, v22
	;; [unrolled: 1-line block ×4, first 2 shown]
	v_fma_f64 v[20:21], v[160:161], v[80:81], -v[6:7]
	v_mul_f64 v[6:7], v[174:175], v[86:87]
	v_accvgpr_write_b32 a128, v18
	v_accvgpr_write_b32 a127, v17
	;; [unrolled: 1-line block ×3, first 2 shown]
	v_fma_f64 v[16:17], v[172:173], v[84:85], -v[6:7]
	scratch_load_dwordx4 v[84:87], off, off offset:736
	scratch_load_dwordx4 v[80:83], off, off offset:752
	s_waitcnt vmcnt(15)
	v_accvgpr_read_b32 v8, a110
	v_accvgpr_read_b32 v10, a112
	;; [unrolled: 1-line block ×4, first 2 shown]
	s_waitcnt lgkmcnt(1)
	v_mul_f64 v[6:7], v[124:125], v[10:11]
	v_fmac_f64_e32 v[6:7], v[126:127], v[8:9]
	v_add_f64 v[0:1], v[0:1], v[6:7]
	s_waitcnt vmcnt(14) lgkmcnt(0)
	v_mul_f64 v[6:7], v[120:121], v[236:237]
	v_fmac_f64_e32 v[6:7], v[122:123], v[234:235]
	v_accvgpr_write_b32 a125, v15
	v_add_f64 v[0:1], v[0:1], v[6:7]
	v_mul_f64 v[6:7], v[186:187], v[94:95]
	v_accvgpr_write_b32 a124, v14
	v_accvgpr_write_b32 a123, v13
	;; [unrolled: 1-line block ×3, first 2 shown]
	v_fma_f64 v[14:15], v[184:185], v[92:93], -v[6:7]
	scratch_load_dwordx4 v[92:95], off, off offset:768
	v_mul_f64 v[6:7], v[194:195], v[102:103]
	v_fma_f64 v[12:13], v[192:193], v[100:101], -v[6:7]
	scratch_load_dwordx4 v[100:103], off, off offset:784
	v_mul_f64 v[6:7], v[198:199], v[110:111]
	v_fma_f64 v[18:19], v[196:197], v[108:109], -v[6:7]
	scratch_load_dwordx4 v[108:111], off, off offset:800
	ds_read_b128 v[128:131], v2 offset:1392
	ds_read_b128 v[132:135], v2 offset:1408
	;; [unrolled: 1-line block ×4, first 2 shown]
	v_mul_f64 v[182:183], v[240:241], v[182:183]
	s_waitcnt vmcnt(16) lgkmcnt(3)
	v_mul_f64 v[6:7], v[128:129], v[34:35]
	v_fmac_f64_e32 v[6:7], v[130:131], v[32:33]
	v_add_f64 v[0:1], v[0:1], v[6:7]
	v_mul_f64 v[6:7], v[202:203], v[138:139]
	v_fma_f64 v[10:11], v[200:201], v[136:137], -v[6:7]
	ds_read_b128 v[136:139], v2 offset:1424
	s_waitcnt vmcnt(15) lgkmcnt(3)
	v_mul_f64 v[6:7], v[132:133], v[38:39]
	v_fmac_f64_e32 v[6:7], v[134:135], v[36:37]
	v_add_f64 v[0:1], v[0:1], v[6:7]
	v_mul_f64 v[6:7], v[206:207], v[142:143]
	v_fma_f64 v[22:23], v[204:205], v[140:141], -v[6:7]
	ds_read_b128 v[140:143], v2 offset:1440
	;; [unrolled: 7-line block ×3, first 2 shown]
	s_waitcnt vmcnt(13) lgkmcnt(1)
	v_mul_f64 v[6:7], v[140:141], v[46:47]
	v_fmac_f64_e32 v[6:7], v[142:143], v[44:45]
	v_add_f64 v[0:1], v[0:1], v[6:7]
	v_fma_f64 v[238:239], v[238:239], v[180:181], -v[182:183]
	s_waitcnt vmcnt(12) lgkmcnt(0)
	v_mul_f64 v[6:7], v[144:145], v[50:51]
	v_fmac_f64_e32 v[6:7], v[146:147], v[48:49]
	v_add_f64 v[0:1], v[0:1], v[6:7]
	v_mul_f64 v[6:7], v[214:215], v[154:155]
	v_fma_f64 v[26:27], v[212:213], v[152:153], -v[6:7]
	s_waitcnt vmcnt(11)
	v_mul_f64 v[6:7], v[148:149], v[54:55]
	v_fmac_f64_e32 v[6:7], v[150:151], v[52:53]
	ds_read_b128 v[152:155], v2 offset:1488
	v_add_f64 v[0:1], v[0:1], v[6:7]
	v_mul_f64 v[6:7], v[218:219], v[158:159]
	v_fma_f64 v[4:5], v[216:217], v[156:157], -v[6:7]
	ds_read_b128 v[156:159], v2 offset:1504
	s_waitcnt vmcnt(10) lgkmcnt(1)
	v_mul_f64 v[6:7], v[152:153], v[58:59]
	v_fmac_f64_e32 v[6:7], v[154:155], v[56:57]
	v_add_f64 v[0:1], v[0:1], v[6:7]
	ds_read_b128 v[180:183], v2 offset:1600
	s_waitcnt vmcnt(9) lgkmcnt(1)
	v_mul_f64 v[6:7], v[156:157], v[62:63]
	v_fmac_f64_e32 v[6:7], v[158:159], v[60:61]
	v_add_f64 v[0:1], v[0:1], v[6:7]
	v_mul_f64 v[6:7], v[222:223], v[166:167]
	v_fma_f64 v[30:31], v[220:221], v[164:165], -v[6:7]
	ds_read_b128 v[164:167], v2 offset:1536
	s_waitcnt vmcnt(8)
	v_mul_f64 v[6:7], v[160:161], v[66:67]
	v_fmac_f64_e32 v[6:7], v[162:163], v[64:65]
	v_add_f64 v[0:1], v[0:1], v[6:7]
	v_mul_f64 v[6:7], v[226:227], v[170:171]
	v_fma_f64 v[6:7], v[224:225], v[168:169], -v[6:7]
	ds_read_b128 v[168:171], v2 offset:1552
	s_waitcnt vmcnt(7) lgkmcnt(1)
	v_mul_f64 v[172:173], v[164:165], v[70:71]
	v_fmac_f64_e32 v[172:173], v[166:167], v[68:69]
	v_add_f64 v[0:1], v[0:1], v[172:173]
	ds_read_b128 v[172:175], v2 offset:1568
	s_waitcnt vmcnt(6) lgkmcnt(1)
	v_mul_f64 v[184:185], v[168:169], v[74:75]
	v_fmac_f64_e32 v[184:185], v[170:171], v[72:73]
	v_add_f64 v[184:185], v[0:1], v[184:185]
	v_mul_f64 v[0:1], v[230:231], v[178:179]
	v_fma_f64 v[0:1], v[228:229], v[176:177], -v[0:1]
	ds_read_b128 v[176:179], v2 offset:1584
	s_waitcnt vmcnt(5) lgkmcnt(1)
	v_mul_f64 v[186:187], v[172:173], v[78:79]
	v_fmac_f64_e32 v[186:187], v[174:175], v[76:77]
	v_add_f64 v[184:185], v[184:185], v[186:187]
	v_mul_f64 v[190:191], v[254:255], v[190:191]
	s_waitcnt vmcnt(4) lgkmcnt(0)
	v_mul_f64 v[186:187], v[176:177], v[86:87]
	v_fmac_f64_e32 v[186:187], v[178:179], v[84:85]
	v_add_f64 v[192:193], v[184:185], v[186:187]
	ds_read_b128 v[184:187], v2 offset:1616
	v_fma_f64 v[252:253], v[252:253], v[188:189], -v[190:191]
	ds_read_b128 v[188:191], v2 offset:1632
	s_waitcnt vmcnt(3)
	v_mul_f64 v[194:195], v[180:181], v[82:83]
	v_fmac_f64_e32 v[194:195], v[182:183], v[80:81]
	v_add_f64 v[192:193], v[192:193], v[194:195]
	s_waitcnt vmcnt(2) lgkmcnt(1)
	v_mul_f64 v[194:195], v[184:185], v[94:95]
	v_fmac_f64_e32 v[194:195], v[186:187], v[92:93]
	v_add_f64 v[192:193], v[192:193], v[194:195]
	s_waitcnt vmcnt(1) lgkmcnt(0)
	v_mul_f64 v[194:195], v[188:189], v[102:103]
	v_fmac_f64_e32 v[194:195], v[190:191], v[100:101]
	v_add_f64 v[196:197], v[192:193], v[194:195]
	ds_read_b128 v[192:195], v2 offset:1648
	ds_read_b128 v[200:203], v2 offset:1664
	;; [unrolled: 1-line block ×5, first 2 shown]
	s_waitcnt vmcnt(0) lgkmcnt(4)
	v_mul_f64 v[198:199], v[192:193], v[110:111]
	v_fmac_f64_e32 v[198:199], v[194:195], v[108:109]
	v_add_f64 v[204:205], v[196:197], v[198:199]
	scratch_load_dwordx4 v[196:199], off, off offset:816
	s_waitcnt vmcnt(0) lgkmcnt(3)
	v_mul_f64 v[206:207], v[200:201], v[198:199]
	v_fmac_f64_e32 v[206:207], v[202:203], v[196:197]
	v_add_f64 v[212:213], v[204:205], v[206:207]
	scratch_load_dwordx4 v[204:207], off, off offset:832
	;; [unrolled: 5-line block ×4, first 2 shown]
	s_waitcnt vmcnt(0) lgkmcnt(0)
	v_mul_f64 v[230:231], v[224:225], v[222:223]
	v_fmac_f64_e32 v[230:231], v[226:227], v[220:221]
	v_add_f64 v[240:241], v[228:229], v[230:231]
	v_add_f64 v[228:229], v[242:243], 0
	;; [unrolled: 1-line block ×8, first 2 shown]
	scratch_load_dwordx4 v[228:231], off, off offset:48
	v_add_f64 v[24:25], v[28:29], v[24:25]
	v_add_f64 v[20:21], v[24:25], v[20:21]
	v_add_f64 v[16:17], v[20:21], v[16:17]
	v_add_f64 v[14:15], v[16:17], v[14:15]
	v_add_f64 v[12:13], v[14:15], v[12:13]
	v_add_f64 v[12:13], v[12:13], v[18:19]
	v_add_f64 v[10:11], v[12:13], v[10:11]
	v_add_f64 v[10:11], v[10:11], v[22:23]
	v_add_f64 v[8:9], v[10:11], v[8:9]
	v_add_f64 v[8:9], v[8:9], v[26:27]
	v_add_f64 v[4:5], v[8:9], v[4:5]
	v_add_f64 v[254:255], v[4:5], v[30:31]
	v_add_f64 v[4:5], v[254:255], v[6:7]
	v_accvgpr_read_b32 v6, a114
	v_accvgpr_read_b32 v8, a116
	;; [unrolled: 1-line block ×3, first 2 shown]
	v_add_f64 v[0:1], v[4:5], v[0:1]
	v_accvgpr_read_b32 v7, a115
	v_mul_f64 v[4:5], v[90:91], v[8:9]
	v_add_f64 v[0:1], v[0:1], v[238:239]
	v_fma_f64 v[4:5], v[88:89], v[6:7], -v[4:5]
	v_accvgpr_read_b32 v6, a118
	v_add_f64 v[0:1], v[0:1], v[252:253]
	v_accvgpr_read_b32 v8, a120
	v_accvgpr_read_b32 v9, a121
	v_add_f64 v[0:1], v[0:1], v[4:5]
	v_accvgpr_read_b32 v7, a119
	v_mul_f64 v[4:5], v[98:99], v[8:9]
	v_fma_f64 v[4:5], v[96:97], v[6:7], -v[4:5]
	v_accvgpr_read_b32 v6, a122
	v_accvgpr_read_b32 v8, a124
	v_accvgpr_read_b32 v9, a125
	v_add_f64 v[0:1], v[0:1], v[4:5]
	v_accvgpr_read_b32 v7, a123
	v_mul_f64 v[4:5], v[106:107], v[8:9]
	v_fma_f64 v[4:5], v[104:105], v[6:7], -v[4:5]
	v_accvgpr_read_b32 v6, a126
	;; [unrolled: 7-line block ×4, first 2 shown]
	v_accvgpr_read_b32 v8, a112
	v_accvgpr_read_b32 v9, a113
	v_add_f64 v[0:1], v[0:1], v[4:5]
	v_accvgpr_read_b32 v7, a111
	v_mul_f64 v[4:5], v[126:127], v[8:9]
	v_fma_f64 v[4:5], v[124:125], v[6:7], -v[4:5]
	v_add_f64 v[0:1], v[0:1], v[4:5]
	v_mul_f64 v[4:5], v[122:123], v[236:237]
	v_fma_f64 v[4:5], v[120:121], v[234:235], -v[4:5]
	v_add_f64 v[0:1], v[0:1], v[4:5]
	;; [unrolled: 3-line block ×23, first 2 shown]
	s_waitcnt vmcnt(0)
	v_add_f64 v[4:5], v[228:229], -v[0:1]
	v_accvgpr_read_b32 v0, a108
	v_add_f64 v[6:7], v[230:231], -v[240:241]
	v_cmp_lt_u32_e32 vcc, 1, v0
	scratch_store_dwordx4 off, v[4:7], off offset:48
	s_and_saveexec_b64 s[0:1], vcc
	s_cbranch_execz .LBB53_335
; %bb.334:
	scratch_load_dwordx4 v[6:9], off, s69
	v_mov_b32_e32 v3, v2
	v_mov_b32_e32 v4, v2
	;; [unrolled: 1-line block ×3, first 2 shown]
	v_accvgpr_read_b32 v0, a109
	scratch_store_dwordx4 off, v[2:5], off offset:32
	s_waitcnt vmcnt(1)
	ds_write_b128 v0, v[6:9]
.LBB53_335:
	s_or_b64 exec, exec, s[0:1]
	s_waitcnt lgkmcnt(0)
	; wave barrier
	scratch_load_dwordx4 v[48:51], off, off offset:48
	scratch_load_dwordx4 v[52:55], off, off offset:64
	;; [unrolled: 1-line block ×18, first 2 shown]
	ds_read_b128 v[104:107], v2 offset:896
	ds_read_b128 v[208:211], v2 offset:912
	;; [unrolled: 1-line block ×6, first 2 shown]
	scratch_load_dwordx4 v[164:167], off, off offset:336
	ds_read_b128 v[192:195], v2 offset:992
	ds_read_b128 v[124:127], v2 offset:1008
	scratch_load_dwordx4 v[168:171], off, off offset:352
	ds_read_b128 v[212:215], v2 offset:1024
	ds_read_b128 v[204:207], v2 offset:1040
	;; [unrolled: 1-line block ×5, first 2 shown]
	scratch_load_dwordx4 v[176:179], off, off offset:368
	ds_read_b128 v[200:203], v2 offset:1104
	ds_read_b128 v[172:175], v2 offset:1120
	scratch_load_dwordx4 v[180:183], off, off offset:384
	ds_read_b128 v[216:219], v2 offset:1136
	ds_read_b128 v[184:187], v2 offset:1152
	;; [unrolled: 1-line block ×3, first 2 shown]
	scratch_load_dwordx4 v[188:191], off, off offset:400
	scratch_load_dwordx4 v[4:7], off, off offset:416
	;; [unrolled: 1-line block ×8, first 2 shown]
	ds_read_b128 v[220:223], v2 offset:1184
	ds_read_b128 v[224:227], v2 offset:1200
	;; [unrolled: 1-line block ×5, first 2 shown]
	s_waitcnt vmcnt(29) lgkmcnt(14)
	v_mul_f64 v[0:1], v[104:105], v[50:51]
	s_waitcnt vmcnt(28)
	v_mul_f64 v[24:25], v[208:209], v[54:55]
	v_fmac_f64_e32 v[0:1], v[106:107], v[48:49]
	s_waitcnt vmcnt(27)
	v_mul_f64 v[26:27], v[196:197], v[58:59]
	v_fmac_f64_e32 v[24:25], v[210:211], v[52:53]
	v_add_f64 v[0:1], v[0:1], 0
	s_waitcnt vmcnt(26)
	v_mul_f64 v[28:29], v[112:113], v[62:63]
	v_fmac_f64_e32 v[26:27], v[198:199], v[56:57]
	v_add_f64 v[0:1], v[0:1], v[24:25]
	s_waitcnt vmcnt(25)
	v_mul_f64 v[30:31], v[120:121], v[66:67]
	v_fmac_f64_e32 v[28:29], v[114:115], v[60:61]
	v_add_f64 v[0:1], v[0:1], v[26:27]
	s_waitcnt vmcnt(24)
	v_mul_f64 v[32:33], v[116:117], v[70:71]
	v_fmac_f64_e32 v[30:31], v[122:123], v[64:65]
	v_add_f64 v[0:1], v[0:1], v[28:29]
	s_waitcnt vmcnt(23)
	v_mul_f64 v[34:35], v[192:193], v[74:75]
	v_fmac_f64_e32 v[32:33], v[118:119], v[68:69]
	v_add_f64 v[0:1], v[0:1], v[30:31]
	s_waitcnt vmcnt(22)
	v_mul_f64 v[36:37], v[124:125], v[78:79]
	v_fmac_f64_e32 v[34:35], v[194:195], v[72:73]
	v_add_f64 v[0:1], v[0:1], v[32:33]
	s_waitcnt vmcnt(21)
	v_mul_f64 v[38:39], v[212:213], v[82:83]
	v_fmac_f64_e32 v[36:37], v[126:127], v[76:77]
	v_add_f64 v[0:1], v[0:1], v[34:35]
	s_waitcnt vmcnt(20) lgkmcnt(13)
	v_mul_f64 v[40:41], v[204:205], v[86:87]
	v_fmac_f64_e32 v[38:39], v[214:215], v[80:81]
	v_add_f64 v[0:1], v[0:1], v[36:37]
	s_waitcnt vmcnt(19) lgkmcnt(12)
	v_mul_f64 v[42:43], v[128:129], v[94:95]
	v_fmac_f64_e32 v[40:41], v[206:207], v[84:85]
	v_add_f64 v[0:1], v[0:1], v[38:39]
	;; [unrolled: 4-line block ×8, first 2 shown]
	v_fmac_f64_e32 v[98:99], v[186:187], v[152:153]
	v_add_f64 v[0:1], v[0:1], v[96:97]
	s_waitcnt vmcnt(12) lgkmcnt(5)
	v_mul_f64 v[32:33], v[160:161], v[158:159]
	v_add_f64 v[0:1], v[0:1], v[98:99]
	v_fmac_f64_e32 v[32:33], v[162:163], v[156:157]
	v_add_f64 v[0:1], v[0:1], v[32:33]
	s_waitcnt vmcnt(11) lgkmcnt(4)
	v_mul_f64 v[32:33], v[220:221], v[166:167]
	v_fmac_f64_e32 v[32:33], v[222:223], v[164:165]
	v_add_f64 v[0:1], v[0:1], v[32:33]
	scratch_load_dwordx4 v[32:35], off, off offset:528
	s_waitcnt vmcnt(11) lgkmcnt(3)
	v_mul_f64 v[36:37], v[224:225], v[170:171]
	v_fmac_f64_e32 v[36:37], v[226:227], v[168:169]
	v_add_f64 v[0:1], v[0:1], v[36:37]
	s_waitcnt vmcnt(10) lgkmcnt(2)
	v_mul_f64 v[36:37], v[228:229], v[178:179]
	v_fmac_f64_e32 v[36:37], v[230:231], v[176:177]
	v_add_f64 v[0:1], v[0:1], v[36:37]
	scratch_load_dwordx4 v[36:39], off, off offset:544
	s_waitcnt vmcnt(10) lgkmcnt(1)
	v_mul_f64 v[40:41], v[232:233], v[182:183]
	v_fmac_f64_e32 v[40:41], v[234:235], v[180:181]
	ds_read_b128 v[88:91], v2 offset:1264
	s_waitcnt vmcnt(9) lgkmcnt(1)
	v_mul_f64 v[44:45], v[236:237], v[190:191]
	v_add_f64 v[0:1], v[0:1], v[40:41]
	scratch_load_dwordx4 v[40:43], off, off offset:560
	v_fmac_f64_e32 v[44:45], v[238:239], v[188:189]
	v_add_f64 v[0:1], v[0:1], v[44:45]
	scratch_load_dwordx4 v[44:47], off, off offset:576
	v_mul_f64 v[50:51], v[106:107], v[50:51]
	v_fma_f64 v[240:241], v[104:105], v[48:49], -v[50:51]
	scratch_load_dwordx4 v[48:51], off, off offset:592
	s_waitcnt vmcnt(11) lgkmcnt(0)
	v_mul_f64 v[96:97], v[88:89], v[6:7]
	v_mul_f64 v[54:55], v[210:211], v[54:55]
	v_fmac_f64_e32 v[96:97], v[90:91], v[4:5]
	v_fma_f64 v[242:243], v[208:209], v[52:53], -v[54:55]
	scratch_load_dwordx4 v[52:55], off, off offset:608
	v_mul_f64 v[58:59], v[198:199], v[58:59]
	v_add_f64 v[0:1], v[0:1], v[96:97]
	ds_read_b128 v[96:99], v2 offset:1280
	ds_read_b128 v[104:107], v2 offset:1296
	v_fma_f64 v[244:245], v[196:197], v[56:57], -v[58:59]
	scratch_load_dwordx4 v[56:59], off, off offset:624
	v_mul_f64 v[62:63], v[114:115], v[62:63]
	v_accvgpr_write_b32 a121, v7
	v_fma_f64 v[246:247], v[112:113], v[60:61], -v[62:63]
	scratch_load_dwordx4 v[60:63], off, off offset:640
	v_accvgpr_write_b32 a120, v6
	v_accvgpr_write_b32 a119, v5
	;; [unrolled: 1-line block ×3, first 2 shown]
	s_waitcnt vmcnt(13)
	v_mov_b64_e32 v[4:5], v[8:9]
	v_mov_b64_e32 v[6:7], v[10:11]
	s_waitcnt lgkmcnt(1)
	v_mul_f64 v[208:209], v[96:97], v[6:7]
	v_fmac_f64_e32 v[208:209], v[98:99], v[4:5]
	s_waitcnt vmcnt(12)
	v_mov_b64_e32 v[4:5], v[12:13]
	ds_read_b128 v[112:115], v2 offset:1312
	v_mov_b64_e32 v[6:7], v[14:15]
	s_waitcnt lgkmcnt(1)
	v_mul_f64 v[196:197], v[104:105], v[6:7]
	v_mul_f64 v[66:67], v[122:123], v[66:67]
	;; [unrolled: 1-line block ×3, first 2 shown]
	v_fmac_f64_e32 v[196:197], v[106:107], v[4:5]
	v_fma_f64 v[248:249], v[120:121], v[64:65], -v[66:67]
	scratch_load_dwordx4 v[64:67], off, off offset:656
	v_fma_f64 v[250:251], v[116:117], v[68:69], -v[70:71]
	ds_read_b128 v[116:119], v2 offset:1328
	s_waitcnt vmcnt(12)
	v_mov_b64_e32 v[4:5], v[16:17]
	v_mov_b64_e32 v[6:7], v[18:19]
	scratch_load_dwordx4 v[68:71], off, off offset:672
	s_waitcnt lgkmcnt(1)
	v_mul_f64 v[120:121], v[112:113], v[6:7]
	v_mul_f64 v[74:75], v[194:195], v[74:75]
	v_add_f64 v[0:1], v[0:1], v[208:209]
	v_fmac_f64_e32 v[120:121], v[114:115], v[4:5]
	v_fma_f64 v[252:253], v[192:193], v[72:73], -v[74:75]
	s_waitcnt vmcnt(12)
	v_mov_b64_e32 v[4:5], v[20:21]
	scratch_load_dwordx4 v[72:75], off, off offset:688
	v_add_f64 v[0:1], v[0:1], v[196:197]
	v_mov_b64_e32 v[6:7], v[22:23]
	v_add_f64 v[0:1], v[0:1], v[120:121]
	s_waitcnt lgkmcnt(0)
	v_mul_f64 v[120:121], v[116:117], v[6:7]
	v_fmac_f64_e32 v[120:121], v[118:119], v[4:5]
	v_mul_f64 v[78:79], v[126:127], v[78:79]
	v_add_f64 v[0:1], v[0:1], v[120:121]
	v_fma_f64 v[28:29], v[124:125], v[76:77], -v[78:79]
	scratch_load_dwordx4 v[76:79], off, off offset:704
	ds_read_b128 v[124:127], v2 offset:1344
	ds_read_b128 v[120:123], v2 offset:1360
	v_mul_f64 v[6:7], v[214:215], v[82:83]
	v_fma_f64 v[24:25], v[212:213], v[80:81], -v[6:7]
	s_waitcnt vmcnt(13)
	v_accvgpr_read_b32 v4, a110
	v_accvgpr_write_b32 a125, v11
	v_accvgpr_write_b32 a137, v23
	v_mul_f64 v[80:81], v[206:207], v[86:87]
	v_accvgpr_read_b32 v6, a112
	v_accvgpr_read_b32 v7, a113
	v_accvgpr_write_b32 a124, v10
	v_accvgpr_write_b32 a123, v9
	v_accvgpr_write_b32 a122, v8
	v_accvgpr_write_b32 a136, v22
	v_accvgpr_write_b32 a135, v21
	v_accvgpr_write_b32 a134, v20
	v_fma_f64 v[20:21], v[204:205], v[84:85], -v[80:81]
	scratch_load_dwordx4 v[84:87], off, off offset:720
	v_accvgpr_read_b32 v5, a111
	s_waitcnt lgkmcnt(1)
	v_mul_f64 v[10:11], v[124:125], v[6:7]
	v_fmac_f64_e32 v[10:11], v[126:127], v[4:5]
	s_waitcnt vmcnt(13)
	v_accvgpr_read_b32 v4, a114
	v_accvgpr_read_b32 v6, a116
	;; [unrolled: 1-line block ×3, first 2 shown]
	v_add_f64 v[0:1], v[0:1], v[10:11]
	v_accvgpr_read_b32 v5, a115
	s_waitcnt lgkmcnt(0)
	v_mul_f64 v[10:11], v[120:121], v[6:7]
	v_fmac_f64_e32 v[10:11], v[122:123], v[4:5]
	v_accvgpr_write_b32 a133, v19
	scratch_load_dwordx4 v[80:83], off, off offset:736
	v_add_f64 v[0:1], v[0:1], v[10:11]
	v_mul_f64 v[10:11], v[130:131], v[94:95]
	v_accvgpr_write_b32 a129, v15
	v_accvgpr_write_b32 a132, v18
	;; [unrolled: 1-line block ×4, first 2 shown]
	v_fma_f64 v[16:17], v[128:129], v[92:93], -v[10:11]
	v_mul_f64 v[92:93], v[134:135], v[102:103]
	v_accvgpr_write_b32 a128, v14
	v_accvgpr_write_b32 a127, v13
	;; [unrolled: 1-line block ×3, first 2 shown]
	v_fma_f64 v[12:13], v[132:133], v[100:101], -v[92:93]
	scratch_load_dwordx4 v[92:95], off, off offset:752
	ds_read_b128 v[128:131], v2 offset:1376
	ds_read_b128 v[132:135], v2 offset:1392
	scratch_load_dwordx4 v[100:103], off, off offset:768
	v_mul_f64 v[14:15], v[150:151], v[110:111]
	v_fma_f64 v[14:15], v[148:149], v[108:109], -v[14:15]
	s_waitcnt vmcnt(15) lgkmcnt(1)
	v_mul_f64 v[108:109], v[128:129], v[34:35]
	v_fmac_f64_e32 v[108:109], v[130:131], v[32:33]
	v_add_f64 v[0:1], v[0:1], v[108:109]
	v_mul_f64 v[108:109], v[202:203], v[138:139]
	v_fma_f64 v[10:11], v[200:201], v[136:137], -v[108:109]
	scratch_load_dwordx4 v[108:111], off, off offset:784
	s_waitcnt vmcnt(15) lgkmcnt(0)
	v_mul_f64 v[18:19], v[132:133], v[38:39]
	v_fmac_f64_e32 v[18:19], v[134:135], v[36:37]
	ds_read_b128 v[136:139], v2 offset:1408
	v_add_f64 v[0:1], v[0:1], v[18:19]
	v_mul_f64 v[18:19], v[174:175], v[142:143]
	v_fma_f64 v[18:19], v[172:173], v[140:141], -v[18:19]
	ds_read_b128 v[140:143], v2 offset:1424
	v_mul_f64 v[146:147], v[218:219], v[146:147]
	v_fma_f64 v[8:9], v[216:217], v[144:145], -v[146:147]
	ds_read_b128 v[144:147], v2 offset:1440
	s_waitcnt vmcnt(14) lgkmcnt(2)
	v_mul_f64 v[148:149], v[136:137], v[42:43]
	v_fmac_f64_e32 v[148:149], v[138:139], v[40:41]
	s_waitcnt vmcnt(13) lgkmcnt(1)
	v_mul_f64 v[22:23], v[140:141], v[46:47]
	v_add_f64 v[0:1], v[0:1], v[148:149]
	v_fmac_f64_e32 v[22:23], v[142:143], v[44:45]
	ds_read_b128 v[148:151], v2 offset:1456
	v_add_f64 v[0:1], v[0:1], v[22:23]
	s_waitcnt vmcnt(12) lgkmcnt(1)
	v_mul_f64 v[22:23], v[144:145], v[50:51]
	v_fmac_f64_e32 v[22:23], v[146:147], v[48:49]
	v_add_f64 v[0:1], v[0:1], v[22:23]
	v_mul_f64 v[22:23], v[186:187], v[154:155]
	v_fma_f64 v[22:23], v[184:185], v[152:153], -v[22:23]
	ds_read_b128 v[152:155], v2 offset:1472
	v_mul_f64 v[158:159], v[162:163], v[158:159]
	v_fma_f64 v[6:7], v[160:161], v[156:157], -v[158:159]
	ds_read_b128 v[156:159], v2 offset:1488
	s_waitcnt vmcnt(11) lgkmcnt(2)
	v_mul_f64 v[172:173], v[148:149], v[54:55]
	v_fmac_f64_e32 v[172:173], v[150:151], v[52:53]
	s_waitcnt vmcnt(10) lgkmcnt(1)
	v_mul_f64 v[26:27], v[152:153], v[58:59]
	v_add_f64 v[0:1], v[0:1], v[172:173]
	v_fmac_f64_e32 v[26:27], v[154:155], v[56:57]
	v_add_f64 v[0:1], v[0:1], v[26:27]
	s_waitcnt vmcnt(9) lgkmcnt(0)
	v_mul_f64 v[26:27], v[156:157], v[62:63]
	v_fmac_f64_e32 v[26:27], v[158:159], v[60:61]
	ds_read_b128 v[160:163], v2 offset:1504
	v_add_f64 v[0:1], v[0:1], v[26:27]
	v_mul_f64 v[26:27], v[222:223], v[166:167]
	v_fma_f64 v[26:27], v[220:221], v[164:165], -v[26:27]
	ds_read_b128 v[164:167], v2 offset:1520
	v_mul_f64 v[170:171], v[226:227], v[170:171]
	v_fma_f64 v[4:5], v[224:225], v[168:169], -v[170:171]
	ds_read_b128 v[168:171], v2 offset:1536
	s_waitcnt vmcnt(8) lgkmcnt(2)
	v_mul_f64 v[172:173], v[160:161], v[66:67]
	v_fmac_f64_e32 v[172:173], v[162:163], v[64:65]
	s_waitcnt vmcnt(7) lgkmcnt(1)
	v_mul_f64 v[30:31], v[164:165], v[70:71]
	v_add_f64 v[0:1], v[0:1], v[172:173]
	v_fmac_f64_e32 v[30:31], v[166:167], v[68:69]
	v_add_f64 v[0:1], v[0:1], v[30:31]
	ds_read_b128 v[172:175], v2 offset:1552
	s_waitcnt vmcnt(6) lgkmcnt(1)
	v_mul_f64 v[30:31], v[168:169], v[74:75]
	v_fmac_f64_e32 v[30:31], v[170:171], v[72:73]
	v_add_f64 v[30:31], v[0:1], v[30:31]
	v_mul_f64 v[0:1], v[230:231], v[178:179]
	v_fma_f64 v[0:1], v[228:229], v[176:177], -v[0:1]
	ds_read_b128 v[176:179], v2 offset:1568
	v_mul_f64 v[182:183], v[234:235], v[182:183]
	s_waitcnt vmcnt(5) lgkmcnt(1)
	v_mul_f64 v[184:185], v[172:173], v[78:79]
	v_fma_f64 v[180:181], v[232:233], v[180:181], -v[182:183]
	v_fmac_f64_e32 v[184:185], v[174:175], v[76:77]
	v_accvgpr_write_b32 a138, v180
	v_mul_f64 v[190:191], v[238:239], v[190:191]
	v_accvgpr_write_b32 a139, v181
	ds_read_b128 v[180:183], v2 offset:1584
	v_add_f64 v[30:31], v[30:31], v[184:185]
	v_fma_f64 v[254:255], v[236:237], v[188:189], -v[190:191]
	scratch_load_dwordx4 v[236:239], off, off offset:32
	s_waitcnt vmcnt(5) lgkmcnt(1)
	v_mul_f64 v[184:185], v[176:177], v[86:87]
	v_fmac_f64_e32 v[184:185], v[178:179], v[84:85]
	v_add_f64 v[30:31], v[30:31], v[184:185]
	ds_read_b128 v[184:187], v2 offset:1600
	ds_read_b128 v[188:191], v2 offset:1616
	s_waitcnt vmcnt(4) lgkmcnt(2)
	v_mul_f64 v[192:193], v[180:181], v[82:83]
	v_fmac_f64_e32 v[192:193], v[182:183], v[80:81]
	v_add_f64 v[30:31], v[30:31], v[192:193]
	s_waitcnt vmcnt(3) lgkmcnt(1)
	v_mul_f64 v[192:193], v[184:185], v[94:95]
	v_fmac_f64_e32 v[192:193], v[186:187], v[92:93]
	v_add_f64 v[30:31], v[30:31], v[192:193]
	;; [unrolled: 4-line block ×3, first 2 shown]
	ds_read_b128 v[192:195], v2 offset:1632
	ds_read_b128 v[200:203], v2 offset:1648
	scratch_load_dwordx4 v[232:235], off, off offset:864
	ds_read_b128 v[208:211], v2 offset:1664
	ds_read_b128 v[216:219], v2 offset:1680
	s_waitcnt vmcnt(2) lgkmcnt(3)
	v_mul_f64 v[196:197], v[192:193], v[110:111]
	v_fmac_f64_e32 v[196:197], v[194:195], v[108:109]
	v_add_f64 v[30:31], v[30:31], v[196:197]
	scratch_load_dwordx4 v[196:199], off, off offset:800
	ds_read_b128 v[224:227], v2 offset:1696
	s_waitcnt vmcnt(0) lgkmcnt(3)
	v_mul_f64 v[204:205], v[200:201], v[198:199]
	v_fmac_f64_e32 v[204:205], v[202:203], v[196:197]
	v_add_f64 v[30:31], v[30:31], v[204:205]
	scratch_load_dwordx4 v[204:207], off, off offset:816
	s_waitcnt vmcnt(0) lgkmcnt(2)
	v_mul_f64 v[212:213], v[208:209], v[206:207]
	v_fmac_f64_e32 v[212:213], v[210:211], v[204:205]
	v_add_f64 v[30:31], v[30:31], v[212:213]
	scratch_load_dwordx4 v[212:215], off, off offset:832
	;; [unrolled: 5-line block ×3, first 2 shown]
	s_waitcnt vmcnt(0) lgkmcnt(0)
	v_mul_f64 v[228:229], v[224:225], v[222:223]
	v_fmac_f64_e32 v[228:229], v[226:227], v[220:221]
	v_add_f64 v[30:31], v[30:31], v[228:229]
	ds_read_b128 v[228:231], v2 offset:1712
	s_waitcnt lgkmcnt(0)
	v_mul_f64 v[2:3], v[228:229], v[234:235]
	v_fmac_f64_e32 v[2:3], v[230:231], v[232:233]
	v_add_f64 v[2:3], v[30:31], v[2:3]
	v_add_f64 v[30:31], v[240:241], 0
	;; [unrolled: 1-line block ×21, first 2 shown]
	v_accvgpr_read_b32 v6, a118
	v_add_f64 v[240:241], v[4:5], v[0:1]
	v_accvgpr_read_b32 v0, a138
	v_accvgpr_read_b32 v8, a120
	;; [unrolled: 1-line block ×5, first 2 shown]
	v_mul_f64 v[4:5], v[90:91], v[8:9]
	v_add_f64 v[0:1], v[240:241], v[0:1]
	v_fma_f64 v[4:5], v[88:89], v[6:7], -v[4:5]
	v_accvgpr_read_b32 v6, a122
	v_add_f64 v[0:1], v[0:1], v[254:255]
	v_accvgpr_read_b32 v8, a124
	v_accvgpr_read_b32 v9, a125
	v_add_f64 v[0:1], v[0:1], v[4:5]
	v_accvgpr_read_b32 v7, a123
	v_mul_f64 v[4:5], v[98:99], v[8:9]
	v_fma_f64 v[4:5], v[96:97], v[6:7], -v[4:5]
	v_accvgpr_read_b32 v6, a126
	v_accvgpr_read_b32 v8, a128
	v_accvgpr_read_b32 v9, a129
	v_add_f64 v[0:1], v[0:1], v[4:5]
	v_accvgpr_read_b32 v7, a127
	v_mul_f64 v[4:5], v[106:107], v[8:9]
	v_fma_f64 v[4:5], v[104:105], v[6:7], -v[4:5]
	v_accvgpr_read_b32 v6, a130
	;; [unrolled: 7-line block ×5, first 2 shown]
	v_accvgpr_read_b32 v8, a116
	v_accvgpr_read_b32 v9, a117
	v_add_f64 v[0:1], v[0:1], v[4:5]
	v_accvgpr_read_b32 v7, a115
	v_mul_f64 v[4:5], v[122:123], v[8:9]
	v_fma_f64 v[4:5], v[120:121], v[6:7], -v[4:5]
	v_add_f64 v[0:1], v[0:1], v[4:5]
	v_mul_f64 v[4:5], v[130:131], v[34:35]
	v_fma_f64 v[4:5], v[128:129], v[32:33], -v[4:5]
	v_add_f64 v[0:1], v[0:1], v[4:5]
	;; [unrolled: 3-line block ×23, first 2 shown]
	v_add_f64 v[4:5], v[236:237], -v[0:1]
	v_accvgpr_read_b32 v0, a108
	v_add_f64 v[6:7], v[238:239], -v[2:3]
	v_cmp_ne_u32_e32 vcc, 0, v0
	scratch_store_dwordx4 off, v[4:7], off offset:32
	s_and_saveexec_b64 s[0:1], vcc
	s_cbranch_execz .LBB53_337
; %bb.336:
	scratch_load_dwordx4 v[2:5], off, off offset:16
	v_mov_b32_e32 v6, 0
	v_mov_b32_e32 v7, v6
	;; [unrolled: 1-line block ×4, first 2 shown]
	v_accvgpr_read_b32 v0, a109
	scratch_store_dwordx4 off, v[6:9], off offset:16
	s_waitcnt vmcnt(1)
	ds_write_b128 v0, v[2:5]
.LBB53_337:
	s_or_b64 exec, exec, s[0:1]
	s_waitcnt lgkmcnt(0)
	; wave barrier
	scratch_load_dwordx4 v[0:3], off, off offset:32
	scratch_load_dwordx4 v[4:7], off, off offset:48
	;; [unrolled: 1-line block ×29, first 2 shown]
	v_mov_b32_e32 v242, 0
	ds_read_b128 v[104:107], v242 offset:880
	ds_read_b128 v[108:111], v242 offset:896
	;; [unrolled: 1-line block ×18, first 2 shown]
	scratch_load_dwordx4 a[112:115], off, off offset:496
	scratch_load_dwordx4 a[116:119], off, off offset:512
	ds_read_b128 v[224:227], v242 offset:1200
	ds_read_b128 v[228:231], v242 offset:1216
	scratch_load_dwordx4 a[120:123], off, off offset:528
	scratch_load_dwordx4 a[124:127], off, off offset:544
	ds_read_b128 v[232:235], v242 offset:1232
	ds_read_b128 v[252:255], v242 offset:1248
	s_and_b64 vcc, exec, s[18:19]
	ds_read_b128 v[220:223], v242 offset:1184
	s_waitcnt vmcnt(32) lgkmcnt(14)
	v_mul_f64 v[20:21], v[104:105], v[2:3]
	s_waitcnt vmcnt(31)
	v_mul_f64 v[22:23], v[108:109], v[6:7]
	v_fmac_f64_e32 v[20:21], v[106:107], v[0:1]
	s_waitcnt vmcnt(30)
	v_mul_f64 v[24:25], v[112:113], v[50:51]
	v_fmac_f64_e32 v[22:23], v[110:111], v[4:5]
	v_add_f64 v[20:21], v[20:21], 0
	s_waitcnt vmcnt(29)
	v_mul_f64 v[26:27], v[116:117], v[54:55]
	v_fmac_f64_e32 v[24:25], v[114:115], v[48:49]
	v_add_f64 v[20:21], v[20:21], v[22:23]
	s_waitcnt vmcnt(28)
	v_mul_f64 v[28:29], v[120:121], v[58:59]
	v_fmac_f64_e32 v[26:27], v[118:119], v[52:53]
	v_add_f64 v[20:21], v[20:21], v[24:25]
	s_waitcnt vmcnt(27)
	v_mul_f64 v[30:31], v[124:125], v[62:63]
	v_fmac_f64_e32 v[28:29], v[122:123], v[56:57]
	v_add_f64 v[20:21], v[20:21], v[26:27]
	s_waitcnt vmcnt(26)
	v_mul_f64 v[32:33], v[128:129], v[66:67]
	v_fmac_f64_e32 v[30:31], v[126:127], v[60:61]
	v_add_f64 v[20:21], v[20:21], v[28:29]
	s_waitcnt vmcnt(25)
	v_mul_f64 v[34:35], v[140:141], v[70:71]
	v_fmac_f64_e32 v[32:33], v[130:131], v[64:65]
	v_add_f64 v[20:21], v[20:21], v[30:31]
	s_waitcnt vmcnt(24)
	v_mul_f64 v[36:37], v[152:153], v[74:75]
	v_fmac_f64_e32 v[34:35], v[142:143], v[68:69]
	v_add_f64 v[20:21], v[20:21], v[32:33]
	s_waitcnt vmcnt(23) lgkmcnt(13)
	v_mul_f64 v[38:39], v[164:165], v[78:79]
	v_fmac_f64_e32 v[36:37], v[154:155], v[72:73]
	v_add_f64 v[20:21], v[20:21], v[34:35]
	s_waitcnt vmcnt(22) lgkmcnt(12)
	v_mul_f64 v[80:81], v[176:177], v[90:91]
	v_fmac_f64_e32 v[38:39], v[166:167], v[76:77]
	v_add_f64 v[20:21], v[20:21], v[36:37]
	;; [unrolled: 4-line block ×7, first 2 shown]
	v_fmac_f64_e32 v[218:219], v[206:207], v[136:137]
	v_add_f64 v[20:21], v[20:21], v[216:217]
	v_add_f64 v[24:25], v[20:21], v[218:219]
	ds_read_b128 v[216:219], v242 offset:1168
	s_waitcnt vmcnt(16) lgkmcnt(7)
	v_mul_f64 v[26:27], v[208:209], v[146:147]
	v_fmac_f64_e32 v[26:27], v[210:211], v[144:145]
	v_add_f64 v[24:25], v[24:25], v[26:27]
	s_waitcnt vmcnt(15) lgkmcnt(6)
	v_mul_f64 v[26:27], v[212:213], v[150:151]
	v_fmac_f64_e32 v[26:27], v[214:215], v[148:149]
	v_add_f64 v[24:25], v[24:25], v[26:27]
	s_waitcnt vmcnt(14) lgkmcnt(0)
	v_mul_f64 v[26:27], v[216:217], v[158:159]
	v_fmac_f64_e32 v[26:27], v[218:219], v[156:157]
	s_waitcnt vmcnt(13)
	v_mul_f64 v[30:31], v[220:221], v[162:163]
	v_add_f64 v[28:29], v[24:25], v[26:27]
	v_fmac_f64_e32 v[30:31], v[222:223], v[160:161]
	s_waitcnt vmcnt(12)
	v_mul_f64 v[34:35], v[224:225], v[170:171]
	v_add_f64 v[32:33], v[28:29], v[30:31]
	v_fmac_f64_e32 v[34:35], v[226:227], v[168:169]
	v_add_f64 v[32:33], v[32:33], v[34:35]
	s_waitcnt vmcnt(11)
	v_mul_f64 v[34:35], v[228:229], v[174:175]
	v_fmac_f64_e32 v[34:35], v[230:231], v[172:173]
	v_add_f64 v[32:33], v[32:33], v[34:35]
	s_waitcnt vmcnt(10)
	v_mul_f64 v[34:35], v[232:233], v[182:183]
	v_fmac_f64_e32 v[34:35], v[234:235], v[180:181]
	s_waitcnt vmcnt(9)
	v_mul_f64 v[38:39], v[252:253], v[186:187]
	v_add_f64 v[36:37], v[32:33], v[34:35]
	v_fmac_f64_e32 v[38:39], v[254:255], v[184:185]
	v_add_f64 v[236:237], v[36:37], v[38:39]
	scratch_load_dwordx4 v[36:39], off, off offset:560
	scratch_load_dwordx4 v[30:33], off, off offset:576
	ds_read_b128 v[80:83], v242 offset:1264
	ds_read_b128 v[84:87], v242 offset:1280
	v_mul_f64 v[42:43], v[106:107], v[2:3]
	v_fma_f64 v[24:25], v[104:105], v[0:1], -v[42:43]
	s_waitcnt vmcnt(10)
	v_mov_b64_e32 v[0:1], v[8:9]
	v_mov_b64_e32 v[2:3], v[10:11]
	scratch_load_dwordx4 v[26:29], off, off offset:592
	s_waitcnt lgkmcnt(1)
	v_mul_f64 v[104:105], v[80:81], v[2:3]
	v_mul_f64 v[50:51], v[114:115], v[50:51]
	v_fmac_f64_e32 v[104:105], v[82:83], v[0:1]
	s_waitcnt vmcnt(10)
	v_mov_b64_e32 v[0:1], v[12:13]
	v_fma_f64 v[246:247], v[112:113], v[48:49], -v[50:51]
	scratch_load_dwordx4 v[48:51], off, off offset:608
	v_mov_b64_e32 v[2:3], v[14:15]
	v_mul_f64 v[54:55], v[118:119], v[54:55]
	s_waitcnt lgkmcnt(0)
	v_mul_f64 v[106:107], v[84:85], v[2:3]
	v_fma_f64 v[248:249], v[116:117], v[52:53], -v[54:55]
	scratch_load_dwordx4 v[52:55], off, off offset:624
	v_add_f64 v[104:105], v[236:237], v[104:105]
	v_fmac_f64_e32 v[106:107], v[86:87], v[0:1]
	v_add_f64 v[236:237], v[104:105], v[106:107]
	ds_read_b128 v[104:107], v242 offset:1296
	v_mul_f64 v[58:59], v[122:123], v[58:59]
	v_fma_f64 v[250:251], v[120:121], v[56:57], -v[58:59]
	scratch_load_dwordx4 v[56:59], off, off offset:640
	v_mul_f64 v[46:47], v[110:111], v[6:7]
	v_fma_f64 v[244:245], v[108:109], v[4:5], -v[46:47]
	ds_read_b128 v[108:111], v242 offset:1312
	s_waitcnt vmcnt(12)
	v_mov_b64_e32 v[0:1], v[16:17]
	v_mov_b64_e32 v[2:3], v[18:19]
	s_waitcnt lgkmcnt(1)
	v_mul_f64 v[112:113], v[104:105], v[2:3]
	v_fmac_f64_e32 v[112:113], v[106:107], v[0:1]
	s_waitcnt vmcnt(11)
	v_mov_b64_e32 v[0:1], v[238:239]
	v_mul_f64 v[62:63], v[126:127], v[62:63]
	v_mov_b64_e32 v[2:3], v[240:241]
	v_fma_f64 v[20:21], v[124:125], v[60:61], -v[62:63]
	scratch_load_dwordx4 v[60:63], off, off offset:656
	v_accvgpr_write_b32 a139, v19
	s_waitcnt lgkmcnt(0)
	v_mul_f64 v[114:115], v[108:109], v[2:3]
	v_mul_f64 v[2:3], v[130:131], v[66:67]
	v_accvgpr_write_b32 a138, v18
	v_accvgpr_write_b32 a137, v17
	;; [unrolled: 1-line block ×3, first 2 shown]
	v_fma_f64 v[16:17], v[128:129], v[64:65], -v[2:3]
	scratch_load_dwordx4 v[64:67], off, off offset:672
	v_accvgpr_write_b32 a135, v15
	v_mul_f64 v[70:71], v[142:143], v[70:71]
	v_accvgpr_write_b32 a134, v14
	v_accvgpr_write_b32 a133, v13
	;; [unrolled: 1-line block ×3, first 2 shown]
	v_fma_f64 v[12:13], v[140:141], v[68:69], -v[70:71]
	scratch_load_dwordx4 v[68:71], off, off offset:688
	v_mul_f64 v[74:75], v[154:155], v[74:75]
	v_add_f64 v[112:113], v[236:237], v[112:113]
	v_fma_f64 v[236:237], v[152:153], v[72:73], -v[74:75]
	scratch_load_dwordx4 v[72:75], off, off offset:704
	v_accvgpr_write_b32 a131, v11
	v_mul_f64 v[78:79], v[166:167], v[78:79]
	v_accvgpr_write_b32 a130, v10
	v_accvgpr_write_b32 a129, v9
	;; [unrolled: 1-line block ×3, first 2 shown]
	v_fma_f64 v[8:9], v[164:165], v[76:77], -v[78:79]
	scratch_load_dwordx4 v[76:79], off, off offset:720
	v_mul_f64 v[10:11], v[178:179], v[90:91]
	v_fma_f64 v[10:11], v[176:177], v[88:89], -v[10:11]
	v_mul_f64 v[88:89], v[190:191], v[94:95]
	v_fma_f64 v[4:5], v[188:189], v[92:93], -v[88:89]
	scratch_load_dwordx4 v[88:91], off, off offset:736
	v_fmac_f64_e32 v[114:115], v[110:111], v[0:1]
	v_add_f64 v[120:121], v[112:113], v[114:115]
	ds_read_b128 v[112:115], v242 offset:1328
	ds_read_b128 v[116:119], v242 offset:1344
	s_waitcnt vmcnt(16)
	v_accvgpr_read_b32 v0, a108
	v_accvgpr_read_b32 v2, a110
	;; [unrolled: 1-line block ×4, first 2 shown]
	s_waitcnt lgkmcnt(1)
	v_mul_f64 v[6:7], v[112:113], v[2:3]
	v_fmac_f64_e32 v[6:7], v[114:115], v[0:1]
	v_add_f64 v[6:7], v[120:121], v[6:7]
	s_waitcnt vmcnt(15)
	v_accvgpr_read_b32 v0, a112
	ds_read_b128 v[120:123], v242 offset:1360
	v_accvgpr_read_b32 v2, a114
	v_accvgpr_read_b32 v3, a115
	;; [unrolled: 1-line block ×3, first 2 shown]
	s_waitcnt lgkmcnt(1)
	v_mul_f64 v[124:125], v[116:117], v[2:3]
	v_fmac_f64_e32 v[124:125], v[118:119], v[0:1]
	s_waitcnt vmcnt(14)
	v_accvgpr_read_b32 v0, a116
	v_add_f64 v[6:7], v[6:7], v[124:125]
	ds_read_b128 v[124:127], v242 offset:1376
	v_accvgpr_read_b32 v2, a118
	v_accvgpr_read_b32 v3, a119
	;; [unrolled: 1-line block ×3, first 2 shown]
	s_waitcnt lgkmcnt(1)
	v_mul_f64 v[128:129], v[120:121], v[2:3]
	v_fmac_f64_e32 v[128:129], v[122:123], v[0:1]
	v_add_f64 v[6:7], v[6:7], v[128:129]
	s_waitcnt vmcnt(13)
	v_accvgpr_read_b32 v0, a120
	ds_read_b128 v[128:131], v242 offset:1392
	v_accvgpr_read_b32 v2, a122
	v_accvgpr_read_b32 v3, a123
	;; [unrolled: 1-line block ×3, first 2 shown]
	s_waitcnt lgkmcnt(1)
	v_mul_f64 v[14:15], v[124:125], v[2:3]
	v_fmac_f64_e32 v[14:15], v[126:127], v[0:1]
	s_waitcnt vmcnt(12)
	v_accvgpr_read_b32 v40, a124
	v_add_f64 v[6:7], v[6:7], v[14:15]
	v_mul_f64 v[14:15], v[202:203], v[134:135]
	v_accvgpr_read_b32 v42, a126
	v_accvgpr_read_b32 v43, a127
	v_fma_f64 v[18:19], v[200:201], v[132:133], -v[14:15]
	ds_read_b128 v[132:135], v242 offset:1408
	v_accvgpr_read_b32 v41, a125
	s_waitcnt lgkmcnt(1)
	v_mul_f64 v[14:15], v[128:129], v[42:43]
	v_fmac_f64_e32 v[14:15], v[130:131], v[40:41]
	v_add_f64 v[6:7], v[6:7], v[14:15]
	v_mul_f64 v[14:15], v[206:207], v[138:139]
	v_fma_f64 v[0:1], v[204:205], v[136:137], -v[14:15]
	ds_read_b128 v[136:139], v242 offset:1424
	ds_read_b128 v[140:143], v242 offset:1440
	s_waitcnt vmcnt(11) lgkmcnt(2)
	v_mul_f64 v[14:15], v[132:133], v[38:39]
	v_fmac_f64_e32 v[14:15], v[134:135], v[36:37]
	v_add_f64 v[6:7], v[6:7], v[14:15]
	s_waitcnt vmcnt(10) lgkmcnt(1)
	v_mul_f64 v[14:15], v[136:137], v[32:33]
	v_fmac_f64_e32 v[14:15], v[138:139], v[30:31]
	v_add_f64 v[6:7], v[6:7], v[14:15]
	v_mul_f64 v[14:15], v[210:211], v[146:147]
	v_fma_f64 v[22:23], v[208:209], v[144:145], -v[14:15]
	ds_read_b128 v[144:147], v242 offset:1456
	v_accvgpr_write_b32 a140, v238
	v_mul_f64 v[150:151], v[214:215], v[150:151]
	v_accvgpr_write_b32 a141, v239
	v_accvgpr_write_b32 a142, v240
	;; [unrolled: 1-line block ×3, first 2 shown]
	v_fma_f64 v[240:241], v[212:213], v[148:149], -v[150:151]
	ds_read_b128 v[148:151], v242 offset:1472
	s_waitcnt vmcnt(9) lgkmcnt(2)
	v_mul_f64 v[14:15], v[140:141], v[28:29]
	v_fmac_f64_e32 v[14:15], v[142:143], v[26:27]
	v_add_f64 v[6:7], v[6:7], v[14:15]
	s_waitcnt vmcnt(8) lgkmcnt(1)
	v_mul_f64 v[14:15], v[144:145], v[50:51]
	ds_read_b128 v[152:155], v242 offset:1488
	v_fmac_f64_e32 v[14:15], v[146:147], v[48:49]
	v_add_f64 v[6:7], v[6:7], v[14:15]
	s_waitcnt vmcnt(7) lgkmcnt(1)
	v_mul_f64 v[14:15], v[148:149], v[54:55]
	v_fmac_f64_e32 v[14:15], v[150:151], v[52:53]
	v_add_f64 v[6:7], v[6:7], v[14:15]
	v_mul_f64 v[14:15], v[218:219], v[158:159]
	v_fma_f64 v[42:43], v[216:217], v[156:157], -v[14:15]
	ds_read_b128 v[156:159], v242 offset:1504
	s_waitcnt vmcnt(6) lgkmcnt(1)
	v_mul_f64 v[14:15], v[152:153], v[58:59]
	v_fmac_f64_e32 v[14:15], v[154:155], v[56:57]
	v_add_f64 v[6:7], v[6:7], v[14:15]
	v_mul_f64 v[14:15], v[222:223], v[162:163]
	v_mul_f64 v[92:93], v[194:195], v[98:99]
	v_fma_f64 v[40:41], v[220:221], v[160:161], -v[14:15]
	ds_read_b128 v[160:163], v242 offset:1520
	ds_read_b128 v[164:167], v242 offset:1536
	v_fma_f64 v[238:239], v[192:193], v[96:97], -v[92:93]
	scratch_load_dwordx4 v[96:99], off, off offset:752
	scratch_load_dwordx4 v[92:95], off, off offset:768
	s_waitcnt vmcnt(7) lgkmcnt(2)
	v_mul_f64 v[14:15], v[156:157], v[62:63]
	v_mul_f64 v[102:103], v[198:199], v[102:103]
	v_fmac_f64_e32 v[14:15], v[158:159], v[60:61]
	v_fma_f64 v[2:3], v[196:197], v[100:101], -v[102:103]
	scratch_load_dwordx4 v[100:103], off, off offset:784
	v_add_f64 v[6:7], v[6:7], v[14:15]
	s_waitcnt vmcnt(7) lgkmcnt(1)
	v_mul_f64 v[14:15], v[160:161], v[66:67]
	v_fmac_f64_e32 v[14:15], v[162:163], v[64:65]
	v_add_f64 v[6:7], v[6:7], v[14:15]
	v_mul_f64 v[14:15], v[226:227], v[170:171]
	scratch_load_dwordx4 v[192:195], off, off offset:800
	scratch_load_dwordx4 v[200:203], off, off offset:816
	v_fma_f64 v[46:47], v[224:225], v[168:169], -v[14:15]
	ds_read_b128 v[168:171], v242 offset:1552
	v_mul_f64 v[174:175], v[230:231], v[174:175]
	v_fma_f64 v[44:45], v[228:229], v[172:173], -v[174:175]
	ds_read_b128 v[172:175], v242 offset:1568
	v_add_f64 v[24:25], v[24:25], 0
	s_waitcnt vmcnt(8) lgkmcnt(2)
	v_mul_f64 v[14:15], v[164:165], v[70:71]
	scratch_load_dwordx4 v[208:211], off, off offset:832
	scratch_load_dwordx4 v[216:219], off, off offset:848
	v_add_f64 v[24:25], v[24:25], v[244:245]
	v_fmac_f64_e32 v[14:15], v[166:167], v[68:69]
	v_add_f64 v[24:25], v[24:25], v[246:247]
	v_add_f64 v[6:7], v[6:7], v[14:15]
	s_waitcnt vmcnt(9) lgkmcnt(1)
	v_mul_f64 v[14:15], v[168:169], v[74:75]
	v_add_f64 v[24:25], v[24:25], v[248:249]
	v_fmac_f64_e32 v[14:15], v[170:171], v[72:73]
	v_add_f64 v[24:25], v[24:25], v[250:251]
	v_add_f64 v[6:7], v[6:7], v[14:15]
	s_waitcnt vmcnt(8) lgkmcnt(0)
	v_mul_f64 v[14:15], v[172:173], v[78:79]
	scratch_load_dwordx4 v[224:227], off, off offset:864
	v_add_f64 v[20:21], v[24:25], v[20:21]
	v_fmac_f64_e32 v[14:15], v[174:175], v[76:77]
	v_add_f64 v[16:17], v[20:21], v[16:17]
	v_add_f64 v[6:7], v[6:7], v[14:15]
	v_mul_f64 v[14:15], v[234:235], v[182:183]
	v_add_f64 v[12:13], v[16:17], v[12:13]
	v_fma_f64 v[14:15], v[232:233], v[180:181], -v[14:15]
	v_add_f64 v[12:13], v[12:13], v[236:237]
	scratch_load_dwordx4 v[232:235], off, off offset:16
	v_add_f64 v[8:9], v[12:13], v[8:9]
	v_add_f64 v[8:9], v[8:9], v[10:11]
	;; [unrolled: 1-line block ×5, first 2 shown]
	ds_read_b128 v[176:179], v242 offset:1584
	ds_read_b128 v[180:183], v242 offset:1600
	v_add_f64 v[2:3], v[2:3], v[18:19]
	v_add_f64 v[0:1], v[2:3], v[0:1]
	;; [unrolled: 1-line block ×5, first 2 shown]
	s_waitcnt vmcnt(9) lgkmcnt(1)
	v_mul_f64 v[34:35], v[176:177], v[90:91]
	v_add_f64 v[0:1], v[0:1], v[40:41]
	v_accvgpr_read_b32 v8, a128
	v_fmac_f64_e32 v[34:35], v[178:179], v[88:89]
	v_add_f64 v[0:1], v[0:1], v[46:47]
	v_accvgpr_read_b32 v10, a130
	v_accvgpr_read_b32 v11, a131
	v_add_f64 v[6:7], v[6:7], v[34:35]
	v_mul_f64 v[34:35], v[254:255], v[186:187]
	v_add_f64 v[254:255], v[0:1], v[44:45]
	v_accvgpr_read_b32 v9, a129
	v_mul_f64 v[2:3], v[82:83], v[10:11]
	v_fma_f64 v[252:253], v[252:253], v[184:185], -v[34:35]
	v_add_f64 v[0:1], v[254:255], v[14:15]
	v_fma_f64 v[2:3], v[80:81], v[8:9], -v[2:3]
	v_accvgpr_read_b32 v8, a132
	v_add_f64 v[0:1], v[0:1], v[252:253]
	v_accvgpr_read_b32 v10, a134
	v_accvgpr_read_b32 v11, a135
	v_add_f64 v[0:1], v[0:1], v[2:3]
	v_accvgpr_read_b32 v9, a133
	v_mul_f64 v[2:3], v[86:87], v[10:11]
	v_fma_f64 v[2:3], v[84:85], v[8:9], -v[2:3]
	v_accvgpr_read_b32 v8, a136
	v_accvgpr_read_b32 v10, a138
	v_accvgpr_read_b32 v11, a139
	v_add_f64 v[0:1], v[0:1], v[2:3]
	v_accvgpr_read_b32 v9, a137
	v_mul_f64 v[2:3], v[106:107], v[10:11]
	v_fma_f64 v[2:3], v[104:105], v[8:9], -v[2:3]
	v_accvgpr_read_b32 v8, a140
	;; [unrolled: 7-line block ×7, first 2 shown]
	v_accvgpr_read_b32 v10, a126
	v_accvgpr_read_b32 v11, a127
	v_add_f64 v[0:1], v[0:1], v[2:3]
	v_accvgpr_read_b32 v9, a125
	v_mul_f64 v[2:3], v[130:131], v[10:11]
	v_fma_f64 v[2:3], v[128:129], v[8:9], -v[2:3]
	v_add_f64 v[0:1], v[0:1], v[2:3]
	v_mul_f64 v[2:3], v[134:135], v[38:39]
	v_fma_f64 v[2:3], v[132:133], v[36:37], -v[2:3]
	v_add_f64 v[0:1], v[0:1], v[2:3]
	;; [unrolled: 3-line block ×11, first 2 shown]
	v_mul_f64 v[2:3], v[174:175], v[78:79]
	ds_read_b128 v[184:187], v242 offset:1616
	ds_read_b128 v[188:191], v242 offset:1632
	v_fma_f64 v[2:3], v[172:173], v[76:77], -v[2:3]
	v_add_f64 v[0:1], v[0:1], v[2:3]
	v_mul_f64 v[2:3], v[178:179], v[90:91]
	v_fma_f64 v[2:3], v[176:177], v[88:89], -v[2:3]
	s_waitcnt vmcnt(8) lgkmcnt(2)
	v_mul_f64 v[34:35], v[180:181], v[98:99]
	v_add_f64 v[0:1], v[0:1], v[2:3]
	v_mul_f64 v[2:3], v[182:183], v[98:99]
	v_fmac_f64_e32 v[34:35], v[182:183], v[96:97]
	ds_read_b128 v[196:199], v242 offset:1648
	ds_read_b128 v[204:207], v242 offset:1664
	v_fma_f64 v[2:3], v[180:181], v[96:97], -v[2:3]
	v_add_f64 v[6:7], v[6:7], v[34:35]
	s_waitcnt vmcnt(7) lgkmcnt(3)
	v_mul_f64 v[34:35], v[184:185], v[94:95]
	v_add_f64 v[0:1], v[0:1], v[2:3]
	v_mul_f64 v[2:3], v[186:187], v[94:95]
	v_fmac_f64_e32 v[34:35], v[186:187], v[92:93]
	v_fma_f64 v[2:3], v[184:185], v[92:93], -v[2:3]
	v_add_f64 v[6:7], v[6:7], v[34:35]
	s_waitcnt vmcnt(6) lgkmcnt(2)
	v_mul_f64 v[34:35], v[188:189], v[102:103]
	v_add_f64 v[0:1], v[0:1], v[2:3]
	v_mul_f64 v[2:3], v[190:191], v[102:103]
	v_fmac_f64_e32 v[34:35], v[190:191], v[100:101]
	ds_read_b128 v[212:215], v242 offset:1680
	ds_read_b128 v[220:223], v242 offset:1696
	v_fma_f64 v[2:3], v[188:189], v[100:101], -v[2:3]
	v_add_f64 v[6:7], v[6:7], v[34:35]
	s_waitcnt vmcnt(5) lgkmcnt(3)
	v_mul_f64 v[34:35], v[196:197], v[194:195]
	v_add_f64 v[0:1], v[0:1], v[2:3]
	v_mul_f64 v[2:3], v[198:199], v[194:195]
	v_fmac_f64_e32 v[34:35], v[198:199], v[192:193]
	v_fma_f64 v[2:3], v[196:197], v[192:193], -v[2:3]
	v_add_f64 v[6:7], v[6:7], v[34:35]
	s_waitcnt vmcnt(4) lgkmcnt(2)
	v_mul_f64 v[34:35], v[204:205], v[202:203]
	v_add_f64 v[0:1], v[0:1], v[2:3]
	v_mul_f64 v[2:3], v[206:207], v[202:203]
	v_fmac_f64_e32 v[34:35], v[206:207], v[200:201]
	ds_read_b128 v[228:231], v242 offset:1712
	v_fma_f64 v[2:3], v[204:205], v[200:201], -v[2:3]
	v_add_f64 v[6:7], v[6:7], v[34:35]
	s_waitcnt vmcnt(3) lgkmcnt(2)
	v_mul_f64 v[34:35], v[212:213], v[210:211]
	v_add_f64 v[0:1], v[0:1], v[2:3]
	v_mul_f64 v[2:3], v[214:215], v[210:211]
	v_fmac_f64_e32 v[34:35], v[214:215], v[208:209]
	v_fma_f64 v[2:3], v[212:213], v[208:209], -v[2:3]
	v_add_f64 v[6:7], v[6:7], v[34:35]
	s_waitcnt vmcnt(2) lgkmcnt(1)
	v_mul_f64 v[34:35], v[220:221], v[218:219]
	v_add_f64 v[0:1], v[0:1], v[2:3]
	v_mul_f64 v[2:3], v[222:223], v[218:219]
	v_fmac_f64_e32 v[34:35], v[222:223], v[216:217]
	;; [unrolled: 7-line block ×3, first 2 shown]
	v_fma_f64 v[2:3], v[228:229], v[224:225], -v[2:3]
	v_add_f64 v[6:7], v[6:7], v[34:35]
	v_add_f64 v[0:1], v[0:1], v[2:3]
	s_waitcnt vmcnt(0)
	v_add_f64 v[0:1], v[232:233], -v[0:1]
	v_add_f64 v[2:3], v[234:235], -v[6:7]
	scratch_store_dwordx4 off, v[0:3], off offset:16
	s_cbranch_vccz .LBB53_444
; %bb.338:
	global_load_dword v0, v242, s[16:17] offset:208
	s_waitcnt vmcnt(0)
	v_readfirstlane_b32 s0, v0
	s_add_i32 s0, s0, -1
	s_cmp_lg_u32 s0, 52
	s_cbranch_scc0 .LBB53_340
; %bb.339:
	s_lshl_b32 s0, s0, 4
	s_add_i32 s0, s0, 16
	scratch_load_dwordx4 v[0:3], off, s0
	scratch_load_dwordx4 v[4:7], off, s34
	s_waitcnt vmcnt(1)
	scratch_store_dwordx4 off, v[0:3], s34
	s_waitcnt vmcnt(1)
	scratch_store_dwordx4 off, v[4:7], s0
.LBB53_340:
	v_mov_b32_e32 v0, 0
	global_load_dword v1, v0, s[16:17] offset:204
	s_waitcnt vmcnt(0)
	v_readfirstlane_b32 s0, v1
	s_add_i32 s0, s0, -1
	s_cmp_eq_u32 s0, 51
	s_cbranch_scc1 .LBB53_342
; %bb.341:
	s_lshl_b32 s0, s0, 4
	s_add_i32 s0, s0, 16
	scratch_load_dwordx4 v[2:5], off, s0
	scratch_load_dwordx4 v[6:9], off, s33
	s_waitcnt vmcnt(1)
	scratch_store_dwordx4 off, v[2:5], s33
	s_waitcnt vmcnt(1)
	scratch_store_dwordx4 off, v[6:9], s0
.LBB53_342:
	global_load_dword v0, v0, s[16:17] offset:200
	s_waitcnt vmcnt(0)
	v_readfirstlane_b32 s0, v0
	s_add_i32 s0, s0, -1
	s_cmp_eq_u32 s0, 50
	s_cbranch_scc1 .LBB53_344
; %bb.343:
	s_lshl_b32 s0, s0, 4
	s_add_i32 s0, s0, 16
	scratch_load_dwordx4 v[0:3], off, s0
	scratch_load_dwordx4 v[4:7], off, s31
	s_waitcnt vmcnt(1)
	scratch_store_dwordx4 off, v[0:3], s31
	s_waitcnt vmcnt(1)
	scratch_store_dwordx4 off, v[4:7], s0
.LBB53_344:
	v_mov_b32_e32 v0, 0
	global_load_dword v1, v0, s[16:17] offset:196
	s_waitcnt vmcnt(0)
	v_readfirstlane_b32 s0, v1
	s_add_i32 s0, s0, -1
	s_cmp_eq_u32 s0, 49
	s_cbranch_scc1 .LBB53_346
; %bb.345:
	s_lshl_b32 s0, s0, 4
	s_add_i32 s0, s0, 16
	scratch_load_dwordx4 v[2:5], off, s0
	scratch_load_dwordx4 v[6:9], off, s30
	s_waitcnt vmcnt(1)
	scratch_store_dwordx4 off, v[2:5], s30
	s_waitcnt vmcnt(1)
	scratch_store_dwordx4 off, v[6:9], s0
.LBB53_346:
	global_load_dword v0, v0, s[16:17] offset:192
	s_waitcnt vmcnt(0)
	v_readfirstlane_b32 s0, v0
	s_add_i32 s0, s0, -1
	s_cmp_eq_u32 s0, 48
	s_cbranch_scc1 .LBB53_348
; %bb.347:
	s_lshl_b32 s0, s0, 4
	s_add_i32 s0, s0, 16
	scratch_load_dwordx4 v[0:3], off, s0
	scratch_load_dwordx4 v[4:7], off, s29
	s_waitcnt vmcnt(1)
	scratch_store_dwordx4 off, v[0:3], s29
	s_waitcnt vmcnt(1)
	scratch_store_dwordx4 off, v[4:7], s0
.LBB53_348:
	;; [unrolled: 33-line block ×25, first 2 shown]
	v_mov_b32_e32 v0, 0
	global_load_dword v1, v0, s[16:17] offset:4
	s_waitcnt vmcnt(0)
	v_readfirstlane_b32 s0, v1
	s_add_i32 s0, s0, -1
	s_cmp_eq_u32 s0, 1
	s_cbranch_scc1 .LBB53_442
; %bb.441:
	s_lshl_b32 s0, s0, 4
	s_add_i32 s0, s0, 16
	scratch_load_dwordx4 v[2:5], off, s0
	scratch_load_dwordx4 v[6:9], off, s69
	s_waitcnt vmcnt(1)
	scratch_store_dwordx4 off, v[2:5], s69
	s_waitcnt vmcnt(1)
	scratch_store_dwordx4 off, v[6:9], s0
.LBB53_442:
	global_load_dword v0, v0, s[16:17]
	s_waitcnt vmcnt(0)
	v_readfirstlane_b32 s0, v0
	s_add_i32 s0, s0, -1
	s_cmp_eq_u32 s0, 0
	s_cbranch_scc1 .LBB53_444
; %bb.443:
	s_lshl_b32 s0, s0, 4
	s_add_i32 s0, s0, 16
	scratch_load_dwordx4 v[0:3], off, s0
	scratch_load_dwordx4 v[4:7], off, off offset:16
	s_waitcnt vmcnt(1)
	scratch_store_dwordx4 off, v[0:3], off offset:16
	s_waitcnt vmcnt(1)
	scratch_store_dwordx4 off, v[4:7], s0
.LBB53_444:
	scratch_load_dwordx4 v[0:3], off, off offset:16
	s_nop 0
	scratch_load_dwordx4 v[4:7], off, s69
	scratch_load_dwordx4 v[8:11], off, s68
	scratch_load_dwordx4 v[12:15], off, s67
	scratch_load_dwordx4 v[16:19], off, s35
	scratch_load_dwordx4 v[20:23], off, s36
	scratch_load_dwordx4 v[24:27], off, s37
	scratch_load_dwordx4 v[28:31], off, s38
	scratch_load_dwordx4 v[32:35], off, s39
	scratch_load_dwordx4 v[36:39], off, s40
	scratch_load_dwordx4 v[40:43], off, s41
	scratch_load_dwordx4 v[44:47], off, s42
	scratch_load_dwordx4 v[48:51], off, s43
	scratch_load_dwordx4 v[52:55], off, s44
	scratch_load_dwordx4 v[56:59], off, s45
	scratch_load_dwordx4 v[60:63], off, s46
	scratch_load_dwordx4 v[64:67], off, s47
	scratch_load_dwordx4 v[68:71], off, s48
	scratch_load_dwordx4 v[72:75], off, s49
	scratch_load_dwordx4 v[76:79], off, s50
	scratch_load_dwordx4 v[80:83], off, s51
	scratch_load_dwordx4 v[84:87], off, s52
	scratch_load_dwordx4 v[88:91], off, s53
	scratch_load_dwordx4 v[92:95], off, s54
	scratch_load_dwordx4 v[96:99], off, s55
	scratch_load_dwordx4 v[100:103], off, s56
	scratch_load_dwordx4 v[104:107], off, s57
	scratch_load_dwordx4 v[108:111], off, s58
	scratch_load_dwordx4 v[112:115], off, s59
	scratch_load_dwordx4 v[116:119], off, s60
	scratch_load_dwordx4 v[120:123], off, s61
	scratch_load_dwordx4 v[124:127], off, s62
	scratch_load_dwordx4 v[128:131], off, s63
	scratch_load_dwordx4 v[132:135], off, s64
	scratch_load_dwordx4 v[136:139], off, s65
	scratch_load_dwordx4 v[140:143], off, s66
	v_accvgpr_read_b32 v145, a1
	v_accvgpr_read_b32 v144, a0
	;; [unrolled: 1-line block ×14, first 2 shown]
	s_waitcnt vmcnt(35)
	global_store_dwordx4 v[144:145], v[0:3], off
	s_nop 1
	v_accvgpr_read_b32 v0, a2
	v_accvgpr_read_b32 v1, a3
	s_waitcnt vmcnt(35)
	global_store_dwordx4 v[0:1], v[4:7], off
	scratch_load_dwordx4 v[0:3], off, s12
	s_nop 0
	scratch_load_dwordx4 v[4:7], off, s13
	v_accvgpr_read_b32 v145, a5
	v_accvgpr_read_b32 v144, a4
	s_waitcnt vmcnt(37)
	global_store_dwordx4 v[144:145], v[8:11], off
	scratch_load_dwordx4 v[8:11], off, s14
	s_nop 0
	scratch_load_dwordx4 v[144:147], off, s15
	s_waitcnt vmcnt(39)
	global_store_dwordx4 v[148:149], v[12:15], off
	scratch_load_dwordx4 v[12:15], off, s20
	s_nop 0
	scratch_load_dwordx4 v[148:151], off, s22
	s_waitcnt vmcnt(41)
	global_store_dwordx4 v[152:153], v[16:19], off
	v_accvgpr_read_b32 v153, a13
	v_accvgpr_read_b32 v152, a12
	;; [unrolled: 1-line block ×4, first 2 shown]
	s_waitcnt vmcnt(41)
	global_store_dwordx4 v[16:17], v[20:23], off
	scratch_load_dwordx4 v[16:19], off, s21
	s_nop 0
	scratch_load_dwordx4 v[20:23], off, s23
	s_waitcnt vmcnt(43)
	global_store_dwordx4 v[152:153], v[24:27], off
	scratch_load_dwordx4 v[24:27], off, s24
	s_nop 0
	scratch_load_dwordx4 v[152:155], off, s25
	;; [unrolled: 5-line block ×3, first 2 shown]
	s_waitcnt vmcnt(47)
	global_store_dwordx4 v[160:161], v[32:35], off
	v_accvgpr_read_b32 v161, a21
	v_accvgpr_read_b32 v160, a20
	;; [unrolled: 1-line block ×4, first 2 shown]
	s_waitcnt vmcnt(47)
	global_store_dwordx4 v[32:33], v[36:39], off
	scratch_load_dwordx4 v[32:35], off, s27
	s_nop 0
	scratch_load_dwordx4 v[36:39], off, s29
	s_waitcnt vmcnt(49)
	global_store_dwordx4 v[160:161], v[40:43], off
	scratch_load_dwordx4 v[40:43], off, s30
	s_nop 0
	scratch_load_dwordx4 v[160:163], off, s31
	;; [unrolled: 5-line block ×3, first 2 shown]
	s_waitcnt vmcnt(53)
	global_store_dwordx4 v[168:169], v[48:51], off
	s_nop 1
	v_accvgpr_read_b32 v49, a27
	v_accvgpr_read_b32 v48, a26
	s_waitcnt vmcnt(53)
	global_store_dwordx4 v[48:49], v[52:55], off
	v_accvgpr_read_b32 v49, a29
	v_accvgpr_read_b32 v48, a28
	s_waitcnt vmcnt(53)
	global_store_dwordx4 v[48:49], v[56:59], off
	;; [unrolled: 4-line block ×23, first 2 shown]
	s_nop 1
	v_accvgpr_read_b32 v0, a72
	v_accvgpr_read_b32 v1, a73
	s_waitcnt vmcnt(50)
	global_store_dwordx4 v[0:1], v[4:7], off
	v_accvgpr_read_b32 v0, a74
	v_accvgpr_read_b32 v1, a75
	s_waitcnt vmcnt(49)
	global_store_dwordx4 v[0:1], v[8:11], off
	;; [unrolled: 4-line block ×17, first 2 shown]
	v_accvgpr_read_b32 v0, a106
	v_accvgpr_read_b32 v1, a107
	global_store_dwordx4 v[0:1], v[140:143], off
	s_endpgm
	.section	.rodata,"a",@progbits
	.p2align	6, 0x0
	.amdhsa_kernel _ZN9rocsolver6v33100L18getri_kernel_smallILi54E19rocblas_complex_numIdEPS3_EEvT1_iilPiilS6_bb
		.amdhsa_group_segment_fixed_size 1736
		.amdhsa_private_segment_fixed_size 896
		.amdhsa_kernarg_size 60
		.amdhsa_user_sgpr_count 2
		.amdhsa_user_sgpr_dispatch_ptr 0
		.amdhsa_user_sgpr_queue_ptr 0
		.amdhsa_user_sgpr_kernarg_segment_ptr 1
		.amdhsa_user_sgpr_dispatch_id 0
		.amdhsa_user_sgpr_kernarg_preload_length 0
		.amdhsa_user_sgpr_kernarg_preload_offset 0
		.amdhsa_user_sgpr_private_segment_size 0
		.amdhsa_uses_dynamic_stack 0
		.amdhsa_enable_private_segment 1
		.amdhsa_system_sgpr_workgroup_id_x 1
		.amdhsa_system_sgpr_workgroup_id_y 0
		.amdhsa_system_sgpr_workgroup_id_z 0
		.amdhsa_system_sgpr_workgroup_info 0
		.amdhsa_system_vgpr_workitem_id 0
		.amdhsa_next_free_vgpr 400
		.amdhsa_next_free_sgpr 70
		.amdhsa_accum_offset 256
		.amdhsa_reserve_vcc 1
		.amdhsa_float_round_mode_32 0
		.amdhsa_float_round_mode_16_64 0
		.amdhsa_float_denorm_mode_32 3
		.amdhsa_float_denorm_mode_16_64 3
		.amdhsa_dx10_clamp 1
		.amdhsa_ieee_mode 1
		.amdhsa_fp16_overflow 0
		.amdhsa_tg_split 0
		.amdhsa_exception_fp_ieee_invalid_op 0
		.amdhsa_exception_fp_denorm_src 0
		.amdhsa_exception_fp_ieee_div_zero 0
		.amdhsa_exception_fp_ieee_overflow 0
		.amdhsa_exception_fp_ieee_underflow 0
		.amdhsa_exception_fp_ieee_inexact 0
		.amdhsa_exception_int_div_zero 0
	.end_amdhsa_kernel
	.section	.text._ZN9rocsolver6v33100L18getri_kernel_smallILi54E19rocblas_complex_numIdEPS3_EEvT1_iilPiilS6_bb,"axG",@progbits,_ZN9rocsolver6v33100L18getri_kernel_smallILi54E19rocblas_complex_numIdEPS3_EEvT1_iilPiilS6_bb,comdat
.Lfunc_end53:
	.size	_ZN9rocsolver6v33100L18getri_kernel_smallILi54E19rocblas_complex_numIdEPS3_EEvT1_iilPiilS6_bb, .Lfunc_end53-_ZN9rocsolver6v33100L18getri_kernel_smallILi54E19rocblas_complex_numIdEPS3_EEvT1_iilPiilS6_bb
                                        ; -- End function
	.set _ZN9rocsolver6v33100L18getri_kernel_smallILi54E19rocblas_complex_numIdEPS3_EEvT1_iilPiilS6_bb.num_vgpr, 256
	.set _ZN9rocsolver6v33100L18getri_kernel_smallILi54E19rocblas_complex_numIdEPS3_EEvT1_iilPiilS6_bb.num_agpr, 144
	.set _ZN9rocsolver6v33100L18getri_kernel_smallILi54E19rocblas_complex_numIdEPS3_EEvT1_iilPiilS6_bb.numbered_sgpr, 70
	.set _ZN9rocsolver6v33100L18getri_kernel_smallILi54E19rocblas_complex_numIdEPS3_EEvT1_iilPiilS6_bb.num_named_barrier, 0
	.set _ZN9rocsolver6v33100L18getri_kernel_smallILi54E19rocblas_complex_numIdEPS3_EEvT1_iilPiilS6_bb.private_seg_size, 896
	.set _ZN9rocsolver6v33100L18getri_kernel_smallILi54E19rocblas_complex_numIdEPS3_EEvT1_iilPiilS6_bb.uses_vcc, 1
	.set _ZN9rocsolver6v33100L18getri_kernel_smallILi54E19rocblas_complex_numIdEPS3_EEvT1_iilPiilS6_bb.uses_flat_scratch, 0
	.set _ZN9rocsolver6v33100L18getri_kernel_smallILi54E19rocblas_complex_numIdEPS3_EEvT1_iilPiilS6_bb.has_dyn_sized_stack, 0
	.set _ZN9rocsolver6v33100L18getri_kernel_smallILi54E19rocblas_complex_numIdEPS3_EEvT1_iilPiilS6_bb.has_recursion, 0
	.set _ZN9rocsolver6v33100L18getri_kernel_smallILi54E19rocblas_complex_numIdEPS3_EEvT1_iilPiilS6_bb.has_indirect_call, 0
	.section	.AMDGPU.csdata,"",@progbits
; Kernel info:
; codeLenInByte = 123176
; TotalNumSgprs: 76
; NumVgprs: 256
; NumAgprs: 144
; TotalNumVgprs: 400
; ScratchSize: 896
; MemoryBound: 0
; FloatMode: 240
; IeeeMode: 1
; LDSByteSize: 1736 bytes/workgroup (compile time only)
; SGPRBlocks: 9
; VGPRBlocks: 49
; NumSGPRsForWavesPerEU: 76
; NumVGPRsForWavesPerEU: 400
; AccumOffset: 256
; Occupancy: 1
; WaveLimiterHint : 1
; COMPUTE_PGM_RSRC2:SCRATCH_EN: 1
; COMPUTE_PGM_RSRC2:USER_SGPR: 2
; COMPUTE_PGM_RSRC2:TRAP_HANDLER: 0
; COMPUTE_PGM_RSRC2:TGID_X_EN: 1
; COMPUTE_PGM_RSRC2:TGID_Y_EN: 0
; COMPUTE_PGM_RSRC2:TGID_Z_EN: 0
; COMPUTE_PGM_RSRC2:TIDIG_COMP_CNT: 0
; COMPUTE_PGM_RSRC3_GFX90A:ACCUM_OFFSET: 63
; COMPUTE_PGM_RSRC3_GFX90A:TG_SPLIT: 0
	.section	.text._ZN9rocsolver6v33100L18getri_kernel_smallILi55E19rocblas_complex_numIdEPS3_EEvT1_iilPiilS6_bb,"axG",@progbits,_ZN9rocsolver6v33100L18getri_kernel_smallILi55E19rocblas_complex_numIdEPS3_EEvT1_iilPiilS6_bb,comdat
	.globl	_ZN9rocsolver6v33100L18getri_kernel_smallILi55E19rocblas_complex_numIdEPS3_EEvT1_iilPiilS6_bb ; -- Begin function _ZN9rocsolver6v33100L18getri_kernel_smallILi55E19rocblas_complex_numIdEPS3_EEvT1_iilPiilS6_bb
	.p2align	8
	.type	_ZN9rocsolver6v33100L18getri_kernel_smallILi55E19rocblas_complex_numIdEPS3_EEvT1_iilPiilS6_bb,@function
_ZN9rocsolver6v33100L18getri_kernel_smallILi55E19rocblas_complex_numIdEPS3_EEvT1_iilPiilS6_bb: ; @_ZN9rocsolver6v33100L18getri_kernel_smallILi55E19rocblas_complex_numIdEPS3_EEvT1_iilPiilS6_bb
; %bb.0:
	v_mov_b32_e32 v250, v0
	v_cmp_gt_u32_e32 vcc, 55, v250
	s_and_saveexec_b64 s[4:5], vcc
	s_cbranch_execz .LBB54_234
; %bb.1:
	s_load_dword s8, s[0:1], 0x38
	s_load_dwordx4 s[12:15], s[0:1], 0x10
	s_load_dwordx4 s[4:7], s[0:1], 0x28
                                        ; implicit-def: $sgpr16_sgpr17
	s_waitcnt lgkmcnt(0)
	s_bitcmp1_b32 s8, 8
	s_cselect_b64 s[18:19], -1, 0
	s_ashr_i32 s3, s2, 31
	s_bfe_u32 s8, s8, 0x10008
	s_cmp_eq_u32 s8, 0
	s_cbranch_scc1 .LBB54_3
; %bb.2:
	s_load_dword s8, s[0:1], 0x20
	s_mul_i32 s9, s4, s3
	s_mul_hi_u32 s10, s4, s2
	s_mul_i32 s5, s5, s2
	s_add_i32 s10, s10, s9
	s_add_i32 s5, s10, s5
	s_mul_i32 s4, s4, s2
	s_waitcnt lgkmcnt(0)
	s_ashr_i32 s9, s8, 31
	s_lshl_b64 s[4:5], s[4:5], 2
	s_add_u32 s10, s14, s4
	s_addc_u32 s11, s15, s5
	s_lshl_b64 s[4:5], s[8:9], 2
	s_add_u32 s16, s10, s4
	s_addc_u32 s17, s11, s5
.LBB54_3:
	s_load_dwordx4 s[8:11], s[0:1], 0x0
	s_load_dword s4, s[0:1], 0x38
	s_mul_i32 s5, s12, s3
	s_mul_hi_u32 s14, s12, s2
	s_add_i32 s5, s14, s5
	s_waitcnt lgkmcnt(0)
	s_ashr_i32 s1, s10, 31
	s_mov_b32 s0, s10
	s_mul_i32 s10, s13, s2
	s_add_i32 s13, s5, s10
	s_mul_i32 s12, s12, s2
	s_lshl_b64 s[12:13], s[12:13], 4
	s_add_u32 s5, s8, s12
	s_addc_u32 s8, s9, s13
	s_lshl_b64 s[0:1], s[0:1], 4
	s_add_u32 s0, s5, s0
	s_addc_u32 s1, s8, s1
	s_add_i32 s5, s11, s11
	v_add_u32_e32 v14, s5, v250
	v_lshlrev_b32_e32 v34, 4, v250
	v_mov_b32_e32 v35, 0
	v_ashrrev_i32_e32 v15, 31, v14
	v_lshl_add_u64 v[0:1], s[0:1], 0, v[34:35]
	v_lshl_add_u64 v[10:11], v[14:15], 4, s[0:1]
	v_add_u32_e32 v14, s11, v14
	s_ashr_i32 s9, s11, 31
	s_mov_b32 s8, s11
	v_accvgpr_write_b32 a0, v0
	v_add_u32_e32 v22, s11, v14
	v_accvgpr_write_b32 a1, v1
	v_lshl_add_u64 v[0:1], s[8:9], 4, v[0:1]
	v_ashrrev_i32_e32 v23, 31, v22
	v_accvgpr_write_b32 a3, v1
	v_ashrrev_i32_e32 v15, 31, v14
	v_lshl_add_u64 v[18:19], v[22:23], 4, s[0:1]
	v_add_u32_e32 v22, s11, v22
	global_load_dwordx4 v[2:5], v34, s[0:1]
	global_load_dwordx4 v[6:9], v[0:1], off
	v_accvgpr_write_b32 a2, v0
	v_lshl_add_u64 v[0:1], v[14:15], 4, s[0:1]
	v_add_u32_e32 v30, s11, v22
	v_accvgpr_write_b32 a4, v10
	v_accvgpr_write_b32 a7, v1
	v_ashrrev_i32_e32 v23, 31, v22
	v_ashrrev_i32_e32 v31, 31, v30
	v_accvgpr_write_b32 a5, v11
	global_load_dwordx4 v[10:13], v[10:11], off
	v_accvgpr_write_b32 a6, v0
	global_load_dwordx4 v[14:17], v[0:1], off
	v_lshl_add_u64 v[0:1], v[22:23], 4, s[0:1]
	v_lshl_add_u64 v[26:27], v[30:31], 4, s[0:1]
	v_add_u32_e32 v30, s11, v30
	v_accvgpr_write_b32 a8, v18
	v_accvgpr_write_b32 a11, v1
	v_ashrrev_i32_e32 v31, 31, v30
	v_accvgpr_write_b32 a9, v19
	global_load_dwordx4 v[18:21], v[18:19], off
	v_accvgpr_write_b32 a10, v0
	global_load_dwordx4 v[22:25], v[0:1], off
	v_lshl_add_u64 v[0:1], v[30:31], 4, s[0:1]
	v_add_u32_e32 v30, s11, v30
	v_add_u32_e32 v40, s11, v30
	v_accvgpr_write_b32 a12, v26
	v_ashrrev_i32_e32 v31, 31, v30
	v_ashrrev_i32_e32 v41, 31, v40
	v_add_u32_e32 v42, s11, v40
	v_accvgpr_write_b32 a15, v1
	v_accvgpr_write_b32 a13, v27
	global_load_dwordx4 v[26:29], v[26:27], off
	v_lshl_add_u64 v[36:37], v[30:31], 4, s[0:1]
	v_accvgpr_write_b32 a14, v0
	global_load_dwordx4 v[30:33], v[0:1], off
	v_lshl_add_u64 v[0:1], v[40:41], 4, s[0:1]
	v_add_u32_e32 v48, s11, v42
	v_accvgpr_write_b32 a16, v36
	v_ashrrev_i32_e32 v43, 31, v42
	v_ashrrev_i32_e32 v49, 31, v48
	v_add_u32_e32 v50, s11, v48
	v_accvgpr_write_b32 a19, v1
	v_accvgpr_write_b32 a17, v37
	global_load_dwordx4 v[36:39], v[36:37], off
	v_lshl_add_u64 v[44:45], v[42:43], 4, s[0:1]
	v_accvgpr_write_b32 a18, v0
	global_load_dwordx4 v[40:43], v[0:1], off
	v_lshl_add_u64 v[0:1], v[48:49], 4, s[0:1]
	v_add_u32_e32 v56, s11, v50
	v_accvgpr_write_b32 a20, v44
	v_ashrrev_i32_e32 v51, 31, v50
	v_ashrrev_i32_e32 v57, 31, v56
	v_accvgpr_write_b32 a23, v1
	v_accvgpr_write_b32 a21, v45
	global_load_dwordx4 v[44:47], v[44:45], off
	v_lshl_add_u64 v[52:53], v[50:51], 4, s[0:1]
	v_accvgpr_write_b32 a22, v0
	global_load_dwordx4 v[48:51], v[0:1], off
	v_lshl_add_u64 v[0:1], v[56:57], 4, s[0:1]
	v_add_u32_e32 v56, s11, v56
	v_add_u32_e32 v64, s11, v56
	v_accvgpr_write_b32 a24, v52
	v_ashrrev_i32_e32 v57, 31, v56
	v_add_u32_e32 v66, s11, v64
	v_accvgpr_write_b32 a25, v53
	global_load_dwordx4 v[52:55], v[52:53], off
	v_lshl_add_u64 v[60:61], v[56:57], 4, s[0:1]
	v_add_u32_e32 v72, s11, v66
	v_ashrrev_i32_e32 v65, 31, v64
	v_accvgpr_write_b32 a27, v1
	global_load_dwordx4 v[56:59], v[0:1], off
	v_accvgpr_write_b32 a28, v60
	v_ashrrev_i32_e32 v67, 31, v66
	v_add_u32_e32 v80, s11, v72
	v_accvgpr_write_b32 a26, v0
	v_accvgpr_write_b32 a29, v61
	global_load_dwordx4 v[60:63], v[60:61], off
	v_lshl_add_u64 v[0:1], v[64:65], 4, s[0:1]
	v_lshl_add_u64 v[68:69], v[66:67], 4, s[0:1]
	v_ashrrev_i32_e32 v81, 31, v80
	v_ashrrev_i32_e32 v73, 31, v72
	v_accvgpr_write_b32 a31, v1
	global_load_dwordx4 v[64:67], v[0:1], off
	v_accvgpr_write_b32 a32, v68
	v_lshl_add_u64 v[76:77], v[80:81], 4, s[0:1]
	v_add_u32_e32 v80, s11, v80
	v_accvgpr_write_b32 a30, v0
	v_accvgpr_write_b32 a33, v69
	global_load_dwordx4 v[68:71], v[68:69], off
	v_lshl_add_u64 v[0:1], v[72:73], 4, s[0:1]
	v_add_u32_e32 v88, s11, v80
	v_accvgpr_write_b32 a35, v1
	global_load_dwordx4 v[72:75], v[0:1], off
	v_accvgpr_write_b32 a36, v76
	v_ashrrev_i32_e32 v81, 31, v80
	v_ashrrev_i32_e32 v89, 31, v88
	v_accvgpr_write_b32 a34, v0
	v_accvgpr_write_b32 a37, v77
	global_load_dwordx4 v[76:79], v[76:77], off
	v_lshl_add_u64 v[0:1], v[80:81], 4, s[0:1]
	v_lshl_add_u64 v[84:85], v[88:89], 4, s[0:1]
	global_load_dwordx4 v[80:83], v[0:1], off
	v_accvgpr_write_b32 a40, v84
	v_accvgpr_write_b32 a41, v85
	global_load_dwordx4 v[84:87], v[84:85], off
	s_waitcnt vmcnt(20)
	scratch_store_dwordx4 off, v[2:5], off offset:16
	s_waitcnt vmcnt(20)
	scratch_store_dwordx4 off, v[6:9], off offset:32
	s_waitcnt vmcnt(20)
	scratch_store_dwordx4 off, v[10:13], off offset:48
	s_waitcnt vmcnt(20)
	scratch_store_dwordx4 off, v[14:17], off offset:64
	s_waitcnt vmcnt(20)
	scratch_store_dwordx4 off, v[18:21], off offset:80
	s_waitcnt vmcnt(20)
	scratch_store_dwordx4 off, v[22:25], off offset:96
	s_waitcnt vmcnt(20)
	scratch_store_dwordx4 off, v[26:29], off offset:112
	s_waitcnt vmcnt(20)
	scratch_store_dwordx4 off, v[30:33], off offset:128
	s_waitcnt vmcnt(20)
	scratch_store_dwordx4 off, v[36:39], off offset:144
	s_waitcnt vmcnt(20)
	scratch_store_dwordx4 off, v[40:43], off offset:160
	s_waitcnt vmcnt(20)
	scratch_store_dwordx4 off, v[44:47], off offset:176
	s_waitcnt vmcnt(20)
	scratch_store_dwordx4 off, v[48:51], off offset:192
	s_waitcnt vmcnt(20)
	scratch_store_dwordx4 off, v[52:55], off offset:208
	s_waitcnt vmcnt(20)
	scratch_store_dwordx4 off, v[56:59], off offset:224
	s_waitcnt vmcnt(20)
	scratch_store_dwordx4 off, v[60:63], off offset:240
	s_waitcnt vmcnt(20)
	scratch_store_dwordx4 off, v[64:67], off offset:256
	s_waitcnt vmcnt(20)
	scratch_store_dwordx4 off, v[68:71], off offset:272
	s_waitcnt vmcnt(20)
	scratch_store_dwordx4 off, v[72:75], off offset:288
	s_waitcnt vmcnt(20)
	scratch_store_dwordx4 off, v[76:79], off offset:304
	s_waitcnt vmcnt(20)
	scratch_store_dwordx4 off, v[80:83], off offset:320
	s_waitcnt vmcnt(20)
	scratch_store_dwordx4 off, v[84:87], off offset:336
	v_add_u32_e32 v2, s11, v88
	v_add_u32_e32 v10, s11, v2
	v_ashrrev_i32_e32 v11, 31, v10
	v_lshl_add_u64 v[6:7], v[10:11], 4, s[0:1]
	v_add_u32_e32 v10, s11, v10
	v_add_u32_e32 v18, s11, v10
	v_ashrrev_i32_e32 v19, 31, v18
	v_lshl_add_u64 v[14:15], v[18:19], 4, s[0:1]
	;; [unrolled: 4-line block ×5, first 2 shown]
	v_add_u32_e32 v44, s11, v44
	v_add_u32_e32 v52, s11, v44
	v_accvgpr_write_b32 a39, v1
	v_ashrrev_i32_e32 v3, 31, v2
	v_ashrrev_i32_e32 v53, 31, v52
	v_accvgpr_write_b32 a38, v0
	v_lshl_add_u64 v[0:1], v[2:3], 4, s[0:1]
	v_lshl_add_u64 v[48:49], v[52:53], 4, s[0:1]
	v_add_u32_e32 v52, s11, v52
	v_accvgpr_write_b32 a43, v1
	v_accvgpr_write_b32 a45, v7
	v_ashrrev_i32_e32 v11, 31, v10
	v_add_u32_e32 v60, s11, v52
	v_accvgpr_write_b32 a42, v0
	global_load_dwordx4 v[2:5], v[0:1], off
	v_accvgpr_write_b32 a44, v6
	global_load_dwordx4 v[6:9], v[6:7], off
	v_lshl_add_u64 v[0:1], v[10:11], 4, s[0:1]
	v_ashrrev_i32_e32 v61, 31, v60
	v_accvgpr_write_b32 a47, v1
	v_accvgpr_write_b32 a49, v15
	v_ashrrev_i32_e32 v19, 31, v18
	v_lshl_add_u64 v[56:57], v[60:61], 4, s[0:1]
	v_add_u32_e32 v60, s11, v60
	v_accvgpr_write_b32 a46, v0
	global_load_dwordx4 v[10:13], v[0:1], off
	v_accvgpr_write_b32 a48, v14
	global_load_dwordx4 v[14:17], v[14:15], off
	v_lshl_add_u64 v[0:1], v[18:19], 4, s[0:1]
	v_add_u32_e32 v68, s11, v60
	v_accvgpr_write_b32 a51, v1
	v_accvgpr_write_b32 a53, v23
	v_ashrrev_i32_e32 v27, 31, v26
	v_ashrrev_i32_e32 v69, 31, v68
	v_accvgpr_write_b32 a50, v0
	global_load_dwordx4 v[18:21], v[0:1], off
	v_accvgpr_write_b32 a52, v22
	global_load_dwordx4 v[22:25], v[22:23], off
	v_lshl_add_u64 v[0:1], v[26:27], 4, s[0:1]
	v_lshl_add_u64 v[64:65], v[68:69], 4, s[0:1]
	v_add_u32_e32 v68, s11, v68
	v_accvgpr_write_b32 a55, v1
	v_accvgpr_write_b32 a57, v31
	v_ashrrev_i32_e32 v37, 31, v36
	v_add_u32_e32 v76, s11, v68
	v_accvgpr_write_b32 a54, v0
	global_load_dwordx4 v[26:29], v[0:1], off
	v_accvgpr_write_b32 a56, v30
	global_load_dwordx4 v[30:33], v[30:31], off
	v_lshl_add_u64 v[0:1], v[36:37], 4, s[0:1]
	v_ashrrev_i32_e32 v77, 31, v76
	v_accvgpr_write_b32 a59, v1
	v_accvgpr_write_b32 a61, v41
	v_ashrrev_i32_e32 v45, 31, v44
	v_lshl_add_u64 v[72:73], v[76:77], 4, s[0:1]
	v_add_u32_e32 v76, s11, v76
	v_accvgpr_write_b32 a58, v0
	global_load_dwordx4 v[36:39], v[0:1], off
	v_accvgpr_write_b32 a60, v40
	global_load_dwordx4 v[40:43], v[40:41], off
	v_lshl_add_u64 v[0:1], v[44:45], 4, s[0:1]
	v_add_u32_e32 v84, s11, v76
	v_accvgpr_write_b32 a63, v1
	v_accvgpr_write_b32 a65, v49
	v_ashrrev_i32_e32 v53, 31, v52
	v_ashrrev_i32_e32 v85, 31, v84
	v_accvgpr_write_b32 a62, v0
	global_load_dwordx4 v[44:47], v[0:1], off
	v_accvgpr_write_b32 a64, v48
	global_load_dwordx4 v[48:51], v[48:49], off
	v_lshl_add_u64 v[0:1], v[52:53], 4, s[0:1]
	v_lshl_add_u64 v[80:81], v[84:85], 4, s[0:1]
	v_add_u32_e32 v84, s11, v84
	v_accvgpr_write_b32 a67, v1
	v_accvgpr_write_b32 a69, v57
	v_ashrrev_i32_e32 v61, 31, v60
	v_add_u32_e32 v92, s11, v84
	v_accvgpr_write_b32 a66, v0
	global_load_dwordx4 v[52:55], v[0:1], off
	v_accvgpr_write_b32 a68, v56
	global_load_dwordx4 v[56:59], v[56:57], off
	v_lshl_add_u64 v[0:1], v[60:61], 4, s[0:1]
	v_ashrrev_i32_e32 v93, 31, v92
	v_accvgpr_write_b32 a71, v1
	v_accvgpr_write_b32 a73, v65
	v_ashrrev_i32_e32 v69, 31, v68
	v_lshl_add_u64 v[88:89], v[92:93], 4, s[0:1]
	v_add_u32_e32 v92, s11, v92
	v_accvgpr_write_b32 a70, v0
	global_load_dwordx4 v[60:63], v[0:1], off
	v_accvgpr_write_b32 a72, v64
	global_load_dwordx4 v[64:67], v[64:65], off
	v_lshl_add_u64 v[0:1], v[68:69], 4, s[0:1]
	v_add_u32_e32 v100, s11, v92
	v_accvgpr_write_b32 a75, v1
	v_accvgpr_write_b32 a77, v73
	v_ashrrev_i32_e32 v77, 31, v76
	v_ashrrev_i32_e32 v101, 31, v100
	v_accvgpr_write_b32 a74, v0
	global_load_dwordx4 v[68:71], v[0:1], off
	v_accvgpr_write_b32 a76, v72
	global_load_dwordx4 v[72:75], v[72:73], off
	v_lshl_add_u64 v[0:1], v[76:77], 4, s[0:1]
	v_lshl_add_u64 v[96:97], v[100:101], 4, s[0:1]
	v_add_u32_e32 v100, s11, v100
	v_accvgpr_write_b32 a79, v1
	v_accvgpr_write_b32 a80, v80
	v_ashrrev_i32_e32 v85, 31, v84
	v_add_u32_e32 v108, s11, v100
	v_accvgpr_write_b32 a78, v0
	global_load_dwordx4 v[76:79], v[0:1], off
	v_accvgpr_write_b32 a81, v81
	global_load_dwordx4 v[80:83], v[80:81], off
	v_lshl_add_u64 v[0:1], v[84:85], 4, s[0:1]
	v_ashrrev_i32_e32 v109, 31, v108
	v_accvgpr_write_b32 a83, v1
	v_accvgpr_write_b32 a84, v88
	v_ashrrev_i32_e32 v93, 31, v92
	v_lshl_add_u64 v[104:105], v[108:109], 4, s[0:1]
	v_add_u32_e32 v108, s11, v108
	v_accvgpr_write_b32 a82, v0
	global_load_dwordx4 v[84:87], v[0:1], off
	v_accvgpr_write_b32 a85, v89
	global_load_dwordx4 v[88:91], v[88:89], off
	v_lshl_add_u64 v[0:1], v[92:93], 4, s[0:1]
	v_add_u32_e32 v116, s11, v108
	v_accvgpr_write_b32 a87, v1
	v_accvgpr_write_b32 a88, v96
	v_ashrrev_i32_e32 v101, 31, v100
	v_ashrrev_i32_e32 v117, 31, v116
	v_accvgpr_write_b32 a86, v0
	global_load_dwordx4 v[92:95], v[0:1], off
	v_accvgpr_write_b32 a89, v97
	global_load_dwordx4 v[96:99], v[96:97], off
	v_lshl_add_u64 v[0:1], v[100:101], 4, s[0:1]
	v_lshl_add_u64 v[112:113], v[116:117], 4, s[0:1]
	v_add_u32_e32 v116, s11, v116
	v_accvgpr_write_b32 a91, v1
	v_accvgpr_write_b32 a92, v104
	v_ashrrev_i32_e32 v109, 31, v108
	v_add_u32_e32 v124, s11, v116
	v_accvgpr_write_b32 a90, v0
	global_load_dwordx4 v[100:103], v[0:1], off
	v_accvgpr_write_b32 a93, v105
	global_load_dwordx4 v[104:107], v[104:105], off
	v_lshl_add_u64 v[0:1], v[108:109], 4, s[0:1]
	v_ashrrev_i32_e32 v125, 31, v124
	v_accvgpr_write_b32 a95, v1
	v_accvgpr_write_b32 a96, v112
	v_ashrrev_i32_e32 v117, 31, v116
	v_lshl_add_u64 v[120:121], v[124:125], 4, s[0:1]
	v_add_u32_e32 v124, s11, v124
	v_accvgpr_write_b32 a94, v0
	global_load_dwordx4 v[108:111], v[0:1], off
	v_accvgpr_write_b32 a97, v113
	global_load_dwordx4 v[112:115], v[112:113], off
	v_lshl_add_u64 v[0:1], v[116:117], 4, s[0:1]
	v_add_u32_e32 v132, s11, v124
	v_accvgpr_write_b32 a99, v1
	v_accvgpr_write_b32 a100, v120
	v_ashrrev_i32_e32 v125, 31, v124
	v_ashrrev_i32_e32 v133, 31, v132
	v_accvgpr_write_b32 a98, v0
	global_load_dwordx4 v[116:119], v[0:1], off
	v_accvgpr_write_b32 a101, v121
	global_load_dwordx4 v[120:123], v[120:121], off
	v_lshl_add_u64 v[0:1], v[124:125], 4, s[0:1]
	v_lshl_add_u64 v[128:129], v[132:133], 4, s[0:1]
	v_add_u32_e32 v132, s11, v132
	v_accvgpr_write_b32 a103, v1
	v_accvgpr_write_b32 a104, v128
	v_ashrrev_i32_e32 v133, 31, v132
	v_accvgpr_write_b32 a102, v0
	global_load_dwordx4 v[124:127], v[0:1], off
	v_accvgpr_write_b32 a105, v129
	global_load_dwordx4 v[128:131], v[128:129], off
	v_lshl_add_u64 v[0:1], v[132:133], 4, s[0:1]
	v_add_u32_e32 v132, s11, v132
	v_ashrrev_i32_e32 v133, 31, v132
	v_lshl_add_u64 v[136:137], v[132:133], 4, s[0:1]
	s_movk_i32 s0, 0x50
	s_add_i32 s38, s0, 16
	s_movk_i32 s0, 0x60
	s_add_i32 s39, s0, 16
	;; [unrolled: 2-line block ×3, first 2 shown]
	s_movk_i32 s0, 0x80
	global_load_dwordx4 v[132:135], v[0:1], off
	v_accvgpr_write_b32 a108, v136
	s_add_i32 s41, s0, 16
	s_movk_i32 s0, 0x90
	v_accvgpr_write_b32 a109, v137
	global_load_dwordx4 v[136:139], v[136:137], off
	s_add_i32 s42, s0, 16
	s_movk_i32 s0, 0xa0
	s_add_i32 s43, s0, 16
	s_movk_i32 s0, 0xb0
	;; [unrolled: 2-line block ×45, first 2 shown]
	v_accvgpr_write_b32 a107, v1
	s_add_i32 s13, s0, 16
	v_accvgpr_write_b32 a106, v0
	s_mov_b32 s70, 32
	s_mov_b32 s69, 48
	;; [unrolled: 1-line block ×3, first 2 shown]
	s_movk_i32 s37, 0x50
	s_bitcmp0_b32 s4, 0
	s_mov_b64 s[4:5], -1
	s_waitcnt vmcnt(33)
	scratch_store_dwordx4 off, v[2:5], off offset:352
	s_waitcnt vmcnt(33)
	scratch_store_dwordx4 off, v[6:9], off offset:368
	;; [unrolled: 2-line block ×34, first 2 shown]
	s_cbranch_scc1 .LBB54_232
; %bb.4:
	v_cmp_eq_u32_e64 s[0:1], 0, v250
	s_and_saveexec_b64 s[4:5], s[0:1]
; %bb.5:
	v_mov_b32_e32 v0, 0
	ds_write_b32 v0, v0 offset:1760
; %bb.6:
	s_or_b64 exec, exec, s[4:5]
	s_waitcnt lgkmcnt(0)
	; wave barrier
	scratch_load_dwordx4 v[2:5], v34, off offset:16
	s_waitcnt vmcnt(0)
	v_cmp_eq_f64_e32 vcc, 0, v[2:3]
	v_cmp_eq_f64_e64 s[4:5], 0, v[4:5]
	s_and_b64 s[4:5], vcc, s[4:5]
	s_and_saveexec_b64 s[8:9], s[4:5]
	s_cbranch_execz .LBB54_10
; %bb.7:
	v_mov_b32_e32 v1, 0
	ds_read_b32 v0, v1 offset:1760
	v_add_u32_e32 v2, 1, v250
	s_waitcnt lgkmcnt(0)
	v_readfirstlane_b32 s4, v0
	s_cmp_eq_u32 s4, 0
	s_cselect_b64 s[10:11], -1, 0
	v_cmp_gt_i32_e32 vcc, s4, v2
	s_or_b64 s[10:11], s[10:11], vcc
	s_and_b64 exec, exec, s[10:11]
	s_cbranch_execz .LBB54_10
; %bb.8:
	s_mov_b64 s[10:11], 0
	v_mov_b32_e32 v3, s4
.LBB54_9:                               ; =>This Inner Loop Header: Depth=1
	ds_cmpst_rtn_b32 v3, v1, v3, v2 offset:1760
	s_waitcnt lgkmcnt(0)
	v_cmp_ne_u32_e32 vcc, 0, v3
	v_cmp_le_i32_e64 s[4:5], v3, v2
	s_and_b64 s[4:5], vcc, s[4:5]
	s_and_b64 s[4:5], exec, s[4:5]
	s_or_b64 s[10:11], s[4:5], s[10:11]
	s_andn2_b64 exec, exec, s[10:11]
	s_cbranch_execnz .LBB54_9
.LBB54_10:
	s_or_b64 exec, exec, s[8:9]
	v_mov_b32_e32 v2, 0
	; wave barrier
	ds_read_b32 v1, v2 offset:1760
	s_and_saveexec_b64 s[4:5], s[0:1]
	s_cbranch_execz .LBB54_12
; %bb.11:
	s_lshl_b64 s[8:9], s[2:3], 2
	s_add_u32 s8, s6, s8
	s_addc_u32 s9, s7, s9
	s_waitcnt lgkmcnt(0)
	global_store_dword v2, v1, s[8:9]
.LBB54_12:
	s_or_b64 exec, exec, s[4:5]
	s_waitcnt lgkmcnt(0)
	v_cmp_ne_u32_e32 vcc, 0, v1
	s_mov_b64 s[4:5], 0
	s_cbranch_vccnz .LBB54_232
; %bb.13:
	v_add_u32_e32 v14, 16, v34
	scratch_load_dwordx4 v[2:5], v14, off
                                        ; implicit-def: $vgpr6_vgpr7
                                        ; implicit-def: $vgpr10_vgpr11
	s_waitcnt vmcnt(0)
	v_cmp_ngt_f64_e64 s[4:5], |v[2:3]|, |v[4:5]|
	s_and_saveexec_b64 s[8:9], s[4:5]
	s_xor_b64 s[4:5], exec, s[8:9]
	s_cbranch_execz .LBB54_15
; %bb.14:
	v_div_scale_f64 v[6:7], s[8:9], v[4:5], v[4:5], v[2:3]
	v_rcp_f64_e32 v[8:9], v[6:7]
	v_div_scale_f64 v[10:11], vcc, v[2:3], v[4:5], v[2:3]
	v_fma_f64 v[12:13], -v[6:7], v[8:9], 1.0
	v_fmac_f64_e32 v[8:9], v[8:9], v[12:13]
	v_fma_f64 v[12:13], -v[6:7], v[8:9], 1.0
	v_fmac_f64_e32 v[8:9], v[8:9], v[12:13]
	v_mul_f64 v[12:13], v[10:11], v[8:9]
	v_fma_f64 v[6:7], -v[6:7], v[12:13], v[10:11]
	v_div_fmas_f64 v[6:7], v[6:7], v[8:9], v[12:13]
	v_div_fixup_f64 v[6:7], v[6:7], v[4:5], v[2:3]
	v_fmac_f64_e32 v[4:5], v[2:3], v[6:7]
	v_div_scale_f64 v[2:3], s[8:9], v[4:5], v[4:5], 1.0
	v_rcp_f64_e32 v[8:9], v[2:3]
	s_nop 0
	v_fma_f64 v[10:11], -v[2:3], v[8:9], 1.0
	v_fmac_f64_e32 v[8:9], v[8:9], v[10:11]
	v_fma_f64 v[10:11], -v[2:3], v[8:9], 1.0
	v_fmac_f64_e32 v[8:9], v[8:9], v[10:11]
	v_div_scale_f64 v[10:11], vcc, 1.0, v[4:5], 1.0
	v_mul_f64 v[12:13], v[10:11], v[8:9]
	v_fma_f64 v[2:3], -v[2:3], v[12:13], v[10:11]
	s_nop 1
	v_div_fmas_f64 v[2:3], v[2:3], v[8:9], v[12:13]
	v_div_fixup_f64 v[8:9], v[2:3], v[4:5], 1.0
	v_mul_f64 v[6:7], v[6:7], v[8:9]
	v_xor_b32_e32 v9, 0x80000000, v9
	v_xor_b32_e32 v11, 0x80000000, v7
	v_mov_b32_e32 v10, v6
                                        ; implicit-def: $vgpr2_vgpr3
.LBB54_15:
	s_andn2_saveexec_b64 s[4:5], s[4:5]
	s_cbranch_execz .LBB54_17
; %bb.16:
	v_div_scale_f64 v[6:7], s[8:9], v[2:3], v[2:3], v[4:5]
	v_rcp_f64_e32 v[8:9], v[6:7]
	v_div_scale_f64 v[10:11], vcc, v[4:5], v[2:3], v[4:5]
	v_fma_f64 v[12:13], -v[6:7], v[8:9], 1.0
	v_fmac_f64_e32 v[8:9], v[8:9], v[12:13]
	v_fma_f64 v[12:13], -v[6:7], v[8:9], 1.0
	v_fmac_f64_e32 v[8:9], v[8:9], v[12:13]
	v_mul_f64 v[12:13], v[10:11], v[8:9]
	v_fma_f64 v[6:7], -v[6:7], v[12:13], v[10:11]
	v_div_fmas_f64 v[6:7], v[6:7], v[8:9], v[12:13]
	v_div_fixup_f64 v[8:9], v[6:7], v[2:3], v[4:5]
	v_fmac_f64_e32 v[2:3], v[4:5], v[8:9]
	v_div_scale_f64 v[4:5], s[8:9], v[2:3], v[2:3], 1.0
	v_rcp_f64_e32 v[6:7], v[4:5]
	s_nop 0
	v_fma_f64 v[10:11], -v[4:5], v[6:7], 1.0
	v_fmac_f64_e32 v[6:7], v[6:7], v[10:11]
	v_fma_f64 v[10:11], -v[4:5], v[6:7], 1.0
	v_fmac_f64_e32 v[6:7], v[6:7], v[10:11]
	v_div_scale_f64 v[10:11], vcc, 1.0, v[2:3], 1.0
	v_mul_f64 v[12:13], v[10:11], v[6:7]
	v_fma_f64 v[4:5], -v[4:5], v[12:13], v[10:11]
	s_nop 1
	v_div_fmas_f64 v[4:5], v[4:5], v[6:7], v[12:13]
	v_div_fixup_f64 v[6:7], v[4:5], v[2:3], 1.0
	v_xor_b32_e32 v11, 0x80000000, v7
	v_mov_b32_e32 v10, v6
	v_mul_f64 v[8:9], v[8:9], -v[6:7]
.LBB54_17:
	s_or_b64 exec, exec, s[4:5]
	scratch_store_dwordx4 v14, v[6:9], off
	scratch_load_dwordx4 v[2:5], off, s70
	v_xor_b32_e32 v13, 0x80000000, v9
	v_mov_b32_e32 v12, v8
	v_add_u32_e32 v1, 0x370, v34
	ds_write_b128 v34, v[10:13]
	s_waitcnt vmcnt(0)
	ds_write_b128 v34, v[2:5] offset:880
	s_waitcnt lgkmcnt(0)
	; wave barrier
	s_and_saveexec_b64 s[4:5], s[0:1]
	s_cbranch_execz .LBB54_19
; %bb.18:
	scratch_load_dwordx4 v[6:9], v14, off
	ds_read_b128 v[2:5], v1
	v_mov_b32_e32 v0, 0
	s_waitcnt vmcnt(0) lgkmcnt(0)
	v_mul_f64 v[10:11], v[4:5], v[8:9]
	v_fma_f64 v[10:11], v[2:3], v[6:7], -v[10:11]
	v_mul_f64 v[2:3], v[2:3], v[8:9]
	v_fmac_f64_e32 v[2:3], v[4:5], v[6:7]
	v_add_f64 v[8:9], v[10:11], 0
	v_add_f64 v[10:11], v[2:3], 0
	ds_read_b128 v[2:5], v0 offset:16
	s_waitcnt lgkmcnt(0)
	v_mul_f64 v[6:7], v[10:11], v[4:5]
	v_fma_f64 v[6:7], v[8:9], v[2:3], -v[6:7]
	v_mul_f64 v[8:9], v[8:9], v[4:5]
	v_fmac_f64_e32 v[8:9], v[10:11], v[2:3]
	scratch_store_dwordx4 off, v[6:9], off offset:32
.LBB54_19:
	s_or_b64 exec, exec, s[4:5]
	; wave barrier
	scratch_load_dwordx4 v[2:5], off, s69
	v_cmp_gt_u32_e32 vcc, 2, v250
	s_waitcnt vmcnt(0)
	ds_write_b128 v1, v[2:5]
	s_waitcnt lgkmcnt(0)
	; wave barrier
	s_and_saveexec_b64 s[4:5], vcc
	s_cbranch_execz .LBB54_23
; %bb.20:
	scratch_load_dwordx4 v[2:5], v14, off
	ds_read_b128 v[6:9], v1
	s_waitcnt vmcnt(0) lgkmcnt(0)
	v_mul_f64 v[10:11], v[8:9], v[4:5]
	v_mul_f64 v[12:13], v[6:7], v[4:5]
	v_fma_f64 v[4:5], v[6:7], v[2:3], -v[10:11]
	v_fmac_f64_e32 v[12:13], v[8:9], v[2:3]
	v_add_f64 v[4:5], v[4:5], 0
	v_add_f64 v[2:3], v[12:13], 0
	s_and_saveexec_b64 s[8:9], s[0:1]
	s_cbranch_execz .LBB54_22
; %bb.21:
	scratch_load_dwordx4 v[10:13], off, off offset:32
	v_mov_b32_e32 v0, 0
	ds_read_b128 v[6:9], v0 offset:896
	s_waitcnt vmcnt(0) lgkmcnt(0)
	v_mul_f64 v[14:15], v[6:7], v[12:13]
	v_fmac_f64_e32 v[14:15], v[8:9], v[10:11]
	v_mul_f64 v[8:9], v[8:9], v[12:13]
	v_fma_f64 v[6:7], v[6:7], v[10:11], -v[8:9]
	v_add_f64 v[2:3], v[2:3], v[14:15]
	v_add_f64 v[4:5], v[4:5], v[6:7]
.LBB54_22:
	s_or_b64 exec, exec, s[8:9]
	v_mov_b32_e32 v0, 0
	ds_read_b128 v[6:9], v0 offset:32
	s_waitcnt lgkmcnt(0)
	v_mul_f64 v[12:13], v[2:3], v[8:9]
	v_mul_f64 v[10:11], v[4:5], v[8:9]
	v_fma_f64 v[8:9], v[4:5], v[6:7], -v[12:13]
	v_fmac_f64_e32 v[10:11], v[2:3], v[6:7]
	scratch_store_dwordx4 off, v[8:11], off offset:48
.LBB54_23:
	s_or_b64 exec, exec, s[4:5]
	; wave barrier
	scratch_load_dwordx4 v[2:5], off, s68
	v_cmp_gt_u32_e32 vcc, 3, v250
	v_add_u32_e32 v6, -1, v250
	s_waitcnt vmcnt(0)
	ds_write_b128 v1, v[2:5]
	s_waitcnt lgkmcnt(0)
	; wave barrier
	s_and_saveexec_b64 s[0:1], vcc
	s_cbranch_execz .LBB54_27
; %bb.24:
	v_add_u32_e32 v7, -1, v250
	v_add_u32_e32 v8, 0x370, v34
	v_add_u32_e32 v9, 16, v34
	v_mov_b64_e32 v[2:3], 0
	s_mov_b64 s[4:5], 0
	v_mov_b64_e32 v[4:5], 0
.LBB54_25:                              ; =>This Inner Loop Header: Depth=1
	scratch_load_dwordx4 v[10:13], v9, off
	ds_read_b128 v[14:17], v8
	v_add_u32_e32 v7, 1, v7
	v_cmp_lt_u32_e32 vcc, 1, v7
	v_add_u32_e32 v8, 16, v8
	v_add_u32_e32 v9, 16, v9
	s_or_b64 s[4:5], vcc, s[4:5]
	s_waitcnt vmcnt(0) lgkmcnt(0)
	v_mul_f64 v[18:19], v[16:17], v[12:13]
	v_mul_f64 v[12:13], v[14:15], v[12:13]
	v_fma_f64 v[14:15], v[14:15], v[10:11], -v[18:19]
	v_fmac_f64_e32 v[12:13], v[16:17], v[10:11]
	v_add_f64 v[4:5], v[4:5], v[14:15]
	v_add_f64 v[2:3], v[2:3], v[12:13]
	s_andn2_b64 exec, exec, s[4:5]
	s_cbranch_execnz .LBB54_25
; %bb.26:
	s_or_b64 exec, exec, s[4:5]
	v_mov_b32_e32 v0, 0
	ds_read_b128 v[8:11], v0 offset:48
	s_waitcnt lgkmcnt(0)
	v_mul_f64 v[14:15], v[2:3], v[10:11]
	v_mul_f64 v[12:13], v[4:5], v[10:11]
	v_fma_f64 v[10:11], v[4:5], v[8:9], -v[14:15]
	v_fmac_f64_e32 v[12:13], v[2:3], v[8:9]
	scratch_store_dwordx4 off, v[10:13], off offset:64
.LBB54_27:
	s_or_b64 exec, exec, s[0:1]
	; wave barrier
	scratch_load_dwordx4 v[2:5], off, s37
	v_cmp_gt_u32_e32 vcc, 4, v250
	s_waitcnt vmcnt(0)
	ds_write_b128 v1, v[2:5]
	s_waitcnt lgkmcnt(0)
	; wave barrier
	s_and_saveexec_b64 s[0:1], vcc
	s_cbranch_execz .LBB54_31
; %bb.28:
	v_add_u32_e32 v7, -1, v250
	v_add_u32_e32 v8, 0x370, v34
	v_add_u32_e32 v9, 16, v34
	v_mov_b64_e32 v[2:3], 0
	s_mov_b64 s[4:5], 0
	v_mov_b64_e32 v[4:5], 0
.LBB54_29:                              ; =>This Inner Loop Header: Depth=1
	scratch_load_dwordx4 v[10:13], v9, off
	ds_read_b128 v[14:17], v8
	v_add_u32_e32 v7, 1, v7
	v_cmp_lt_u32_e32 vcc, 2, v7
	v_add_u32_e32 v8, 16, v8
	v_add_u32_e32 v9, 16, v9
	s_or_b64 s[4:5], vcc, s[4:5]
	s_waitcnt vmcnt(0) lgkmcnt(0)
	v_mul_f64 v[18:19], v[16:17], v[12:13]
	v_mul_f64 v[12:13], v[14:15], v[12:13]
	v_fma_f64 v[14:15], v[14:15], v[10:11], -v[18:19]
	v_fmac_f64_e32 v[12:13], v[16:17], v[10:11]
	v_add_f64 v[4:5], v[4:5], v[14:15]
	v_add_f64 v[2:3], v[2:3], v[12:13]
	s_andn2_b64 exec, exec, s[4:5]
	s_cbranch_execnz .LBB54_29
; %bb.30:
	s_or_b64 exec, exec, s[4:5]
	v_mov_b32_e32 v0, 0
	ds_read_b128 v[8:11], v0 offset:64
	s_waitcnt lgkmcnt(0)
	v_mul_f64 v[14:15], v[2:3], v[10:11]
	v_mul_f64 v[12:13], v[4:5], v[10:11]
	v_fma_f64 v[10:11], v[4:5], v[8:9], -v[14:15]
	v_fmac_f64_e32 v[12:13], v[2:3], v[8:9]
	scratch_store_dwordx4 off, v[10:13], off offset:80
.LBB54_31:
	s_or_b64 exec, exec, s[0:1]
	; wave barrier
	scratch_load_dwordx4 v[2:5], off, s38
	v_cmp_gt_u32_e32 vcc, 5, v250
	;; [unrolled: 45-line block ×19, first 2 shown]
	s_waitcnt vmcnt(0)
	ds_write_b128 v1, v[2:5]
	s_waitcnt lgkmcnt(0)
	; wave barrier
	s_and_saveexec_b64 s[0:1], vcc
	s_cbranch_execz .LBB54_103
; %bb.100:
	v_add_u32_e32 v7, -1, v250
	v_add_u32_e32 v8, 0x370, v34
	v_add_u32_e32 v9, 16, v34
	v_mov_b64_e32 v[2:3], 0
	s_mov_b64 s[4:5], 0
	v_mov_b64_e32 v[4:5], 0
.LBB54_101:                             ; =>This Inner Loop Header: Depth=1
	scratch_load_dwordx4 v[10:13], v9, off
	ds_read_b128 v[14:17], v8
	v_add_u32_e32 v7, 1, v7
	v_cmp_lt_u32_e32 vcc, 20, v7
	v_add_u32_e32 v8, 16, v8
	v_add_u32_e32 v9, 16, v9
	s_or_b64 s[4:5], vcc, s[4:5]
	s_waitcnt vmcnt(0) lgkmcnt(0)
	v_mul_f64 v[18:19], v[16:17], v[12:13]
	v_mul_f64 v[12:13], v[14:15], v[12:13]
	v_fma_f64 v[14:15], v[14:15], v[10:11], -v[18:19]
	v_fmac_f64_e32 v[12:13], v[16:17], v[10:11]
	v_add_f64 v[4:5], v[4:5], v[14:15]
	v_add_f64 v[2:3], v[2:3], v[12:13]
	s_andn2_b64 exec, exec, s[4:5]
	s_cbranch_execnz .LBB54_101
; %bb.102:
	s_or_b64 exec, exec, s[4:5]
	v_mov_b32_e32 v0, 0
	ds_read_b128 v[8:11], v0 offset:352
	s_waitcnt lgkmcnt(0)
	v_mul_f64 v[14:15], v[2:3], v[10:11]
	v_mul_f64 v[12:13], v[4:5], v[10:11]
	v_fma_f64 v[10:11], v[4:5], v[8:9], -v[14:15]
	v_fmac_f64_e32 v[12:13], v[2:3], v[8:9]
	scratch_store_dwordx4 off, v[10:13], off offset:368
.LBB54_103:
	s_or_b64 exec, exec, s[0:1]
	; wave barrier
	scratch_load_dwordx4 v[2:5], off, s56
	v_cmp_gt_u32_e32 vcc, 23, v250
	s_waitcnt vmcnt(0)
	ds_write_b128 v1, v[2:5]
	s_waitcnt lgkmcnt(0)
	; wave barrier
	s_and_saveexec_b64 s[0:1], vcc
	s_cbranch_execz .LBB54_107
; %bb.104:
	v_add_u32_e32 v7, -1, v250
	v_add_u32_e32 v8, 0x370, v34
	v_add_u32_e32 v9, 16, v34
	v_mov_b64_e32 v[2:3], 0
	s_mov_b64 s[4:5], 0
	v_mov_b64_e32 v[4:5], 0
.LBB54_105:                             ; =>This Inner Loop Header: Depth=1
	scratch_load_dwordx4 v[10:13], v9, off
	ds_read_b128 v[14:17], v8
	v_add_u32_e32 v7, 1, v7
	v_cmp_lt_u32_e32 vcc, 21, v7
	v_add_u32_e32 v8, 16, v8
	v_add_u32_e32 v9, 16, v9
	s_or_b64 s[4:5], vcc, s[4:5]
	s_waitcnt vmcnt(0) lgkmcnt(0)
	v_mul_f64 v[18:19], v[16:17], v[12:13]
	v_mul_f64 v[12:13], v[14:15], v[12:13]
	v_fma_f64 v[14:15], v[14:15], v[10:11], -v[18:19]
	v_fmac_f64_e32 v[12:13], v[16:17], v[10:11]
	v_add_f64 v[4:5], v[4:5], v[14:15]
	v_add_f64 v[2:3], v[2:3], v[12:13]
	s_andn2_b64 exec, exec, s[4:5]
	s_cbranch_execnz .LBB54_105
; %bb.106:
	s_or_b64 exec, exec, s[4:5]
	v_mov_b32_e32 v0, 0
	ds_read_b128 v[8:11], v0 offset:368
	s_waitcnt lgkmcnt(0)
	v_mul_f64 v[14:15], v[2:3], v[10:11]
	v_mul_f64 v[12:13], v[4:5], v[10:11]
	v_fma_f64 v[10:11], v[4:5], v[8:9], -v[14:15]
	v_fmac_f64_e32 v[12:13], v[2:3], v[8:9]
	scratch_store_dwordx4 off, v[10:13], off offset:384
.LBB54_107:
	s_or_b64 exec, exec, s[0:1]
	; wave barrier
	scratch_load_dwordx4 v[2:5], off, s57
	v_cmp_gt_u32_e32 vcc, 24, v250
	;; [unrolled: 45-line block ×31, first 2 shown]
	s_waitcnt vmcnt(0)
	ds_write_b128 v1, v[2:5]
	s_waitcnt lgkmcnt(0)
	; wave barrier
	s_and_saveexec_b64 s[0:1], vcc
	s_cbranch_execz .LBB54_227
; %bb.224:
	v_add_u32_e32 v7, -1, v250
	v_add_u32_e32 v8, 0x370, v34
	v_add_u32_e32 v9, 16, v34
	v_mov_b64_e32 v[2:3], 0
	s_mov_b64 s[4:5], 0
	v_mov_b64_e32 v[4:5], 0
.LBB54_225:                             ; =>This Inner Loop Header: Depth=1
	scratch_load_dwordx4 v[10:13], v9, off
	ds_read_b128 v[14:17], v8
	v_add_u32_e32 v7, 1, v7
	v_cmp_lt_u32_e32 vcc, 51, v7
	v_add_u32_e32 v8, 16, v8
	v_add_u32_e32 v9, 16, v9
	s_or_b64 s[4:5], vcc, s[4:5]
	s_waitcnt vmcnt(0) lgkmcnt(0)
	v_mul_f64 v[18:19], v[16:17], v[12:13]
	v_mul_f64 v[12:13], v[14:15], v[12:13]
	v_fma_f64 v[14:15], v[14:15], v[10:11], -v[18:19]
	v_fmac_f64_e32 v[12:13], v[16:17], v[10:11]
	v_add_f64 v[4:5], v[4:5], v[14:15]
	v_add_f64 v[2:3], v[2:3], v[12:13]
	s_andn2_b64 exec, exec, s[4:5]
	s_cbranch_execnz .LBB54_225
; %bb.226:
	s_or_b64 exec, exec, s[4:5]
	v_mov_b32_e32 v0, 0
	ds_read_b128 v[8:11], v0 offset:848
	s_waitcnt lgkmcnt(0)
	v_mul_f64 v[14:15], v[2:3], v[10:11]
	v_mul_f64 v[12:13], v[4:5], v[10:11]
	v_fma_f64 v[10:11], v[4:5], v[8:9], -v[14:15]
	v_fmac_f64_e32 v[12:13], v[2:3], v[8:9]
	scratch_store_dwordx4 off, v[10:13], off offset:864
.LBB54_227:
	s_or_b64 exec, exec, s[0:1]
	; wave barrier
	scratch_load_dwordx4 v[2:5], off, s13
	v_cmp_ne_u32_e32 vcc, 54, v250
	s_waitcnt vmcnt(0)
	ds_write_b128 v1, v[2:5]
	s_waitcnt lgkmcnt(0)
	; wave barrier
	s_and_saveexec_b64 s[0:1], vcc
	s_cbranch_execz .LBB54_231
; %bb.228:
	v_add_u32_e32 v1, 0x370, v34
	v_add_u32_e32 v7, 16, v34
	v_mov_b64_e32 v[2:3], 0
	s_mov_b64 s[4:5], 0
	v_mov_b64_e32 v[4:5], 0
.LBB54_229:                             ; =>This Inner Loop Header: Depth=1
	scratch_load_dwordx4 v[8:11], v7, off
	ds_read_b128 v[12:15], v1
	v_add_u32_e32 v6, 1, v6
	v_cmp_lt_u32_e32 vcc, 52, v6
	v_add_u32_e32 v1, 16, v1
	v_add_u32_e32 v7, 16, v7
	s_or_b64 s[4:5], vcc, s[4:5]
	s_waitcnt vmcnt(0) lgkmcnt(0)
	v_mul_f64 v[16:17], v[14:15], v[10:11]
	v_mul_f64 v[10:11], v[12:13], v[10:11]
	v_fma_f64 v[12:13], v[12:13], v[8:9], -v[16:17]
	v_fmac_f64_e32 v[10:11], v[14:15], v[8:9]
	v_add_f64 v[4:5], v[4:5], v[12:13]
	v_add_f64 v[2:3], v[2:3], v[10:11]
	s_andn2_b64 exec, exec, s[4:5]
	s_cbranch_execnz .LBB54_229
; %bb.230:
	s_or_b64 exec, exec, s[4:5]
	v_mov_b32_e32 v0, 0
	ds_read_b128 v[6:9], v0 offset:864
	s_waitcnt lgkmcnt(0)
	v_mul_f64 v[12:13], v[2:3], v[8:9]
	v_mul_f64 v[10:11], v[4:5], v[8:9]
	v_fma_f64 v[8:9], v[4:5], v[6:7], -v[12:13]
	v_fmac_f64_e32 v[10:11], v[2:3], v[6:7]
	scratch_store_dwordx4 off, v[8:11], off offset:880
.LBB54_231:
	s_or_b64 exec, exec, s[0:1]
	s_mov_b64 s[4:5], -1
	; wave barrier
.LBB54_232:
	s_and_b64 vcc, exec, s[4:5]
	s_cbranch_vccz .LBB54_234
; %bb.233:
	s_lshl_b64 s[0:1], s[2:3], 2
	s_add_u32 s0, s6, s0
	s_addc_u32 s1, s7, s1
	v_mov_b32_e32 v0, 0
	global_load_dword v0, v0, s[0:1]
	s_waitcnt vmcnt(0)
	v_cmp_ne_u32_e32 vcc, 0, v0
	s_cbranch_vccz .LBB54_235
.LBB54_234:
	s_endpgm
.LBB54_235:
	v_mov_b32_e32 v0, 0x370
	v_lshl_add_u32 v0, v250, 4, v0
	v_accvgpr_write_b32 a111, v0
	v_cmp_eq_u32_e32 vcc, 54, v250
	s_and_saveexec_b64 s[0:1], vcc
	s_cbranch_execz .LBB54_237
; %bb.236:
	scratch_load_dwordx4 v[2:5], off, s12
	v_mov_b32_e32 v6, 0
	v_mov_b32_e32 v7, v6
	;; [unrolled: 1-line block ×4, first 2 shown]
	v_accvgpr_read_b32 v0, a111
	scratch_store_dwordx4 off, v[6:9], off offset:864
	s_waitcnt vmcnt(1)
	ds_write_b128 v0, v[2:5]
.LBB54_237:
	s_or_b64 exec, exec, s[0:1]
	s_waitcnt lgkmcnt(0)
	; wave barrier
	scratch_load_dwordx4 v[4:7], off, off offset:880
	scratch_load_dwordx4 v[8:11], off, off offset:864
	v_mov_b32_e32 v2, 0
	ds_read_b128 v[12:15], v2 offset:1744
	v_cmp_lt_u32_e32 vcc, 52, v250
	s_waitcnt vmcnt(1) lgkmcnt(0)
	v_mul_f64 v[16:17], v[12:13], v[6:7]
	v_mul_f64 v[6:7], v[14:15], v[6:7]
	v_fmac_f64_e32 v[16:17], v[14:15], v[4:5]
	v_fma_f64 v[4:5], v[12:13], v[4:5], -v[6:7]
	v_add_f64 v[6:7], v[16:17], 0
	v_add_f64 v[4:5], v[4:5], 0
	s_waitcnt vmcnt(0)
	v_add_f64 v[4:5], v[8:9], -v[4:5]
	v_add_f64 v[6:7], v[10:11], -v[6:7]
	scratch_store_dwordx4 off, v[4:7], off offset:864
	s_and_saveexec_b64 s[0:1], vcc
	s_cbranch_execz .LBB54_239
; %bb.238:
	scratch_load_dwordx4 v[6:9], off, s15
	v_mov_b32_e32 v3, v2
	v_mov_b32_e32 v4, v2
	;; [unrolled: 1-line block ×3, first 2 shown]
	v_accvgpr_read_b32 v0, a111
	scratch_store_dwordx4 off, v[2:5], off offset:848
	s_waitcnt vmcnt(1)
	ds_write_b128 v0, v[6:9]
.LBB54_239:
	s_or_b64 exec, exec, s[0:1]
	s_waitcnt lgkmcnt(0)
	; wave barrier
	scratch_load_dwordx4 v[4:7], off, off offset:864
	scratch_load_dwordx4 v[8:11], off, off offset:880
	;; [unrolled: 1-line block ×3, first 2 shown]
	ds_read_b128 v[16:19], v2 offset:1728
	ds_read_b128 v[20:23], v2 offset:1744
	v_cmp_lt_u32_e32 vcc, 51, v250
	s_waitcnt vmcnt(2) lgkmcnt(1)
	v_mul_f64 v[2:3], v[16:17], v[6:7]
	v_mul_f64 v[6:7], v[18:19], v[6:7]
	s_waitcnt vmcnt(1) lgkmcnt(0)
	v_mul_f64 v[24:25], v[20:21], v[10:11]
	v_mul_f64 v[10:11], v[22:23], v[10:11]
	v_fmac_f64_e32 v[2:3], v[18:19], v[4:5]
	v_fma_f64 v[4:5], v[16:17], v[4:5], -v[6:7]
	v_fmac_f64_e32 v[24:25], v[22:23], v[8:9]
	v_fma_f64 v[6:7], v[20:21], v[8:9], -v[10:11]
	v_add_f64 v[2:3], v[2:3], 0
	v_add_f64 v[4:5], v[4:5], 0
	;; [unrolled: 1-line block ×4, first 2 shown]
	s_waitcnt vmcnt(0)
	v_add_f64 v[2:3], v[12:13], -v[2:3]
	v_add_f64 v[4:5], v[14:15], -v[8:9]
	scratch_store_dwordx4 off, v[2:5], off offset:848
	s_and_saveexec_b64 s[0:1], vcc
	s_cbranch_execz .LBB54_241
; %bb.240:
	scratch_load_dwordx4 v[2:5], off, s14
	v_mov_b32_e32 v6, 0
	v_mov_b32_e32 v7, v6
	;; [unrolled: 1-line block ×4, first 2 shown]
	v_accvgpr_read_b32 v0, a111
	scratch_store_dwordx4 off, v[6:9], off offset:832
	s_waitcnt vmcnt(1)
	ds_write_b128 v0, v[2:5]
.LBB54_241:
	s_or_b64 exec, exec, s[0:1]
	s_waitcnt lgkmcnt(0)
	; wave barrier
	scratch_load_dwordx4 v[4:7], off, off offset:848
	scratch_load_dwordx4 v[8:11], off, off offset:864
	;; [unrolled: 1-line block ×4, first 2 shown]
	v_mov_b32_e32 v2, 0
	ds_read_b128 v[20:23], v2 offset:1712
	ds_read_b128 v[24:27], v2 offset:1728
	;; [unrolled: 1-line block ×3, first 2 shown]
	v_cmp_lt_u32_e32 vcc, 50, v250
	s_waitcnt vmcnt(3) lgkmcnt(2)
	v_mul_f64 v[32:33], v[20:21], v[6:7]
	v_mul_f64 v[6:7], v[22:23], v[6:7]
	s_waitcnt vmcnt(2) lgkmcnt(1)
	v_mul_f64 v[34:35], v[24:25], v[10:11]
	v_mul_f64 v[10:11], v[26:27], v[10:11]
	v_fmac_f64_e32 v[32:33], v[22:23], v[4:5]
	v_fma_f64 v[4:5], v[20:21], v[4:5], -v[6:7]
	s_waitcnt vmcnt(1) lgkmcnt(0)
	v_mul_f64 v[36:37], v[28:29], v[14:15]
	v_mul_f64 v[14:15], v[30:31], v[14:15]
	v_fmac_f64_e32 v[34:35], v[26:27], v[8:9]
	v_fma_f64 v[6:7], v[24:25], v[8:9], -v[10:11]
	v_add_f64 v[10:11], v[32:33], 0
	v_add_f64 v[4:5], v[4:5], 0
	v_fmac_f64_e32 v[36:37], v[30:31], v[12:13]
	v_fma_f64 v[8:9], v[28:29], v[12:13], -v[14:15]
	v_add_f64 v[10:11], v[10:11], v[34:35]
	v_add_f64 v[4:5], v[4:5], v[6:7]
	;; [unrolled: 1-line block ×4, first 2 shown]
	s_waitcnt vmcnt(0)
	v_add_f64 v[4:5], v[16:17], -v[4:5]
	v_add_f64 v[6:7], v[18:19], -v[6:7]
	scratch_store_dwordx4 off, v[4:7], off offset:832
	s_and_saveexec_b64 s[0:1], vcc
	s_cbranch_execz .LBB54_243
; %bb.242:
	scratch_load_dwordx4 v[6:9], off, s21
	v_mov_b32_e32 v3, v2
	v_mov_b32_e32 v4, v2
	;; [unrolled: 1-line block ×3, first 2 shown]
	v_accvgpr_read_b32 v0, a111
	scratch_store_dwordx4 off, v[2:5], off offset:816
	s_waitcnt vmcnt(1)
	ds_write_b128 v0, v[6:9]
.LBB54_243:
	s_or_b64 exec, exec, s[0:1]
	s_waitcnt lgkmcnt(0)
	; wave barrier
	scratch_load_dwordx4 v[4:7], off, off offset:832
	scratch_load_dwordx4 v[8:11], off, off offset:848
	;; [unrolled: 1-line block ×5, first 2 shown]
	ds_read_b128 v[24:27], v2 offset:1696
	ds_read_b128 v[28:31], v2 offset:1712
	;; [unrolled: 1-line block ×4, first 2 shown]
	v_cmp_lt_u32_e32 vcc, 49, v250
	s_waitcnt vmcnt(4) lgkmcnt(3)
	v_mul_f64 v[2:3], v[24:25], v[6:7]
	v_mul_f64 v[6:7], v[26:27], v[6:7]
	s_waitcnt vmcnt(3) lgkmcnt(2)
	v_mul_f64 v[40:41], v[28:29], v[10:11]
	v_mul_f64 v[10:11], v[30:31], v[10:11]
	v_fmac_f64_e32 v[2:3], v[26:27], v[4:5]
	v_fma_f64 v[4:5], v[24:25], v[4:5], -v[6:7]
	s_waitcnt vmcnt(2) lgkmcnt(1)
	v_mul_f64 v[42:43], v[32:33], v[14:15]
	v_mul_f64 v[14:15], v[34:35], v[14:15]
	v_fmac_f64_e32 v[40:41], v[30:31], v[8:9]
	v_fma_f64 v[6:7], v[28:29], v[8:9], -v[10:11]
	v_add_f64 v[2:3], v[2:3], 0
	v_add_f64 v[4:5], v[4:5], 0
	s_waitcnt vmcnt(1) lgkmcnt(0)
	v_mul_f64 v[44:45], v[36:37], v[18:19]
	v_mul_f64 v[18:19], v[38:39], v[18:19]
	v_fmac_f64_e32 v[42:43], v[34:35], v[12:13]
	v_fma_f64 v[8:9], v[32:33], v[12:13], -v[14:15]
	v_add_f64 v[2:3], v[2:3], v[40:41]
	v_add_f64 v[4:5], v[4:5], v[6:7]
	v_fmac_f64_e32 v[44:45], v[38:39], v[16:17]
	v_fma_f64 v[10:11], v[36:37], v[16:17], -v[18:19]
	v_add_f64 v[2:3], v[2:3], v[42:43]
	v_add_f64 v[4:5], v[4:5], v[8:9]
	;; [unrolled: 1-line block ×4, first 2 shown]
	s_waitcnt vmcnt(0)
	v_add_f64 v[2:3], v[20:21], -v[2:3]
	v_add_f64 v[4:5], v[22:23], -v[6:7]
	scratch_store_dwordx4 off, v[2:5], off offset:816
	s_and_saveexec_b64 s[0:1], vcc
	s_cbranch_execz .LBB54_245
; %bb.244:
	scratch_load_dwordx4 v[2:5], off, s20
	v_mov_b32_e32 v6, 0
	v_mov_b32_e32 v7, v6
	;; [unrolled: 1-line block ×4, first 2 shown]
	v_accvgpr_read_b32 v0, a111
	scratch_store_dwordx4 off, v[6:9], off offset:800
	s_waitcnt vmcnt(1)
	ds_write_b128 v0, v[2:5]
.LBB54_245:
	s_or_b64 exec, exec, s[0:1]
	v_mov_b32_e32 v2, 0
	s_waitcnt lgkmcnt(0)
	; wave barrier
	ds_read_b128 v[4:7], v2 offset:1680
	ds_read_b128 v[8:11], v2 offset:1696
	ds_read_b128 v[12:15], v2 offset:1712
	ds_read_b128 v[16:19], v2 offset:1728
	scratch_load_dwordx4 v[20:23], off, off offset:816
	scratch_load_dwordx4 v[40:43], off, off offset:880
	v_cmp_lt_u32_e32 vcc, 48, v250
	s_waitcnt vmcnt(1) lgkmcnt(3)
	v_mul_f64 v[24:25], v[4:5], v[22:23]
	v_fmac_f64_e32 v[24:25], v[6:7], v[20:21]
	v_add_f64 v[28:29], v[24:25], 0
	scratch_load_dwordx4 v[24:27], off, off offset:832
	v_mul_f64 v[6:7], v[6:7], v[22:23]
	v_fma_f64 v[4:5], v[4:5], v[20:21], -v[6:7]
	v_add_f64 v[4:5], v[4:5], 0
	s_waitcnt vmcnt(0) lgkmcnt(2)
	v_mul_f64 v[30:31], v[8:9], v[26:27]
	v_fmac_f64_e32 v[30:31], v[10:11], v[24:25]
	v_add_f64 v[32:33], v[28:29], v[30:31]
	scratch_load_dwordx4 v[28:31], off, off offset:848
	v_mul_f64 v[6:7], v[10:11], v[26:27]
	v_fma_f64 v[6:7], v[8:9], v[24:25], -v[6:7]
	v_add_f64 v[4:5], v[4:5], v[6:7]
	;; [unrolled: 8-line block ×3, first 2 shown]
	s_waitcnt vmcnt(0) lgkmcnt(0)
	v_mul_f64 v[38:39], v[16:17], v[34:35]
	v_fmac_f64_e32 v[38:39], v[18:19], v[32:33]
	v_add_f64 v[44:45], v[36:37], v[38:39]
	ds_read_b128 v[36:39], v2 offset:1744
	v_mul_f64 v[6:7], v[18:19], v[34:35]
	v_fma_f64 v[6:7], v[16:17], v[32:33], -v[6:7]
	v_add_f64 v[4:5], v[4:5], v[6:7]
	s_waitcnt lgkmcnt(0)
	v_mul_f64 v[6:7], v[38:39], v[42:43]
	v_fma_f64 v[6:7], v[36:37], v[40:41], -v[6:7]
	v_add_f64 v[8:9], v[4:5], v[6:7]
	scratch_load_dwordx4 v[4:7], off, off offset:800
	v_mul_f64 v[46:47], v[36:37], v[42:43]
	v_fmac_f64_e32 v[46:47], v[38:39], v[40:41]
	v_add_f64 v[44:45], v[44:45], v[46:47]
	s_waitcnt vmcnt(0)
	v_add_f64 v[4:5], v[4:5], -v[8:9]
	v_add_f64 v[6:7], v[6:7], -v[44:45]
	scratch_store_dwordx4 off, v[4:7], off offset:800
	s_and_saveexec_b64 s[0:1], vcc
	s_cbranch_execz .LBB54_247
; %bb.246:
	scratch_load_dwordx4 v[6:9], off, s23
	v_mov_b32_e32 v3, v2
	v_mov_b32_e32 v4, v2
	;; [unrolled: 1-line block ×3, first 2 shown]
	v_accvgpr_read_b32 v0, a111
	scratch_store_dwordx4 off, v[2:5], off offset:784
	s_waitcnt vmcnt(1)
	ds_write_b128 v0, v[6:9]
.LBB54_247:
	s_or_b64 exec, exec, s[0:1]
	s_waitcnt lgkmcnt(0)
	; wave barrier
	ds_read_b128 v[4:7], v2 offset:1664
	ds_read_b128 v[8:11], v2 offset:1680
	;; [unrolled: 1-line block ×4, first 2 shown]
	scratch_load_dwordx4 v[20:23], off, off offset:800
	scratch_load_dwordx4 v[40:43], off, off offset:864
	v_cmp_lt_u32_e32 vcc, 47, v250
	scratch_load_dwordx4 v[48:51], off, off offset:880
	s_waitcnt vmcnt(2) lgkmcnt(3)
	v_mul_f64 v[24:25], v[4:5], v[22:23]
	v_fmac_f64_e32 v[24:25], v[6:7], v[20:21]
	v_add_f64 v[28:29], v[24:25], 0
	scratch_load_dwordx4 v[24:27], off, off offset:816
	s_waitcnt vmcnt(0) lgkmcnt(2)
	v_mul_f64 v[30:31], v[8:9], v[26:27]
	v_fmac_f64_e32 v[30:31], v[10:11], v[24:25]
	v_add_f64 v[32:33], v[28:29], v[30:31]
	;; [unrolled: 5-line block ×4, first 2 shown]
	ds_read_b128 v[36:39], v2 offset:1728
	s_waitcnt lgkmcnt(0)
	v_mul_f64 v[46:47], v[36:37], v[42:43]
	v_fmac_f64_e32 v[46:47], v[38:39], v[40:41]
	v_add_f64 v[52:53], v[44:45], v[46:47]
	ds_read_b128 v[44:47], v2 offset:1744
	s_waitcnt lgkmcnt(0)
	v_mul_f64 v[2:3], v[44:45], v[50:51]
	v_fmac_f64_e32 v[2:3], v[46:47], v[48:49]
	v_add_f64 v[52:53], v[52:53], v[2:3]
	v_mul_f64 v[2:3], v[6:7], v[22:23]
	v_fma_f64 v[2:3], v[4:5], v[20:21], -v[2:3]
	v_mul_f64 v[4:5], v[10:11], v[26:27]
	v_add_f64 v[2:3], v[2:3], 0
	v_fma_f64 v[4:5], v[8:9], v[24:25], -v[4:5]
	v_add_f64 v[2:3], v[2:3], v[4:5]
	v_mul_f64 v[4:5], v[14:15], v[30:31]
	v_fma_f64 v[4:5], v[12:13], v[28:29], -v[4:5]
	v_add_f64 v[2:3], v[2:3], v[4:5]
	v_mul_f64 v[4:5], v[18:19], v[34:35]
	;; [unrolled: 3-line block ×4, first 2 shown]
	v_fma_f64 v[4:5], v[44:45], v[48:49], -v[4:5]
	v_add_f64 v[6:7], v[2:3], v[4:5]
	scratch_load_dwordx4 v[2:5], off, off offset:784
	s_waitcnt vmcnt(0)
	v_add_f64 v[2:3], v[2:3], -v[6:7]
	v_add_f64 v[4:5], v[4:5], -v[52:53]
	scratch_store_dwordx4 off, v[2:5], off offset:784
	s_and_saveexec_b64 s[0:1], vcc
	s_cbranch_execz .LBB54_249
; %bb.248:
	scratch_load_dwordx4 v[2:5], off, s22
	v_mov_b32_e32 v6, 0
	v_mov_b32_e32 v7, v6
	;; [unrolled: 1-line block ×4, first 2 shown]
	v_accvgpr_read_b32 v0, a111
	scratch_store_dwordx4 off, v[6:9], off offset:768
	s_waitcnt vmcnt(1)
	ds_write_b128 v0, v[2:5]
.LBB54_249:
	s_or_b64 exec, exec, s[0:1]
	s_waitcnt lgkmcnt(0)
	; wave barrier
	scratch_load_dwordx4 v[4:7], off, off offset:784
	scratch_load_dwordx4 v[8:11], off, off offset:800
	scratch_load_dwordx4 v[12:15], off, off offset:816
	scratch_load_dwordx4 v[16:19], off, off offset:832
	scratch_load_dwordx4 v[20:23], off, off offset:848
	scratch_load_dwordx4 v[24:27], off, off offset:864
	scratch_load_dwordx4 v[28:31], off, off offset:880
	scratch_load_dwordx4 v[32:35], off, off offset:768
	v_mov_b32_e32 v2, 0
	ds_read_b128 v[36:39], v2 offset:1648
	ds_read_b128 v[40:43], v2 offset:1664
	;; [unrolled: 1-line block ×7, first 2 shown]
	v_cmp_lt_u32_e32 vcc, 46, v250
	s_waitcnt vmcnt(7) lgkmcnt(6)
	v_mul_f64 v[64:65], v[36:37], v[6:7]
	v_mul_f64 v[6:7], v[38:39], v[6:7]
	s_waitcnt vmcnt(6) lgkmcnt(5)
	v_mul_f64 v[66:67], v[40:41], v[10:11]
	s_waitcnt vmcnt(4) lgkmcnt(3)
	v_mul_f64 v[70:71], v[48:49], v[18:19]
	v_mul_f64 v[10:11], v[42:43], v[10:11]
	;; [unrolled: 1-line block ×3, first 2 shown]
	v_fmac_f64_e32 v[64:65], v[38:39], v[4:5]
	v_fma_f64 v[4:5], v[36:37], v[4:5], -v[6:7]
	v_mul_f64 v[68:69], v[44:45], v[14:15]
	v_mul_f64 v[14:15], v[46:47], v[14:15]
	v_fmac_f64_e32 v[66:67], v[42:43], v[8:9]
	v_fma_f64 v[6:7], v[40:41], v[8:9], -v[10:11]
	v_fma_f64 v[10:11], v[48:49], v[16:17], -v[18:19]
	v_add_f64 v[18:19], v[64:65], 0
	v_add_f64 v[4:5], v[4:5], 0
	v_fmac_f64_e32 v[68:69], v[46:47], v[12:13]
	v_fma_f64 v[8:9], v[44:45], v[12:13], -v[14:15]
	v_add_f64 v[18:19], v[18:19], v[66:67]
	v_add_f64 v[4:5], v[4:5], v[6:7]
	s_waitcnt vmcnt(3) lgkmcnt(2)
	v_mul_f64 v[72:73], v[52:53], v[22:23]
	v_mul_f64 v[22:23], v[54:55], v[22:23]
	v_fmac_f64_e32 v[70:71], v[50:51], v[16:17]
	v_add_f64 v[6:7], v[18:19], v[68:69]
	v_add_f64 v[4:5], v[4:5], v[8:9]
	s_waitcnt vmcnt(2) lgkmcnt(1)
	v_mul_f64 v[74:75], v[56:57], v[26:27]
	v_mul_f64 v[26:27], v[58:59], v[26:27]
	v_fmac_f64_e32 v[72:73], v[54:55], v[20:21]
	v_fma_f64 v[12:13], v[52:53], v[20:21], -v[22:23]
	v_add_f64 v[6:7], v[6:7], v[70:71]
	v_add_f64 v[4:5], v[4:5], v[10:11]
	s_waitcnt vmcnt(1) lgkmcnt(0)
	v_mul_f64 v[76:77], v[60:61], v[30:31]
	v_mul_f64 v[30:31], v[62:63], v[30:31]
	v_fmac_f64_e32 v[74:75], v[58:59], v[24:25]
	v_fma_f64 v[14:15], v[56:57], v[24:25], -v[26:27]
	v_add_f64 v[6:7], v[6:7], v[72:73]
	v_add_f64 v[4:5], v[4:5], v[12:13]
	v_fmac_f64_e32 v[76:77], v[62:63], v[28:29]
	v_fma_f64 v[16:17], v[60:61], v[28:29], -v[30:31]
	v_add_f64 v[6:7], v[6:7], v[74:75]
	v_add_f64 v[4:5], v[4:5], v[14:15]
	;; [unrolled: 1-line block ×4, first 2 shown]
	s_waitcnt vmcnt(0)
	v_add_f64 v[4:5], v[32:33], -v[4:5]
	v_add_f64 v[6:7], v[34:35], -v[6:7]
	scratch_store_dwordx4 off, v[4:7], off offset:768
	s_and_saveexec_b64 s[0:1], vcc
	s_cbranch_execz .LBB54_251
; %bb.250:
	scratch_load_dwordx4 v[6:9], off, s25
	v_mov_b32_e32 v3, v2
	v_mov_b32_e32 v4, v2
	;; [unrolled: 1-line block ×3, first 2 shown]
	v_accvgpr_read_b32 v0, a111
	scratch_store_dwordx4 off, v[2:5], off offset:752
	s_waitcnt vmcnt(1)
	ds_write_b128 v0, v[6:9]
.LBB54_251:
	s_or_b64 exec, exec, s[0:1]
	s_waitcnt lgkmcnt(0)
	; wave barrier
	scratch_load_dwordx4 v[4:7], off, off offset:768
	scratch_load_dwordx4 v[8:11], off, off offset:784
	;; [unrolled: 1-line block ×9, first 2 shown]
	ds_read_b128 v[40:43], v2 offset:1632
	ds_read_b128 v[44:47], v2 offset:1648
	;; [unrolled: 1-line block ×8, first 2 shown]
	v_cmp_lt_u32_e32 vcc, 45, v250
	s_waitcnt vmcnt(8) lgkmcnt(7)
	v_mul_f64 v[2:3], v[40:41], v[6:7]
	v_mul_f64 v[6:7], v[42:43], v[6:7]
	s_waitcnt vmcnt(7) lgkmcnt(6)
	v_mul_f64 v[72:73], v[44:45], v[10:11]
	v_mul_f64 v[10:11], v[46:47], v[10:11]
	v_fmac_f64_e32 v[2:3], v[42:43], v[4:5]
	v_fma_f64 v[4:5], v[40:41], v[4:5], -v[6:7]
	s_waitcnt vmcnt(6) lgkmcnt(5)
	v_mul_f64 v[74:75], v[48:49], v[14:15]
	v_mul_f64 v[14:15], v[50:51], v[14:15]
	v_fmac_f64_e32 v[72:73], v[46:47], v[8:9]
	v_fma_f64 v[6:7], v[44:45], v[8:9], -v[10:11]
	v_add_f64 v[2:3], v[2:3], 0
	v_add_f64 v[4:5], v[4:5], 0
	s_waitcnt vmcnt(5) lgkmcnt(4)
	v_mul_f64 v[76:77], v[52:53], v[18:19]
	v_mul_f64 v[18:19], v[54:55], v[18:19]
	v_fmac_f64_e32 v[74:75], v[50:51], v[12:13]
	v_fma_f64 v[8:9], v[48:49], v[12:13], -v[14:15]
	v_add_f64 v[2:3], v[2:3], v[72:73]
	v_add_f64 v[4:5], v[4:5], v[6:7]
	;; [unrolled: 7-line block ×6, first 2 shown]
	v_fmac_f64_e32 v[84:85], v[70:71], v[32:33]
	v_fma_f64 v[18:19], v[68:69], v[32:33], -v[34:35]
	v_add_f64 v[2:3], v[2:3], v[82:83]
	v_add_f64 v[4:5], v[4:5], v[16:17]
	;; [unrolled: 1-line block ×4, first 2 shown]
	s_waitcnt vmcnt(0)
	v_add_f64 v[2:3], v[36:37], -v[2:3]
	v_add_f64 v[4:5], v[38:39], -v[6:7]
	scratch_store_dwordx4 off, v[2:5], off offset:752
	s_and_saveexec_b64 s[0:1], vcc
	s_cbranch_execz .LBB54_253
; %bb.252:
	scratch_load_dwordx4 v[2:5], off, s24
	v_mov_b32_e32 v6, 0
	v_mov_b32_e32 v7, v6
	;; [unrolled: 1-line block ×4, first 2 shown]
	v_accvgpr_read_b32 v0, a111
	scratch_store_dwordx4 off, v[6:9], off offset:736
	s_waitcnt vmcnt(1)
	ds_write_b128 v0, v[2:5]
.LBB54_253:
	s_or_b64 exec, exec, s[0:1]
	s_waitcnt lgkmcnt(0)
	; wave barrier
	scratch_load_dwordx4 v[4:7], off, off offset:752
	scratch_load_dwordx4 v[8:11], off, off offset:768
	;; [unrolled: 1-line block ×10, first 2 shown]
	v_mov_b32_e32 v2, 0
	ds_read_b128 v[44:47], v2 offset:1616
	ds_read_b128 v[48:51], v2 offset:1632
	;; [unrolled: 1-line block ×9, first 2 shown]
	v_cmp_lt_u32_e32 vcc, 44, v250
	s_waitcnt vmcnt(9) lgkmcnt(8)
	v_mul_f64 v[80:81], v[44:45], v[6:7]
	v_mul_f64 v[6:7], v[46:47], v[6:7]
	s_waitcnt vmcnt(8) lgkmcnt(7)
	v_mul_f64 v[82:83], v[48:49], v[10:11]
	s_waitcnt vmcnt(7) lgkmcnt(6)
	;; [unrolled: 2-line block ×3, first 2 shown]
	v_mul_f64 v[88:89], v[60:61], v[22:23]
	v_mul_f64 v[10:11], v[50:51], v[10:11]
	;; [unrolled: 1-line block ×4, first 2 shown]
	v_fmac_f64_e32 v[80:81], v[46:47], v[4:5]
	v_fma_f64 v[4:5], v[44:45], v[4:5], -v[6:7]
	v_fmac_f64_e32 v[82:83], v[50:51], v[8:9]
	v_fmac_f64_e32 v[84:85], v[54:55], v[12:13]
	v_fma_f64 v[6:7], v[48:49], v[8:9], -v[10:11]
	v_fma_f64 v[8:9], v[52:53], v[12:13], -v[14:15]
	;; [unrolled: 1-line block ×3, first 2 shown]
	v_add_f64 v[22:23], v[80:81], 0
	v_add_f64 v[4:5], v[4:5], 0
	v_mul_f64 v[86:87], v[56:57], v[18:19]
	v_mul_f64 v[18:19], v[58:59], v[18:19]
	v_add_f64 v[22:23], v[22:23], v[82:83]
	v_add_f64 v[4:5], v[4:5], v[6:7]
	v_fmac_f64_e32 v[86:87], v[58:59], v[16:17]
	v_fma_f64 v[10:11], v[56:57], v[16:17], -v[18:19]
	v_add_f64 v[6:7], v[22:23], v[84:85]
	v_add_f64 v[4:5], v[4:5], v[8:9]
	s_waitcnt vmcnt(4) lgkmcnt(3)
	v_mul_f64 v[90:91], v[64:65], v[26:27]
	v_mul_f64 v[26:27], v[66:67], v[26:27]
	v_fmac_f64_e32 v[88:89], v[62:63], v[20:21]
	v_add_f64 v[6:7], v[6:7], v[86:87]
	v_add_f64 v[4:5], v[4:5], v[10:11]
	s_waitcnt vmcnt(3) lgkmcnt(2)
	v_mul_f64 v[92:93], v[68:69], v[30:31]
	v_mul_f64 v[30:31], v[70:71], v[30:31]
	v_fmac_f64_e32 v[90:91], v[66:67], v[24:25]
	v_fma_f64 v[14:15], v[64:65], v[24:25], -v[26:27]
	v_add_f64 v[6:7], v[6:7], v[88:89]
	v_add_f64 v[4:5], v[4:5], v[12:13]
	s_waitcnt vmcnt(2) lgkmcnt(1)
	v_mul_f64 v[94:95], v[72:73], v[34:35]
	v_mul_f64 v[34:35], v[74:75], v[34:35]
	v_fmac_f64_e32 v[92:93], v[70:71], v[28:29]
	v_fma_f64 v[16:17], v[68:69], v[28:29], -v[30:31]
	;; [unrolled: 7-line block ×3, first 2 shown]
	v_add_f64 v[6:7], v[6:7], v[92:93]
	v_add_f64 v[4:5], v[4:5], v[16:17]
	v_fmac_f64_e32 v[96:97], v[78:79], v[36:37]
	v_fma_f64 v[20:21], v[76:77], v[36:37], -v[38:39]
	v_add_f64 v[6:7], v[6:7], v[94:95]
	v_add_f64 v[4:5], v[4:5], v[18:19]
	;; [unrolled: 1-line block ×4, first 2 shown]
	s_waitcnt vmcnt(0)
	v_add_f64 v[4:5], v[40:41], -v[4:5]
	v_add_f64 v[6:7], v[42:43], -v[6:7]
	scratch_store_dwordx4 off, v[4:7], off offset:736
	s_and_saveexec_b64 s[0:1], vcc
	s_cbranch_execz .LBB54_255
; %bb.254:
	scratch_load_dwordx4 v[6:9], off, s27
	v_mov_b32_e32 v3, v2
	v_mov_b32_e32 v4, v2
	;; [unrolled: 1-line block ×3, first 2 shown]
	v_accvgpr_read_b32 v0, a111
	scratch_store_dwordx4 off, v[2:5], off offset:720
	s_waitcnt vmcnt(1)
	ds_write_b128 v0, v[6:9]
.LBB54_255:
	s_or_b64 exec, exec, s[0:1]
	s_waitcnt lgkmcnt(0)
	; wave barrier
	scratch_load_dwordx4 v[4:7], off, off offset:736
	scratch_load_dwordx4 v[8:11], off, off offset:752
	;; [unrolled: 1-line block ×11, first 2 shown]
	ds_read_b128 v[48:51], v2 offset:1600
	ds_read_b128 v[52:55], v2 offset:1616
	;; [unrolled: 1-line block ×10, first 2 shown]
	v_cmp_lt_u32_e32 vcc, 43, v250
	s_waitcnt vmcnt(10) lgkmcnt(9)
	v_mul_f64 v[2:3], v[48:49], v[6:7]
	v_mul_f64 v[6:7], v[50:51], v[6:7]
	s_waitcnt vmcnt(9) lgkmcnt(8)
	v_mul_f64 v[88:89], v[52:53], v[10:11]
	v_mul_f64 v[10:11], v[54:55], v[10:11]
	v_fmac_f64_e32 v[2:3], v[50:51], v[4:5]
	v_fma_f64 v[4:5], v[48:49], v[4:5], -v[6:7]
	s_waitcnt vmcnt(8) lgkmcnt(7)
	v_mul_f64 v[90:91], v[56:57], v[14:15]
	v_mul_f64 v[14:15], v[58:59], v[14:15]
	v_fmac_f64_e32 v[88:89], v[54:55], v[8:9]
	v_fma_f64 v[6:7], v[52:53], v[8:9], -v[10:11]
	v_add_f64 v[2:3], v[2:3], 0
	v_add_f64 v[4:5], v[4:5], 0
	s_waitcnt vmcnt(7) lgkmcnt(6)
	v_mul_f64 v[92:93], v[60:61], v[18:19]
	v_mul_f64 v[18:19], v[62:63], v[18:19]
	v_fmac_f64_e32 v[90:91], v[58:59], v[12:13]
	v_fma_f64 v[8:9], v[56:57], v[12:13], -v[14:15]
	v_add_f64 v[2:3], v[2:3], v[88:89]
	v_add_f64 v[4:5], v[4:5], v[6:7]
	s_waitcnt vmcnt(6) lgkmcnt(5)
	v_mul_f64 v[94:95], v[64:65], v[22:23]
	v_mul_f64 v[22:23], v[66:67], v[22:23]
	v_fmac_f64_e32 v[92:93], v[62:63], v[16:17]
	v_fma_f64 v[10:11], v[60:61], v[16:17], -v[18:19]
	v_add_f64 v[2:3], v[2:3], v[90:91]
	v_add_f64 v[4:5], v[4:5], v[8:9]
	s_waitcnt vmcnt(5) lgkmcnt(4)
	v_mul_f64 v[96:97], v[68:69], v[26:27]
	v_mul_f64 v[26:27], v[70:71], v[26:27]
	v_fmac_f64_e32 v[94:95], v[66:67], v[20:21]
	v_fma_f64 v[12:13], v[64:65], v[20:21], -v[22:23]
	v_add_f64 v[2:3], v[2:3], v[92:93]
	v_add_f64 v[4:5], v[4:5], v[10:11]
	s_waitcnt vmcnt(4) lgkmcnt(3)
	v_mul_f64 v[98:99], v[72:73], v[30:31]
	v_mul_f64 v[30:31], v[74:75], v[30:31]
	v_fmac_f64_e32 v[96:97], v[70:71], v[24:25]
	v_fma_f64 v[14:15], v[68:69], v[24:25], -v[26:27]
	v_add_f64 v[2:3], v[2:3], v[94:95]
	v_add_f64 v[4:5], v[4:5], v[12:13]
	s_waitcnt vmcnt(3) lgkmcnt(2)
	v_mul_f64 v[100:101], v[76:77], v[34:35]
	v_mul_f64 v[34:35], v[78:79], v[34:35]
	v_fmac_f64_e32 v[98:99], v[74:75], v[28:29]
	v_fma_f64 v[16:17], v[72:73], v[28:29], -v[30:31]
	v_add_f64 v[2:3], v[2:3], v[96:97]
	v_add_f64 v[4:5], v[4:5], v[14:15]
	s_waitcnt vmcnt(2) lgkmcnt(1)
	v_mul_f64 v[102:103], v[80:81], v[38:39]
	v_mul_f64 v[38:39], v[82:83], v[38:39]
	v_fmac_f64_e32 v[100:101], v[78:79], v[32:33]
	v_fma_f64 v[18:19], v[76:77], v[32:33], -v[34:35]
	v_add_f64 v[2:3], v[2:3], v[98:99]
	v_add_f64 v[4:5], v[4:5], v[16:17]
	s_waitcnt vmcnt(1) lgkmcnt(0)
	v_mul_f64 v[104:105], v[84:85], v[42:43]
	v_mul_f64 v[42:43], v[86:87], v[42:43]
	v_fmac_f64_e32 v[102:103], v[82:83], v[36:37]
	v_fma_f64 v[20:21], v[80:81], v[36:37], -v[38:39]
	v_add_f64 v[2:3], v[2:3], v[100:101]
	v_add_f64 v[4:5], v[4:5], v[18:19]
	v_fmac_f64_e32 v[104:105], v[86:87], v[40:41]
	v_fma_f64 v[22:23], v[84:85], v[40:41], -v[42:43]
	v_add_f64 v[2:3], v[2:3], v[102:103]
	v_add_f64 v[4:5], v[4:5], v[20:21]
	;; [unrolled: 1-line block ×4, first 2 shown]
	s_waitcnt vmcnt(0)
	v_add_f64 v[2:3], v[44:45], -v[2:3]
	v_add_f64 v[4:5], v[46:47], -v[6:7]
	scratch_store_dwordx4 off, v[2:5], off offset:720
	s_and_saveexec_b64 s[0:1], vcc
	s_cbranch_execz .LBB54_257
; %bb.256:
	scratch_load_dwordx4 v[2:5], off, s26
	v_mov_b32_e32 v6, 0
	v_mov_b32_e32 v7, v6
	v_mov_b32_e32 v8, v6
	v_mov_b32_e32 v9, v6
	v_accvgpr_read_b32 v0, a111
	scratch_store_dwordx4 off, v[6:9], off offset:704
	s_waitcnt vmcnt(1)
	ds_write_b128 v0, v[2:5]
.LBB54_257:
	s_or_b64 exec, exec, s[0:1]
	s_waitcnt lgkmcnt(0)
	; wave barrier
	scratch_load_dwordx4 v[4:7], off, off offset:720
	scratch_load_dwordx4 v[8:11], off, off offset:736
	;; [unrolled: 1-line block ×12, first 2 shown]
	v_mov_b32_e32 v2, 0
	ds_read_b128 v[52:55], v2 offset:1584
	ds_read_b128 v[56:59], v2 offset:1600
	;; [unrolled: 1-line block ×11, first 2 shown]
	v_cmp_lt_u32_e32 vcc, 42, v250
	s_waitcnt vmcnt(11) lgkmcnt(10)
	v_mul_f64 v[96:97], v[52:53], v[6:7]
	v_mul_f64 v[6:7], v[54:55], v[6:7]
	s_waitcnt vmcnt(10) lgkmcnt(9)
	v_mul_f64 v[98:99], v[56:57], v[10:11]
	s_waitcnt vmcnt(9) lgkmcnt(8)
	v_mul_f64 v[100:101], v[60:61], v[14:15]
	v_mul_f64 v[10:11], v[58:59], v[10:11]
	s_waitcnt vmcnt(6) lgkmcnt(5)
	v_mul_f64 v[106:107], v[72:73], v[26:27]
	v_mul_f64 v[14:15], v[62:63], v[14:15]
	;; [unrolled: 1-line block ×3, first 2 shown]
	v_fmac_f64_e32 v[96:97], v[54:55], v[4:5]
	v_fma_f64 v[4:5], v[52:53], v[4:5], -v[6:7]
	v_fmac_f64_e32 v[98:99], v[58:59], v[8:9]
	v_fma_f64 v[6:7], v[56:57], v[8:9], -v[10:11]
	v_fma_f64 v[8:9], v[60:61], v[12:13], -v[14:15]
	;; [unrolled: 1-line block ×3, first 2 shown]
	v_add_f64 v[26:27], v[96:97], 0
	v_add_f64 v[4:5], v[4:5], 0
	v_mul_f64 v[102:103], v[64:65], v[18:19]
	v_mul_f64 v[18:19], v[66:67], v[18:19]
	v_fmac_f64_e32 v[100:101], v[62:63], v[12:13]
	v_add_f64 v[26:27], v[26:27], v[98:99]
	v_add_f64 v[4:5], v[4:5], v[6:7]
	v_mul_f64 v[104:105], v[68:69], v[22:23]
	v_mul_f64 v[22:23], v[70:71], v[22:23]
	v_fmac_f64_e32 v[102:103], v[66:67], v[16:17]
	v_fma_f64 v[10:11], v[64:65], v[16:17], -v[18:19]
	v_add_f64 v[6:7], v[26:27], v[100:101]
	v_add_f64 v[4:5], v[4:5], v[8:9]
	v_fmac_f64_e32 v[104:105], v[70:71], v[20:21]
	v_fma_f64 v[12:13], v[68:69], v[20:21], -v[22:23]
	v_add_f64 v[6:7], v[6:7], v[102:103]
	v_add_f64 v[4:5], v[4:5], v[10:11]
	s_waitcnt vmcnt(5) lgkmcnt(4)
	v_mul_f64 v[108:109], v[76:77], v[30:31]
	v_mul_f64 v[30:31], v[78:79], v[30:31]
	v_fmac_f64_e32 v[106:107], v[74:75], v[24:25]
	v_add_f64 v[6:7], v[6:7], v[104:105]
	v_add_f64 v[4:5], v[4:5], v[12:13]
	s_waitcnt vmcnt(4) lgkmcnt(3)
	v_mul_f64 v[110:111], v[80:81], v[34:35]
	v_mul_f64 v[34:35], v[82:83], v[34:35]
	v_fmac_f64_e32 v[108:109], v[78:79], v[28:29]
	v_fma_f64 v[16:17], v[76:77], v[28:29], -v[30:31]
	v_add_f64 v[6:7], v[6:7], v[106:107]
	v_add_f64 v[4:5], v[4:5], v[14:15]
	s_waitcnt vmcnt(3) lgkmcnt(2)
	v_mul_f64 v[112:113], v[84:85], v[38:39]
	v_mul_f64 v[38:39], v[86:87], v[38:39]
	v_fmac_f64_e32 v[110:111], v[82:83], v[32:33]
	v_fma_f64 v[18:19], v[80:81], v[32:33], -v[34:35]
	;; [unrolled: 7-line block ×4, first 2 shown]
	v_add_f64 v[6:7], v[6:7], v[112:113]
	v_add_f64 v[4:5], v[4:5], v[20:21]
	v_fmac_f64_e32 v[116:117], v[94:95], v[44:45]
	v_fma_f64 v[24:25], v[92:93], v[44:45], -v[46:47]
	v_add_f64 v[6:7], v[6:7], v[114:115]
	v_add_f64 v[4:5], v[4:5], v[22:23]
	;; [unrolled: 1-line block ×4, first 2 shown]
	s_waitcnt vmcnt(0)
	v_add_f64 v[4:5], v[48:49], -v[4:5]
	v_add_f64 v[6:7], v[50:51], -v[6:7]
	scratch_store_dwordx4 off, v[4:7], off offset:704
	s_and_saveexec_b64 s[0:1], vcc
	s_cbranch_execz .LBB54_259
; %bb.258:
	scratch_load_dwordx4 v[6:9], off, s29
	v_mov_b32_e32 v3, v2
	v_mov_b32_e32 v4, v2
	;; [unrolled: 1-line block ×3, first 2 shown]
	v_accvgpr_read_b32 v0, a111
	scratch_store_dwordx4 off, v[2:5], off offset:688
	s_waitcnt vmcnt(1)
	ds_write_b128 v0, v[6:9]
.LBB54_259:
	s_or_b64 exec, exec, s[0:1]
	s_waitcnt lgkmcnt(0)
	; wave barrier
	scratch_load_dwordx4 v[4:7], off, off offset:704
	scratch_load_dwordx4 v[8:11], off, off offset:720
	;; [unrolled: 1-line block ×12, first 2 shown]
	ds_read_b128 v[52:55], v2 offset:1568
	ds_read_b128 v[56:59], v2 offset:1584
	;; [unrolled: 1-line block ×4, first 2 shown]
	scratch_load_dwordx4 v[68:71], off, off offset:688
	ds_read_b128 v[72:75], v2 offset:1632
	ds_read_b128 v[76:79], v2 offset:1648
	;; [unrolled: 1-line block ×8, first 2 shown]
	v_cmp_lt_u32_e32 vcc, 41, v250
	s_waitcnt vmcnt(12) lgkmcnt(11)
	v_mul_f64 v[2:3], v[52:53], v[6:7]
	s_waitcnt vmcnt(11) lgkmcnt(10)
	v_mul_f64 v[104:105], v[56:57], v[10:11]
	v_fmac_f64_e32 v[2:3], v[54:55], v[4:5]
	s_waitcnt vmcnt(10) lgkmcnt(9)
	v_mul_f64 v[106:107], v[60:61], v[14:15]
	v_mul_f64 v[6:7], v[54:55], v[6:7]
	v_fmac_f64_e32 v[104:105], v[58:59], v[8:9]
	v_add_f64 v[2:3], v[2:3], 0
	s_waitcnt vmcnt(9) lgkmcnt(8)
	v_mul_f64 v[108:109], v[64:65], v[18:19]
	v_mul_f64 v[10:11], v[58:59], v[10:11]
	v_fmac_f64_e32 v[106:107], v[62:63], v[12:13]
	v_fma_f64 v[4:5], v[52:53], v[4:5], -v[6:7]
	v_add_f64 v[2:3], v[2:3], v[104:105]
	s_waitcnt vmcnt(8) lgkmcnt(7)
	v_mul_f64 v[110:111], v[72:73], v[22:23]
	v_mul_f64 v[14:15], v[62:63], v[14:15]
	v_fmac_f64_e32 v[108:109], v[66:67], v[16:17]
	v_fma_f64 v[6:7], v[56:57], v[8:9], -v[10:11]
	v_add_f64 v[4:5], v[4:5], 0
	v_add_f64 v[2:3], v[2:3], v[106:107]
	s_waitcnt vmcnt(7) lgkmcnt(6)
	v_mul_f64 v[112:113], v[76:77], v[26:27]
	v_mul_f64 v[18:19], v[66:67], v[18:19]
	v_fmac_f64_e32 v[110:111], v[74:75], v[20:21]
	v_fma_f64 v[8:9], v[60:61], v[12:13], -v[14:15]
	v_add_f64 v[4:5], v[4:5], v[6:7]
	;; [unrolled: 7-line block ×8, first 2 shown]
	v_add_f64 v[2:3], v[2:3], v[120:121]
	v_mul_f64 v[46:47], v[98:99], v[46:47]
	v_fmac_f64_e32 v[124:125], v[102:103], v[48:49]
	v_fma_f64 v[22:23], v[92:93], v[40:41], -v[42:43]
	v_add_f64 v[4:5], v[4:5], v[20:21]
	v_add_f64 v[2:3], v[2:3], v[122:123]
	;; [unrolled: 1-line block ×4, first 2 shown]
	v_fma_f64 v[2:3], v[96:97], v[44:45], -v[46:47]
	v_add_f64 v[2:3], v[4:5], v[2:3]
	v_mul_f64 v[4:5], v[102:103], v[50:51]
	v_fma_f64 v[4:5], v[100:101], v[48:49], -v[4:5]
	v_add_f64 v[2:3], v[2:3], v[4:5]
	s_waitcnt vmcnt(0)
	v_add_f64 v[2:3], v[68:69], -v[2:3]
	v_add_f64 v[4:5], v[70:71], -v[6:7]
	scratch_store_dwordx4 off, v[2:5], off offset:688
	s_and_saveexec_b64 s[0:1], vcc
	s_cbranch_execz .LBB54_261
; %bb.260:
	scratch_load_dwordx4 v[2:5], off, s28
	v_mov_b32_e32 v6, 0
	v_mov_b32_e32 v7, v6
	;; [unrolled: 1-line block ×4, first 2 shown]
	v_accvgpr_read_b32 v0, a111
	scratch_store_dwordx4 off, v[6:9], off offset:672
	s_waitcnt vmcnt(1)
	ds_write_b128 v0, v[2:5]
.LBB54_261:
	s_or_b64 exec, exec, s[0:1]
	s_waitcnt lgkmcnt(0)
	; wave barrier
	scratch_load_dwordx4 v[4:7], off, off offset:688
	scratch_load_dwordx4 v[8:11], off, off offset:704
	scratch_load_dwordx4 v[12:15], off, off offset:720
	scratch_load_dwordx4 v[16:19], off, off offset:736
	scratch_load_dwordx4 v[20:23], off, off offset:752
	scratch_load_dwordx4 v[24:27], off, off offset:768
	scratch_load_dwordx4 v[28:31], off, off offset:784
	scratch_load_dwordx4 v[32:35], off, off offset:800
	scratch_load_dwordx4 v[36:39], off, off offset:816
	scratch_load_dwordx4 v[40:43], off, off offset:832
	scratch_load_dwordx4 v[44:47], off, off offset:848
	scratch_load_dwordx4 v[48:51], off, off offset:864
	scratch_load_dwordx4 v[52:55], off, off offset:880
	scratch_load_dwordx4 v[56:59], off, off offset:672
	v_mov_b32_e32 v2, 0
	ds_read_b128 v[60:63], v2 offset:1552
	ds_read_b128 v[64:67], v2 offset:1568
	;; [unrolled: 1-line block ×13, first 2 shown]
	v_cmp_lt_u32_e32 vcc, 40, v250
	s_waitcnt vmcnt(13) lgkmcnt(12)
	v_mul_f64 v[112:113], v[60:61], v[6:7]
	v_mul_f64 v[6:7], v[62:63], v[6:7]
	s_waitcnt vmcnt(12) lgkmcnt(11)
	v_mul_f64 v[114:115], v[64:65], v[10:11]
	v_mul_f64 v[10:11], v[66:67], v[10:11]
	v_fmac_f64_e32 v[112:113], v[62:63], v[4:5]
	v_fma_f64 v[4:5], v[60:61], v[4:5], -v[6:7]
	s_waitcnt vmcnt(11) lgkmcnt(10)
	v_mul_f64 v[116:117], v[68:69], v[14:15]
	v_mul_f64 v[14:15], v[70:71], v[14:15]
	v_fma_f64 v[6:7], v[64:65], v[8:9], -v[10:11]
	v_add_f64 v[4:5], v[4:5], 0
	s_waitcnt vmcnt(10) lgkmcnt(9)
	v_mul_f64 v[118:119], v[72:73], v[18:19]
	v_mul_f64 v[18:19], v[74:75], v[18:19]
	v_fmac_f64_e32 v[114:115], v[66:67], v[8:9]
	v_fma_f64 v[8:9], v[68:69], v[12:13], -v[14:15]
	v_add_f64 v[4:5], v[4:5], v[6:7]
	s_waitcnt vmcnt(9) lgkmcnt(8)
	v_mul_f64 v[120:121], v[76:77], v[22:23]
	v_mul_f64 v[22:23], v[78:79], v[22:23]
	v_fma_f64 v[10:11], v[72:73], v[16:17], -v[18:19]
	v_add_f64 v[4:5], v[4:5], v[8:9]
	s_waitcnt vmcnt(8) lgkmcnt(7)
	v_mul_f64 v[122:123], v[80:81], v[26:27]
	v_mul_f64 v[26:27], v[82:83], v[26:27]
	v_fmac_f64_e32 v[116:117], v[70:71], v[12:13]
	v_fma_f64 v[12:13], v[76:77], v[20:21], -v[22:23]
	v_add_f64 v[22:23], v[112:113], 0
	v_add_f64 v[4:5], v[4:5], v[10:11]
	s_waitcnt vmcnt(7) lgkmcnt(6)
	v_mul_f64 v[124:125], v[84:85], v[30:31]
	v_mul_f64 v[30:31], v[86:87], v[30:31]
	v_fma_f64 v[14:15], v[80:81], v[24:25], -v[26:27]
	v_add_f64 v[22:23], v[22:23], v[114:115]
	v_add_f64 v[4:5], v[4:5], v[12:13]
	s_waitcnt vmcnt(6) lgkmcnt(5)
	v_mul_f64 v[126:127], v[88:89], v[34:35]
	v_mul_f64 v[34:35], v[90:91], v[34:35]
	v_fmac_f64_e32 v[118:119], v[74:75], v[16:17]
	v_fma_f64 v[16:17], v[84:85], v[28:29], -v[30:31]
	v_add_f64 v[6:7], v[22:23], v[116:117]
	v_add_f64 v[4:5], v[4:5], v[14:15]
	s_waitcnt vmcnt(5) lgkmcnt(4)
	v_mul_f64 v[128:129], v[92:93], v[38:39]
	v_mul_f64 v[38:39], v[94:95], v[38:39]
	v_fmac_f64_e32 v[120:121], v[78:79], v[20:21]
	v_fma_f64 v[18:19], v[88:89], v[32:33], -v[34:35]
	v_add_f64 v[6:7], v[6:7], v[118:119]
	v_add_f64 v[4:5], v[4:5], v[16:17]
	v_fmac_f64_e32 v[122:123], v[82:83], v[24:25]
	v_fma_f64 v[20:21], v[92:93], v[36:37], -v[38:39]
	v_add_f64 v[6:7], v[6:7], v[120:121]
	v_add_f64 v[4:5], v[4:5], v[18:19]
	s_waitcnt vmcnt(4) lgkmcnt(3)
	v_mul_f64 v[8:9], v[98:99], v[42:43]
	v_fmac_f64_e32 v[124:125], v[86:87], v[28:29]
	v_add_f64 v[6:7], v[6:7], v[122:123]
	v_add_f64 v[4:5], v[4:5], v[20:21]
	v_fma_f64 v[8:9], v[96:97], v[40:41], -v[8:9]
	v_fmac_f64_e32 v[126:127], v[90:91], v[32:33]
	v_add_f64 v[6:7], v[6:7], v[124:125]
	v_add_f64 v[4:5], v[4:5], v[8:9]
	s_waitcnt vmcnt(3) lgkmcnt(2)
	v_mul_f64 v[8:9], v[102:103], v[46:47]
	v_mul_f64 v[130:131], v[96:97], v[42:43]
	v_fmac_f64_e32 v[128:129], v[94:95], v[36:37]
	v_add_f64 v[6:7], v[6:7], v[126:127]
	v_fma_f64 v[8:9], v[100:101], v[44:45], -v[8:9]
	v_mul_f64 v[132:133], v[100:101], v[46:47]
	v_fmac_f64_e32 v[130:131], v[98:99], v[40:41]
	v_add_f64 v[6:7], v[6:7], v[128:129]
	v_add_f64 v[4:5], v[4:5], v[8:9]
	s_waitcnt vmcnt(2) lgkmcnt(1)
	v_mul_f64 v[8:9], v[106:107], v[50:51]
	v_mul_f64 v[134:135], v[104:105], v[50:51]
	v_fmac_f64_e32 v[132:133], v[102:103], v[44:45]
	v_add_f64 v[6:7], v[6:7], v[130:131]
	v_fma_f64 v[8:9], v[104:105], v[48:49], -v[8:9]
	s_waitcnt vmcnt(1) lgkmcnt(0)
	v_mul_f64 v[136:137], v[108:109], v[54:55]
	v_fmac_f64_e32 v[134:135], v[106:107], v[48:49]
	v_add_f64 v[6:7], v[6:7], v[132:133]
	v_add_f64 v[4:5], v[4:5], v[8:9]
	v_mul_f64 v[8:9], v[110:111], v[54:55]
	v_fmac_f64_e32 v[136:137], v[110:111], v[52:53]
	v_add_f64 v[6:7], v[6:7], v[134:135]
	v_fma_f64 v[8:9], v[108:109], v[52:53], -v[8:9]
	v_add_f64 v[6:7], v[6:7], v[136:137]
	v_add_f64 v[4:5], v[4:5], v[8:9]
	s_waitcnt vmcnt(0)
	v_add_f64 v[4:5], v[56:57], -v[4:5]
	v_add_f64 v[6:7], v[58:59], -v[6:7]
	scratch_store_dwordx4 off, v[4:7], off offset:672
	s_and_saveexec_b64 s[0:1], vcc
	s_cbranch_execz .LBB54_263
; %bb.262:
	scratch_load_dwordx4 v[6:9], off, s31
	v_mov_b32_e32 v3, v2
	v_mov_b32_e32 v4, v2
	;; [unrolled: 1-line block ×3, first 2 shown]
	v_accvgpr_read_b32 v0, a111
	scratch_store_dwordx4 off, v[2:5], off offset:656
	s_waitcnt vmcnt(1)
	ds_write_b128 v0, v[6:9]
.LBB54_263:
	s_or_b64 exec, exec, s[0:1]
	s_waitcnt lgkmcnt(0)
	; wave barrier
	ds_read_b128 v[16:19], v2 offset:1536
	ds_read_b128 v[12:15], v2 offset:1552
	ds_read_b128 v[8:11], v2 offset:1568
	ds_read_b128 v[4:7], v2 offset:1584
	scratch_load_dwordx4 v[20:23], off, off offset:672
	scratch_load_dwordx4 v[42:45], off, off offset:736
	;; [unrolled: 1-line block ×8, first 2 shown]
	v_cmp_lt_u32_e32 vcc, 39, v250
	scratch_load_dwordx4 v[50:53], off, off offset:752
	scratch_load_dwordx4 v[58:61], off, off offset:768
	;; [unrolled: 1-line block ×3, first 2 shown]
	s_waitcnt vmcnt(10) lgkmcnt(3)
	v_mul_f64 v[24:25], v[16:17], v[22:23]
	v_fmac_f64_e32 v[24:25], v[18:19], v[20:21]
	v_add_f64 v[28:29], v[24:25], 0
	scratch_load_dwordx4 v[24:27], off, off offset:688
	s_waitcnt vmcnt(0) lgkmcnt(2)
	v_mul_f64 v[30:31], v[12:13], v[26:27]
	v_fmac_f64_e32 v[30:31], v[14:15], v[24:25]
	v_add_f64 v[32:33], v[28:29], v[30:31]
	scratch_load_dwordx4 v[28:31], off, off offset:704
	v_mul_f64 v[14:15], v[14:15], v[26:27]
	v_fma_f64 v[12:13], v[12:13], v[24:25], -v[14:15]
	s_waitcnt vmcnt(0) lgkmcnt(1)
	v_mul_f64 v[34:35], v[8:9], v[30:31]
	v_fmac_f64_e32 v[34:35], v[10:11], v[28:29]
	v_add_f64 v[36:37], v[32:33], v[34:35]
	scratch_load_dwordx4 v[32:35], off, off offset:720
	v_mul_f64 v[10:11], v[10:11], v[30:31]
	v_fma_f64 v[8:9], v[8:9], v[28:29], -v[10:11]
	s_waitcnt vmcnt(0) lgkmcnt(0)
	v_mul_f64 v[38:39], v[4:5], v[34:35]
	v_fmac_f64_e32 v[38:39], v[6:7], v[32:33]
	v_add_f64 v[40:41], v[36:37], v[38:39]
	ds_read_b128 v[36:39], v2 offset:1600
	v_mul_f64 v[6:7], v[6:7], v[34:35]
	v_fma_f64 v[4:5], v[4:5], v[32:33], -v[6:7]
	s_waitcnt lgkmcnt(0)
	v_mul_f64 v[46:47], v[36:37], v[44:45]
	v_fmac_f64_e32 v[46:47], v[38:39], v[42:43]
	v_add_f64 v[40:41], v[40:41], v[46:47]
	ds_read_b128 v[46:49], v2 offset:1616
	s_waitcnt lgkmcnt(0)
	v_mul_f64 v[54:55], v[46:47], v[52:53]
	v_fmac_f64_e32 v[54:55], v[48:49], v[50:51]
	v_add_f64 v[40:41], v[40:41], v[54:55]
	ds_read_b128 v[54:57], v2 offset:1632
	;; [unrolled: 5-line block ×9, first 2 shown]
	s_waitcnt lgkmcnt(0)
	v_mul_f64 v[2:3], v[110:111], v[116:117]
	v_fmac_f64_e32 v[2:3], v[112:113], v[114:115]
	v_add_f64 v[40:41], v[40:41], v[2:3]
	v_mul_f64 v[2:3], v[18:19], v[22:23]
	v_fma_f64 v[2:3], v[16:17], v[20:21], -v[2:3]
	v_add_f64 v[2:3], v[2:3], 0
	v_add_f64 v[2:3], v[2:3], v[12:13]
	;; [unrolled: 1-line block ×4, first 2 shown]
	v_mul_f64 v[4:5], v[38:39], v[44:45]
	v_fma_f64 v[4:5], v[36:37], v[42:43], -v[4:5]
	v_add_f64 v[2:3], v[2:3], v[4:5]
	v_mul_f64 v[4:5], v[48:49], v[52:53]
	v_fma_f64 v[4:5], v[46:47], v[50:51], -v[4:5]
	v_add_f64 v[2:3], v[2:3], v[4:5]
	;; [unrolled: 3-line block ×10, first 2 shown]
	scratch_load_dwordx4 v[2:5], off, off offset:656
	s_waitcnt vmcnt(0)
	v_add_f64 v[2:3], v[2:3], -v[6:7]
	v_add_f64 v[4:5], v[4:5], -v[40:41]
	scratch_store_dwordx4 off, v[2:5], off offset:656
	s_and_saveexec_b64 s[0:1], vcc
	s_cbranch_execz .LBB54_265
; %bb.264:
	scratch_load_dwordx4 v[2:5], off, s30
	v_mov_b32_e32 v6, 0
	v_mov_b32_e32 v7, v6
	;; [unrolled: 1-line block ×4, first 2 shown]
	v_accvgpr_read_b32 v0, a111
	scratch_store_dwordx4 off, v[6:9], off offset:640
	s_waitcnt vmcnt(1)
	ds_write_b128 v0, v[2:5]
.LBB54_265:
	s_or_b64 exec, exec, s[0:1]
	v_mov_b32_e32 v2, 0
	s_waitcnt lgkmcnt(0)
	; wave barrier
	ds_read_b128 v[16:19], v2 offset:1520
	ds_read_b128 v[12:15], v2 offset:1536
	;; [unrolled: 1-line block ×4, first 2 shown]
	scratch_load_dwordx4 v[20:23], off, off offset:656
	scratch_load_dwordx4 v[40:43], off, off offset:720
	;; [unrolled: 1-line block ×9, first 2 shown]
	v_cmp_lt_u32_e32 vcc, 38, v250
	scratch_load_dwordx4 v[50:53], off, off offset:736
	scratch_load_dwordx4 v[58:61], off, off offset:752
	;; [unrolled: 1-line block ×3, first 2 shown]
	s_waitcnt vmcnt(11) lgkmcnt(3)
	v_mul_f64 v[24:25], v[16:17], v[22:23]
	v_fmac_f64_e32 v[24:25], v[18:19], v[20:21]
	v_add_f64 v[28:29], v[24:25], 0
	scratch_load_dwordx4 v[24:27], off, off offset:672
	v_mul_f64 v[18:19], v[18:19], v[22:23]
	v_fma_f64 v[16:17], v[16:17], v[20:21], -v[18:19]
	v_add_f64 v[16:17], v[16:17], 0
	s_waitcnt vmcnt(0) lgkmcnt(2)
	v_mul_f64 v[30:31], v[12:13], v[26:27]
	v_fmac_f64_e32 v[30:31], v[14:15], v[24:25]
	v_add_f64 v[32:33], v[28:29], v[30:31]
	scratch_load_dwordx4 v[28:31], off, off offset:688
	v_mul_f64 v[14:15], v[14:15], v[26:27]
	v_fma_f64 v[12:13], v[12:13], v[24:25], -v[14:15]
	v_add_f64 v[12:13], v[16:17], v[12:13]
	;; [unrolled: 8-line block ×3, first 2 shown]
	s_waitcnt vmcnt(0) lgkmcnt(0)
	v_mul_f64 v[38:39], v[4:5], v[34:35]
	v_fmac_f64_e32 v[38:39], v[6:7], v[32:33]
	v_add_f64 v[44:45], v[36:37], v[38:39]
	ds_read_b128 v[36:39], v2 offset:1584
	v_mul_f64 v[6:7], v[6:7], v[34:35]
	v_fma_f64 v[4:5], v[4:5], v[32:33], -v[6:7]
	v_add_f64 v[4:5], v[8:9], v[4:5]
	s_waitcnt lgkmcnt(0)
	v_mul_f64 v[46:47], v[36:37], v[42:43]
	v_fmac_f64_e32 v[46:47], v[38:39], v[40:41]
	v_add_f64 v[48:49], v[44:45], v[46:47]
	ds_read_b128 v[44:47], v2 offset:1600
	v_mul_f64 v[6:7], v[38:39], v[42:43]
	v_fma_f64 v[6:7], v[36:37], v[40:41], -v[6:7]
	v_add_f64 v[4:5], v[4:5], v[6:7]
	s_waitcnt lgkmcnt(0)
	;; [unrolled: 8-line block ×11, first 2 shown]
	v_mul_f64 v[6:7], v[120:121], v[124:125]
	v_fma_f64 v[6:7], v[118:119], v[122:123], -v[6:7]
	v_add_f64 v[8:9], v[4:5], v[6:7]
	scratch_load_dwordx4 v[4:7], off, off offset:640
	v_mul_f64 v[126:127], v[118:119], v[124:125]
	v_fmac_f64_e32 v[126:127], v[120:121], v[122:123]
	v_add_f64 v[48:49], v[48:49], v[126:127]
	s_waitcnt vmcnt(0)
	v_add_f64 v[4:5], v[4:5], -v[8:9]
	v_add_f64 v[6:7], v[6:7], -v[48:49]
	scratch_store_dwordx4 off, v[4:7], off offset:640
	s_and_saveexec_b64 s[0:1], vcc
	s_cbranch_execz .LBB54_267
; %bb.266:
	scratch_load_dwordx4 v[6:9], off, s34
	v_mov_b32_e32 v3, v2
	v_mov_b32_e32 v4, v2
	v_mov_b32_e32 v5, v2
	v_accvgpr_read_b32 v0, a111
	scratch_store_dwordx4 off, v[2:5], off offset:624
	s_waitcnt vmcnt(1)
	ds_write_b128 v0, v[6:9]
.LBB54_267:
	s_or_b64 exec, exec, s[0:1]
	s_waitcnt lgkmcnt(0)
	; wave barrier
	ds_read_b128 v[16:19], v2 offset:1504
	ds_read_b128 v[12:15], v2 offset:1520
	;; [unrolled: 1-line block ×4, first 2 shown]
	scratch_load_dwordx4 v[20:23], off, off offset:640
	scratch_load_dwordx4 v[40:43], off, off offset:704
	scratch_load_dwordx4 v[74:77], off, off offset:768
	scratch_load_dwordx4 v[82:85], off, off offset:784
	scratch_load_dwordx4 v[90:93], off, off offset:800
	scratch_load_dwordx4 v[98:101], off, off offset:816
	scratch_load_dwordx4 v[106:109], off, off offset:832
	scratch_load_dwordx4 v[114:117], off, off offset:848
	scratch_load_dwordx4 v[122:125], off, off offset:864
	scratch_load_dwordx4 v[130:133], off, off offset:880
	v_cmp_lt_u32_e32 vcc, 37, v250
	scratch_load_dwordx4 v[48:51], off, off offset:720
	scratch_load_dwordx4 v[56:59], off, off offset:736
	;; [unrolled: 1-line block ×3, first 2 shown]
	s_waitcnt vmcnt(12) lgkmcnt(3)
	v_mul_f64 v[24:25], v[16:17], v[22:23]
	v_fmac_f64_e32 v[24:25], v[18:19], v[20:21]
	v_add_f64 v[28:29], v[24:25], 0
	scratch_load_dwordx4 v[24:27], off, off offset:656
	s_waitcnt vmcnt(0) lgkmcnt(2)
	v_mul_f64 v[30:31], v[12:13], v[26:27]
	v_fmac_f64_e32 v[30:31], v[14:15], v[24:25]
	v_add_f64 v[32:33], v[28:29], v[30:31]
	scratch_load_dwordx4 v[28:31], off, off offset:672
	v_mul_f64 v[14:15], v[14:15], v[26:27]
	v_fma_f64 v[12:13], v[12:13], v[24:25], -v[14:15]
	s_waitcnt vmcnt(0) lgkmcnt(1)
	v_mul_f64 v[34:35], v[8:9], v[30:31]
	v_fmac_f64_e32 v[34:35], v[10:11], v[28:29]
	v_add_f64 v[36:37], v[32:33], v[34:35]
	scratch_load_dwordx4 v[32:35], off, off offset:688
	v_mul_f64 v[10:11], v[10:11], v[30:31]
	v_fma_f64 v[8:9], v[8:9], v[28:29], -v[10:11]
	s_waitcnt vmcnt(0) lgkmcnt(0)
	v_mul_f64 v[38:39], v[4:5], v[34:35]
	v_fmac_f64_e32 v[38:39], v[6:7], v[32:33]
	v_add_f64 v[44:45], v[36:37], v[38:39]
	ds_read_b128 v[36:39], v2 offset:1568
	v_mul_f64 v[6:7], v[6:7], v[34:35]
	v_fma_f64 v[4:5], v[4:5], v[32:33], -v[6:7]
	s_waitcnt lgkmcnt(0)
	v_mul_f64 v[46:47], v[36:37], v[42:43]
	v_fmac_f64_e32 v[46:47], v[38:39], v[40:41]
	v_add_f64 v[52:53], v[44:45], v[46:47]
	ds_read_b128 v[44:47], v2 offset:1584
	s_waitcnt lgkmcnt(0)
	v_mul_f64 v[54:55], v[44:45], v[50:51]
	v_fmac_f64_e32 v[54:55], v[46:47], v[48:49]
	v_add_f64 v[60:61], v[52:53], v[54:55]
	ds_read_b128 v[52:55], v2 offset:1600
	;; [unrolled: 5-line block ×11, first 2 shown]
	s_waitcnt lgkmcnt(0)
	v_mul_f64 v[2:3], v[126:127], v[132:133]
	v_fmac_f64_e32 v[2:3], v[128:129], v[130:131]
	v_add_f64 v[64:65], v[64:65], v[2:3]
	v_mul_f64 v[2:3], v[18:19], v[22:23]
	v_fma_f64 v[2:3], v[16:17], v[20:21], -v[2:3]
	v_add_f64 v[2:3], v[2:3], 0
	v_add_f64 v[2:3], v[2:3], v[12:13]
	;; [unrolled: 1-line block ×4, first 2 shown]
	v_mul_f64 v[4:5], v[38:39], v[42:43]
	v_fma_f64 v[4:5], v[36:37], v[40:41], -v[4:5]
	v_add_f64 v[2:3], v[2:3], v[4:5]
	v_mul_f64 v[4:5], v[46:47], v[50:51]
	v_fma_f64 v[4:5], v[44:45], v[48:49], -v[4:5]
	v_add_f64 v[2:3], v[2:3], v[4:5]
	;; [unrolled: 3-line block ×12, first 2 shown]
	scratch_load_dwordx4 v[2:5], off, off offset:624
	s_waitcnt vmcnt(0)
	v_add_f64 v[2:3], v[2:3], -v[6:7]
	v_add_f64 v[4:5], v[4:5], -v[64:65]
	scratch_store_dwordx4 off, v[2:5], off offset:624
	s_and_saveexec_b64 s[0:1], vcc
	s_cbranch_execz .LBB54_269
; %bb.268:
	scratch_load_dwordx4 v[2:5], off, s33
	v_mov_b32_e32 v6, 0
	v_mov_b32_e32 v7, v6
	;; [unrolled: 1-line block ×4, first 2 shown]
	v_accvgpr_read_b32 v0, a111
	scratch_store_dwordx4 off, v[6:9], off offset:608
	s_waitcnt vmcnt(1)
	ds_write_b128 v0, v[2:5]
.LBB54_269:
	s_or_b64 exec, exec, s[0:1]
	v_mov_b32_e32 v2, 0
	s_waitcnt lgkmcnt(0)
	; wave barrier
	ds_read_b128 v[16:19], v2 offset:1488
	ds_read_b128 v[12:15], v2 offset:1504
	ds_read_b128 v[8:11], v2 offset:1520
	ds_read_b128 v[4:7], v2 offset:1536
	scratch_load_dwordx4 v[20:23], off, off offset:624
	scratch_load_dwordx4 v[40:43], off, off offset:688
	;; [unrolled: 1-line block ×11, first 2 shown]
	v_cmp_lt_u32_e32 vcc, 36, v250
	scratch_load_dwordx4 v[48:51], off, off offset:704
	scratch_load_dwordx4 v[56:59], off, off offset:720
	;; [unrolled: 1-line block ×3, first 2 shown]
	s_waitcnt vmcnt(13) lgkmcnt(3)
	v_mul_f64 v[24:25], v[16:17], v[22:23]
	v_fmac_f64_e32 v[24:25], v[18:19], v[20:21]
	v_add_f64 v[28:29], v[24:25], 0
	scratch_load_dwordx4 v[24:27], off, off offset:640
	v_mul_f64 v[18:19], v[18:19], v[22:23]
	v_fma_f64 v[16:17], v[16:17], v[20:21], -v[18:19]
	v_add_f64 v[16:17], v[16:17], 0
	s_waitcnt vmcnt(0) lgkmcnt(2)
	v_mul_f64 v[30:31], v[12:13], v[26:27]
	v_fmac_f64_e32 v[30:31], v[14:15], v[24:25]
	v_add_f64 v[32:33], v[28:29], v[30:31]
	scratch_load_dwordx4 v[28:31], off, off offset:656
	v_mul_f64 v[14:15], v[14:15], v[26:27]
	v_fma_f64 v[12:13], v[12:13], v[24:25], -v[14:15]
	v_add_f64 v[12:13], v[16:17], v[12:13]
	;; [unrolled: 8-line block ×3, first 2 shown]
	s_waitcnt vmcnt(0) lgkmcnt(0)
	v_mul_f64 v[38:39], v[4:5], v[34:35]
	v_fmac_f64_e32 v[38:39], v[6:7], v[32:33]
	v_add_f64 v[44:45], v[36:37], v[38:39]
	ds_read_b128 v[36:39], v2 offset:1552
	v_mul_f64 v[6:7], v[6:7], v[34:35]
	v_fma_f64 v[4:5], v[4:5], v[32:33], -v[6:7]
	v_add_f64 v[4:5], v[8:9], v[4:5]
	s_waitcnt lgkmcnt(0)
	v_mul_f64 v[46:47], v[36:37], v[42:43]
	v_fmac_f64_e32 v[46:47], v[38:39], v[40:41]
	v_add_f64 v[52:53], v[44:45], v[46:47]
	ds_read_b128 v[44:47], v2 offset:1568
	v_mul_f64 v[6:7], v[38:39], v[42:43]
	v_fma_f64 v[6:7], v[36:37], v[40:41], -v[6:7]
	v_add_f64 v[4:5], v[4:5], v[6:7]
	s_waitcnt lgkmcnt(0)
	;; [unrolled: 8-line block ×13, first 2 shown]
	v_mul_f64 v[6:7], v[136:137], v[140:141]
	v_fma_f64 v[6:7], v[134:135], v[138:139], -v[6:7]
	v_add_f64 v[8:9], v[4:5], v[6:7]
	scratch_load_dwordx4 v[4:7], off, off offset:608
	v_mul_f64 v[142:143], v[134:135], v[140:141]
	v_fmac_f64_e32 v[142:143], v[136:137], v[138:139]
	v_add_f64 v[72:73], v[72:73], v[142:143]
	s_waitcnt vmcnt(0)
	v_add_f64 v[4:5], v[4:5], -v[8:9]
	v_add_f64 v[6:7], v[6:7], -v[72:73]
	scratch_store_dwordx4 off, v[4:7], off offset:608
	s_and_saveexec_b64 s[0:1], vcc
	s_cbranch_execz .LBB54_271
; %bb.270:
	scratch_load_dwordx4 v[6:9], off, s36
	v_mov_b32_e32 v3, v2
	v_mov_b32_e32 v4, v2
	;; [unrolled: 1-line block ×3, first 2 shown]
	v_accvgpr_read_b32 v0, a111
	scratch_store_dwordx4 off, v[2:5], off offset:592
	s_waitcnt vmcnt(1)
	ds_write_b128 v0, v[6:9]
.LBB54_271:
	s_or_b64 exec, exec, s[0:1]
	s_waitcnt lgkmcnt(0)
	; wave barrier
	ds_read_b128 v[16:19], v2 offset:1472
	ds_read_b128 v[12:15], v2 offset:1488
	;; [unrolled: 1-line block ×4, first 2 shown]
	scratch_load_dwordx4 v[20:23], off, off offset:608
	scratch_load_dwordx4 v[40:43], off, off offset:672
	scratch_load_dwordx4 v[72:75], off, off offset:736
	scratch_load_dwordx4 v[82:85], off, off offset:752
	scratch_load_dwordx4 v[90:93], off, off offset:768
	scratch_load_dwordx4 v[98:101], off, off offset:784
	scratch_load_dwordx4 v[106:109], off, off offset:800
	scratch_load_dwordx4 v[114:117], off, off offset:816
	scratch_load_dwordx4 v[122:125], off, off offset:832
	scratch_load_dwordx4 v[130:133], off, off offset:848
	scratch_load_dwordx4 v[138:141], off, off offset:864
	scratch_load_dwordx4 v[146:149], off, off offset:880
	v_cmp_lt_u32_e32 vcc, 35, v250
	scratch_load_dwordx4 v[48:51], off, off offset:688
	scratch_load_dwordx4 v[56:59], off, off offset:704
	;; [unrolled: 1-line block ×3, first 2 shown]
	s_waitcnt vmcnt(14) lgkmcnt(3)
	v_mul_f64 v[24:25], v[16:17], v[22:23]
	v_fmac_f64_e32 v[24:25], v[18:19], v[20:21]
	v_add_f64 v[28:29], v[24:25], 0
	scratch_load_dwordx4 v[24:27], off, off offset:624
	s_waitcnt vmcnt(0) lgkmcnt(2)
	v_mul_f64 v[30:31], v[12:13], v[26:27]
	v_fmac_f64_e32 v[30:31], v[14:15], v[24:25]
	v_add_f64 v[32:33], v[28:29], v[30:31]
	scratch_load_dwordx4 v[28:31], off, off offset:640
	v_mul_f64 v[14:15], v[14:15], v[26:27]
	v_fma_f64 v[12:13], v[12:13], v[24:25], -v[14:15]
	s_waitcnt vmcnt(0) lgkmcnt(1)
	v_mul_f64 v[34:35], v[8:9], v[30:31]
	v_fmac_f64_e32 v[34:35], v[10:11], v[28:29]
	v_add_f64 v[36:37], v[32:33], v[34:35]
	scratch_load_dwordx4 v[32:35], off, off offset:656
	v_mul_f64 v[10:11], v[10:11], v[30:31]
	v_fma_f64 v[8:9], v[8:9], v[28:29], -v[10:11]
	s_waitcnt vmcnt(0) lgkmcnt(0)
	v_mul_f64 v[38:39], v[4:5], v[34:35]
	v_fmac_f64_e32 v[38:39], v[6:7], v[32:33]
	v_add_f64 v[44:45], v[36:37], v[38:39]
	ds_read_b128 v[36:39], v2 offset:1536
	v_mul_f64 v[6:7], v[6:7], v[34:35]
	v_fma_f64 v[4:5], v[4:5], v[32:33], -v[6:7]
	s_waitcnt lgkmcnt(0)
	v_mul_f64 v[46:47], v[36:37], v[42:43]
	v_fmac_f64_e32 v[46:47], v[38:39], v[40:41]
	v_add_f64 v[52:53], v[44:45], v[46:47]
	ds_read_b128 v[44:47], v2 offset:1552
	s_waitcnt lgkmcnt(0)
	v_mul_f64 v[54:55], v[44:45], v[50:51]
	v_fmac_f64_e32 v[54:55], v[46:47], v[48:49]
	v_add_f64 v[60:61], v[52:53], v[54:55]
	ds_read_b128 v[52:55], v2 offset:1568
	;; [unrolled: 5-line block ×13, first 2 shown]
	s_waitcnt lgkmcnt(0)
	v_mul_f64 v[2:3], v[142:143], v[148:149]
	v_fmac_f64_e32 v[2:3], v[144:145], v[146:147]
	v_add_f64 v[80:81], v[80:81], v[2:3]
	v_mul_f64 v[2:3], v[18:19], v[22:23]
	v_fma_f64 v[2:3], v[16:17], v[20:21], -v[2:3]
	v_add_f64 v[2:3], v[2:3], 0
	v_add_f64 v[2:3], v[2:3], v[12:13]
	;; [unrolled: 1-line block ×4, first 2 shown]
	v_mul_f64 v[4:5], v[38:39], v[42:43]
	v_fma_f64 v[4:5], v[36:37], v[40:41], -v[4:5]
	v_add_f64 v[2:3], v[2:3], v[4:5]
	v_mul_f64 v[4:5], v[46:47], v[50:51]
	v_fma_f64 v[4:5], v[44:45], v[48:49], -v[4:5]
	v_add_f64 v[2:3], v[2:3], v[4:5]
	;; [unrolled: 3-line block ×14, first 2 shown]
	scratch_load_dwordx4 v[2:5], off, off offset:592
	s_waitcnt vmcnt(0)
	v_add_f64 v[2:3], v[2:3], -v[6:7]
	v_add_f64 v[4:5], v[4:5], -v[80:81]
	scratch_store_dwordx4 off, v[2:5], off offset:592
	s_and_saveexec_b64 s[0:1], vcc
	s_cbranch_execz .LBB54_273
; %bb.272:
	scratch_load_dwordx4 v[2:5], off, s35
	v_mov_b32_e32 v6, 0
	v_mov_b32_e32 v7, v6
	;; [unrolled: 1-line block ×4, first 2 shown]
	v_accvgpr_read_b32 v0, a111
	scratch_store_dwordx4 off, v[6:9], off offset:576
	s_waitcnt vmcnt(1)
	ds_write_b128 v0, v[2:5]
.LBB54_273:
	s_or_b64 exec, exec, s[0:1]
	v_mov_b32_e32 v2, 0
	s_waitcnt lgkmcnt(0)
	; wave barrier
	ds_read_b128 v[16:19], v2 offset:1456
	ds_read_b128 v[12:15], v2 offset:1472
	;; [unrolled: 1-line block ×4, first 2 shown]
	scratch_load_dwordx4 v[20:23], off, off offset:592
	scratch_load_dwordx4 v[40:43], off, off offset:656
	;; [unrolled: 1-line block ×13, first 2 shown]
	v_cmp_lt_u32_e32 vcc, 34, v250
	scratch_load_dwordx4 v[48:51], off, off offset:672
	scratch_load_dwordx4 v[56:59], off, off offset:688
	;; [unrolled: 1-line block ×3, first 2 shown]
	s_waitcnt vmcnt(15) lgkmcnt(3)
	v_mul_f64 v[24:25], v[16:17], v[22:23]
	v_fmac_f64_e32 v[24:25], v[18:19], v[20:21]
	v_add_f64 v[28:29], v[24:25], 0
	scratch_load_dwordx4 v[24:27], off, off offset:608
	v_mul_f64 v[18:19], v[18:19], v[22:23]
	v_fma_f64 v[16:17], v[16:17], v[20:21], -v[18:19]
	v_add_f64 v[16:17], v[16:17], 0
	s_waitcnt vmcnt(0) lgkmcnt(2)
	v_mul_f64 v[30:31], v[12:13], v[26:27]
	v_fmac_f64_e32 v[30:31], v[14:15], v[24:25]
	v_add_f64 v[32:33], v[28:29], v[30:31]
	scratch_load_dwordx4 v[28:31], off, off offset:624
	v_mul_f64 v[14:15], v[14:15], v[26:27]
	v_fma_f64 v[12:13], v[12:13], v[24:25], -v[14:15]
	v_add_f64 v[12:13], v[16:17], v[12:13]
	;; [unrolled: 8-line block ×3, first 2 shown]
	s_waitcnt vmcnt(0) lgkmcnt(0)
	v_mul_f64 v[38:39], v[4:5], v[34:35]
	v_fmac_f64_e32 v[38:39], v[6:7], v[32:33]
	v_add_f64 v[44:45], v[36:37], v[38:39]
	ds_read_b128 v[36:39], v2 offset:1520
	v_mul_f64 v[6:7], v[6:7], v[34:35]
	v_fma_f64 v[4:5], v[4:5], v[32:33], -v[6:7]
	v_add_f64 v[4:5], v[8:9], v[4:5]
	s_waitcnt lgkmcnt(0)
	v_mul_f64 v[46:47], v[36:37], v[42:43]
	v_fmac_f64_e32 v[46:47], v[38:39], v[40:41]
	v_add_f64 v[52:53], v[44:45], v[46:47]
	ds_read_b128 v[44:47], v2 offset:1536
	v_mul_f64 v[6:7], v[38:39], v[42:43]
	v_fma_f64 v[6:7], v[36:37], v[40:41], -v[6:7]
	v_add_f64 v[4:5], v[4:5], v[6:7]
	s_waitcnt lgkmcnt(0)
	;; [unrolled: 8-line block ×15, first 2 shown]
	v_mul_f64 v[6:7], v[152:153], v[156:157]
	v_fma_f64 v[6:7], v[150:151], v[154:155], -v[6:7]
	v_add_f64 v[8:9], v[4:5], v[6:7]
	scratch_load_dwordx4 v[4:7], off, off offset:576
	v_mul_f64 v[158:159], v[150:151], v[156:157]
	v_fmac_f64_e32 v[158:159], v[152:153], v[154:155]
	v_add_f64 v[88:89], v[88:89], v[158:159]
	s_waitcnt vmcnt(0)
	v_add_f64 v[4:5], v[4:5], -v[8:9]
	v_add_f64 v[6:7], v[6:7], -v[88:89]
	scratch_store_dwordx4 off, v[4:7], off offset:576
	s_and_saveexec_b64 s[0:1], vcc
	s_cbranch_execz .LBB54_275
; %bb.274:
	scratch_load_dwordx4 v[6:9], off, s67
	v_mov_b32_e32 v3, v2
	v_mov_b32_e32 v4, v2
	;; [unrolled: 1-line block ×3, first 2 shown]
	v_accvgpr_read_b32 v0, a111
	scratch_store_dwordx4 off, v[2:5], off offset:560
	s_waitcnt vmcnt(1)
	ds_write_b128 v0, v[6:9]
.LBB54_275:
	s_or_b64 exec, exec, s[0:1]
	s_waitcnt lgkmcnt(0)
	; wave barrier
	ds_read_b128 v[16:19], v2 offset:1440
	ds_read_b128 v[12:15], v2 offset:1456
	;; [unrolled: 1-line block ×4, first 2 shown]
	scratch_load_dwordx4 v[20:23], off, off offset:576
	scratch_load_dwordx4 v[40:43], off, off offset:640
	;; [unrolled: 1-line block ×14, first 2 shown]
	v_cmp_lt_u32_e32 vcc, 33, v250
	scratch_load_dwordx4 v[48:51], off, off offset:656
	scratch_load_dwordx4 v[56:59], off, off offset:672
	;; [unrolled: 1-line block ×3, first 2 shown]
	s_waitcnt vmcnt(16) lgkmcnt(3)
	v_mul_f64 v[24:25], v[16:17], v[22:23]
	v_fmac_f64_e32 v[24:25], v[18:19], v[20:21]
	v_add_f64 v[28:29], v[24:25], 0
	scratch_load_dwordx4 v[24:27], off, off offset:592
	s_waitcnt vmcnt(0) lgkmcnt(2)
	v_mul_f64 v[30:31], v[12:13], v[26:27]
	v_fmac_f64_e32 v[30:31], v[14:15], v[24:25]
	v_add_f64 v[32:33], v[28:29], v[30:31]
	scratch_load_dwordx4 v[28:31], off, off offset:608
	v_mul_f64 v[14:15], v[14:15], v[26:27]
	v_fma_f64 v[12:13], v[12:13], v[24:25], -v[14:15]
	s_waitcnt vmcnt(0) lgkmcnt(1)
	v_mul_f64 v[34:35], v[8:9], v[30:31]
	v_fmac_f64_e32 v[34:35], v[10:11], v[28:29]
	v_add_f64 v[36:37], v[32:33], v[34:35]
	scratch_load_dwordx4 v[32:35], off, off offset:624
	v_mul_f64 v[10:11], v[10:11], v[30:31]
	v_fma_f64 v[8:9], v[8:9], v[28:29], -v[10:11]
	s_waitcnt vmcnt(0) lgkmcnt(0)
	v_mul_f64 v[38:39], v[4:5], v[34:35]
	v_fmac_f64_e32 v[38:39], v[6:7], v[32:33]
	v_add_f64 v[44:45], v[36:37], v[38:39]
	ds_read_b128 v[36:39], v2 offset:1504
	v_mul_f64 v[6:7], v[6:7], v[34:35]
	v_fma_f64 v[4:5], v[4:5], v[32:33], -v[6:7]
	s_waitcnt lgkmcnt(0)
	v_mul_f64 v[46:47], v[36:37], v[42:43]
	v_fmac_f64_e32 v[46:47], v[38:39], v[40:41]
	v_add_f64 v[52:53], v[44:45], v[46:47]
	ds_read_b128 v[44:47], v2 offset:1520
	s_waitcnt lgkmcnt(0)
	v_mul_f64 v[54:55], v[44:45], v[50:51]
	v_fmac_f64_e32 v[54:55], v[46:47], v[48:49]
	v_add_f64 v[60:61], v[52:53], v[54:55]
	ds_read_b128 v[52:55], v2 offset:1536
	s_waitcnt lgkmcnt(0)
	v_mul_f64 v[62:63], v[52:53], v[58:59]
	v_fmac_f64_e32 v[62:63], v[54:55], v[56:57]
	v_add_f64 v[68:69], v[60:61], v[62:63]
	ds_read_b128 v[60:63], v2 offset:1552
	s_waitcnt lgkmcnt(0)
	v_mul_f64 v[70:71], v[60:61], v[66:67]
	v_fmac_f64_e32 v[70:71], v[62:63], v[64:65]
	v_add_f64 v[76:77], v[68:69], v[70:71]
	ds_read_b128 v[68:71], v2 offset:1568
	s_waitcnt lgkmcnt(0)
	v_mul_f64 v[78:79], v[68:69], v[74:75]
	v_fmac_f64_e32 v[78:79], v[70:71], v[72:73]
	v_add_f64 v[84:85], v[76:77], v[78:79]
	ds_read_b128 v[76:79], v2 offset:1584
	s_waitcnt lgkmcnt(0)
	v_mul_f64 v[86:87], v[76:77], v[82:83]
	v_fmac_f64_e32 v[86:87], v[78:79], v[80:81]
	v_add_f64 v[92:93], v[84:85], v[86:87]
	ds_read_b128 v[84:87], v2 offset:1600
	s_waitcnt lgkmcnt(0)
	v_mul_f64 v[94:95], v[84:85], v[90:91]
	v_fmac_f64_e32 v[94:95], v[86:87], v[88:89]
	v_add_f64 v[96:97], v[92:93], v[94:95]
	ds_read_b128 v[92:95], v2 offset:1616
	s_waitcnt lgkmcnt(0)
	v_mul_f64 v[102:103], v[92:93], v[100:101]
	v_fmac_f64_e32 v[102:103], v[94:95], v[98:99]
	v_add_f64 v[96:97], v[96:97], v[102:103]
	ds_read_b128 v[102:105], v2 offset:1632
	s_waitcnt lgkmcnt(0)
	v_mul_f64 v[110:111], v[102:103], v[108:109]
	v_fmac_f64_e32 v[110:111], v[104:105], v[106:107]
	v_add_f64 v[96:97], v[96:97], v[110:111]
	ds_read_b128 v[110:113], v2 offset:1648
	s_waitcnt lgkmcnt(0)
	v_mul_f64 v[118:119], v[110:111], v[116:117]
	v_fmac_f64_e32 v[118:119], v[112:113], v[114:115]
	v_add_f64 v[96:97], v[96:97], v[118:119]
	ds_read_b128 v[118:121], v2 offset:1664
	s_waitcnt lgkmcnt(0)
	v_mul_f64 v[126:127], v[118:119], v[124:125]
	v_fmac_f64_e32 v[126:127], v[120:121], v[122:123]
	v_add_f64 v[96:97], v[96:97], v[126:127]
	ds_read_b128 v[126:129], v2 offset:1680
	s_waitcnt lgkmcnt(0)
	v_mul_f64 v[134:135], v[126:127], v[132:133]
	v_fmac_f64_e32 v[134:135], v[128:129], v[130:131]
	v_add_f64 v[96:97], v[96:97], v[134:135]
	ds_read_b128 v[134:137], v2 offset:1696
	s_waitcnt lgkmcnt(0)
	v_mul_f64 v[142:143], v[134:135], v[140:141]
	v_fmac_f64_e32 v[142:143], v[136:137], v[138:139]
	v_add_f64 v[96:97], v[96:97], v[142:143]
	ds_read_b128 v[142:145], v2 offset:1712
	s_waitcnt lgkmcnt(0)
	v_mul_f64 v[150:151], v[142:143], v[148:149]
	v_fmac_f64_e32 v[150:151], v[144:145], v[146:147]
	v_add_f64 v[96:97], v[96:97], v[150:151]
	ds_read_b128 v[150:153], v2 offset:1728
	s_waitcnt lgkmcnt(0)
	v_mul_f64 v[158:159], v[150:151], v[156:157]
	v_fmac_f64_e32 v[158:159], v[152:153], v[154:155]
	v_add_f64 v[96:97], v[96:97], v[158:159]
	ds_read_b128 v[158:161], v2 offset:1744
	s_waitcnt lgkmcnt(0)
	v_mul_f64 v[2:3], v[158:159], v[164:165]
	v_fmac_f64_e32 v[2:3], v[160:161], v[162:163]
	v_add_f64 v[96:97], v[96:97], v[2:3]
	v_mul_f64 v[2:3], v[18:19], v[22:23]
	v_fma_f64 v[2:3], v[16:17], v[20:21], -v[2:3]
	v_add_f64 v[2:3], v[2:3], 0
	v_add_f64 v[2:3], v[2:3], v[12:13]
	;; [unrolled: 1-line block ×4, first 2 shown]
	v_mul_f64 v[4:5], v[38:39], v[42:43]
	v_fma_f64 v[4:5], v[36:37], v[40:41], -v[4:5]
	v_add_f64 v[2:3], v[2:3], v[4:5]
	v_mul_f64 v[4:5], v[46:47], v[50:51]
	v_fma_f64 v[4:5], v[44:45], v[48:49], -v[4:5]
	v_add_f64 v[2:3], v[2:3], v[4:5]
	;; [unrolled: 3-line block ×16, first 2 shown]
	scratch_load_dwordx4 v[2:5], off, off offset:560
	s_waitcnt vmcnt(0)
	v_add_f64 v[2:3], v[2:3], -v[6:7]
	v_add_f64 v[4:5], v[4:5], -v[96:97]
	scratch_store_dwordx4 off, v[2:5], off offset:560
	s_and_saveexec_b64 s[0:1], vcc
	s_cbranch_execz .LBB54_277
; %bb.276:
	scratch_load_dwordx4 v[2:5], off, s66
	v_mov_b32_e32 v6, 0
	v_mov_b32_e32 v7, v6
	v_mov_b32_e32 v8, v6
	v_mov_b32_e32 v9, v6
	v_accvgpr_read_b32 v0, a111
	scratch_store_dwordx4 off, v[6:9], off offset:544
	s_waitcnt vmcnt(1)
	ds_write_b128 v0, v[2:5]
.LBB54_277:
	s_or_b64 exec, exec, s[0:1]
	v_mov_b32_e32 v2, 0
	s_waitcnt lgkmcnt(0)
	; wave barrier
	ds_read_b128 v[16:19], v2 offset:1424
	ds_read_b128 v[12:15], v2 offset:1440
	;; [unrolled: 1-line block ×4, first 2 shown]
	scratch_load_dwordx4 v[20:23], off, off offset:560
	scratch_load_dwordx4 v[40:43], off, off offset:624
	;; [unrolled: 1-line block ×15, first 2 shown]
	v_cmp_lt_u32_e32 vcc, 32, v250
	scratch_load_dwordx4 v[48:51], off, off offset:640
	scratch_load_dwordx4 v[56:59], off, off offset:656
	;; [unrolled: 1-line block ×3, first 2 shown]
	s_waitcnt vmcnt(17) lgkmcnt(3)
	v_mul_f64 v[24:25], v[16:17], v[22:23]
	v_fmac_f64_e32 v[24:25], v[18:19], v[20:21]
	v_add_f64 v[28:29], v[24:25], 0
	scratch_load_dwordx4 v[24:27], off, off offset:576
	v_mul_f64 v[18:19], v[18:19], v[22:23]
	v_fma_f64 v[16:17], v[16:17], v[20:21], -v[18:19]
	v_add_f64 v[16:17], v[16:17], 0
	s_waitcnt vmcnt(0) lgkmcnt(2)
	v_mul_f64 v[30:31], v[12:13], v[26:27]
	v_fmac_f64_e32 v[30:31], v[14:15], v[24:25]
	v_add_f64 v[32:33], v[28:29], v[30:31]
	scratch_load_dwordx4 v[28:31], off, off offset:592
	v_mul_f64 v[14:15], v[14:15], v[26:27]
	v_fma_f64 v[12:13], v[12:13], v[24:25], -v[14:15]
	v_add_f64 v[12:13], v[16:17], v[12:13]
	;; [unrolled: 8-line block ×3, first 2 shown]
	s_waitcnt vmcnt(0) lgkmcnt(0)
	v_mul_f64 v[38:39], v[4:5], v[34:35]
	v_fmac_f64_e32 v[38:39], v[6:7], v[32:33]
	v_add_f64 v[44:45], v[36:37], v[38:39]
	ds_read_b128 v[36:39], v2 offset:1488
	v_mul_f64 v[6:7], v[6:7], v[34:35]
	v_fma_f64 v[4:5], v[4:5], v[32:33], -v[6:7]
	v_add_f64 v[4:5], v[8:9], v[4:5]
	s_waitcnt lgkmcnt(0)
	v_mul_f64 v[46:47], v[36:37], v[42:43]
	v_fmac_f64_e32 v[46:47], v[38:39], v[40:41]
	v_add_f64 v[52:53], v[44:45], v[46:47]
	ds_read_b128 v[44:47], v2 offset:1504
	v_mul_f64 v[6:7], v[38:39], v[42:43]
	v_fma_f64 v[6:7], v[36:37], v[40:41], -v[6:7]
	v_add_f64 v[4:5], v[4:5], v[6:7]
	s_waitcnt lgkmcnt(0)
	v_mul_f64 v[54:55], v[44:45], v[50:51]
	v_fmac_f64_e32 v[54:55], v[46:47], v[48:49]
	v_add_f64 v[60:61], v[52:53], v[54:55]
	ds_read_b128 v[52:55], v2 offset:1520
	v_mul_f64 v[6:7], v[46:47], v[50:51]
	v_fma_f64 v[6:7], v[44:45], v[48:49], -v[6:7]
	v_add_f64 v[4:5], v[4:5], v[6:7]
	s_waitcnt lgkmcnt(0)
	v_mul_f64 v[62:63], v[52:53], v[58:59]
	v_fmac_f64_e32 v[62:63], v[54:55], v[56:57]
	v_add_f64 v[68:69], v[60:61], v[62:63]
	ds_read_b128 v[60:63], v2 offset:1536
	v_mul_f64 v[6:7], v[54:55], v[58:59]
	v_fma_f64 v[6:7], v[52:53], v[56:57], -v[6:7]
	v_add_f64 v[4:5], v[4:5], v[6:7]
	s_waitcnt lgkmcnt(0)
	v_mul_f64 v[70:71], v[60:61], v[66:67]
	v_fmac_f64_e32 v[70:71], v[62:63], v[64:65]
	v_add_f64 v[76:77], v[68:69], v[70:71]
	ds_read_b128 v[68:71], v2 offset:1552
	v_mul_f64 v[6:7], v[62:63], v[66:67]
	v_fma_f64 v[6:7], v[60:61], v[64:65], -v[6:7]
	v_add_f64 v[4:5], v[4:5], v[6:7]
	s_waitcnt lgkmcnt(0)
	v_mul_f64 v[78:79], v[68:69], v[74:75]
	v_fmac_f64_e32 v[78:79], v[70:71], v[72:73]
	v_add_f64 v[84:85], v[76:77], v[78:79]
	ds_read_b128 v[76:79], v2 offset:1568
	v_mul_f64 v[6:7], v[70:71], v[74:75]
	v_fma_f64 v[6:7], v[68:69], v[72:73], -v[6:7]
	v_add_f64 v[4:5], v[4:5], v[6:7]
	s_waitcnt lgkmcnt(0)
	v_mul_f64 v[86:87], v[76:77], v[82:83]
	v_fmac_f64_e32 v[86:87], v[78:79], v[80:81]
	v_add_f64 v[92:93], v[84:85], v[86:87]
	ds_read_b128 v[84:87], v2 offset:1584
	v_mul_f64 v[6:7], v[78:79], v[82:83]
	v_fma_f64 v[6:7], v[76:77], v[80:81], -v[6:7]
	v_add_f64 v[4:5], v[4:5], v[6:7]
	s_waitcnt lgkmcnt(0)
	v_mul_f64 v[94:95], v[84:85], v[90:91]
	v_fmac_f64_e32 v[94:95], v[86:87], v[88:89]
	v_add_f64 v[100:101], v[92:93], v[94:95]
	ds_read_b128 v[92:95], v2 offset:1600
	v_mul_f64 v[6:7], v[86:87], v[90:91]
	v_fma_f64 v[6:7], v[84:85], v[88:89], -v[6:7]
	v_add_f64 v[4:5], v[4:5], v[6:7]
	s_waitcnt lgkmcnt(0)
	v_mul_f64 v[102:103], v[92:93], v[98:99]
	v_fmac_f64_e32 v[102:103], v[94:95], v[96:97]
	v_add_f64 v[104:105], v[100:101], v[102:103]
	ds_read_b128 v[100:103], v2 offset:1616
	v_mul_f64 v[6:7], v[94:95], v[98:99]
	v_fma_f64 v[6:7], v[92:93], v[96:97], -v[6:7]
	v_add_f64 v[4:5], v[4:5], v[6:7]
	s_waitcnt lgkmcnt(0)
	v_mul_f64 v[110:111], v[100:101], v[108:109]
	v_fmac_f64_e32 v[110:111], v[102:103], v[106:107]
	v_add_f64 v[104:105], v[104:105], v[110:111]
	ds_read_b128 v[110:113], v2 offset:1632
	v_mul_f64 v[6:7], v[102:103], v[108:109]
	v_fma_f64 v[6:7], v[100:101], v[106:107], -v[6:7]
	v_add_f64 v[4:5], v[4:5], v[6:7]
	s_waitcnt lgkmcnt(0)
	v_mul_f64 v[118:119], v[110:111], v[116:117]
	v_fmac_f64_e32 v[118:119], v[112:113], v[114:115]
	v_add_f64 v[104:105], v[104:105], v[118:119]
	ds_read_b128 v[118:121], v2 offset:1648
	v_mul_f64 v[6:7], v[112:113], v[116:117]
	v_fma_f64 v[6:7], v[110:111], v[114:115], -v[6:7]
	v_add_f64 v[4:5], v[4:5], v[6:7]
	s_waitcnt lgkmcnt(0)
	v_mul_f64 v[126:127], v[118:119], v[124:125]
	v_fmac_f64_e32 v[126:127], v[120:121], v[122:123]
	v_add_f64 v[104:105], v[104:105], v[126:127]
	ds_read_b128 v[126:129], v2 offset:1664
	v_mul_f64 v[6:7], v[120:121], v[124:125]
	v_fma_f64 v[6:7], v[118:119], v[122:123], -v[6:7]
	v_add_f64 v[4:5], v[4:5], v[6:7]
	s_waitcnt lgkmcnt(0)
	v_mul_f64 v[134:135], v[126:127], v[132:133]
	v_fmac_f64_e32 v[134:135], v[128:129], v[130:131]
	v_add_f64 v[104:105], v[104:105], v[134:135]
	ds_read_b128 v[134:137], v2 offset:1680
	v_mul_f64 v[6:7], v[128:129], v[132:133]
	v_fma_f64 v[6:7], v[126:127], v[130:131], -v[6:7]
	v_add_f64 v[4:5], v[4:5], v[6:7]
	s_waitcnt lgkmcnt(0)
	v_mul_f64 v[142:143], v[134:135], v[140:141]
	v_fmac_f64_e32 v[142:143], v[136:137], v[138:139]
	v_add_f64 v[104:105], v[104:105], v[142:143]
	ds_read_b128 v[142:145], v2 offset:1696
	v_mul_f64 v[6:7], v[136:137], v[140:141]
	v_fma_f64 v[6:7], v[134:135], v[138:139], -v[6:7]
	v_add_f64 v[4:5], v[4:5], v[6:7]
	s_waitcnt lgkmcnt(0)
	v_mul_f64 v[150:151], v[142:143], v[148:149]
	v_fmac_f64_e32 v[150:151], v[144:145], v[146:147]
	v_add_f64 v[104:105], v[104:105], v[150:151]
	ds_read_b128 v[150:153], v2 offset:1712
	v_mul_f64 v[6:7], v[144:145], v[148:149]
	v_fma_f64 v[6:7], v[142:143], v[146:147], -v[6:7]
	v_add_f64 v[4:5], v[4:5], v[6:7]
	s_waitcnt lgkmcnt(0)
	v_mul_f64 v[158:159], v[150:151], v[156:157]
	v_fmac_f64_e32 v[158:159], v[152:153], v[154:155]
	v_add_f64 v[104:105], v[104:105], v[158:159]
	ds_read_b128 v[158:161], v2 offset:1728
	v_mul_f64 v[6:7], v[152:153], v[156:157]
	v_fma_f64 v[6:7], v[150:151], v[154:155], -v[6:7]
	v_add_f64 v[4:5], v[4:5], v[6:7]
	s_waitcnt lgkmcnt(0)
	v_mul_f64 v[166:167], v[158:159], v[164:165]
	v_fmac_f64_e32 v[166:167], v[160:161], v[162:163]
	v_add_f64 v[104:105], v[104:105], v[166:167]
	ds_read_b128 v[166:169], v2 offset:1744
	v_mul_f64 v[6:7], v[160:161], v[164:165]
	v_fma_f64 v[6:7], v[158:159], v[162:163], -v[6:7]
	v_add_f64 v[4:5], v[4:5], v[6:7]
	s_waitcnt lgkmcnt(0)
	v_mul_f64 v[6:7], v[168:169], v[172:173]
	v_fma_f64 v[6:7], v[166:167], v[170:171], -v[6:7]
	v_add_f64 v[8:9], v[4:5], v[6:7]
	scratch_load_dwordx4 v[4:7], off, off offset:544
	v_mul_f64 v[174:175], v[166:167], v[172:173]
	v_fmac_f64_e32 v[174:175], v[168:169], v[170:171]
	v_add_f64 v[104:105], v[104:105], v[174:175]
	s_waitcnt vmcnt(0)
	v_add_f64 v[4:5], v[4:5], -v[8:9]
	v_add_f64 v[6:7], v[6:7], -v[104:105]
	scratch_store_dwordx4 off, v[4:7], off offset:544
	s_and_saveexec_b64 s[0:1], vcc
	s_cbranch_execz .LBB54_279
; %bb.278:
	scratch_load_dwordx4 v[6:9], off, s65
	v_mov_b32_e32 v3, v2
	v_mov_b32_e32 v4, v2
	;; [unrolled: 1-line block ×3, first 2 shown]
	v_accvgpr_read_b32 v0, a111
	scratch_store_dwordx4 off, v[2:5], off offset:528
	s_waitcnt vmcnt(1)
	ds_write_b128 v0, v[6:9]
.LBB54_279:
	s_or_b64 exec, exec, s[0:1]
	s_waitcnt lgkmcnt(0)
	; wave barrier
	ds_read_b128 v[16:19], v2 offset:1408
	ds_read_b128 v[12:15], v2 offset:1424
	;; [unrolled: 1-line block ×4, first 2 shown]
	scratch_load_dwordx4 v[20:23], off, off offset:544
	scratch_load_dwordx4 v[40:43], off, off offset:608
	scratch_load_dwordx4 v[72:75], off, off offset:672
	scratch_load_dwordx4 v[80:83], off, off offset:688
	scratch_load_dwordx4 v[88:91], off, off offset:704
	scratch_load_dwordx4 v[96:99], off, off offset:720
	scratch_load_dwordx4 v[104:107], off, off offset:736
	scratch_load_dwordx4 v[112:115], off, off offset:752
	scratch_load_dwordx4 v[122:125], off, off offset:768
	scratch_load_dwordx4 v[130:133], off, off offset:784
	scratch_load_dwordx4 v[138:141], off, off offset:800
	scratch_load_dwordx4 v[146:149], off, off offset:816
	scratch_load_dwordx4 v[154:157], off, off offset:832
	scratch_load_dwordx4 v[162:165], off, off offset:848
	scratch_load_dwordx4 v[170:173], off, off offset:864
	scratch_load_dwordx4 v[178:181], off, off offset:880
	v_cmp_lt_u32_e32 vcc, 31, v250
	scratch_load_dwordx4 v[48:51], off, off offset:624
	scratch_load_dwordx4 v[56:59], off, off offset:640
	;; [unrolled: 1-line block ×3, first 2 shown]
	s_waitcnt vmcnt(18) lgkmcnt(3)
	v_mul_f64 v[24:25], v[16:17], v[22:23]
	v_fmac_f64_e32 v[24:25], v[18:19], v[20:21]
	v_add_f64 v[28:29], v[24:25], 0
	scratch_load_dwordx4 v[24:27], off, off offset:560
	s_waitcnt vmcnt(0) lgkmcnt(2)
	v_mul_f64 v[30:31], v[12:13], v[26:27]
	v_fmac_f64_e32 v[30:31], v[14:15], v[24:25]
	v_add_f64 v[32:33], v[28:29], v[30:31]
	scratch_load_dwordx4 v[28:31], off, off offset:576
	v_mul_f64 v[14:15], v[14:15], v[26:27]
	v_fma_f64 v[12:13], v[12:13], v[24:25], -v[14:15]
	s_waitcnt vmcnt(0) lgkmcnt(1)
	v_mul_f64 v[34:35], v[8:9], v[30:31]
	v_fmac_f64_e32 v[34:35], v[10:11], v[28:29]
	v_add_f64 v[36:37], v[32:33], v[34:35]
	scratch_load_dwordx4 v[32:35], off, off offset:592
	v_mul_f64 v[10:11], v[10:11], v[30:31]
	v_fma_f64 v[8:9], v[8:9], v[28:29], -v[10:11]
	s_waitcnt vmcnt(0) lgkmcnt(0)
	v_mul_f64 v[38:39], v[4:5], v[34:35]
	v_fmac_f64_e32 v[38:39], v[6:7], v[32:33]
	v_add_f64 v[44:45], v[36:37], v[38:39]
	ds_read_b128 v[36:39], v2 offset:1472
	v_mul_f64 v[6:7], v[6:7], v[34:35]
	v_fma_f64 v[4:5], v[4:5], v[32:33], -v[6:7]
	s_waitcnt lgkmcnt(0)
	v_mul_f64 v[46:47], v[36:37], v[42:43]
	v_fmac_f64_e32 v[46:47], v[38:39], v[40:41]
	v_add_f64 v[52:53], v[44:45], v[46:47]
	ds_read_b128 v[44:47], v2 offset:1488
	s_waitcnt lgkmcnt(0)
	v_mul_f64 v[54:55], v[44:45], v[50:51]
	v_fmac_f64_e32 v[54:55], v[46:47], v[48:49]
	v_add_f64 v[60:61], v[52:53], v[54:55]
	ds_read_b128 v[52:55], v2 offset:1504
	;; [unrolled: 5-line block ×17, first 2 shown]
	s_waitcnt lgkmcnt(0)
	v_mul_f64 v[2:3], v[174:175], v[180:181]
	v_fmac_f64_e32 v[2:3], v[176:177], v[178:179]
	v_add_f64 v[120:121], v[120:121], v[2:3]
	v_mul_f64 v[2:3], v[18:19], v[22:23]
	v_fma_f64 v[2:3], v[16:17], v[20:21], -v[2:3]
	v_add_f64 v[2:3], v[2:3], 0
	v_add_f64 v[2:3], v[2:3], v[12:13]
	;; [unrolled: 1-line block ×4, first 2 shown]
	v_mul_f64 v[4:5], v[38:39], v[42:43]
	v_fma_f64 v[4:5], v[36:37], v[40:41], -v[4:5]
	v_add_f64 v[2:3], v[2:3], v[4:5]
	v_mul_f64 v[4:5], v[46:47], v[50:51]
	v_fma_f64 v[4:5], v[44:45], v[48:49], -v[4:5]
	v_add_f64 v[2:3], v[2:3], v[4:5]
	v_mul_f64 v[4:5], v[54:55], v[58:59]
	v_fma_f64 v[4:5], v[52:53], v[56:57], -v[4:5]
	v_add_f64 v[2:3], v[2:3], v[4:5]
	v_mul_f64 v[4:5], v[62:63], v[66:67]
	v_fma_f64 v[4:5], v[60:61], v[64:65], -v[4:5]
	v_add_f64 v[2:3], v[2:3], v[4:5]
	v_mul_f64 v[4:5], v[70:71], v[74:75]
	v_fma_f64 v[4:5], v[68:69], v[72:73], -v[4:5]
	v_add_f64 v[2:3], v[2:3], v[4:5]
	v_mul_f64 v[4:5], v[78:79], v[82:83]
	v_fma_f64 v[4:5], v[76:77], v[80:81], -v[4:5]
	v_add_f64 v[2:3], v[2:3], v[4:5]
	v_mul_f64 v[4:5], v[86:87], v[90:91]
	v_fma_f64 v[4:5], v[84:85], v[88:89], -v[4:5]
	v_add_f64 v[2:3], v[2:3], v[4:5]
	v_mul_f64 v[4:5], v[94:95], v[98:99]
	v_fma_f64 v[4:5], v[92:93], v[96:97], -v[4:5]
	v_add_f64 v[2:3], v[2:3], v[4:5]
	v_mul_f64 v[4:5], v[102:103], v[106:107]
	v_fma_f64 v[4:5], v[100:101], v[104:105], -v[4:5]
	v_add_f64 v[2:3], v[2:3], v[4:5]
	v_mul_f64 v[4:5], v[110:111], v[114:115]
	v_fma_f64 v[4:5], v[108:109], v[112:113], -v[4:5]
	v_add_f64 v[2:3], v[2:3], v[4:5]
	v_mul_f64 v[4:5], v[118:119], v[124:125]
	v_fma_f64 v[4:5], v[116:117], v[122:123], -v[4:5]
	v_add_f64 v[2:3], v[2:3], v[4:5]
	v_mul_f64 v[4:5], v[128:129], v[132:133]
	v_fma_f64 v[4:5], v[126:127], v[130:131], -v[4:5]
	v_add_f64 v[2:3], v[2:3], v[4:5]
	v_mul_f64 v[4:5], v[136:137], v[140:141]
	v_fma_f64 v[4:5], v[134:135], v[138:139], -v[4:5]
	v_add_f64 v[2:3], v[2:3], v[4:5]
	v_mul_f64 v[4:5], v[144:145], v[148:149]
	v_fma_f64 v[4:5], v[142:143], v[146:147], -v[4:5]
	v_add_f64 v[2:3], v[2:3], v[4:5]
	v_mul_f64 v[4:5], v[152:153], v[156:157]
	v_fma_f64 v[4:5], v[150:151], v[154:155], -v[4:5]
	v_add_f64 v[2:3], v[2:3], v[4:5]
	v_mul_f64 v[4:5], v[160:161], v[164:165]
	v_fma_f64 v[4:5], v[158:159], v[162:163], -v[4:5]
	v_add_f64 v[2:3], v[2:3], v[4:5]
	v_mul_f64 v[4:5], v[168:169], v[172:173]
	v_fma_f64 v[4:5], v[166:167], v[170:171], -v[4:5]
	v_add_f64 v[2:3], v[2:3], v[4:5]
	v_mul_f64 v[4:5], v[176:177], v[180:181]
	v_fma_f64 v[4:5], v[174:175], v[178:179], -v[4:5]
	v_add_f64 v[6:7], v[2:3], v[4:5]
	scratch_load_dwordx4 v[2:5], off, off offset:528
	s_waitcnt vmcnt(0)
	v_add_f64 v[2:3], v[2:3], -v[6:7]
	v_add_f64 v[4:5], v[4:5], -v[120:121]
	scratch_store_dwordx4 off, v[2:5], off offset:528
	s_and_saveexec_b64 s[0:1], vcc
	s_cbranch_execz .LBB54_281
; %bb.280:
	scratch_load_dwordx4 v[2:5], off, s64
	v_mov_b32_e32 v6, 0
	v_mov_b32_e32 v7, v6
	v_mov_b32_e32 v8, v6
	v_mov_b32_e32 v9, v6
	v_accvgpr_read_b32 v0, a111
	scratch_store_dwordx4 off, v[6:9], off offset:512
	s_waitcnt vmcnt(1)
	ds_write_b128 v0, v[2:5]
.LBB54_281:
	s_or_b64 exec, exec, s[0:1]
	v_mov_b32_e32 v2, 0
	s_waitcnt lgkmcnt(0)
	; wave barrier
	ds_read_b128 v[16:19], v2 offset:1392
	ds_read_b128 v[12:15], v2 offset:1408
	;; [unrolled: 1-line block ×4, first 2 shown]
	scratch_load_dwordx4 v[20:23], off, off offset:528
	scratch_load_dwordx4 v[40:43], off, off offset:592
	;; [unrolled: 1-line block ×17, first 2 shown]
	v_cmp_lt_u32_e32 vcc, 30, v250
	scratch_load_dwordx4 v[48:51], off, off offset:608
	scratch_load_dwordx4 v[56:59], off, off offset:624
	;; [unrolled: 1-line block ×3, first 2 shown]
	s_waitcnt vmcnt(19) lgkmcnt(3)
	v_mul_f64 v[24:25], v[16:17], v[22:23]
	v_fmac_f64_e32 v[24:25], v[18:19], v[20:21]
	v_add_f64 v[28:29], v[24:25], 0
	scratch_load_dwordx4 v[24:27], off, off offset:544
	v_mul_f64 v[18:19], v[18:19], v[22:23]
	v_fma_f64 v[16:17], v[16:17], v[20:21], -v[18:19]
	v_add_f64 v[16:17], v[16:17], 0
	s_waitcnt vmcnt(0) lgkmcnt(2)
	v_mul_f64 v[30:31], v[12:13], v[26:27]
	v_fmac_f64_e32 v[30:31], v[14:15], v[24:25]
	v_add_f64 v[32:33], v[28:29], v[30:31]
	scratch_load_dwordx4 v[28:31], off, off offset:560
	v_mul_f64 v[14:15], v[14:15], v[26:27]
	v_fma_f64 v[12:13], v[12:13], v[24:25], -v[14:15]
	v_add_f64 v[12:13], v[16:17], v[12:13]
	;; [unrolled: 8-line block ×3, first 2 shown]
	s_waitcnt vmcnt(0) lgkmcnt(0)
	v_mul_f64 v[38:39], v[4:5], v[34:35]
	v_fmac_f64_e32 v[38:39], v[6:7], v[32:33]
	v_add_f64 v[44:45], v[36:37], v[38:39]
	ds_read_b128 v[36:39], v2 offset:1456
	v_mul_f64 v[6:7], v[6:7], v[34:35]
	v_fma_f64 v[4:5], v[4:5], v[32:33], -v[6:7]
	v_add_f64 v[4:5], v[8:9], v[4:5]
	s_waitcnt lgkmcnt(0)
	v_mul_f64 v[46:47], v[36:37], v[42:43]
	v_fmac_f64_e32 v[46:47], v[38:39], v[40:41]
	v_add_f64 v[52:53], v[44:45], v[46:47]
	ds_read_b128 v[44:47], v2 offset:1472
	v_mul_f64 v[6:7], v[38:39], v[42:43]
	v_fma_f64 v[6:7], v[36:37], v[40:41], -v[6:7]
	v_add_f64 v[4:5], v[4:5], v[6:7]
	s_waitcnt lgkmcnt(0)
	;; [unrolled: 8-line block ×19, first 2 shown]
	v_mul_f64 v[6:7], v[184:185], v[188:189]
	v_fma_f64 v[6:7], v[182:183], v[186:187], -v[6:7]
	v_add_f64 v[8:9], v[4:5], v[6:7]
	scratch_load_dwordx4 v[4:7], off, off offset:512
	v_mul_f64 v[190:191], v[182:183], v[188:189]
	v_fmac_f64_e32 v[190:191], v[184:185], v[186:187]
	v_add_f64 v[128:129], v[128:129], v[190:191]
	s_waitcnt vmcnt(0)
	v_add_f64 v[4:5], v[4:5], -v[8:9]
	v_add_f64 v[6:7], v[6:7], -v[128:129]
	scratch_store_dwordx4 off, v[4:7], off offset:512
	s_and_saveexec_b64 s[0:1], vcc
	s_cbranch_execz .LBB54_283
; %bb.282:
	scratch_load_dwordx4 v[6:9], off, s63
	v_mov_b32_e32 v3, v2
	v_mov_b32_e32 v4, v2
	;; [unrolled: 1-line block ×3, first 2 shown]
	v_accvgpr_read_b32 v0, a111
	scratch_store_dwordx4 off, v[2:5], off offset:496
	s_waitcnt vmcnt(1)
	ds_write_b128 v0, v[6:9]
.LBB54_283:
	s_or_b64 exec, exec, s[0:1]
	s_waitcnt lgkmcnt(0)
	; wave barrier
	ds_read_b128 v[16:19], v2 offset:1376
	ds_read_b128 v[12:15], v2 offset:1392
	;; [unrolled: 1-line block ×4, first 2 shown]
	scratch_load_dwordx4 v[20:23], off, off offset:512
	scratch_load_dwordx4 v[40:43], off, off offset:576
	;; [unrolled: 1-line block ×18, first 2 shown]
	v_cmp_lt_u32_e32 vcc, 29, v250
	scratch_load_dwordx4 v[48:51], off, off offset:592
	scratch_load_dwordx4 v[56:59], off, off offset:608
	;; [unrolled: 1-line block ×3, first 2 shown]
	s_waitcnt vmcnt(20) lgkmcnt(3)
	v_mul_f64 v[24:25], v[16:17], v[22:23]
	v_fmac_f64_e32 v[24:25], v[18:19], v[20:21]
	v_add_f64 v[28:29], v[24:25], 0
	scratch_load_dwordx4 v[24:27], off, off offset:528
	s_waitcnt vmcnt(0) lgkmcnt(2)
	v_mul_f64 v[30:31], v[12:13], v[26:27]
	v_fmac_f64_e32 v[30:31], v[14:15], v[24:25]
	v_add_f64 v[32:33], v[28:29], v[30:31]
	scratch_load_dwordx4 v[28:31], off, off offset:544
	v_mul_f64 v[14:15], v[14:15], v[26:27]
	v_fma_f64 v[12:13], v[12:13], v[24:25], -v[14:15]
	s_waitcnt vmcnt(0) lgkmcnt(1)
	v_mul_f64 v[34:35], v[8:9], v[30:31]
	v_fmac_f64_e32 v[34:35], v[10:11], v[28:29]
	v_add_f64 v[36:37], v[32:33], v[34:35]
	scratch_load_dwordx4 v[32:35], off, off offset:560
	v_mul_f64 v[10:11], v[10:11], v[30:31]
	v_fma_f64 v[8:9], v[8:9], v[28:29], -v[10:11]
	s_waitcnt vmcnt(0) lgkmcnt(0)
	v_mul_f64 v[38:39], v[4:5], v[34:35]
	v_fmac_f64_e32 v[38:39], v[6:7], v[32:33]
	v_add_f64 v[44:45], v[36:37], v[38:39]
	ds_read_b128 v[36:39], v2 offset:1440
	v_mul_f64 v[6:7], v[6:7], v[34:35]
	v_fma_f64 v[4:5], v[4:5], v[32:33], -v[6:7]
	s_waitcnt lgkmcnt(0)
	v_mul_f64 v[46:47], v[36:37], v[42:43]
	v_fmac_f64_e32 v[46:47], v[38:39], v[40:41]
	v_add_f64 v[52:53], v[44:45], v[46:47]
	ds_read_b128 v[44:47], v2 offset:1456
	s_waitcnt lgkmcnt(0)
	v_mul_f64 v[54:55], v[44:45], v[50:51]
	v_fmac_f64_e32 v[54:55], v[46:47], v[48:49]
	v_add_f64 v[60:61], v[52:53], v[54:55]
	ds_read_b128 v[52:55], v2 offset:1472
	;; [unrolled: 5-line block ×19, first 2 shown]
	s_waitcnt lgkmcnt(0)
	v_mul_f64 v[2:3], v[190:191], v[196:197]
	v_fmac_f64_e32 v[2:3], v[192:193], v[194:195]
	v_add_f64 v[148:149], v[148:149], v[2:3]
	v_mul_f64 v[2:3], v[18:19], v[22:23]
	v_fma_f64 v[2:3], v[16:17], v[20:21], -v[2:3]
	v_add_f64 v[2:3], v[2:3], 0
	v_add_f64 v[2:3], v[2:3], v[12:13]
	v_add_f64 v[2:3], v[2:3], v[8:9]
	v_add_f64 v[2:3], v[2:3], v[4:5]
	v_mul_f64 v[4:5], v[38:39], v[42:43]
	v_fma_f64 v[4:5], v[36:37], v[40:41], -v[4:5]
	v_add_f64 v[2:3], v[2:3], v[4:5]
	v_mul_f64 v[4:5], v[46:47], v[50:51]
	v_fma_f64 v[4:5], v[44:45], v[48:49], -v[4:5]
	v_add_f64 v[2:3], v[2:3], v[4:5]
	;; [unrolled: 3-line block ×20, first 2 shown]
	scratch_load_dwordx4 v[2:5], off, off offset:496
	s_waitcnt vmcnt(0)
	v_add_f64 v[2:3], v[2:3], -v[6:7]
	v_add_f64 v[4:5], v[4:5], -v[148:149]
	scratch_store_dwordx4 off, v[2:5], off offset:496
	s_and_saveexec_b64 s[0:1], vcc
	s_cbranch_execz .LBB54_285
; %bb.284:
	scratch_load_dwordx4 v[2:5], off, s62
	v_mov_b32_e32 v6, 0
	v_mov_b32_e32 v7, v6
	;; [unrolled: 1-line block ×4, first 2 shown]
	v_accvgpr_read_b32 v0, a111
	scratch_store_dwordx4 off, v[6:9], off offset:480
	s_waitcnt vmcnt(1)
	ds_write_b128 v0, v[2:5]
.LBB54_285:
	s_or_b64 exec, exec, s[0:1]
	v_mov_b32_e32 v2, 0
	s_waitcnt lgkmcnt(0)
	; wave barrier
	ds_read_b128 v[16:19], v2 offset:1360
	ds_read_b128 v[12:15], v2 offset:1376
	;; [unrolled: 1-line block ×4, first 2 shown]
	scratch_load_dwordx4 v[20:23], off, off offset:496
	scratch_load_dwordx4 v[40:43], off, off offset:560
	scratch_load_dwordx4 v[72:75], off, off offset:624
	scratch_load_dwordx4 v[80:83], off, off offset:640
	scratch_load_dwordx4 v[88:91], off, off offset:656
	scratch_load_dwordx4 v[96:99], off, off offset:672
	scratch_load_dwordx4 v[104:107], off, off offset:688
	scratch_load_dwordx4 v[112:115], off, off offset:704
	scratch_load_dwordx4 v[120:123], off, off offset:720
	scratch_load_dwordx4 v[128:131], off, off offset:736
	scratch_load_dwordx4 v[136:139], off, off offset:752
	scratch_load_dwordx4 v[146:149], off, off offset:768
	scratch_load_dwordx4 v[154:157], off, off offset:784
	scratch_load_dwordx4 v[162:165], off, off offset:800
	scratch_load_dwordx4 v[170:173], off, off offset:816
	scratch_load_dwordx4 v[178:181], off, off offset:832
	scratch_load_dwordx4 v[186:189], off, off offset:848
	scratch_load_dwordx4 v[194:197], off, off offset:864
	scratch_load_dwordx4 v[202:205], off, off offset:880
	v_cmp_lt_u32_e32 vcc, 28, v250
	scratch_load_dwordx4 v[48:51], off, off offset:576
	scratch_load_dwordx4 v[56:59], off, off offset:592
	;; [unrolled: 1-line block ×3, first 2 shown]
	s_waitcnt vmcnt(21) lgkmcnt(3)
	v_mul_f64 v[24:25], v[16:17], v[22:23]
	v_fmac_f64_e32 v[24:25], v[18:19], v[20:21]
	v_add_f64 v[28:29], v[24:25], 0
	scratch_load_dwordx4 v[24:27], off, off offset:512
	v_mul_f64 v[18:19], v[18:19], v[22:23]
	v_fma_f64 v[16:17], v[16:17], v[20:21], -v[18:19]
	v_add_f64 v[16:17], v[16:17], 0
	s_waitcnt vmcnt(0) lgkmcnt(2)
	v_mul_f64 v[30:31], v[12:13], v[26:27]
	v_fmac_f64_e32 v[30:31], v[14:15], v[24:25]
	v_add_f64 v[32:33], v[28:29], v[30:31]
	scratch_load_dwordx4 v[28:31], off, off offset:528
	v_mul_f64 v[14:15], v[14:15], v[26:27]
	v_fma_f64 v[12:13], v[12:13], v[24:25], -v[14:15]
	v_add_f64 v[12:13], v[16:17], v[12:13]
	;; [unrolled: 8-line block ×3, first 2 shown]
	s_waitcnt vmcnt(0) lgkmcnt(0)
	v_mul_f64 v[38:39], v[4:5], v[34:35]
	v_fmac_f64_e32 v[38:39], v[6:7], v[32:33]
	v_add_f64 v[44:45], v[36:37], v[38:39]
	ds_read_b128 v[36:39], v2 offset:1424
	v_mul_f64 v[6:7], v[6:7], v[34:35]
	v_fma_f64 v[4:5], v[4:5], v[32:33], -v[6:7]
	v_add_f64 v[4:5], v[8:9], v[4:5]
	s_waitcnt lgkmcnt(0)
	v_mul_f64 v[46:47], v[36:37], v[42:43]
	v_fmac_f64_e32 v[46:47], v[38:39], v[40:41]
	v_add_f64 v[52:53], v[44:45], v[46:47]
	ds_read_b128 v[44:47], v2 offset:1440
	v_mul_f64 v[6:7], v[38:39], v[42:43]
	v_fma_f64 v[6:7], v[36:37], v[40:41], -v[6:7]
	v_add_f64 v[4:5], v[4:5], v[6:7]
	s_waitcnt lgkmcnt(0)
	;; [unrolled: 8-line block ×21, first 2 shown]
	v_mul_f64 v[6:7], v[200:201], v[204:205]
	v_fma_f64 v[6:7], v[198:199], v[202:203], -v[6:7]
	v_add_f64 v[8:9], v[4:5], v[6:7]
	scratch_load_dwordx4 v[4:7], off, off offset:480
	v_mul_f64 v[206:207], v[198:199], v[204:205]
	v_fmac_f64_e32 v[206:207], v[200:201], v[202:203]
	v_add_f64 v[144:145], v[144:145], v[206:207]
	s_waitcnt vmcnt(0)
	v_add_f64 v[4:5], v[4:5], -v[8:9]
	v_add_f64 v[6:7], v[6:7], -v[144:145]
	scratch_store_dwordx4 off, v[4:7], off offset:480
	s_and_saveexec_b64 s[0:1], vcc
	s_cbranch_execz .LBB54_287
; %bb.286:
	scratch_load_dwordx4 v[6:9], off, s61
	v_mov_b32_e32 v3, v2
	v_mov_b32_e32 v4, v2
	;; [unrolled: 1-line block ×3, first 2 shown]
	v_accvgpr_read_b32 v0, a111
	scratch_store_dwordx4 off, v[2:5], off offset:464
	s_waitcnt vmcnt(1)
	ds_write_b128 v0, v[6:9]
.LBB54_287:
	s_or_b64 exec, exec, s[0:1]
	s_waitcnt lgkmcnt(0)
	; wave barrier
	ds_read_b128 v[16:19], v2 offset:1344
	ds_read_b128 v[12:15], v2 offset:1360
	;; [unrolled: 1-line block ×4, first 2 shown]
	scratch_load_dwordx4 v[20:23], off, off offset:480
	scratch_load_dwordx4 v[40:43], off, off offset:544
	;; [unrolled: 1-line block ×20, first 2 shown]
	v_cmp_lt_u32_e32 vcc, 27, v250
	scratch_load_dwordx4 v[48:51], off, off offset:560
	scratch_load_dwordx4 v[56:59], off, off offset:576
	;; [unrolled: 1-line block ×3, first 2 shown]
	s_waitcnt vmcnt(22) lgkmcnt(3)
	v_mul_f64 v[24:25], v[16:17], v[22:23]
	v_fmac_f64_e32 v[24:25], v[18:19], v[20:21]
	v_add_f64 v[28:29], v[24:25], 0
	scratch_load_dwordx4 v[24:27], off, off offset:496
	s_waitcnt vmcnt(0) lgkmcnt(2)
	v_mul_f64 v[30:31], v[12:13], v[26:27]
	v_fmac_f64_e32 v[30:31], v[14:15], v[24:25]
	v_add_f64 v[32:33], v[28:29], v[30:31]
	scratch_load_dwordx4 v[28:31], off, off offset:512
	v_mul_f64 v[14:15], v[14:15], v[26:27]
	v_fma_f64 v[12:13], v[12:13], v[24:25], -v[14:15]
	s_waitcnt vmcnt(0) lgkmcnt(1)
	v_mul_f64 v[34:35], v[8:9], v[30:31]
	v_fmac_f64_e32 v[34:35], v[10:11], v[28:29]
	v_add_f64 v[36:37], v[32:33], v[34:35]
	scratch_load_dwordx4 v[32:35], off, off offset:528
	v_mul_f64 v[10:11], v[10:11], v[30:31]
	v_fma_f64 v[8:9], v[8:9], v[28:29], -v[10:11]
	s_waitcnt vmcnt(0) lgkmcnt(0)
	v_mul_f64 v[38:39], v[4:5], v[34:35]
	v_fmac_f64_e32 v[38:39], v[6:7], v[32:33]
	v_add_f64 v[44:45], v[36:37], v[38:39]
	ds_read_b128 v[36:39], v2 offset:1408
	v_mul_f64 v[6:7], v[6:7], v[34:35]
	v_fma_f64 v[4:5], v[4:5], v[32:33], -v[6:7]
	s_waitcnt lgkmcnt(0)
	v_mul_f64 v[46:47], v[36:37], v[42:43]
	v_fmac_f64_e32 v[46:47], v[38:39], v[40:41]
	v_add_f64 v[52:53], v[44:45], v[46:47]
	ds_read_b128 v[44:47], v2 offset:1424
	s_waitcnt lgkmcnt(0)
	v_mul_f64 v[54:55], v[44:45], v[50:51]
	v_fmac_f64_e32 v[54:55], v[46:47], v[48:49]
	v_add_f64 v[60:61], v[52:53], v[54:55]
	ds_read_b128 v[52:55], v2 offset:1440
	;; [unrolled: 5-line block ×21, first 2 shown]
	s_waitcnt lgkmcnt(0)
	v_mul_f64 v[2:3], v[206:207], v[212:213]
	v_fmac_f64_e32 v[2:3], v[208:209], v[210:211]
	v_add_f64 v[168:169], v[168:169], v[2:3]
	v_mul_f64 v[2:3], v[18:19], v[22:23]
	v_fma_f64 v[2:3], v[16:17], v[20:21], -v[2:3]
	v_add_f64 v[2:3], v[2:3], 0
	v_add_f64 v[2:3], v[2:3], v[12:13]
	;; [unrolled: 1-line block ×4, first 2 shown]
	v_mul_f64 v[4:5], v[38:39], v[42:43]
	v_fma_f64 v[4:5], v[36:37], v[40:41], -v[4:5]
	v_add_f64 v[2:3], v[2:3], v[4:5]
	v_mul_f64 v[4:5], v[46:47], v[50:51]
	v_fma_f64 v[4:5], v[44:45], v[48:49], -v[4:5]
	v_add_f64 v[2:3], v[2:3], v[4:5]
	;; [unrolled: 3-line block ×22, first 2 shown]
	scratch_load_dwordx4 v[2:5], off, off offset:464
	s_waitcnt vmcnt(0)
	v_add_f64 v[2:3], v[2:3], -v[6:7]
	v_add_f64 v[4:5], v[4:5], -v[168:169]
	scratch_store_dwordx4 off, v[2:5], off offset:464
	s_and_saveexec_b64 s[0:1], vcc
	s_cbranch_execz .LBB54_289
; %bb.288:
	scratch_load_dwordx4 v[2:5], off, s60
	v_mov_b32_e32 v6, 0
	v_mov_b32_e32 v7, v6
	;; [unrolled: 1-line block ×4, first 2 shown]
	v_accvgpr_read_b32 v0, a111
	scratch_store_dwordx4 off, v[6:9], off offset:448
	s_waitcnt vmcnt(1)
	ds_write_b128 v0, v[2:5]
.LBB54_289:
	s_or_b64 exec, exec, s[0:1]
	v_mov_b32_e32 v2, 0
	s_waitcnt lgkmcnt(0)
	; wave barrier
	ds_read_b128 v[16:19], v2 offset:1328
	ds_read_b128 v[12:15], v2 offset:1344
	;; [unrolled: 1-line block ×4, first 2 shown]
	scratch_load_dwordx4 v[20:23], off, off offset:464
	scratch_load_dwordx4 v[40:43], off, off offset:528
	scratch_load_dwordx4 v[72:75], off, off offset:592
	scratch_load_dwordx4 v[80:83], off, off offset:608
	scratch_load_dwordx4 v[88:91], off, off offset:624
	scratch_load_dwordx4 v[96:99], off, off offset:640
	scratch_load_dwordx4 v[104:107], off, off offset:656
	scratch_load_dwordx4 v[112:115], off, off offset:672
	scratch_load_dwordx4 v[120:123], off, off offset:688
	scratch_load_dwordx4 v[128:131], off, off offset:704
	scratch_load_dwordx4 v[136:139], off, off offset:720
	scratch_load_dwordx4 v[144:147], off, off offset:736
	scratch_load_dwordx4 v[152:155], off, off offset:752
	scratch_load_dwordx4 v[162:165], off, off offset:768
	scratch_load_dwordx4 v[170:173], off, off offset:784
	scratch_load_dwordx4 v[178:181], off, off offset:800
	scratch_load_dwordx4 v[186:189], off, off offset:816
	scratch_load_dwordx4 v[194:197], off, off offset:832
	scratch_load_dwordx4 v[202:205], off, off offset:848
	scratch_load_dwordx4 v[210:213], off, off offset:864
	scratch_load_dwordx4 v[218:221], off, off offset:880
	v_cmp_lt_u32_e32 vcc, 26, v250
	scratch_load_dwordx4 v[48:51], off, off offset:544
	scratch_load_dwordx4 v[56:59], off, off offset:560
	;; [unrolled: 1-line block ×3, first 2 shown]
	s_waitcnt vmcnt(23) lgkmcnt(3)
	v_mul_f64 v[24:25], v[16:17], v[22:23]
	v_fmac_f64_e32 v[24:25], v[18:19], v[20:21]
	v_add_f64 v[28:29], v[24:25], 0
	scratch_load_dwordx4 v[24:27], off, off offset:480
	v_mul_f64 v[18:19], v[18:19], v[22:23]
	v_fma_f64 v[16:17], v[16:17], v[20:21], -v[18:19]
	v_add_f64 v[16:17], v[16:17], 0
	s_waitcnt vmcnt(0) lgkmcnt(2)
	v_mul_f64 v[30:31], v[12:13], v[26:27]
	v_fmac_f64_e32 v[30:31], v[14:15], v[24:25]
	v_add_f64 v[32:33], v[28:29], v[30:31]
	scratch_load_dwordx4 v[28:31], off, off offset:496
	v_mul_f64 v[14:15], v[14:15], v[26:27]
	v_fma_f64 v[12:13], v[12:13], v[24:25], -v[14:15]
	v_add_f64 v[12:13], v[16:17], v[12:13]
	;; [unrolled: 8-line block ×3, first 2 shown]
	s_waitcnt vmcnt(0) lgkmcnt(0)
	v_mul_f64 v[38:39], v[4:5], v[34:35]
	v_fmac_f64_e32 v[38:39], v[6:7], v[32:33]
	v_add_f64 v[44:45], v[36:37], v[38:39]
	ds_read_b128 v[36:39], v2 offset:1392
	v_mul_f64 v[6:7], v[6:7], v[34:35]
	v_fma_f64 v[4:5], v[4:5], v[32:33], -v[6:7]
	v_add_f64 v[4:5], v[8:9], v[4:5]
	s_waitcnt lgkmcnt(0)
	v_mul_f64 v[46:47], v[36:37], v[42:43]
	v_fmac_f64_e32 v[46:47], v[38:39], v[40:41]
	v_add_f64 v[52:53], v[44:45], v[46:47]
	ds_read_b128 v[44:47], v2 offset:1408
	v_mul_f64 v[6:7], v[38:39], v[42:43]
	v_fma_f64 v[6:7], v[36:37], v[40:41], -v[6:7]
	v_add_f64 v[4:5], v[4:5], v[6:7]
	s_waitcnt lgkmcnt(0)
	;; [unrolled: 8-line block ×23, first 2 shown]
	v_mul_f64 v[6:7], v[216:217], v[220:221]
	v_fma_f64 v[6:7], v[214:215], v[218:219], -v[6:7]
	v_add_f64 v[8:9], v[4:5], v[6:7]
	scratch_load_dwordx4 v[4:7], off, off offset:448
	v_mul_f64 v[222:223], v[214:215], v[220:221]
	v_fmac_f64_e32 v[222:223], v[216:217], v[218:219]
	v_add_f64 v[160:161], v[160:161], v[222:223]
	s_waitcnt vmcnt(0)
	v_add_f64 v[4:5], v[4:5], -v[8:9]
	v_add_f64 v[6:7], v[6:7], -v[160:161]
	scratch_store_dwordx4 off, v[4:7], off offset:448
	s_and_saveexec_b64 s[0:1], vcc
	s_cbranch_execz .LBB54_291
; %bb.290:
	scratch_load_dwordx4 v[6:9], off, s59
	v_mov_b32_e32 v3, v2
	v_mov_b32_e32 v4, v2
	;; [unrolled: 1-line block ×3, first 2 shown]
	v_accvgpr_read_b32 v0, a111
	scratch_store_dwordx4 off, v[2:5], off offset:432
	s_waitcnt vmcnt(1)
	ds_write_b128 v0, v[6:9]
.LBB54_291:
	s_or_b64 exec, exec, s[0:1]
	s_waitcnt lgkmcnt(0)
	; wave barrier
	ds_read_b128 v[16:19], v2 offset:1312
	ds_read_b128 v[12:15], v2 offset:1328
	;; [unrolled: 1-line block ×4, first 2 shown]
	scratch_load_dwordx4 v[20:23], off, off offset:448
	scratch_load_dwordx4 v[40:43], off, off offset:512
	;; [unrolled: 1-line block ×22, first 2 shown]
	v_cmp_lt_u32_e32 vcc, 25, v250
	scratch_load_dwordx4 v[48:51], off, off offset:528
	scratch_load_dwordx4 v[56:59], off, off offset:544
	;; [unrolled: 1-line block ×3, first 2 shown]
	s_waitcnt vmcnt(24) lgkmcnt(3)
	v_mul_f64 v[24:25], v[16:17], v[22:23]
	v_fmac_f64_e32 v[24:25], v[18:19], v[20:21]
	v_add_f64 v[28:29], v[24:25], 0
	scratch_load_dwordx4 v[24:27], off, off offset:464
	s_waitcnt vmcnt(0) lgkmcnt(2)
	v_mul_f64 v[30:31], v[12:13], v[26:27]
	v_fmac_f64_e32 v[30:31], v[14:15], v[24:25]
	v_add_f64 v[32:33], v[28:29], v[30:31]
	scratch_load_dwordx4 v[28:31], off, off offset:480
	v_mul_f64 v[14:15], v[14:15], v[26:27]
	v_fma_f64 v[12:13], v[12:13], v[24:25], -v[14:15]
	s_waitcnt vmcnt(0) lgkmcnt(1)
	v_mul_f64 v[34:35], v[8:9], v[30:31]
	v_fmac_f64_e32 v[34:35], v[10:11], v[28:29]
	v_add_f64 v[36:37], v[32:33], v[34:35]
	scratch_load_dwordx4 v[32:35], off, off offset:496
	v_mul_f64 v[10:11], v[10:11], v[30:31]
	v_fma_f64 v[8:9], v[8:9], v[28:29], -v[10:11]
	s_waitcnt vmcnt(0) lgkmcnt(0)
	v_mul_f64 v[38:39], v[4:5], v[34:35]
	v_fmac_f64_e32 v[38:39], v[6:7], v[32:33]
	v_add_f64 v[44:45], v[36:37], v[38:39]
	ds_read_b128 v[36:39], v2 offset:1376
	v_mul_f64 v[6:7], v[6:7], v[34:35]
	v_fma_f64 v[4:5], v[4:5], v[32:33], -v[6:7]
	s_waitcnt lgkmcnt(0)
	v_mul_f64 v[46:47], v[36:37], v[42:43]
	v_fmac_f64_e32 v[46:47], v[38:39], v[40:41]
	v_add_f64 v[52:53], v[44:45], v[46:47]
	ds_read_b128 v[44:47], v2 offset:1392
	s_waitcnt lgkmcnt(0)
	v_mul_f64 v[54:55], v[44:45], v[50:51]
	v_fmac_f64_e32 v[54:55], v[46:47], v[48:49]
	v_add_f64 v[60:61], v[52:53], v[54:55]
	ds_read_b128 v[52:55], v2 offset:1408
	;; [unrolled: 5-line block ×23, first 2 shown]
	s_waitcnt lgkmcnt(0)
	v_mul_f64 v[2:3], v[222:223], v[228:229]
	v_fmac_f64_e32 v[2:3], v[224:225], v[226:227]
	v_add_f64 v[176:177], v[176:177], v[2:3]
	v_mul_f64 v[2:3], v[18:19], v[22:23]
	v_fma_f64 v[2:3], v[16:17], v[20:21], -v[2:3]
	v_add_f64 v[2:3], v[2:3], 0
	v_add_f64 v[2:3], v[2:3], v[12:13]
	;; [unrolled: 1-line block ×4, first 2 shown]
	v_mul_f64 v[4:5], v[38:39], v[42:43]
	v_fma_f64 v[4:5], v[36:37], v[40:41], -v[4:5]
	v_add_f64 v[2:3], v[2:3], v[4:5]
	v_mul_f64 v[4:5], v[46:47], v[50:51]
	v_fma_f64 v[4:5], v[44:45], v[48:49], -v[4:5]
	v_add_f64 v[2:3], v[2:3], v[4:5]
	;; [unrolled: 3-line block ×24, first 2 shown]
	scratch_load_dwordx4 v[2:5], off, off offset:432
	s_waitcnt vmcnt(0)
	v_add_f64 v[2:3], v[2:3], -v[6:7]
	v_add_f64 v[4:5], v[4:5], -v[176:177]
	scratch_store_dwordx4 off, v[2:5], off offset:432
	s_and_saveexec_b64 s[0:1], vcc
	s_cbranch_execz .LBB54_293
; %bb.292:
	scratch_load_dwordx4 v[2:5], off, s58
	v_mov_b32_e32 v6, 0
	v_mov_b32_e32 v7, v6
	;; [unrolled: 1-line block ×4, first 2 shown]
	v_accvgpr_read_b32 v0, a111
	scratch_store_dwordx4 off, v[6:9], off offset:416
	s_waitcnt vmcnt(1)
	ds_write_b128 v0, v[2:5]
.LBB54_293:
	s_or_b64 exec, exec, s[0:1]
	v_mov_b32_e32 v2, 0
	s_waitcnt lgkmcnt(0)
	; wave barrier
	ds_read_b128 v[16:19], v2 offset:1296
	ds_read_b128 v[12:15], v2 offset:1312
	;; [unrolled: 1-line block ×4, first 2 shown]
	scratch_load_dwordx4 v[20:23], off, off offset:432
	scratch_load_dwordx4 v[40:43], off, off offset:496
	;; [unrolled: 1-line block ×23, first 2 shown]
	v_cmp_lt_u32_e32 vcc, 24, v250
	scratch_load_dwordx4 v[48:51], off, off offset:512
	scratch_load_dwordx4 v[56:59], off, off offset:528
	;; [unrolled: 1-line block ×3, first 2 shown]
	s_waitcnt vmcnt(25) lgkmcnt(3)
	v_mul_f64 v[24:25], v[16:17], v[22:23]
	v_fmac_f64_e32 v[24:25], v[18:19], v[20:21]
	v_add_f64 v[28:29], v[24:25], 0
	scratch_load_dwordx4 v[24:27], off, off offset:448
	v_mul_f64 v[18:19], v[18:19], v[22:23]
	v_fma_f64 v[16:17], v[16:17], v[20:21], -v[18:19]
	v_add_f64 v[16:17], v[16:17], 0
	s_waitcnt vmcnt(0) lgkmcnt(2)
	v_mul_f64 v[30:31], v[12:13], v[26:27]
	v_fmac_f64_e32 v[30:31], v[14:15], v[24:25]
	v_add_f64 v[32:33], v[28:29], v[30:31]
	scratch_load_dwordx4 v[28:31], off, off offset:464
	v_mul_f64 v[14:15], v[14:15], v[26:27]
	v_fma_f64 v[12:13], v[12:13], v[24:25], -v[14:15]
	v_add_f64 v[12:13], v[16:17], v[12:13]
	;; [unrolled: 8-line block ×3, first 2 shown]
	s_waitcnt vmcnt(0) lgkmcnt(0)
	v_mul_f64 v[38:39], v[4:5], v[34:35]
	v_fmac_f64_e32 v[38:39], v[6:7], v[32:33]
	v_add_f64 v[44:45], v[36:37], v[38:39]
	ds_read_b128 v[36:39], v2 offset:1360
	v_mul_f64 v[6:7], v[6:7], v[34:35]
	v_fma_f64 v[4:5], v[4:5], v[32:33], -v[6:7]
	v_add_f64 v[4:5], v[8:9], v[4:5]
	s_waitcnt lgkmcnt(0)
	v_mul_f64 v[46:47], v[36:37], v[42:43]
	v_fmac_f64_e32 v[46:47], v[38:39], v[40:41]
	v_add_f64 v[52:53], v[44:45], v[46:47]
	ds_read_b128 v[44:47], v2 offset:1376
	v_mul_f64 v[6:7], v[38:39], v[42:43]
	v_fma_f64 v[6:7], v[36:37], v[40:41], -v[6:7]
	v_add_f64 v[4:5], v[4:5], v[6:7]
	s_waitcnt lgkmcnt(0)
	;; [unrolled: 8-line block ×25, first 2 shown]
	v_mul_f64 v[6:7], v[232:233], v[236:237]
	v_fma_f64 v[6:7], v[230:231], v[234:235], -v[6:7]
	v_add_f64 v[8:9], v[4:5], v[6:7]
	scratch_load_dwordx4 v[4:7], off, off offset:416
	v_mul_f64 v[238:239], v[230:231], v[236:237]
	v_fmac_f64_e32 v[238:239], v[232:233], v[234:235]
	v_add_f64 v[176:177], v[176:177], v[238:239]
	s_waitcnt vmcnt(0)
	v_add_f64 v[4:5], v[4:5], -v[8:9]
	v_add_f64 v[6:7], v[6:7], -v[176:177]
	scratch_store_dwordx4 off, v[4:7], off offset:416
	s_and_saveexec_b64 s[0:1], vcc
	s_cbranch_execz .LBB54_295
; %bb.294:
	scratch_load_dwordx4 v[6:9], off, s57
	v_mov_b32_e32 v3, v2
	v_mov_b32_e32 v4, v2
	;; [unrolled: 1-line block ×3, first 2 shown]
	v_accvgpr_read_b32 v0, a111
	scratch_store_dwordx4 off, v[2:5], off offset:400
	s_waitcnt vmcnt(1)
	ds_write_b128 v0, v[6:9]
.LBB54_295:
	s_or_b64 exec, exec, s[0:1]
	s_waitcnt lgkmcnt(0)
	; wave barrier
	ds_read_b128 v[16:19], v2 offset:1280
	ds_read_b128 v[12:15], v2 offset:1296
	;; [unrolled: 1-line block ×4, first 2 shown]
	scratch_load_dwordx4 v[20:23], off, off offset:416
	scratch_load_dwordx4 v[40:43], off, off offset:480
	;; [unrolled: 1-line block ×24, first 2 shown]
	v_cmp_lt_u32_e32 vcc, 23, v250
	scratch_load_dwordx4 v[48:51], off, off offset:496
	scratch_load_dwordx4 v[56:59], off, off offset:512
	;; [unrolled: 1-line block ×3, first 2 shown]
	s_waitcnt vmcnt(26) lgkmcnt(3)
	v_mul_f64 v[24:25], v[16:17], v[22:23]
	v_fmac_f64_e32 v[24:25], v[18:19], v[20:21]
	v_add_f64 v[28:29], v[24:25], 0
	scratch_load_dwordx4 v[24:27], off, off offset:432
	s_waitcnt vmcnt(0) lgkmcnt(2)
	v_mul_f64 v[30:31], v[12:13], v[26:27]
	v_fmac_f64_e32 v[30:31], v[14:15], v[24:25]
	v_add_f64 v[32:33], v[28:29], v[30:31]
	scratch_load_dwordx4 v[28:31], off, off offset:448
	v_mul_f64 v[14:15], v[14:15], v[26:27]
	v_fma_f64 v[12:13], v[12:13], v[24:25], -v[14:15]
	s_waitcnt vmcnt(0) lgkmcnt(1)
	v_mul_f64 v[34:35], v[8:9], v[30:31]
	v_fmac_f64_e32 v[34:35], v[10:11], v[28:29]
	v_add_f64 v[36:37], v[32:33], v[34:35]
	scratch_load_dwordx4 v[32:35], off, off offset:464
	v_mul_f64 v[10:11], v[10:11], v[30:31]
	v_fma_f64 v[8:9], v[8:9], v[28:29], -v[10:11]
	s_waitcnt vmcnt(0) lgkmcnt(0)
	v_mul_f64 v[38:39], v[4:5], v[34:35]
	v_fmac_f64_e32 v[38:39], v[6:7], v[32:33]
	v_add_f64 v[44:45], v[36:37], v[38:39]
	ds_read_b128 v[36:39], v2 offset:1344
	v_mul_f64 v[6:7], v[6:7], v[34:35]
	v_fma_f64 v[4:5], v[4:5], v[32:33], -v[6:7]
	s_waitcnt lgkmcnt(0)
	v_mul_f64 v[46:47], v[36:37], v[42:43]
	v_fmac_f64_e32 v[46:47], v[38:39], v[40:41]
	v_add_f64 v[52:53], v[44:45], v[46:47]
	ds_read_b128 v[44:47], v2 offset:1360
	s_waitcnt lgkmcnt(0)
	v_mul_f64 v[54:55], v[44:45], v[50:51]
	v_fmac_f64_e32 v[54:55], v[46:47], v[48:49]
	v_add_f64 v[60:61], v[52:53], v[54:55]
	ds_read_b128 v[52:55], v2 offset:1376
	;; [unrolled: 5-line block ×25, first 2 shown]
	s_waitcnt lgkmcnt(0)
	v_mul_f64 v[2:3], v[238:239], v[244:245]
	v_fmac_f64_e32 v[2:3], v[240:241], v[242:243]
	v_add_f64 v[184:185], v[184:185], v[2:3]
	v_mul_f64 v[2:3], v[18:19], v[22:23]
	v_fma_f64 v[2:3], v[16:17], v[20:21], -v[2:3]
	v_add_f64 v[2:3], v[2:3], 0
	v_add_f64 v[2:3], v[2:3], v[12:13]
	;; [unrolled: 1-line block ×4, first 2 shown]
	v_mul_f64 v[4:5], v[38:39], v[42:43]
	v_fma_f64 v[4:5], v[36:37], v[40:41], -v[4:5]
	v_add_f64 v[2:3], v[2:3], v[4:5]
	v_mul_f64 v[4:5], v[46:47], v[50:51]
	v_fma_f64 v[4:5], v[44:45], v[48:49], -v[4:5]
	v_add_f64 v[2:3], v[2:3], v[4:5]
	;; [unrolled: 3-line block ×26, first 2 shown]
	scratch_load_dwordx4 v[2:5], off, off offset:400
	s_waitcnt vmcnt(0)
	v_add_f64 v[2:3], v[2:3], -v[6:7]
	v_add_f64 v[4:5], v[4:5], -v[184:185]
	scratch_store_dwordx4 off, v[2:5], off offset:400
	s_and_saveexec_b64 s[0:1], vcc
	s_cbranch_execz .LBB54_297
; %bb.296:
	scratch_load_dwordx4 v[2:5], off, s56
	v_mov_b32_e32 v6, 0
	v_mov_b32_e32 v7, v6
	;; [unrolled: 1-line block ×4, first 2 shown]
	v_accvgpr_read_b32 v0, a111
	scratch_store_dwordx4 off, v[6:9], off offset:384
	s_waitcnt vmcnt(1)
	ds_write_b128 v0, v[2:5]
.LBB54_297:
	s_or_b64 exec, exec, s[0:1]
	s_waitcnt lgkmcnt(0)
	; wave barrier
	scratch_load_dwordx4 v[16:19], off, off offset:400
	scratch_load_dwordx4 v[12:15], off, off offset:416
	;; [unrolled: 1-line block ×32, first 2 shown]
	v_mov_b32_e32 v2, 0
	ds_read_b128 v[132:135], v2 offset:1264
	ds_read_b128 v[136:139], v2 offset:1280
	;; [unrolled: 1-line block ×17, first 2 shown]
	v_cmp_lt_u32_e32 vcc, 22, v250
	s_waitcnt vmcnt(31) lgkmcnt(14)
	v_mul_f64 v[200:201], v[132:133], v[18:19]
	s_waitcnt vmcnt(30)
	v_mul_f64 v[202:203], v[136:137], v[14:15]
	v_fmac_f64_e32 v[200:201], v[134:135], v[16:17]
	s_waitcnt vmcnt(29)
	v_mul_f64 v[204:205], v[140:141], v[10:11]
	v_fmac_f64_e32 v[202:203], v[138:139], v[12:13]
	v_add_f64 v[200:201], v[200:201], 0
	s_waitcnt vmcnt(28) lgkmcnt(13)
	v_mul_f64 v[206:207], v[144:145], v[6:7]
	v_fmac_f64_e32 v[204:205], v[142:143], v[8:9]
	v_add_f64 v[200:201], v[200:201], v[202:203]
	s_waitcnt vmcnt(27) lgkmcnt(12)
	;; [unrolled: 4-line block ×12, first 2 shown]
	v_mul_f64 v[228:229], v[188:189], v[62:63]
	v_fmac_f64_e32 v[226:227], v[186:187], v[56:57]
	v_add_f64 v[200:201], v[200:201], v[224:225]
	v_fmac_f64_e32 v[228:229], v[190:191], v[60:61]
	v_add_f64 v[200:201], v[200:201], v[226:227]
	s_waitcnt vmcnt(16) lgkmcnt(1)
	v_mul_f64 v[202:203], v[192:193], v[66:67]
	v_add_f64 v[200:201], v[200:201], v[228:229]
	v_fmac_f64_e32 v[202:203], v[194:195], v[64:65]
	s_waitcnt vmcnt(15) lgkmcnt(0)
	v_mul_f64 v[206:207], v[196:197], v[70:71]
	v_add_f64 v[204:205], v[200:201], v[202:203]
	ds_read_b128 v[200:203], v2 offset:1536
	v_fmac_f64_e32 v[206:207], v[198:199], v[68:69]
	v_add_f64 v[208:209], v[204:205], v[206:207]
	ds_read_b128 v[204:207], v2 offset:1552
	v_mul_f64 v[18:19], v[134:135], v[18:19]
	s_waitcnt vmcnt(14) lgkmcnt(1)
	v_mul_f64 v[210:211], v[200:201], v[74:75]
	v_fmac_f64_e32 v[210:211], v[202:203], v[72:73]
	v_add_f64 v[212:213], v[208:209], v[210:211]
	s_waitcnt vmcnt(13) lgkmcnt(0)
	v_mul_f64 v[214:215], v[204:205], v[78:79]
	ds_read_b128 v[208:211], v2 offset:1568
	v_fmac_f64_e32 v[214:215], v[206:207], v[76:77]
	v_add_f64 v[216:217], v[212:213], v[214:215]
	ds_read_b128 v[212:215], v2 offset:1584
	v_fma_f64 v[242:243], v[132:133], v[16:17], -v[18:19]
	s_waitcnt vmcnt(12) lgkmcnt(1)
	v_mul_f64 v[218:219], v[208:209], v[82:83]
	v_fmac_f64_e32 v[218:219], v[210:211], v[80:81]
	v_add_f64 v[220:221], v[216:217], v[218:219]
	s_waitcnt vmcnt(11) lgkmcnt(0)
	v_mul_f64 v[222:223], v[212:213], v[86:87]
	ds_read_b128 v[216:219], v2 offset:1600
	v_fmac_f64_e32 v[222:223], v[214:215], v[84:85]
	v_add_f64 v[224:225], v[220:221], v[222:223]
	ds_read_b128 v[220:223], v2 offset:1616
	ds_read_b128 v[16:19], v2 offset:1696
	s_waitcnt vmcnt(10) lgkmcnt(2)
	v_mul_f64 v[226:227], v[216:217], v[90:91]
	v_fmac_f64_e32 v[226:227], v[218:219], v[88:89]
	v_add_f64 v[228:229], v[224:225], v[226:227]
	s_waitcnt vmcnt(9) lgkmcnt(1)
	v_mul_f64 v[230:231], v[220:221], v[94:95]
	ds_read_b128 v[224:227], v2 offset:1632
	v_fmac_f64_e32 v[230:231], v[222:223], v[92:93]
	v_add_f64 v[232:233], v[228:229], v[230:231]
	ds_read_b128 v[228:231], v2 offset:1648
	v_mul_f64 v[14:15], v[138:139], v[14:15]
	s_waitcnt vmcnt(8) lgkmcnt(1)
	v_mul_f64 v[234:235], v[224:225], v[98:99]
	v_fmac_f64_e32 v[234:235], v[226:227], v[96:97]
	v_add_f64 v[236:237], v[232:233], v[234:235]
	s_waitcnt vmcnt(7) lgkmcnt(0)
	v_mul_f64 v[238:239], v[228:229], v[102:103]
	ds_read_b128 v[232:235], v2 offset:1664
	v_fmac_f64_e32 v[238:239], v[230:231], v[100:101]
	v_add_f64 v[240:241], v[236:237], v[238:239]
	ds_read_b128 v[236:239], v2 offset:1680
	v_fma_f64 v[136:137], v[136:137], v[12:13], -v[14:15]
	s_waitcnt vmcnt(6) lgkmcnt(1)
	v_mul_f64 v[132:133], v[232:233], v[106:107]
	v_fmac_f64_e32 v[132:133], v[234:235], v[104:105]
	v_add_f64 v[132:133], v[240:241], v[132:133]
	s_waitcnt vmcnt(5) lgkmcnt(0)
	v_mul_f64 v[134:135], v[236:237], v[110:111]
	v_fmac_f64_e32 v[134:135], v[238:239], v[108:109]
	v_add_f64 v[132:133], v[132:133], v[134:135]
	ds_read_b128 v[12:15], v2 offset:1712
	s_waitcnt vmcnt(4)
	v_mul_f64 v[134:135], v[16:17], v[114:115]
	v_fmac_f64_e32 v[134:135], v[18:19], v[112:113]
	v_add_f64 v[138:139], v[132:133], v[134:135]
	ds_read_b128 v[132:135], v2 offset:1728
	v_mul_f64 v[10:11], v[142:143], v[10:11]
	v_fma_f64 v[140:141], v[140:141], v[8:9], -v[10:11]
	ds_read_b128 v[8:11], v2 offset:1744
	s_waitcnt vmcnt(3) lgkmcnt(2)
	v_mul_f64 v[142:143], v[12:13], v[118:119]
	v_fmac_f64_e32 v[142:143], v[14:15], v[116:117]
	v_add_f64 v[138:139], v[138:139], v[142:143]
	s_waitcnt vmcnt(2) lgkmcnt(1)
	v_mul_f64 v[142:143], v[132:133], v[122:123]
	v_fmac_f64_e32 v[142:143], v[134:135], v[120:121]
	v_add_f64 v[138:139], v[138:139], v[142:143]
	;; [unrolled: 4-line block ×3, first 2 shown]
	v_add_f64 v[142:143], v[242:243], 0
	v_add_f64 v[136:137], v[142:143], v[136:137]
	v_mul_f64 v[6:7], v[146:147], v[6:7]
	v_add_f64 v[136:137], v[136:137], v[140:141]
	v_fma_f64 v[4:5], v[144:145], v[4:5], -v[6:7]
	v_mul_f64 v[6:7], v[150:151], v[22:23]
	v_add_f64 v[4:5], v[136:137], v[4:5]
	v_fma_f64 v[6:7], v[148:149], v[20:21], -v[6:7]
	v_add_f64 v[4:5], v[4:5], v[6:7]
	v_mul_f64 v[6:7], v[154:155], v[26:27]
	v_fma_f64 v[6:7], v[152:153], v[24:25], -v[6:7]
	v_add_f64 v[4:5], v[4:5], v[6:7]
	v_mul_f64 v[6:7], v[158:159], v[30:31]
	;; [unrolled: 3-line block ×26, first 2 shown]
	v_fma_f64 v[6:7], v[8:9], v[124:125], -v[6:7]
	v_add_f64 v[4:5], v[4:5], v[6:7]
	s_waitcnt vmcnt(0)
	v_add_f64 v[4:5], v[128:129], -v[4:5]
	v_add_f64 v[6:7], v[130:131], -v[138:139]
	scratch_store_dwordx4 off, v[4:7], off offset:384
	s_and_saveexec_b64 s[0:1], vcc
	s_cbranch_execz .LBB54_299
; %bb.298:
	scratch_load_dwordx4 v[6:9], off, s55
	v_mov_b32_e32 v3, v2
	v_mov_b32_e32 v4, v2
	;; [unrolled: 1-line block ×3, first 2 shown]
	v_accvgpr_read_b32 v0, a111
	scratch_store_dwordx4 off, v[2:5], off offset:368
	s_waitcnt vmcnt(1)
	ds_write_b128 v0, v[6:9]
.LBB54_299:
	s_or_b64 exec, exec, s[0:1]
	s_waitcnt lgkmcnt(0)
	; wave barrier
	scratch_load_dwordx4 v[140:143], off, off offset:384
	scratch_load_dwordx4 v[148:151], off, off offset:400
	;; [unrolled: 1-line block ×16, first 2 shown]
	ds_read_b128 v[188:191], v2 offset:1248
	ds_read_b128 v[184:187], v2 offset:1264
	scratch_load_dwordx4 v[56:59], off, off offset:640
	ds_read_b128 v[192:195], v2 offset:1280
	ds_read_b128 v[68:71], v2 offset:1296
	scratch_load_dwordx4 v[60:63], off, off offset:656
	ds_read_b128 v[88:91], v2 offset:1312
	ds_read_b128 v[84:87], v2 offset:1328
	;; [unrolled: 1-line block ×4, first 2 shown]
	scratch_load_dwordx4 v[64:67], off, off offset:672
	ds_read_b128 v[100:103], v2 offset:1376
	ds_read_b128 v[96:99], v2 offset:1392
	scratch_load_dwordx4 v[72:75], off, off offset:688
	ds_read_b128 v[116:119], v2 offset:1408
	ds_read_b128 v[112:115], v2 offset:1424
	;; [unrolled: 1-line block ×4, first 2 shown]
	scratch_load_dwordx4 v[92:95], off, off offset:704
	ds_read_b128 v[132:135], v2 offset:1472
	ds_read_b128 v[128:131], v2 offset:1488
	;; [unrolled: 1-line block ×3, first 2 shown]
	scratch_load_dwordx4 v[120:123], off, off offset:720
	scratch_load_dwordx4 v[136:139], off, off offset:736
	;; [unrolled: 1-line block ×11, first 2 shown]
	v_cmp_lt_u32_e32 vcc, 21, v250
	s_waitcnt vmcnt(31) lgkmcnt(14)
	v_mul_f64 v[200:201], v[188:189], v[142:143]
	s_waitcnt vmcnt(30)
	v_mul_f64 v[202:203], v[184:185], v[150:151]
	v_fmac_f64_e32 v[200:201], v[190:191], v[140:141]
	s_waitcnt vmcnt(29)
	v_mul_f64 v[204:205], v[192:193], v[154:155]
	v_fmac_f64_e32 v[202:203], v[186:187], v[148:149]
	v_add_f64 v[200:201], v[200:201], 0
	s_waitcnt vmcnt(28) lgkmcnt(13)
	v_mul_f64 v[206:207], v[68:69], v[6:7]
	v_fmac_f64_e32 v[204:205], v[194:195], v[152:153]
	v_add_f64 v[200:201], v[200:201], v[202:203]
	s_waitcnt vmcnt(27) lgkmcnt(12)
	;; [unrolled: 4-line block ×13, first 2 shown]
	v_mul_f64 v[230:231], v[128:129], v[54:55]
	v_fmac_f64_e32 v[228:229], v[134:135], v[48:49]
	v_add_f64 v[200:201], v[200:201], v[226:227]
	v_add_f64 v[200:201], v[200:201], v[228:229]
	v_fmac_f64_e32 v[230:231], v[130:131], v[52:53]
	v_add_f64 v[204:205], v[200:201], v[230:231]
	ds_read_b128 v[200:203], v2 offset:1520
	s_waitcnt vmcnt(15) lgkmcnt(1)
	v_mul_f64 v[206:207], v[124:125], v[58:59]
	v_fmac_f64_e32 v[206:207], v[126:127], v[56:57]
	v_add_f64 v[208:209], v[204:205], v[206:207]
	ds_read_b128 v[204:207], v2 offset:1536
	s_waitcnt vmcnt(14) lgkmcnt(1)
	v_mul_f64 v[210:211], v[200:201], v[62:63]
	;; [unrolled: 5-line block ×10, first 2 shown]
	v_fmac_f64_e32 v[242:243], v[234:235], v[160:161]
	v_mul_f64 v[142:143], v[190:191], v[142:143]
	v_add_f64 v[242:243], v[240:241], v[242:243]
	v_fma_f64 v[240:241], v[188:189], v[140:141], -v[142:143]
	ds_read_b128 v[140:143], v2 offset:1680
	s_waitcnt vmcnt(5) lgkmcnt(1)
	v_mul_f64 v[188:189], v[236:237], v[166:167]
	v_fmac_f64_e32 v[188:189], v[238:239], v[164:165]
	v_mul_f64 v[150:151], v[186:187], v[150:151]
	v_add_f64 v[188:189], v[242:243], v[188:189]
	v_fma_f64 v[242:243], v[184:185], v[148:149], -v[150:151]
	ds_read_b128 v[148:151], v2 offset:1696
	s_waitcnt vmcnt(4) lgkmcnt(1)
	v_mul_f64 v[184:185], v[140:141], v[170:171]
	v_fmac_f64_e32 v[184:185], v[142:143], v[168:169]
	v_add_f64 v[188:189], v[188:189], v[184:185]
	ds_read_b128 v[184:187], v2 offset:1712
	v_mul_f64 v[154:155], v[194:195], v[154:155]
	s_waitcnt vmcnt(3) lgkmcnt(1)
	v_mul_f64 v[190:191], v[148:149], v[174:175]
	v_fma_f64 v[254:255], v[192:193], v[152:153], -v[154:155]
	ds_read_b128 v[152:155], v2 offset:1728
	v_fmac_f64_e32 v[190:191], v[150:151], v[172:173]
	v_add_f64 v[244:245], v[188:189], v[190:191]
	ds_read_b128 v[188:191], v2 offset:1744
	s_waitcnt vmcnt(2) lgkmcnt(2)
	v_mul_f64 v[192:193], v[184:185], v[178:179]
	v_fmac_f64_e32 v[192:193], v[186:187], v[176:177]
	v_add_f64 v[2:3], v[244:245], v[192:193]
	s_waitcnt vmcnt(1) lgkmcnt(1)
	v_mul_f64 v[192:193], v[152:153], v[182:183]
	v_fmac_f64_e32 v[192:193], v[154:155], v[180:181]
	v_add_f64 v[2:3], v[2:3], v[192:193]
	;; [unrolled: 4-line block ×3, first 2 shown]
	scratch_load_dwordx4 v[192:195], off, off offset:368
	v_add_f64 v[240:241], v[240:241], 0
	v_add_f64 v[240:241], v[240:241], v[242:243]
	v_mul_f64 v[6:7], v[70:71], v[6:7]
	v_add_f64 v[240:241], v[240:241], v[254:255]
	v_fma_f64 v[4:5], v[68:69], v[4:5], -v[6:7]
	v_mul_f64 v[6:7], v[90:91], v[10:11]
	v_add_f64 v[4:5], v[240:241], v[4:5]
	v_fma_f64 v[6:7], v[88:89], v[8:9], -v[6:7]
	v_add_f64 v[4:5], v[4:5], v[6:7]
	v_mul_f64 v[6:7], v[86:87], v[14:15]
	v_fma_f64 v[6:7], v[84:85], v[12:13], -v[6:7]
	v_add_f64 v[4:5], v[4:5], v[6:7]
	v_mul_f64 v[6:7], v[82:83], v[18:19]
	;; [unrolled: 3-line block ×27, first 2 shown]
	v_fma_f64 v[6:7], v[188:189], v[196:197], -v[6:7]
	v_add_f64 v[4:5], v[4:5], v[6:7]
	s_waitcnt vmcnt(0)
	v_add_f64 v[4:5], v[192:193], -v[4:5]
	v_add_f64 v[6:7], v[194:195], -v[2:3]
	scratch_store_dwordx4 off, v[4:7], off offset:368
	s_and_saveexec_b64 s[0:1], vcc
	s_cbranch_execz .LBB54_301
; %bb.300:
	scratch_load_dwordx4 v[2:5], off, s54
	v_mov_b32_e32 v6, 0
	v_mov_b32_e32 v7, v6
	;; [unrolled: 1-line block ×4, first 2 shown]
	v_accvgpr_read_b32 v0, a111
	scratch_store_dwordx4 off, v[6:9], off offset:352
	s_waitcnt vmcnt(1)
	ds_write_b128 v0, v[2:5]
.LBB54_301:
	s_or_b64 exec, exec, s[0:1]
	s_waitcnt lgkmcnt(0)
	; wave barrier
	scratch_load_dwordx4 v[108:111], off, off offset:368
	scratch_load_dwordx4 v[116:119], off, off offset:384
	;; [unrolled: 1-line block ×33, first 2 shown]
	v_mov_b32_e32 v2, 0
	ds_read_b128 v[220:223], v2 offset:1232
	ds_read_b128 v[224:227], v2 offset:1248
	;; [unrolled: 1-line block ×16, first 2 shown]
	v_cmp_lt_u32_e32 vcc, 20, v250
	s_waitcnt vmcnt(32) lgkmcnt(14)
	v_mul_f64 v[180:181], v[220:221], v[110:111]
	s_waitcnt vmcnt(31)
	v_mul_f64 v[182:183], v[224:225], v[118:119]
	v_fmac_f64_e32 v[180:181], v[222:223], v[108:109]
	s_waitcnt vmcnt(30) lgkmcnt(13)
	v_mul_f64 v[184:185], v[234:235], v[122:123]
	v_fmac_f64_e32 v[182:183], v[226:227], v[116:117]
	v_add_f64 v[180:181], v[180:181], 0
	s_waitcnt vmcnt(29) lgkmcnt(12)
	v_mul_f64 v[186:187], v[238:239], v[126:127]
	v_fmac_f64_e32 v[184:185], v[236:237], v[120:121]
	v_add_f64 v[180:181], v[180:181], v[182:183]
	;; [unrolled: 4-line block ×13, first 2 shown]
	v_fmac_f64_e32 v[208:209], v[142:143], v[40:41]
	v_add_f64 v[180:181], v[180:181], v[206:207]
	v_add_f64 v[184:185], v[180:181], v[208:209]
	ds_read_b128 v[180:183], v2 offset:1488
	s_waitcnt vmcnt(17) lgkmcnt(1)
	v_mul_f64 v[186:187], v[136:137], v[46:47]
	v_fmac_f64_e32 v[186:187], v[138:139], v[44:45]
	v_add_f64 v[188:189], v[184:185], v[186:187]
	ds_read_b128 v[184:187], v2 offset:1504
	s_waitcnt vmcnt(16) lgkmcnt(1)
	v_mul_f64 v[190:191], v[180:181], v[50:51]
	v_fmac_f64_e32 v[190:191], v[182:183], v[48:49]
	v_add_f64 v[192:193], v[188:189], v[190:191]
	ds_read_b128 v[188:191], v2 offset:1520
	s_waitcnt vmcnt(15) lgkmcnt(1)
	v_mul_f64 v[194:195], v[184:185], v[54:55]
	v_fmac_f64_e32 v[194:195], v[186:187], v[52:53]
	v_add_f64 v[196:197], v[192:193], v[194:195]
	ds_read_b128 v[192:195], v2 offset:1536
	s_waitcnt vmcnt(14) lgkmcnt(1)
	v_mul_f64 v[198:199], v[188:189], v[58:59]
	v_fmac_f64_e32 v[198:199], v[190:191], v[56:57]
	v_add_f64 v[200:201], v[196:197], v[198:199]
	ds_read_b128 v[196:199], v2 offset:1552
	s_waitcnt vmcnt(13) lgkmcnt(1)
	v_mul_f64 v[202:203], v[192:193], v[62:63]
	v_fmac_f64_e32 v[202:203], v[194:195], v[60:61]
	v_add_f64 v[204:205], v[200:201], v[202:203]
	ds_read_b128 v[200:203], v2 offset:1568
	s_waitcnt vmcnt(12) lgkmcnt(1)
	v_mul_f64 v[206:207], v[196:197], v[66:67]
	v_fmac_f64_e32 v[206:207], v[198:199], v[64:65]
	v_add_f64 v[208:209], v[204:205], v[206:207]
	ds_read_b128 v[204:207], v2 offset:1584
	s_waitcnt vmcnt(11) lgkmcnt(1)
	v_mul_f64 v[210:211], v[200:201], v[70:71]
	v_fmac_f64_e32 v[210:211], v[202:203], v[68:69]
	v_add_f64 v[212:213], v[208:209], v[210:211]
	ds_read_b128 v[208:211], v2 offset:1600
	s_waitcnt vmcnt(10) lgkmcnt(1)
	v_mul_f64 v[214:215], v[204:205], v[74:75]
	v_fmac_f64_e32 v[214:215], v[206:207], v[72:73]
	v_add_f64 v[216:217], v[212:213], v[214:215]
	ds_read_b128 v[212:215], v2 offset:1616
	s_waitcnt vmcnt(9) lgkmcnt(1)
	v_mul_f64 v[218:219], v[208:209], v[78:79]
	v_fmac_f64_e32 v[218:219], v[210:211], v[76:77]
	v_add_f64 v[228:229], v[216:217], v[218:219]
	ds_read_b128 v[216:219], v2 offset:1632
	s_waitcnt vmcnt(8) lgkmcnt(1)
	v_mul_f64 v[230:231], v[212:213], v[82:83]
	v_fmac_f64_e32 v[230:231], v[214:215], v[80:81]
	v_mul_f64 v[110:111], v[222:223], v[110:111]
	v_add_f64 v[228:229], v[228:229], v[230:231]
	v_fma_f64 v[230:231], v[220:221], v[108:109], -v[110:111]
	ds_read_b128 v[108:111], v2 offset:1648
	s_waitcnt vmcnt(7) lgkmcnt(1)
	v_mul_f64 v[220:221], v[216:217], v[86:87]
	v_mul_f64 v[118:119], v[226:227], v[118:119]
	v_fmac_f64_e32 v[220:221], v[218:219], v[84:85]
	v_fma_f64 v[232:233], v[224:225], v[116:117], -v[118:119]
	ds_read_b128 v[116:119], v2 offset:1664
	s_waitcnt vmcnt(6) lgkmcnt(1)
	v_mul_f64 v[222:223], v[108:109], v[90:91]
	v_add_f64 v[220:221], v[228:229], v[220:221]
	v_fmac_f64_e32 v[222:223], v[110:111], v[88:89]
	v_add_f64 v[224:225], v[220:221], v[222:223]
	ds_read_b128 v[220:223], v2 offset:1680
	v_mul_f64 v[122:123], v[236:237], v[122:123]
	v_fma_f64 v[234:235], v[234:235], v[120:121], -v[122:123]
	ds_read_b128 v[120:123], v2 offset:1696
	s_waitcnt vmcnt(5) lgkmcnt(2)
	v_mul_f64 v[226:227], v[116:117], v[94:95]
	v_fmac_f64_e32 v[226:227], v[118:119], v[92:93]
	v_mul_f64 v[126:127], v[240:241], v[126:127]
	v_add_f64 v[224:225], v[224:225], v[226:227]
	s_waitcnt vmcnt(4) lgkmcnt(1)
	v_mul_f64 v[226:227], v[220:221], v[98:99]
	v_fma_f64 v[236:237], v[238:239], v[124:125], -v[126:127]
	ds_read_b128 v[124:127], v2 offset:1712
	v_fmac_f64_e32 v[226:227], v[222:223], v[96:97]
	v_add_f64 v[228:229], v[224:225], v[226:227]
	s_waitcnt vmcnt(3) lgkmcnt(1)
	v_mul_f64 v[238:239], v[120:121], v[102:103]
	ds_read_b128 v[224:227], v2 offset:1728
	v_fmac_f64_e32 v[238:239], v[122:123], v[100:101]
	v_mul_f64 v[130:131], v[244:245], v[130:131]
	v_add_f64 v[228:229], v[228:229], v[238:239]
	v_fma_f64 v[238:239], v[242:243], v[128:129], -v[130:131]
	ds_read_b128 v[128:131], v2 offset:1744
	s_waitcnt vmcnt(2) lgkmcnt(2)
	v_mul_f64 v[240:241], v[124:125], v[106:107]
	v_fmac_f64_e32 v[240:241], v[126:127], v[104:105]
	v_add_f64 v[228:229], v[228:229], v[240:241]
	s_waitcnt vmcnt(1) lgkmcnt(1)
	v_mul_f64 v[240:241], v[224:225], v[114:115]
	v_fmac_f64_e32 v[240:241], v[226:227], v[112:113]
	v_add_f64 v[228:229], v[228:229], v[240:241]
	;; [unrolled: 4-line block ×3, first 2 shown]
	scratch_load_dwordx4 v[240:243], off, off offset:352
	v_add_f64 v[230:231], v[230:231], 0
	v_add_f64 v[230:231], v[230:231], v[232:233]
	;; [unrolled: 1-line block ×4, first 2 shown]
	v_mul_f64 v[6:7], v[178:179], v[6:7]
	v_add_f64 v[230:231], v[230:231], v[238:239]
	v_fma_f64 v[4:5], v[176:177], v[4:5], -v[6:7]
	v_mul_f64 v[6:7], v[174:175], v[10:11]
	v_add_f64 v[4:5], v[230:231], v[4:5]
	v_fma_f64 v[6:7], v[172:173], v[8:9], -v[6:7]
	v_add_f64 v[4:5], v[4:5], v[6:7]
	v_mul_f64 v[6:7], v[170:171], v[14:15]
	v_fma_f64 v[6:7], v[168:169], v[12:13], -v[6:7]
	v_add_f64 v[4:5], v[4:5], v[6:7]
	v_mul_f64 v[6:7], v[166:167], v[18:19]
	;; [unrolled: 3-line block ×26, first 2 shown]
	v_fma_f64 v[6:7], v[128:129], v[132:133], -v[6:7]
	v_add_f64 v[4:5], v[4:5], v[6:7]
	s_waitcnt vmcnt(0)
	v_add_f64 v[4:5], v[240:241], -v[4:5]
	v_add_f64 v[6:7], v[242:243], -v[228:229]
	scratch_store_dwordx4 off, v[4:7], off offset:352
	s_and_saveexec_b64 s[0:1], vcc
	s_cbranch_execz .LBB54_303
; %bb.302:
	scratch_load_dwordx4 v[6:9], off, s53
	v_mov_b32_e32 v3, v2
	v_mov_b32_e32 v4, v2
	;; [unrolled: 1-line block ×3, first 2 shown]
	v_accvgpr_read_b32 v0, a111
	scratch_store_dwordx4 off, v[2:5], off offset:336
	s_waitcnt vmcnt(1)
	ds_write_b128 v0, v[6:9]
.LBB54_303:
	s_or_b64 exec, exec, s[0:1]
	s_waitcnt lgkmcnt(0)
	; wave barrier
	scratch_load_dwordx4 v[144:147], off, off offset:352
	scratch_load_dwordx4 v[152:155], off, off offset:368
	;; [unrolled: 1-line block ×16, first 2 shown]
	ds_read_b128 v[196:199], v2 offset:1216
	ds_read_b128 v[188:191], v2 offset:1232
	ds_read_b128 v[180:183], v2 offset:1248
	scratch_load_dwordx4 v[48:51], off, off offset:608
	ds_read_b128 v[192:195], v2 offset:1264
	ds_read_b128 v[184:187], v2 offset:1280
	ds_read_b128 v[64:67], v2 offset:1296
	scratch_load_dwordx4 v[52:55], off, off offset:624
	;; [unrolled: 4-line block ×5, first 2 shown]
	ds_read_b128 v[116:119], v2 offset:1456
	ds_read_b128 v[112:115], v2 offset:1472
	scratch_load_dwordx4 v[108:111], off, off offset:688
	scratch_load_dwordx4 v[120:123], off, off offset:704
	;; [unrolled: 1-line block ×12, first 2 shown]
	v_cmp_lt_u32_e32 vcc, 19, v250
	s_waitcnt vmcnt(32) lgkmcnt(14)
	v_mul_f64 v[204:205], v[196:197], v[146:147]
	s_waitcnt vmcnt(31)
	v_mul_f64 v[206:207], v[188:189], v[154:155]
	v_fmac_f64_e32 v[204:205], v[198:199], v[144:145]
	s_waitcnt vmcnt(30)
	v_mul_f64 v[208:209], v[180:181], v[158:159]
	v_fmac_f64_e32 v[206:207], v[190:191], v[152:153]
	v_add_f64 v[204:205], v[204:205], 0
	s_waitcnt vmcnt(29) lgkmcnt(13)
	v_mul_f64 v[210:211], v[192:193], v[162:163]
	v_fmac_f64_e32 v[208:209], v[182:183], v[156:157]
	v_add_f64 v[204:205], v[204:205], v[206:207]
	s_waitcnt vmcnt(28) lgkmcnt(12)
	;; [unrolled: 4-line block ×12, first 2 shown]
	v_mul_f64 v[232:233], v[96:97], v[42:43]
	v_fmac_f64_e32 v[230:231], v[102:103], v[36:37]
	v_add_f64 v[204:205], v[204:205], v[228:229]
	v_fmac_f64_e32 v[232:233], v[98:99], v[40:41]
	v_add_f64 v[204:205], v[204:205], v[230:231]
	s_waitcnt vmcnt(17) lgkmcnt(1)
	v_mul_f64 v[206:207], v[116:117], v[46:47]
	v_add_f64 v[204:205], v[204:205], v[232:233]
	v_fmac_f64_e32 v[206:207], v[118:119], v[44:45]
	s_waitcnt vmcnt(16) lgkmcnt(0)
	v_mul_f64 v[210:211], v[112:113], v[50:51]
	v_add_f64 v[208:209], v[204:205], v[206:207]
	ds_read_b128 v[204:207], v2 offset:1488
	v_fmac_f64_e32 v[210:211], v[114:115], v[48:49]
	v_add_f64 v[212:213], v[208:209], v[210:211]
	ds_read_b128 v[208:211], v2 offset:1504
	v_mul_f64 v[146:147], v[198:199], v[146:147]
	s_waitcnt vmcnt(15) lgkmcnt(1)
	v_mul_f64 v[214:215], v[204:205], v[54:55]
	v_fmac_f64_e32 v[214:215], v[206:207], v[52:53]
	v_add_f64 v[216:217], v[212:213], v[214:215]
	s_waitcnt vmcnt(14) lgkmcnt(0)
	v_mul_f64 v[218:219], v[208:209], v[58:59]
	ds_read_b128 v[212:215], v2 offset:1520
	v_fmac_f64_e32 v[218:219], v[210:211], v[56:57]
	v_add_f64 v[220:221], v[216:217], v[218:219]
	ds_read_b128 v[216:219], v2 offset:1536
	v_mul_f64 v[154:155], v[190:191], v[154:155]
	s_waitcnt vmcnt(13) lgkmcnt(1)
	v_mul_f64 v[222:223], v[212:213], v[62:63]
	v_fmac_f64_e32 v[222:223], v[214:215], v[60:61]
	v_add_f64 v[224:225], v[220:221], v[222:223]
	s_waitcnt vmcnt(12) lgkmcnt(0)
	v_mul_f64 v[226:227], v[216:217], v[94:95]
	ds_read_b128 v[220:223], v2 offset:1552
	v_fmac_f64_e32 v[226:227], v[218:219], v[92:93]
	v_add_f64 v[228:229], v[224:225], v[226:227]
	ds_read_b128 v[224:227], v2 offset:1568
	v_fma_f64 v[244:245], v[188:189], v[152:153], -v[154:155]
	s_waitcnt vmcnt(11) lgkmcnt(1)
	v_mul_f64 v[230:231], v[220:221], v[110:111]
	v_fmac_f64_e32 v[230:231], v[222:223], v[108:109]
	v_add_f64 v[232:233], v[228:229], v[230:231]
	s_waitcnt vmcnt(10) lgkmcnt(0)
	v_mul_f64 v[234:235], v[224:225], v[122:123]
	ds_read_b128 v[228:231], v2 offset:1584
	v_fmac_f64_e32 v[234:235], v[226:227], v[120:121]
	v_add_f64 v[236:237], v[232:233], v[234:235]
	ds_read_b128 v[232:235], v2 offset:1600
	ds_read_b128 v[152:155], v2 offset:1648
	s_waitcnt vmcnt(9) lgkmcnt(2)
	v_mul_f64 v[238:239], v[228:229], v[126:127]
	v_fmac_f64_e32 v[238:239], v[230:231], v[124:125]
	v_add_f64 v[240:241], v[236:237], v[238:239]
	s_waitcnt vmcnt(8) lgkmcnt(1)
	v_mul_f64 v[242:243], v[232:233], v[130:131]
	ds_read_b128 v[236:239], v2 offset:1616
	v_fmac_f64_e32 v[242:243], v[234:235], v[128:129]
	v_add_f64 v[240:241], v[240:241], v[242:243]
	v_fma_f64 v[242:243], v[196:197], v[144:145], -v[146:147]
	ds_read_b128 v[144:147], v2 offset:1632
	s_waitcnt vmcnt(7) lgkmcnt(1)
	v_mul_f64 v[196:197], v[236:237], v[134:135]
	v_fmac_f64_e32 v[196:197], v[238:239], v[132:133]
	v_add_f64 v[188:189], v[240:241], v[196:197]
	v_mul_f64 v[158:159], v[182:183], v[158:159]
	s_waitcnt vmcnt(6) lgkmcnt(0)
	v_mul_f64 v[190:191], v[144:145], v[138:139]
	v_fmac_f64_e32 v[190:191], v[146:147], v[136:137]
	v_add_f64 v[196:197], v[188:189], v[190:191]
	ds_read_b128 v[188:191], v2 offset:1664
	v_fma_f64 v[240:241], v[180:181], v[156:157], -v[158:159]
	ds_read_b128 v[156:159], v2 offset:1680
	s_waitcnt vmcnt(5)
	v_mul_f64 v[198:199], v[152:153], v[142:143]
	v_fmac_f64_e32 v[198:199], v[154:155], v[140:141]
	s_waitcnt vmcnt(4) lgkmcnt(1)
	v_mul_f64 v[180:181], v[188:189], v[150:151]
	v_add_f64 v[196:197], v[196:197], v[198:199]
	v_fmac_f64_e32 v[180:181], v[190:191], v[148:149]
	v_mul_f64 v[162:163], v[194:195], v[162:163]
	v_add_f64 v[198:199], v[196:197], v[180:181]
	v_fma_f64 v[196:197], v[192:193], v[160:161], -v[162:163]
	ds_read_b128 v[160:163], v2 offset:1696
	s_waitcnt vmcnt(3) lgkmcnt(1)
	v_mul_f64 v[192:193], v[156:157], v[166:167]
	ds_read_b128 v[180:183], v2 offset:1712
	v_fmac_f64_e32 v[192:193], v[158:159], v[164:165]
	v_mul_f64 v[170:171], v[186:187], v[170:171]
	v_add_f64 v[192:193], v[198:199], v[192:193]
	v_fma_f64 v[198:199], v[184:185], v[168:169], -v[170:171]
	ds_read_b128 v[168:171], v2 offset:1728
	s_waitcnt vmcnt(2) lgkmcnt(2)
	v_mul_f64 v[184:185], v[160:161], v[174:175]
	v_fmac_f64_e32 v[184:185], v[162:163], v[172:173]
	s_waitcnt vmcnt(1) lgkmcnt(1)
	v_mul_f64 v[186:187], v[180:181], v[178:179]
	v_add_f64 v[184:185], v[192:193], v[184:185]
	v_fmac_f64_e32 v[186:187], v[182:183], v[176:177]
	v_add_f64 v[184:185], v[184:185], v[186:187]
	s_waitcnt vmcnt(0) lgkmcnt(0)
	v_mul_f64 v[186:187], v[168:169], v[202:203]
	v_fmac_f64_e32 v[186:187], v[170:171], v[200:201]
	v_add_f64 v[254:255], v[184:185], v[186:187]
	scratch_load_dwordx4 v[184:187], off, off offset:880
	v_add_f64 v[242:243], v[242:243], 0
	v_add_f64 v[242:243], v[242:243], v[244:245]
	;; [unrolled: 1-line block ×3, first 2 shown]
	scratch_load_dwordx4 v[242:245], off, off offset:336
	v_add_f64 v[196:197], v[240:241], v[196:197]
	v_mul_f64 v[6:7], v[66:67], v[6:7]
	v_add_f64 v[196:197], v[196:197], v[198:199]
	v_fma_f64 v[4:5], v[64:65], v[4:5], -v[6:7]
	v_mul_f64 v[6:7], v[78:79], v[10:11]
	v_add_f64 v[4:5], v[196:197], v[4:5]
	v_fma_f64 v[6:7], v[76:77], v[8:9], -v[6:7]
	v_add_f64 v[4:5], v[4:5], v[6:7]
	v_mul_f64 v[6:7], v[74:75], v[14:15]
	v_fma_f64 v[6:7], v[72:73], v[12:13], -v[6:7]
	v_add_f64 v[4:5], v[4:5], v[6:7]
	v_mul_f64 v[6:7], v[70:71], v[18:19]
	;; [unrolled: 3-line block ×24, first 2 shown]
	ds_read_b128 v[192:195], v2 offset:1744
	v_fma_f64 v[6:7], v[160:161], v[172:173], -v[6:7]
	v_add_f64 v[4:5], v[4:5], v[6:7]
	v_mul_f64 v[6:7], v[182:183], v[178:179]
	v_fma_f64 v[6:7], v[180:181], v[176:177], -v[6:7]
	v_add_f64 v[4:5], v[4:5], v[6:7]
	v_mul_f64 v[6:7], v[170:171], v[202:203]
	v_fma_f64 v[6:7], v[168:169], v[200:201], -v[6:7]
	s_waitcnt vmcnt(1) lgkmcnt(0)
	v_mul_f64 v[2:3], v[192:193], v[186:187]
	v_add_f64 v[4:5], v[4:5], v[6:7]
	v_mul_f64 v[6:7], v[194:195], v[186:187]
	v_fmac_f64_e32 v[2:3], v[194:195], v[184:185]
	v_fma_f64 v[6:7], v[192:193], v[184:185], -v[6:7]
	v_add_f64 v[2:3], v[254:255], v[2:3]
	v_add_f64 v[4:5], v[4:5], v[6:7]
	s_waitcnt vmcnt(0)
	v_add_f64 v[4:5], v[242:243], -v[4:5]
	v_add_f64 v[6:7], v[244:245], -v[2:3]
	scratch_store_dwordx4 off, v[4:7], off offset:336
	s_and_saveexec_b64 s[0:1], vcc
	s_cbranch_execz .LBB54_305
; %bb.304:
	scratch_load_dwordx4 v[2:5], off, s52
	v_mov_b32_e32 v6, 0
	v_mov_b32_e32 v7, v6
	;; [unrolled: 1-line block ×4, first 2 shown]
	v_accvgpr_read_b32 v0, a111
	scratch_store_dwordx4 off, v[6:9], off offset:320
	s_waitcnt vmcnt(1)
	ds_write_b128 v0, v[2:5]
.LBB54_305:
	s_or_b64 exec, exec, s[0:1]
	s_waitcnt lgkmcnt(0)
	; wave barrier
	scratch_load_dwordx4 v[184:187], off, off offset:336
	scratch_load_dwordx4 v[188:191], off, off offset:352
	;; [unrolled: 1-line block ×32, first 2 shown]
	v_mov_b32_e32 v2, 0
	ds_read_b128 v[192:195], v2 offset:1200
	ds_read_b128 v[204:207], v2 offset:1216
	;; [unrolled: 1-line block ×16, first 2 shown]
	v_cmp_lt_u32_e32 vcc, 18, v250
	s_waitcnt vmcnt(31) lgkmcnt(14)
	v_mul_f64 v[104:105], v[192:193], v[186:187]
	s_waitcnt vmcnt(30)
	v_mul_f64 v[106:107], v[204:205], v[190:191]
	v_fmac_f64_e32 v[104:105], v[194:195], v[184:185]
	s_waitcnt vmcnt(29) lgkmcnt(13)
	v_mul_f64 v[112:113], v[216:217], v[198:199]
	v_fmac_f64_e32 v[106:107], v[206:207], v[188:189]
	v_add_f64 v[104:105], v[104:105], 0
	s_waitcnt vmcnt(28) lgkmcnt(12)
	v_mul_f64 v[114:115], v[224:225], v[202:203]
	v_fmac_f64_e32 v[112:113], v[218:219], v[196:197]
	v_add_f64 v[104:105], v[104:105], v[106:107]
	;; [unrolled: 4-line block ×10, first 2 shown]
	ds_read_b128 v[152:155], v2 offset:1456
	ds_read_b128 v[156:159], v2 offset:1472
	s_waitcnt vmcnt(19) lgkmcnt(5)
	v_mul_f64 v[164:165], v[124:125], v[26:27]
	v_fmac_f64_e32 v[162:163], v[134:135], v[20:21]
	v_add_f64 v[104:105], v[104:105], v[160:161]
	s_waitcnt vmcnt(18) lgkmcnt(4)
	v_mul_f64 v[166:167], v[120:121], v[30:31]
	v_fmac_f64_e32 v[164:165], v[126:127], v[24:25]
	v_add_f64 v[104:105], v[104:105], v[162:163]
	s_waitcnt vmcnt(17) lgkmcnt(3)
	v_mul_f64 v[168:169], v[116:117], v[34:35]
	v_fmac_f64_e32 v[166:167], v[122:123], v[28:29]
	v_add_f64 v[104:105], v[104:105], v[164:165]
	s_waitcnt vmcnt(16) lgkmcnt(2)
	v_mul_f64 v[170:171], v[108:109], v[38:39]
	v_fmac_f64_e32 v[168:169], v[118:119], v[32:33]
	v_add_f64 v[104:105], v[104:105], v[166:167]
	v_add_f64 v[112:113], v[104:105], v[168:169]
	v_fmac_f64_e32 v[170:171], v[110:111], v[36:37]
	scratch_load_dwordx4 v[104:107], off, off offset:848
	s_waitcnt vmcnt(16) lgkmcnt(1)
	v_mul_f64 v[114:115], v[152:153], v[42:43]
	v_add_f64 v[112:113], v[112:113], v[170:171]
	v_fmac_f64_e32 v[114:115], v[154:155], v[40:41]
	v_add_f64 v[128:129], v[112:113], v[114:115]
	scratch_load_dwordx4 v[112:115], off, off offset:864
	s_waitcnt vmcnt(16) lgkmcnt(0)
	v_mul_f64 v[130:131], v[156:157], v[46:47]
	v_fmac_f64_e32 v[130:131], v[158:159], v[44:45]
	v_add_f64 v[168:169], v[128:129], v[130:131]
	scratch_load_dwordx4 v[128:131], off, off offset:880
	ds_read_b128 v[160:163], v2 offset:1488
	ds_read_b128 v[164:167], v2 offset:1504
	v_mul_f64 v[186:187], v[194:195], v[186:187]
	v_fma_f64 v[254:255], v[192:193], v[184:185], -v[186:187]
	ds_read_b128 v[184:187], v2 offset:1584
	s_waitcnt vmcnt(16) lgkmcnt(2)
	v_mul_f64 v[170:171], v[160:161], v[50:51]
	v_fmac_f64_e32 v[170:171], v[162:163], v[48:49]
	s_waitcnt vmcnt(15) lgkmcnt(1)
	v_mul_f64 v[174:175], v[164:165], v[54:55]
	v_add_f64 v[172:173], v[168:169], v[170:171]
	ds_read_b128 v[168:171], v2 offset:1520
	v_fmac_f64_e32 v[174:175], v[166:167], v[52:53]
	v_add_f64 v[176:177], v[172:173], v[174:175]
	ds_read_b128 v[172:175], v2 offset:1536
	v_mul_f64 v[190:191], v[206:207], v[190:191]
	s_waitcnt vmcnt(14) lgkmcnt(1)
	v_mul_f64 v[178:179], v[168:169], v[58:59]
	v_fmac_f64_e32 v[178:179], v[170:171], v[56:57]
	v_add_f64 v[180:181], v[176:177], v[178:179]
	s_waitcnt vmcnt(13) lgkmcnt(0)
	v_mul_f64 v[182:183], v[172:173], v[62:63]
	ds_read_b128 v[176:179], v2 offset:1552
	v_fmac_f64_e32 v[182:183], v[174:175], v[60:61]
	v_add_f64 v[232:233], v[180:181], v[182:183]
	ds_read_b128 v[180:183], v2 offset:1568
	v_fma_f64 v[246:247], v[204:205], v[188:189], -v[190:191]
	s_waitcnt vmcnt(12) lgkmcnt(1)
	v_mul_f64 v[234:235], v[176:177], v[66:67]
	v_fmac_f64_e32 v[234:235], v[178:179], v[64:65]
	v_add_f64 v[232:233], v[232:233], v[234:235]
	s_waitcnt vmcnt(11) lgkmcnt(0)
	v_mul_f64 v[192:193], v[180:181], v[70:71]
	v_fmac_f64_e32 v[192:193], v[182:183], v[68:69]
	ds_read_b128 v[188:191], v2 offset:1600
	s_waitcnt vmcnt(10)
	v_mul_f64 v[194:195], v[184:185], v[74:75]
	v_add_f64 v[192:193], v[232:233], v[192:193]
	v_fmac_f64_e32 v[194:195], v[186:187], v[72:73]
	v_add_f64 v[204:205], v[192:193], v[194:195]
	ds_read_b128 v[192:195], v2 offset:1616
	v_mul_f64 v[198:199], v[218:219], v[198:199]
	v_fma_f64 v[248:249], v[216:217], v[196:197], -v[198:199]
	ds_read_b128 v[196:199], v2 offset:1632
	s_waitcnt vmcnt(9) lgkmcnt(2)
	v_mul_f64 v[206:207], v[188:189], v[78:79]
	v_fmac_f64_e32 v[206:207], v[190:191], v[76:77]
	v_add_f64 v[204:205], v[204:205], v[206:207]
	s_waitcnt vmcnt(8) lgkmcnt(1)
	v_mul_f64 v[206:207], v[192:193], v[82:83]
	v_fmac_f64_e32 v[206:207], v[194:195], v[80:81]
	v_mul_f64 v[202:203], v[226:227], v[202:203]
	v_add_f64 v[204:205], v[204:205], v[206:207]
	v_fma_f64 v[234:235], v[224:225], v[200:201], -v[202:203]
	ds_read_b128 v[200:203], v2 offset:1648
	s_waitcnt vmcnt(7) lgkmcnt(1)
	v_mul_f64 v[206:207], v[196:197], v[86:87]
	v_fmac_f64_e32 v[206:207], v[198:199], v[84:85]
	v_add_f64 v[216:217], v[204:205], v[206:207]
	ds_read_b128 v[204:207], v2 offset:1664
	v_mul_f64 v[210:211], v[230:231], v[210:211]
	v_fma_f64 v[236:237], v[228:229], v[208:209], -v[210:211]
	ds_read_b128 v[208:211], v2 offset:1680
	s_waitcnt vmcnt(6) lgkmcnt(2)
	v_mul_f64 v[218:219], v[200:201], v[90:91]
	v_fmac_f64_e32 v[218:219], v[202:203], v[88:89]
	v_add_f64 v[216:217], v[216:217], v[218:219]
	s_waitcnt vmcnt(5) lgkmcnt(1)
	v_mul_f64 v[218:219], v[204:205], v[94:95]
	v_fmac_f64_e32 v[218:219], v[206:207], v[92:93]
	v_mul_f64 v[214:215], v[240:241], v[214:215]
	v_fma_f64 v[238:239], v[238:239], v[212:213], -v[214:215]
	ds_read_b128 v[212:215], v2 offset:1696
	v_add_f64 v[216:217], v[216:217], v[218:219]
	s_waitcnt vmcnt(4) lgkmcnt(1)
	v_mul_f64 v[218:219], v[208:209], v[102:103]
	v_fmac_f64_e32 v[218:219], v[210:211], v[100:101]
	v_add_f64 v[224:225], v[216:217], v[218:219]
	ds_read_b128 v[216:219], v2 offset:1712
	v_mul_f64 v[222:223], v[244:245], v[222:223]
	v_fma_f64 v[240:241], v[242:243], v[220:221], -v[222:223]
	ds_read_b128 v[220:223], v2 offset:1728
	s_waitcnt vmcnt(3) lgkmcnt(2)
	v_mul_f64 v[226:227], v[212:213], v[98:99]
	v_fmac_f64_e32 v[226:227], v[214:215], v[96:97]
	v_add_f64 v[224:225], v[224:225], v[226:227]
	s_waitcnt vmcnt(2) lgkmcnt(1)
	v_mul_f64 v[226:227], v[216:217], v[106:107]
	v_fmac_f64_e32 v[226:227], v[218:219], v[104:105]
	v_add_f64 v[224:225], v[224:225], v[226:227]
	s_waitcnt vmcnt(1) lgkmcnt(0)
	v_mul_f64 v[226:227], v[220:221], v[114:115]
	v_fmac_f64_e32 v[226:227], v[222:223], v[112:113]
	v_add_f64 v[228:229], v[224:225], v[226:227]
	ds_read_b128 v[224:227], v2 offset:1744
	v_mul_f64 v[6:7], v[150:151], v[6:7]
	v_fma_f64 v[4:5], v[148:149], v[4:5], -v[6:7]
	v_mul_f64 v[6:7], v[146:147], v[10:11]
	v_fma_f64 v[6:7], v[144:145], v[8:9], -v[6:7]
	s_waitcnt vmcnt(0) lgkmcnt(0)
	v_mul_f64 v[230:231], v[224:225], v[130:131]
	v_fmac_f64_e32 v[230:231], v[226:227], v[128:129]
	v_add_f64 v[232:233], v[228:229], v[230:231]
	v_add_f64 v[228:229], v[254:255], 0
	;; [unrolled: 1-line block ×4, first 2 shown]
	scratch_load_dwordx4 v[228:231], off, off offset:320
	v_add_f64 v[234:235], v[242:243], v[234:235]
	v_add_f64 v[234:235], v[234:235], v[236:237]
	;; [unrolled: 1-line block ×6, first 2 shown]
	v_mul_f64 v[6:7], v[142:143], v[14:15]
	v_fma_f64 v[6:7], v[140:141], v[12:13], -v[6:7]
	v_add_f64 v[4:5], v[4:5], v[6:7]
	v_mul_f64 v[6:7], v[138:139], v[18:19]
	v_fma_f64 v[6:7], v[136:137], v[16:17], -v[6:7]
	v_add_f64 v[4:5], v[4:5], v[6:7]
	;; [unrolled: 3-line block ×26, first 2 shown]
	s_waitcnt vmcnt(0)
	v_add_f64 v[4:5], v[228:229], -v[4:5]
	v_add_f64 v[6:7], v[230:231], -v[232:233]
	scratch_store_dwordx4 off, v[4:7], off offset:320
	s_and_saveexec_b64 s[0:1], vcc
	s_cbranch_execz .LBB54_307
; %bb.306:
	scratch_load_dwordx4 v[6:9], off, s51
	v_mov_b32_e32 v3, v2
	v_mov_b32_e32 v4, v2
	;; [unrolled: 1-line block ×3, first 2 shown]
	v_accvgpr_read_b32 v0, a111
	scratch_store_dwordx4 off, v[2:5], off offset:304
	s_waitcnt vmcnt(1)
	ds_write_b128 v0, v[6:9]
.LBB54_307:
	s_or_b64 exec, exec, s[0:1]
	s_waitcnt lgkmcnt(0)
	; wave barrier
	scratch_load_dwordx4 v[140:143], off, off offset:320
	scratch_load_dwordx4 v[144:147], off, off offset:336
	;; [unrolled: 1-line block ×16, first 2 shown]
	ds_read_b128 v[208:211], v2 offset:1184
	ds_read_b128 v[200:203], v2 offset:1200
	ds_read_b128 v[188:191], v2 offset:1216
	scratch_load_dwordx4 v[40:43], off, off offset:576
	ds_read_b128 v[204:207], v2 offset:1232
	ds_read_b128 v[192:195], v2 offset:1248
	;; [unrolled: 1-line block ×3, first 2 shown]
	scratch_load_dwordx4 v[44:47], off, off offset:592
	ds_read_b128 v[196:199], v2 offset:1280
	ds_read_b128 v[64:67], v2 offset:1296
	;; [unrolled: 1-line block ×4, first 2 shown]
	scratch_load_dwordx4 v[48:51], off, off offset:608
	ds_read_b128 v[72:75], v2 offset:1344
	ds_read_b128 v[68:71], v2 offset:1360
	scratch_load_dwordx4 v[56:59], off, off offset:624
	ds_read_b128 v[92:95], v2 offset:1376
	ds_read_b128 v[88:91], v2 offset:1392
	;; [unrolled: 1-line block ×4, first 2 shown]
	scratch_load_dwordx4 v[76:79], off, off offset:640
	scratch_load_dwordx4 v[96:99], off, off offset:656
	;; [unrolled: 1-line block ×12, first 2 shown]
	ds_read_b128 v[168:171], v2 offset:1440
	v_accvgpr_write_b32 a110, v250
	v_cmp_lt_u32_e32 vcc, 17, v250
	s_waitcnt vmcnt(31) lgkmcnt(14)
	v_mul_f64 v[172:173], v[208:209], v[142:143]
	s_waitcnt vmcnt(30)
	v_mul_f64 v[174:175], v[200:201], v[146:147]
	v_fmac_f64_e32 v[172:173], v[210:211], v[140:141]
	s_waitcnt vmcnt(29)
	v_mul_f64 v[176:177], v[188:189], v[150:151]
	v_fmac_f64_e32 v[174:175], v[202:203], v[144:145]
	v_add_f64 v[172:173], v[172:173], 0
	s_waitcnt vmcnt(28) lgkmcnt(13)
	v_mul_f64 v[178:179], v[204:205], v[154:155]
	v_fmac_f64_e32 v[176:177], v[190:191], v[148:149]
	v_add_f64 v[172:173], v[172:173], v[174:175]
	s_waitcnt vmcnt(27) lgkmcnt(12)
	;; [unrolled: 4-line block ×10, first 2 shown]
	v_mul_f64 v[224:225], v[92:93], v[26:27]
	v_fmac_f64_e32 v[222:223], v[70:71], v[20:21]
	v_add_f64 v[172:173], v[172:173], v[220:221]
	ds_read_b128 v[212:215], v2 offset:1456
	s_waitcnt vmcnt(18) lgkmcnt(4)
	v_mul_f64 v[226:227], v[88:89], v[30:31]
	v_fmac_f64_e32 v[224:225], v[94:95], v[24:25]
	v_add_f64 v[172:173], v[172:173], v[222:223]
	ds_read_b128 v[216:219], v2 offset:1472
	ds_read_b128 v[220:223], v2 offset:1488
	s_waitcnt vmcnt(17) lgkmcnt(5)
	v_mul_f64 v[228:229], v[84:85], v[34:35]
	v_fmac_f64_e32 v[226:227], v[90:91], v[28:29]
	v_add_f64 v[172:173], v[172:173], v[224:225]
	s_waitcnt vmcnt(16) lgkmcnt(4)
	v_mul_f64 v[230:231], v[80:81], v[38:39]
	v_fmac_f64_e32 v[228:229], v[86:87], v[32:33]
	v_add_f64 v[172:173], v[172:173], v[226:227]
	v_add_f64 v[176:177], v[172:173], v[228:229]
	v_fmac_f64_e32 v[230:231], v[82:83], v[36:37]
	s_waitcnt vmcnt(15) lgkmcnt(3)
	v_mul_f64 v[178:179], v[168:169], v[42:43]
	v_add_f64 v[176:177], v[176:177], v[230:231]
	v_fmac_f64_e32 v[178:179], v[170:171], v[40:41]
	s_waitcnt vmcnt(14) lgkmcnt(2)
	v_mul_f64 v[182:183], v[212:213], v[46:47]
	;; [unrolled: 4-line block ×3, first 2 shown]
	v_add_f64 v[224:225], v[180:181], v[182:183]
	v_fmac_f64_e32 v[226:227], v[218:219], v[48:49]
	v_add_f64 v[228:229], v[224:225], v[226:227]
	ds_read_b128 v[224:227], v2 offset:1504
	s_waitcnt vmcnt(12) lgkmcnt(1)
	v_mul_f64 v[230:231], v[220:221], v[58:59]
	v_fmac_f64_e32 v[230:231], v[222:223], v[56:57]
	v_add_f64 v[232:233], v[228:229], v[230:231]
	ds_read_b128 v[228:231], v2 offset:1520
	s_waitcnt vmcnt(11) lgkmcnt(1)
	v_mul_f64 v[234:235], v[224:225], v[78:79]
	;; [unrolled: 5-line block ×4, first 2 shown]
	v_fmac_f64_e32 v[242:243], v[234:235], v[100:101]
	v_mul_f64 v[142:143], v[210:211], v[142:143]
	v_add_f64 v[240:241], v[240:241], v[242:243]
	v_fma_f64 v[242:243], v[208:209], v[140:141], -v[142:143]
	ds_read_b128 v[140:143], v2 offset:1568
	s_waitcnt vmcnt(8) lgkmcnt(1)
	v_mul_f64 v[208:209], v[236:237], v[106:107]
	v_fmac_f64_e32 v[208:209], v[238:239], v[104:105]
	v_mul_f64 v[146:147], v[202:203], v[146:147]
	v_add_f64 v[208:209], v[240:241], v[208:209]
	v_fma_f64 v[240:241], v[200:201], v[144:145], -v[146:147]
	ds_read_b128 v[144:147], v2 offset:1584
	s_waitcnt vmcnt(7) lgkmcnt(1)
	v_mul_f64 v[200:201], v[140:141], v[110:111]
	scratch_load_dwordx4 v[172:175], off, off offset:832
	v_fmac_f64_e32 v[200:201], v[142:143], v[108:109]
	v_add_f64 v[208:209], v[208:209], v[200:201]
	ds_read_b128 v[200:203], v2 offset:1600
	v_mul_f64 v[150:151], v[190:191], v[150:151]
	scratch_load_dwordx4 v[176:179], off, off offset:848
	scratch_load_dwordx4 v[180:183], off, off offset:864
	v_fma_f64 v[244:245], v[188:189], v[148:149], -v[150:151]
	ds_read_b128 v[148:151], v2 offset:1616
	s_waitcnt vmcnt(9) lgkmcnt(2)
	v_mul_f64 v[210:211], v[144:145], v[114:115]
	v_fmac_f64_e32 v[210:211], v[146:147], v[112:113]
	s_waitcnt vmcnt(8) lgkmcnt(1)
	v_mul_f64 v[188:189], v[200:201], v[118:119]
	v_add_f64 v[208:209], v[208:209], v[210:211]
	v_fmac_f64_e32 v[188:189], v[202:203], v[116:117]
	v_mul_f64 v[154:155], v[206:207], v[154:155]
	s_waitcnt vmcnt(7) lgkmcnt(0)
	v_mul_f64 v[190:191], v[148:149], v[122:123]
	v_add_f64 v[188:189], v[208:209], v[188:189]
	v_fma_f64 v[246:247], v[204:205], v[152:153], -v[154:155]
	ds_read_b128 v[152:155], v2 offset:1632
	v_fmac_f64_e32 v[190:191], v[150:151], v[120:121]
	v_add_f64 v[204:205], v[188:189], v[190:191]
	ds_read_b128 v[188:191], v2 offset:1648
	v_mul_f64 v[158:159], v[194:195], v[158:159]
	s_waitcnt vmcnt(6) lgkmcnt(1)
	v_mul_f64 v[206:207], v[152:153], v[126:127]
	v_fmac_f64_e32 v[206:207], v[154:155], v[124:125]
	v_fma_f64 v[248:249], v[192:193], v[156:157], -v[158:159]
	s_waitcnt vmcnt(5) lgkmcnt(0)
	v_mul_f64 v[192:193], v[188:189], v[130:131]
	v_add_f64 v[204:205], v[204:205], v[206:207]
	v_fmac_f64_e32 v[192:193], v[190:191], v[128:129]
	v_mul_f64 v[162:163], v[186:187], v[162:163]
	v_fma_f64 v[208:209], v[184:185], v[160:161], -v[162:163]
	v_add_f64 v[184:185], v[204:205], v[192:193]
	scratch_load_dwordx4 v[204:207], off, off offset:880
	v_add_f64 v[242:243], v[242:243], 0
	v_add_f64 v[240:241], v[242:243], v[240:241]
	;; [unrolled: 1-line block ×3, first 2 shown]
	scratch_load_dwordx4 v[242:245], off, off offset:304
	v_add_f64 v[240:241], v[240:241], v[246:247]
	v_mul_f64 v[166:167], v[198:199], v[166:167]
	v_add_f64 v[240:241], v[240:241], v[248:249]
	v_fma_f64 v[210:211], v[196:197], v[164:165], -v[166:167]
	v_add_f64 v[208:209], v[240:241], v[208:209]
	v_mul_f64 v[6:7], v[66:67], v[6:7]
	v_add_f64 v[208:209], v[208:209], v[210:211]
	v_fma_f64 v[4:5], v[64:65], v[4:5], -v[6:7]
	v_mul_f64 v[6:7], v[62:63], v[10:11]
	v_add_f64 v[4:5], v[208:209], v[4:5]
	v_fma_f64 v[6:7], v[60:61], v[8:9], -v[6:7]
	v_add_f64 v[4:5], v[4:5], v[6:7]
	v_mul_f64 v[6:7], v[54:55], v[14:15]
	v_fma_f64 v[6:7], v[52:53], v[12:13], -v[6:7]
	v_add_f64 v[4:5], v[4:5], v[6:7]
	v_mul_f64 v[6:7], v[74:75], v[18:19]
	;; [unrolled: 3-line block ×12, first 2 shown]
	v_fma_f64 v[6:7], v[224:225], v[76:77], -v[6:7]
	ds_read_b128 v[156:159], v2 offset:1664
	ds_read_b128 v[160:163], v2 offset:1680
	v_add_f64 v[4:5], v[4:5], v[6:7]
	v_mul_f64 v[6:7], v[230:231], v[98:99]
	v_fma_f64 v[6:7], v[228:229], v[96:97], -v[6:7]
	v_add_f64 v[4:5], v[4:5], v[6:7]
	v_mul_f64 v[6:7], v[234:235], v[102:103]
	v_fma_f64 v[6:7], v[232:233], v[100:101], -v[6:7]
	v_add_f64 v[4:5], v[4:5], v[6:7]
	v_mul_f64 v[6:7], v[238:239], v[106:107]
	s_waitcnt vmcnt(6) lgkmcnt(1)
	v_mul_f64 v[186:187], v[156:157], v[138:139]
	v_fma_f64 v[6:7], v[236:237], v[104:105], -v[6:7]
	v_fmac_f64_e32 v[186:187], v[158:159], v[136:137]
	v_add_f64 v[4:5], v[4:5], v[6:7]
	v_mul_f64 v[6:7], v[142:143], v[110:111]
	v_add_f64 v[192:193], v[184:185], v[186:187]
	ds_read_b128 v[184:187], v2 offset:1696
	ds_read_b128 v[164:167], v2 offset:1712
	v_fma_f64 v[6:7], v[140:141], v[108:109], -v[6:7]
	v_add_f64 v[4:5], v[4:5], v[6:7]
	v_mul_f64 v[6:7], v[146:147], v[114:115]
	v_fma_f64 v[6:7], v[144:145], v[112:113], -v[6:7]
	s_waitcnt vmcnt(5) lgkmcnt(2)
	v_mul_f64 v[194:195], v[160:161], v[134:135]
	v_add_f64 v[4:5], v[4:5], v[6:7]
	v_mul_f64 v[6:7], v[202:203], v[118:119]
	v_fmac_f64_e32 v[194:195], v[162:163], v[132:133]
	v_fma_f64 v[6:7], v[200:201], v[116:117], -v[6:7]
	v_add_f64 v[192:193], v[192:193], v[194:195]
	s_waitcnt vmcnt(4) lgkmcnt(1)
	v_mul_f64 v[194:195], v[184:185], v[174:175]
	v_add_f64 v[4:5], v[4:5], v[6:7]
	v_mul_f64 v[6:7], v[150:151], v[122:123]
	v_fmac_f64_e32 v[194:195], v[186:187], v[172:173]
	v_fma_f64 v[6:7], v[148:149], v[120:121], -v[6:7]
	v_add_f64 v[192:193], v[192:193], v[194:195]
	;; [unrolled: 7-line block ×3, first 2 shown]
	ds_read_b128 v[192:195], v2 offset:1728
	v_add_f64 v[4:5], v[4:5], v[6:7]
	v_mul_f64 v[6:7], v[190:191], v[130:131]
	v_fma_f64 v[6:7], v[188:189], v[128:129], -v[6:7]
	v_add_f64 v[4:5], v[4:5], v[6:7]
	v_mul_f64 v[6:7], v[158:159], v[138:139]
	v_fma_f64 v[6:7], v[156:157], v[136:137], -v[6:7]
	v_add_f64 v[4:5], v[4:5], v[6:7]
	v_mul_f64 v[6:7], v[162:163], v[134:135]
	s_waitcnt vmcnt(2) lgkmcnt(0)
	v_mul_f64 v[198:199], v[192:193], v[182:183]
	v_fma_f64 v[6:7], v[160:161], v[132:133], -v[6:7]
	v_fmac_f64_e32 v[198:199], v[194:195], v[180:181]
	v_add_f64 v[4:5], v[4:5], v[6:7]
	v_mul_f64 v[6:7], v[186:187], v[174:175]
	v_add_f64 v[254:255], v[196:197], v[198:199]
	ds_read_b128 v[196:199], v2 offset:1744
	v_fma_f64 v[6:7], v[184:185], v[172:173], -v[6:7]
	v_add_f64 v[4:5], v[4:5], v[6:7]
	v_mul_f64 v[6:7], v[166:167], v[178:179]
	v_fma_f64 v[6:7], v[164:165], v[176:177], -v[6:7]
	v_add_f64 v[4:5], v[4:5], v[6:7]
	v_mul_f64 v[6:7], v[194:195], v[182:183]
	v_fma_f64 v[6:7], v[192:193], v[180:181], -v[6:7]
	s_waitcnt vmcnt(1) lgkmcnt(0)
	v_mul_f64 v[2:3], v[196:197], v[206:207]
	v_add_f64 v[4:5], v[4:5], v[6:7]
	v_mul_f64 v[6:7], v[198:199], v[206:207]
	v_fmac_f64_e32 v[2:3], v[198:199], v[204:205]
	v_fma_f64 v[6:7], v[196:197], v[204:205], -v[6:7]
	v_add_f64 v[2:3], v[254:255], v[2:3]
	v_add_f64 v[4:5], v[4:5], v[6:7]
	s_waitcnt vmcnt(0)
	v_add_f64 v[4:5], v[242:243], -v[4:5]
	v_add_f64 v[6:7], v[244:245], -v[2:3]
	scratch_store_dwordx4 off, v[4:7], off offset:304
	s_and_saveexec_b64 s[0:1], vcc
	s_cbranch_execz .LBB54_309
; %bb.308:
	scratch_load_dwordx4 v[2:5], off, s50
	v_mov_b32_e32 v6, 0
	v_mov_b32_e32 v7, v6
	;; [unrolled: 1-line block ×4, first 2 shown]
	v_accvgpr_read_b32 v0, a111
	scratch_store_dwordx4 off, v[6:9], off offset:288
	s_waitcnt vmcnt(1)
	ds_write_b128 v0, v[2:5]
.LBB54_309:
	s_or_b64 exec, exec, s[0:1]
	s_waitcnt lgkmcnt(0)
	; wave barrier
	scratch_load_dwordx4 v[168:171], off, off offset:304
	scratch_load_dwordx4 v[172:175], off, off offset:320
	;; [unrolled: 1-line block ×32, first 2 shown]
	v_mov_b32_e32 v2, 0
	ds_read_b128 v[176:179], v2 offset:1168
	ds_read_b128 v[188:191], v2 offset:1184
	;; [unrolled: 1-line block ×17, first 2 shown]
	v_accvgpr_read_b32 v0, a110
	v_cmp_lt_u32_e32 vcc, 16, v0
	s_waitcnt vmcnt(31) lgkmcnt(14)
	v_mul_f64 v[104:105], v[176:177], v[170:171]
	s_waitcnt vmcnt(30)
	v_mul_f64 v[106:107], v[188:189], v[174:175]
	v_fmac_f64_e32 v[104:105], v[178:179], v[168:169]
	s_waitcnt vmcnt(29)
	v_mul_f64 v[108:109], v[200:201], v[182:183]
	v_fmac_f64_e32 v[106:107], v[190:191], v[172:173]
	v_add_f64 v[104:105], v[104:105], 0
	s_waitcnt vmcnt(28) lgkmcnt(13)
	v_mul_f64 v[110:111], v[212:213], v[186:187]
	v_fmac_f64_e32 v[108:109], v[202:203], v[180:181]
	v_add_f64 v[104:105], v[104:105], v[106:107]
	s_waitcnt vmcnt(27) lgkmcnt(12)
	;; [unrolled: 4-line block ×12, first 2 shown]
	v_mul_f64 v[156:157], v[112:113], v[26:27]
	v_fmac_f64_e32 v[154:155], v[118:119], v[20:21]
	v_add_f64 v[104:105], v[104:105], v[152:153]
	v_fmac_f64_e32 v[156:157], v[114:115], v[24:25]
	v_add_f64 v[104:105], v[104:105], v[154:155]
	s_waitcnt vmcnt(16) lgkmcnt(1)
	v_mul_f64 v[106:107], v[100:101], v[30:31]
	v_add_f64 v[104:105], v[104:105], v[156:157]
	v_fmac_f64_e32 v[106:107], v[102:103], v[28:29]
	v_add_f64 v[108:109], v[104:105], v[106:107]
	ds_read_b128 v[144:147], v2 offset:1440
	ds_read_b128 v[148:151], v2 offset:1456
	scratch_load_dwordx4 v[104:107], off, off offset:816
	s_waitcnt vmcnt(16) lgkmcnt(2)
	v_mul_f64 v[110:111], v[96:97], v[34:35]
	v_fmac_f64_e32 v[110:111], v[98:99], v[32:33]
	v_add_f64 v[120:121], v[108:109], v[110:111]
	scratch_load_dwordx4 v[108:111], off, off offset:832
	s_waitcnt vmcnt(16) lgkmcnt(1)
	v_mul_f64 v[122:123], v[144:145], v[38:39]
	v_fmac_f64_e32 v[122:123], v[146:147], v[36:37]
	v_add_f64 v[132:133], v[120:121], v[122:123]
	s_waitcnt vmcnt(15) lgkmcnt(0)
	v_mul_f64 v[134:135], v[148:149], v[42:43]
	scratch_load_dwordx4 v[120:123], off, off offset:848
	v_fmac_f64_e32 v[134:135], v[150:151], v[40:41]
	v_add_f64 v[160:161], v[132:133], v[134:135]
	scratch_load_dwordx4 v[132:135], off, off offset:864
	ds_read_b128 v[152:155], v2 offset:1472
	ds_read_b128 v[156:159], v2 offset:1488
	v_mul_f64 v[170:171], v[178:179], v[170:171]
	v_fma_f64 v[246:247], v[176:177], v[168:169], -v[170:171]
	ds_read_b128 v[168:171], v2 offset:1536
	s_waitcnt vmcnt(16) lgkmcnt(2)
	v_mul_f64 v[162:163], v[152:153], v[46:47]
	v_fmac_f64_e32 v[162:163], v[154:155], v[44:45]
	s_waitcnt vmcnt(15) lgkmcnt(1)
	v_mul_f64 v[166:167], v[156:157], v[50:51]
	v_add_f64 v[164:165], v[160:161], v[162:163]
	ds_read_b128 v[160:163], v2 offset:1504
	v_fmac_f64_e32 v[166:167], v[158:159], v[48:49]
	v_add_f64 v[232:233], v[164:165], v[166:167]
	ds_read_b128 v[164:167], v2 offset:1520
	v_mul_f64 v[174:175], v[190:191], v[174:175]
	s_waitcnt vmcnt(14) lgkmcnt(1)
	v_mul_f64 v[234:235], v[160:161], v[54:55]
	v_fmac_f64_e32 v[234:235], v[162:163], v[52:53]
	v_add_f64 v[232:233], v[232:233], v[234:235]
	s_waitcnt vmcnt(13) lgkmcnt(0)
	v_mul_f64 v[176:177], v[164:165], v[58:59]
	v_fmac_f64_e32 v[176:177], v[166:167], v[56:57]
	v_fma_f64 v[248:249], v[188:189], v[172:173], -v[174:175]
	ds_read_b128 v[172:175], v2 offset:1552
	s_waitcnt vmcnt(12)
	v_mul_f64 v[178:179], v[168:169], v[62:63]
	v_add_f64 v[176:177], v[232:233], v[176:177]
	v_fmac_f64_e32 v[178:179], v[170:171], v[60:61]
	v_add_f64 v[188:189], v[176:177], v[178:179]
	ds_read_b128 v[176:179], v2 offset:1568
	v_mul_f64 v[182:183], v[202:203], v[182:183]
	v_fma_f64 v[254:255], v[200:201], v[180:181], -v[182:183]
	ds_read_b128 v[180:183], v2 offset:1584
	s_waitcnt vmcnt(11) lgkmcnt(2)
	v_mul_f64 v[190:191], v[172:173], v[66:67]
	v_fmac_f64_e32 v[190:191], v[174:175], v[64:65]
	v_add_f64 v[188:189], v[188:189], v[190:191]
	s_waitcnt vmcnt(10) lgkmcnt(1)
	v_mul_f64 v[190:191], v[176:177], v[70:71]
	v_fmac_f64_e32 v[190:191], v[178:179], v[68:69]
	v_mul_f64 v[186:187], v[214:215], v[186:187]
	v_fma_f64 v[250:251], v[212:213], v[184:185], -v[186:187]
	ds_read_b128 v[184:187], v2 offset:1600
	v_add_f64 v[188:189], v[188:189], v[190:191]
	s_waitcnt vmcnt(9) lgkmcnt(1)
	v_mul_f64 v[190:191], v[180:181], v[74:75]
	v_fmac_f64_e32 v[190:191], v[182:183], v[72:73]
	v_add_f64 v[200:201], v[188:189], v[190:191]
	ds_read_b128 v[188:191], v2 offset:1616
	v_mul_f64 v[194:195], v[222:223], v[194:195]
	v_fma_f64 v[252:253], v[220:221], v[192:193], -v[194:195]
	ds_read_b128 v[192:195], v2 offset:1632
	s_waitcnt vmcnt(8) lgkmcnt(2)
	v_mul_f64 v[202:203], v[184:185], v[78:79]
	v_fmac_f64_e32 v[202:203], v[186:187], v[76:77]
	v_add_f64 v[200:201], v[200:201], v[202:203]
	s_waitcnt vmcnt(7) lgkmcnt(1)
	v_mul_f64 v[202:203], v[188:189], v[82:83]
	v_fmac_f64_e32 v[202:203], v[190:191], v[80:81]
	v_mul_f64 v[198:199], v[226:227], v[198:199]
	v_add_f64 v[200:201], v[200:201], v[202:203]
	v_fma_f64 v[234:235], v[224:225], v[196:197], -v[198:199]
	ds_read_b128 v[196:199], v2 offset:1648
	s_waitcnt vmcnt(6) lgkmcnt(1)
	v_mul_f64 v[202:203], v[192:193], v[86:87]
	v_fmac_f64_e32 v[202:203], v[194:195], v[84:85]
	v_add_f64 v[212:213], v[200:201], v[202:203]
	ds_read_b128 v[200:203], v2 offset:1664
	v_mul_f64 v[206:207], v[230:231], v[206:207]
	v_fma_f64 v[236:237], v[228:229], v[204:205], -v[206:207]
	ds_read_b128 v[204:207], v2 offset:1680
	s_waitcnt vmcnt(5) lgkmcnt(2)
	v_mul_f64 v[214:215], v[196:197], v[94:95]
	v_fmac_f64_e32 v[214:215], v[198:199], v[92:93]
	v_add_f64 v[212:213], v[212:213], v[214:215]
	s_waitcnt vmcnt(4) lgkmcnt(1)
	v_mul_f64 v[214:215], v[200:201], v[90:91]
	v_fmac_f64_e32 v[214:215], v[202:203], v[88:89]
	v_mul_f64 v[210:211], v[240:241], v[210:211]
	v_fma_f64 v[238:239], v[238:239], v[208:209], -v[210:211]
	ds_read_b128 v[208:211], v2 offset:1696
	v_add_f64 v[212:213], v[212:213], v[214:215]
	s_waitcnt vmcnt(3) lgkmcnt(1)
	v_mul_f64 v[214:215], v[204:205], v[106:107]
	v_fmac_f64_e32 v[214:215], v[206:207], v[104:105]
	v_add_f64 v[220:221], v[212:213], v[214:215]
	ds_read_b128 v[212:215], v2 offset:1712
	v_mul_f64 v[218:219], v[244:245], v[218:219]
	v_fma_f64 v[240:241], v[242:243], v[216:217], -v[218:219]
	ds_read_b128 v[216:219], v2 offset:1728
	ds_read_b128 v[224:227], v2 offset:1744
	s_waitcnt vmcnt(2) lgkmcnt(3)
	v_mul_f64 v[222:223], v[208:209], v[110:111]
	v_fmac_f64_e32 v[222:223], v[210:211], v[108:109]
	v_add_f64 v[220:221], v[220:221], v[222:223]
	s_waitcnt vmcnt(1) lgkmcnt(2)
	v_mul_f64 v[222:223], v[212:213], v[122:123]
	v_fmac_f64_e32 v[222:223], v[214:215], v[120:121]
	v_add_f64 v[220:221], v[220:221], v[222:223]
	;; [unrolled: 4-line block ×3, first 2 shown]
	scratch_load_dwordx4 v[220:223], off, off offset:880
	v_mul_f64 v[6:7], v[142:143], v[6:7]
	v_fma_f64 v[4:5], v[140:141], v[4:5], -v[6:7]
	v_mul_f64 v[6:7], v[138:139], v[10:11]
	v_fma_f64 v[6:7], v[136:137], v[8:9], -v[6:7]
	s_waitcnt vmcnt(0) lgkmcnt(0)
	v_mul_f64 v[230:231], v[224:225], v[222:223]
	v_fmac_f64_e32 v[230:231], v[226:227], v[220:221]
	v_add_f64 v[232:233], v[228:229], v[230:231]
	v_add_f64 v[228:229], v[246:247], 0
	;; [unrolled: 1-line block ×6, first 2 shown]
	scratch_load_dwordx4 v[228:231], off, off offset:288
	v_add_f64 v[234:235], v[242:243], v[234:235]
	v_add_f64 v[234:235], v[234:235], v[236:237]
	v_add_f64 v[234:235], v[234:235], v[238:239]
	v_add_f64 v[234:235], v[234:235], v[240:241]
	v_add_f64 v[4:5], v[234:235], v[4:5]
	v_add_f64 v[4:5], v[4:5], v[6:7]
	v_mul_f64 v[6:7], v[130:131], v[14:15]
	v_fma_f64 v[6:7], v[128:129], v[12:13], -v[6:7]
	v_add_f64 v[4:5], v[4:5], v[6:7]
	v_mul_f64 v[6:7], v[126:127], v[18:19]
	v_fma_f64 v[6:7], v[124:125], v[16:17], -v[6:7]
	v_add_f64 v[4:5], v[4:5], v[6:7]
	;; [unrolled: 3-line block ×26, first 2 shown]
	s_waitcnt vmcnt(0)
	v_add_f64 v[4:5], v[228:229], -v[4:5]
	v_add_f64 v[6:7], v[230:231], -v[232:233]
	scratch_store_dwordx4 off, v[4:7], off offset:288
	s_and_saveexec_b64 s[0:1], vcc
	s_cbranch_execz .LBB54_311
; %bb.310:
	scratch_load_dwordx4 v[6:9], off, s49
	v_mov_b32_e32 v3, v2
	v_mov_b32_e32 v4, v2
	;; [unrolled: 1-line block ×3, first 2 shown]
	v_accvgpr_read_b32 v0, a111
	scratch_store_dwordx4 off, v[2:5], off offset:272
	s_waitcnt vmcnt(1)
	ds_write_b128 v0, v[6:9]
.LBB54_311:
	s_or_b64 exec, exec, s[0:1]
	s_waitcnt lgkmcnt(0)
	; wave barrier
	scratch_load_dwordx4 v[168:171], off, off offset:288
	scratch_load_dwordx4 v[172:175], off, off offset:304
	;; [unrolled: 1-line block ×16, first 2 shown]
	ds_read_b128 v[232:235], v2 offset:1152
	ds_read_b128 v[176:179], v2 offset:1168
	scratch_load_dwordx4 v[32:35], off, off offset:544
	ds_read_b128 v[236:239], v2 offset:1184
	ds_read_b128 v[188:191], v2 offset:1200
	ds_read_b128 v[228:231], v2 offset:1216
	ds_read_b128 v[200:203], v2 offset:1232
	ds_read_b128 v[212:215], v2 offset:1248
	scratch_load_dwordx4 v[36:39], off, off offset:560
	ds_read_b128 v[224:227], v2 offset:1264
	ds_read_b128 v[220:223], v2 offset:1280
	;; [unrolled: 1-line block ×3, first 2 shown]
	scratch_load_dwordx4 v[40:43], off, off offset:576
	ds_read_b128 v[64:67], v2 offset:1312
	ds_read_b128 v[60:63], v2 offset:1328
	;; [unrolled: 1-line block ×4, first 2 shown]
	scratch_load_dwordx4 v[48:51], off, off offset:592
	ds_read_b128 v[80:83], v2 offset:1376
	ds_read_b128 v[72:75], v2 offset:1392
	;; [unrolled: 1-line block ×3, first 2 shown]
	scratch_load_dwordx4 v[76:79], off, off offset:608
	scratch_load_dwordx4 v[84:87], off, off offset:624
	;; [unrolled: 1-line block ×12, first 2 shown]
	v_accvgpr_read_b32 v0, a110
	v_cmp_lt_u32_e32 vcc, 15, v0
	s_waitcnt vmcnt(31) lgkmcnt(14)
	v_mul_f64 v[128:129], v[232:233], v[170:171]
	s_waitcnt vmcnt(30)
	v_mul_f64 v[130:131], v[176:177], v[174:175]
	v_fmac_f64_e32 v[128:129], v[234:235], v[168:169]
	s_waitcnt vmcnt(29)
	v_mul_f64 v[132:133], v[236:237], v[182:183]
	v_fmac_f64_e32 v[130:131], v[178:179], v[172:173]
	v_add_f64 v[128:129], v[128:129], 0
	s_waitcnt vmcnt(28) lgkmcnt(13)
	v_mul_f64 v[134:135], v[188:189], v[186:187]
	v_fmac_f64_e32 v[132:133], v[238:239], v[180:181]
	v_add_f64 v[128:129], v[128:129], v[130:131]
	s_waitcnt vmcnt(27) lgkmcnt(12)
	;; [unrolled: 4-line block ×13, first 2 shown]
	v_mul_f64 v[158:159], v[72:73], v[30:31]
	v_fmac_f64_e32 v[156:157], v[82:83], v[24:25]
	v_add_f64 v[128:129], v[128:129], v[154:155]
	v_add_f64 v[128:129], v[128:129], v[156:157]
	v_fmac_f64_e32 v[158:159], v[74:75], v[28:29]
	v_add_f64 v[132:133], v[128:129], v[158:159]
	ds_read_b128 v[144:147], v2 offset:1424
	ds_read_b128 v[148:151], v2 offset:1440
	scratch_load_dwordx4 v[128:131], off, off offset:800
	s_waitcnt vmcnt(16) lgkmcnt(2)
	v_mul_f64 v[134:135], v[68:69], v[34:35]
	v_fmac_f64_e32 v[134:135], v[70:71], v[32:33]
	s_waitcnt vmcnt(15) lgkmcnt(1)
	v_mul_f64 v[138:139], v[144:145], v[38:39]
	v_add_f64 v[136:137], v[132:133], v[134:135]
	scratch_load_dwordx4 v[132:135], off, off offset:816
	v_fmac_f64_e32 v[138:139], v[146:147], v[36:37]
	v_add_f64 v[140:141], v[136:137], v[138:139]
	s_waitcnt vmcnt(15) lgkmcnt(0)
	v_mul_f64 v[142:143], v[148:149], v[42:43]
	scratch_load_dwordx4 v[136:139], off, off offset:832
	v_fmac_f64_e32 v[142:143], v[150:151], v[40:41]
	v_add_f64 v[160:161], v[140:141], v[142:143]
	scratch_load_dwordx4 v[140:143], off, off offset:848
	ds_read_b128 v[152:155], v2 offset:1456
	ds_read_b128 v[156:159], v2 offset:1472
	v_mul_f64 v[170:171], v[234:235], v[170:171]
	v_fma_f64 v[244:245], v[232:233], v[168:169], -v[170:171]
	ds_read_b128 v[168:171], v2 offset:1520
	s_waitcnt vmcnt(16) lgkmcnt(2)
	v_mul_f64 v[162:163], v[152:153], v[50:51]
	v_fmac_f64_e32 v[162:163], v[154:155], v[48:49]
	s_waitcnt vmcnt(15) lgkmcnt(1)
	v_mul_f64 v[166:167], v[156:157], v[78:79]
	v_add_f64 v[164:165], v[160:161], v[162:163]
	ds_read_b128 v[160:163], v2 offset:1488
	v_fmac_f64_e32 v[166:167], v[158:159], v[76:77]
	v_add_f64 v[240:241], v[164:165], v[166:167]
	ds_read_b128 v[164:167], v2 offset:1504
	v_mul_f64 v[174:175], v[178:179], v[174:175]
	s_waitcnt vmcnt(14) lgkmcnt(1)
	v_mul_f64 v[242:243], v[160:161], v[86:87]
	v_fmac_f64_e32 v[242:243], v[162:163], v[84:85]
	v_add_f64 v[240:241], v[240:241], v[242:243]
	s_waitcnt vmcnt(13) lgkmcnt(0)
	v_mul_f64 v[232:233], v[164:165], v[90:91]
	v_fmac_f64_e32 v[232:233], v[166:167], v[88:89]
	v_fma_f64 v[246:247], v[176:177], v[172:173], -v[174:175]
	ds_read_b128 v[172:175], v2 offset:1536
	s_waitcnt vmcnt(12)
	v_mul_f64 v[176:177], v[168:169], v[94:95]
	v_add_f64 v[232:233], v[240:241], v[232:233]
	v_fmac_f64_e32 v[176:177], v[170:171], v[92:93]
	v_add_f64 v[232:233], v[232:233], v[176:177]
	ds_read_b128 v[176:179], v2 offset:1552
	v_mul_f64 v[182:183], v[238:239], v[182:183]
	v_fma_f64 v[236:237], v[236:237], v[180:181], -v[182:183]
	ds_read_b128 v[180:183], v2 offset:1568
	s_waitcnt vmcnt(11) lgkmcnt(2)
	v_mul_f64 v[234:235], v[172:173], v[98:99]
	v_fmac_f64_e32 v[234:235], v[174:175], v[96:97]
	v_add_f64 v[232:233], v[232:233], v[234:235]
	s_waitcnt vmcnt(10) lgkmcnt(1)
	v_mul_f64 v[234:235], v[176:177], v[102:103]
	v_fmac_f64_e32 v[234:235], v[178:179], v[100:101]
	v_mul_f64 v[186:187], v[190:191], v[186:187]
	s_waitcnt vmcnt(9) lgkmcnt(0)
	v_mul_f64 v[190:191], v[180:181], v[106:107]
	v_fma_f64 v[238:239], v[188:189], v[184:185], -v[186:187]
	ds_read_b128 v[184:187], v2 offset:1584
	v_add_f64 v[188:189], v[232:233], v[234:235]
	v_fmac_f64_e32 v[190:191], v[182:183], v[104:105]
	v_add_f64 v[232:233], v[188:189], v[190:191]
	ds_read_b128 v[188:191], v2 offset:1600
	v_mul_f64 v[194:195], v[230:231], v[194:195]
	v_fma_f64 v[248:249], v[228:229], v[192:193], -v[194:195]
	ds_read_b128 v[192:195], v2 offset:1616
	s_waitcnt vmcnt(8) lgkmcnt(2)
	v_mul_f64 v[234:235], v[184:185], v[110:111]
	v_fmac_f64_e32 v[234:235], v[186:187], v[108:109]
	s_waitcnt vmcnt(7) lgkmcnt(1)
	v_mul_f64 v[228:229], v[188:189], v[114:115]
	v_mul_f64 v[198:199], v[202:203], v[198:199]
	v_add_f64 v[232:233], v[232:233], v[234:235]
	v_fmac_f64_e32 v[228:229], v[190:191], v[112:113]
	v_fma_f64 v[250:251], v[200:201], v[196:197], -v[198:199]
	ds_read_b128 v[196:199], v2 offset:1632
	s_waitcnt vmcnt(6) lgkmcnt(1)
	v_mul_f64 v[200:201], v[192:193], v[118:119]
	v_add_f64 v[228:229], v[232:233], v[228:229]
	v_fmac_f64_e32 v[200:201], v[194:195], v[116:117]
	v_add_f64 v[228:229], v[228:229], v[200:201]
	ds_read_b128 v[200:203], v2 offset:1648
	v_mul_f64 v[206:207], v[214:215], v[206:207]
	v_fma_f64 v[252:253], v[212:213], v[204:205], -v[206:207]
	ds_read_b128 v[204:207], v2 offset:1664
	s_waitcnt vmcnt(5) lgkmcnt(2)
	v_mul_f64 v[230:231], v[196:197], v[126:127]
	v_fmac_f64_e32 v[230:231], v[198:199], v[124:125]
	s_waitcnt vmcnt(4) lgkmcnt(1)
	v_mul_f64 v[212:213], v[200:201], v[122:123]
	v_add_f64 v[228:229], v[228:229], v[230:231]
	v_fmac_f64_e32 v[212:213], v[202:203], v[120:121]
	v_mul_f64 v[210:211], v[226:227], v[210:211]
	s_waitcnt vmcnt(3) lgkmcnt(0)
	v_mul_f64 v[214:215], v[204:205], v[130:131]
	v_fma_f64 v[240:241], v[224:225], v[208:209], -v[210:211]
	ds_read_b128 v[208:211], v2 offset:1680
	v_add_f64 v[212:213], v[228:229], v[212:213]
	v_fmac_f64_e32 v[214:215], v[206:207], v[128:129]
	v_add_f64 v[224:225], v[212:213], v[214:215]
	ds_read_b128 v[212:215], v2 offset:1696
	v_mul_f64 v[218:219], v[222:223], v[218:219]
	v_fma_f64 v[242:243], v[220:221], v[216:217], -v[218:219]
	ds_read_b128 v[216:219], v2 offset:1712
	s_waitcnt vmcnt(2) lgkmcnt(2)
	v_mul_f64 v[220:221], v[208:209], v[134:135]
	v_fmac_f64_e32 v[220:221], v[210:211], v[132:133]
	s_waitcnt vmcnt(1) lgkmcnt(1)
	v_mul_f64 v[222:223], v[212:213], v[138:139]
	v_add_f64 v[220:221], v[224:225], v[220:221]
	v_fmac_f64_e32 v[222:223], v[214:215], v[136:137]
	v_add_f64 v[220:221], v[220:221], v[222:223]
	ds_read_b128 v[224:227], v2 offset:1728
	s_waitcnt vmcnt(0) lgkmcnt(1)
	v_mul_f64 v[222:223], v[216:217], v[142:143]
	v_fmac_f64_e32 v[222:223], v[218:219], v[140:141]
	v_add_f64 v[228:229], v[220:221], v[222:223]
	scratch_load_dwordx4 v[220:223], off, off offset:864
	scratch_load_dwordx4 v[232:235], off, off offset:880
	v_add_f64 v[244:245], v[244:245], 0
	v_add_f64 v[244:245], v[244:245], v[246:247]
	;; [unrolled: 1-line block ×6, first 2 shown]
	v_mul_f64 v[6:7], v[46:47], v[6:7]
	v_fma_f64 v[4:5], v[44:45], v[4:5], -v[6:7]
	v_mul_f64 v[6:7], v[66:67], v[10:11]
	v_fma_f64 v[6:7], v[64:65], v[8:9], -v[6:7]
	s_waitcnt vmcnt(1) lgkmcnt(0)
	v_mul_f64 v[230:231], v[224:225], v[222:223]
	v_fmac_f64_e32 v[230:231], v[226:227], v[220:221]
	v_add_f64 v[254:255], v[228:229], v[230:231]
	ds_read_b128 v[228:231], v2 offset:1744
	s_waitcnt vmcnt(0) lgkmcnt(0)
	v_mul_f64 v[2:3], v[228:229], v[234:235]
	v_fmac_f64_e32 v[2:3], v[230:231], v[232:233]
	v_add_f64 v[2:3], v[254:255], v[2:3]
	v_add_f64 v[254:255], v[236:237], v[252:253]
	scratch_load_dwordx4 v[236:239], off, off offset:272
	v_add_f64 v[240:241], v[254:255], v[240:241]
	v_add_f64 v[240:241], v[240:241], v[242:243]
	;; [unrolled: 1-line block ×4, first 2 shown]
	v_mul_f64 v[6:7], v[62:63], v[14:15]
	v_fma_f64 v[6:7], v[60:61], v[12:13], -v[6:7]
	v_add_f64 v[4:5], v[4:5], v[6:7]
	v_mul_f64 v[6:7], v[58:59], v[18:19]
	v_fma_f64 v[6:7], v[56:57], v[16:17], -v[6:7]
	v_add_f64 v[4:5], v[4:5], v[6:7]
	;; [unrolled: 3-line block ×27, first 2 shown]
	s_waitcnt vmcnt(0)
	v_add_f64 v[4:5], v[236:237], -v[4:5]
	v_add_f64 v[6:7], v[238:239], -v[2:3]
	scratch_store_dwordx4 off, v[4:7], off offset:272
	s_and_saveexec_b64 s[0:1], vcc
	s_cbranch_execz .LBB54_313
; %bb.312:
	scratch_load_dwordx4 v[2:5], off, s48
	v_mov_b32_e32 v6, 0
	v_mov_b32_e32 v7, v6
	v_mov_b32_e32 v8, v6
	v_mov_b32_e32 v9, v6
	v_accvgpr_read_b32 v0, a111
	scratch_store_dwordx4 off, v[6:9], off offset:256
	s_waitcnt vmcnt(1)
	ds_write_b128 v0, v[2:5]
.LBB54_313:
	s_or_b64 exec, exec, s[0:1]
	s_waitcnt lgkmcnt(0)
	; wave barrier
	scratch_load_dwordx4 v[80:83], off, off offset:272
	scratch_load_dwordx4 v[84:87], off, off offset:288
	;; [unrolled: 1-line block ×31, first 2 shown]
	v_mov_b32_e32 v2, 0
	ds_read_b128 v[196:199], v2 offset:1136
	ds_read_b128 v[200:203], v2 offset:1152
	;; [unrolled: 1-line block ×20, first 2 shown]
	s_waitcnt vmcnt(30) lgkmcnt(14)
	v_mul_f64 v[140:141], v[196:197], v[82:83]
	s_waitcnt vmcnt(29)
	v_mul_f64 v[142:143], v[200:201], v[86:87]
	v_fmac_f64_e32 v[140:141], v[198:199], v[80:81]
	s_waitcnt vmcnt(28)
	v_mul_f64 v[152:153], v[204:205], v[90:91]
	v_fmac_f64_e32 v[142:143], v[202:203], v[84:85]
	v_add_f64 v[140:141], v[140:141], 0
	s_waitcnt vmcnt(27)
	v_mul_f64 v[154:155], v[208:209], v[94:95]
	v_fmac_f64_e32 v[152:153], v[206:207], v[88:89]
	v_add_f64 v[140:141], v[140:141], v[142:143]
	;; [unrolled: 4-line block ×4, first 2 shown]
	s_waitcnt vmcnt(24) lgkmcnt(13)
	v_mul_f64 v[164:165], v[220:221], v[106:107]
	v_fmac_f64_e32 v[162:163], v[218:219], v[100:101]
	v_add_f64 v[140:141], v[140:141], v[160:161]
	s_waitcnt vmcnt(23) lgkmcnt(12)
	v_mul_f64 v[166:167], v[224:225], v[110:111]
	v_fmac_f64_e32 v[164:165], v[222:223], v[104:105]
	v_add_f64 v[140:141], v[140:141], v[162:163]
	;; [unrolled: 4-line block ×8, first 2 shown]
	v_fmac_f64_e32 v[178:179], v[146:147], v[12:13]
	v_add_f64 v[140:141], v[140:141], v[176:177]
	v_add_f64 v[140:141], v[140:141], v[178:179]
	ds_read_b128 v[176:179], v2 offset:1408
	s_waitcnt vmcnt(16) lgkmcnt(6)
	v_mul_f64 v[180:181], v[136:137], v[18:19]
	s_waitcnt vmcnt(15) lgkmcnt(5)
	v_mul_f64 v[182:183], v[132:133], v[22:23]
	v_fmac_f64_e32 v[180:181], v[138:139], v[16:17]
	v_add_f64 v[152:153], v[140:141], v[180:181]
	v_fmac_f64_e32 v[182:183], v[134:135], v[20:21]
	scratch_load_dwordx4 v[140:143], off, off offset:768
	s_waitcnt vmcnt(15) lgkmcnt(4)
	v_mul_f64 v[154:155], v[128:129], v[26:27]
	v_add_f64 v[152:153], v[152:153], v[182:183]
	v_fmac_f64_e32 v[154:155], v[130:131], v[24:25]
	v_add_f64 v[160:161], v[152:153], v[154:155]
	ds_read_b128 v[180:183], v2 offset:1424
	s_waitcnt vmcnt(14) lgkmcnt(1)
	v_mul_f64 v[162:163], v[176:177], v[30:31]
	scratch_load_dwordx4 v[152:155], off, off offset:784
	v_fmac_f64_e32 v[162:163], v[178:179], v[28:29]
	v_add_f64 v[164:165], v[160:161], v[162:163]
	scratch_load_dwordx4 v[160:163], off, off offset:800
	s_waitcnt vmcnt(15) lgkmcnt(0)
	v_mul_f64 v[166:167], v[180:181], v[34:35]
	v_fmac_f64_e32 v[166:167], v[182:183], v[32:33]
	v_add_f64 v[168:169], v[164:165], v[166:167]
	s_waitcnt vmcnt(14)
	v_mul_f64 v[170:171], v[184:185], v[38:39]
	scratch_load_dwordx4 v[164:167], off, off offset:816
	v_fmac_f64_e32 v[170:171], v[186:187], v[36:37]
	v_add_f64 v[168:169], v[168:169], v[170:171]
	s_waitcnt vmcnt(14)
	v_mul_f64 v[170:171], v[188:189], v[42:43]
	scratch_load_dwordx4 v[172:175], off, off offset:832
	v_fmac_f64_e32 v[170:171], v[190:191], v[40:41]
	v_add_f64 v[232:233], v[168:169], v[170:171]
	scratch_load_dwordx4 v[168:171], off, off offset:848
	v_mul_f64 v[82:83], v[198:199], v[82:83]
	v_fma_f64 v[246:247], v[196:197], v[80:81], -v[82:83]
	ds_read_b128 v[196:199], v2 offset:1488
	s_waitcnt vmcnt(15)
	v_mul_f64 v[80:81], v[192:193], v[46:47]
	v_fmac_f64_e32 v[80:81], v[194:195], v[44:45]
	v_add_f64 v[232:233], v[232:233], v[80:81]
	v_mul_f64 v[80:81], v[202:203], v[86:87]
	v_fma_f64 v[248:249], v[200:201], v[84:85], -v[80:81]
	scratch_load_dwordx4 v[80:83], off, off offset:864
	ds_read_b128 v[84:87], v2 offset:1504
	v_mul_f64 v[90:91], v[206:207], v[90:91]
	v_fma_f64 v[250:251], v[204:205], v[88:89], -v[90:91]
	ds_read_b128 v[88:91], v2 offset:1520
	s_waitcnt vmcnt(15) lgkmcnt(2)
	v_mul_f64 v[200:201], v[196:197], v[50:51]
	v_fmac_f64_e32 v[200:201], v[198:199], v[48:49]
	s_waitcnt vmcnt(14) lgkmcnt(1)
	v_mul_f64 v[202:203], v[84:85], v[54:55]
	v_add_f64 v[200:201], v[232:233], v[200:201]
	v_fmac_f64_e32 v[202:203], v[86:87], v[52:53]
	v_mul_f64 v[94:95], v[210:211], v[94:95]
	v_fma_f64 v[252:253], v[208:209], v[92:93], -v[94:95]
	ds_read_b128 v[92:95], v2 offset:1536
	v_add_f64 v[200:201], v[200:201], v[202:203]
	s_waitcnt vmcnt(13) lgkmcnt(1)
	v_mul_f64 v[202:203], v[88:89], v[58:59]
	v_fmac_f64_e32 v[202:203], v[90:91], v[56:57]
	v_add_f64 v[204:205], v[200:201], v[202:203]
	ds_read_b128 v[200:203], v2 offset:1552
	v_mul_f64 v[98:99], v[214:215], v[98:99]
	v_fma_f64 v[254:255], v[212:213], v[96:97], -v[98:99]
	ds_read_b128 v[96:99], v2 offset:1568
	s_waitcnt vmcnt(12) lgkmcnt(2)
	v_mul_f64 v[206:207], v[92:93], v[62:63]
	v_fmac_f64_e32 v[206:207], v[94:95], v[60:61]
	v_add_f64 v[204:205], v[204:205], v[206:207]
	s_waitcnt vmcnt(11) lgkmcnt(1)
	v_mul_f64 v[206:207], v[200:201], v[66:67]
	v_fmac_f64_e32 v[206:207], v[202:203], v[64:65]
	v_mul_f64 v[102:103], v[218:219], v[102:103]
	v_add_f64 v[204:205], v[204:205], v[206:207]
	v_fma_f64 v[232:233], v[216:217], v[100:101], -v[102:103]
	ds_read_b128 v[100:103], v2 offset:1584
	s_waitcnt vmcnt(10) lgkmcnt(1)
	v_mul_f64 v[206:207], v[96:97], v[70:71]
	v_fmac_f64_e32 v[206:207], v[98:99], v[68:69]
	v_add_f64 v[208:209], v[204:205], v[206:207]
	ds_read_b128 v[204:207], v2 offset:1600
	v_mul_f64 v[106:107], v[222:223], v[106:107]
	v_fma_f64 v[0:1], v[220:221], v[104:105], -v[106:107]
	ds_read_b128 v[104:107], v2 offset:1616
	s_waitcnt vmcnt(9) lgkmcnt(2)
	v_mul_f64 v[210:211], v[100:101], v[74:75]
	v_fmac_f64_e32 v[210:211], v[102:103], v[72:73]
	v_add_f64 v[208:209], v[208:209], v[210:211]
	s_waitcnt vmcnt(8) lgkmcnt(1)
	v_mul_f64 v[210:211], v[204:205], v[78:79]
	v_fmac_f64_e32 v[210:211], v[206:207], v[76:77]
	v_mul_f64 v[110:111], v[226:227], v[110:111]
	v_fma_f64 v[234:235], v[224:225], v[108:109], -v[110:111]
	ds_read_b128 v[108:111], v2 offset:1632
	v_add_f64 v[208:209], v[208:209], v[210:211]
	s_waitcnt vmcnt(7) lgkmcnt(1)
	v_mul_f64 v[210:211], v[104:105], v[126:127]
	v_fmac_f64_e32 v[210:211], v[106:107], v[124:125]
	v_add_f64 v[212:213], v[208:209], v[210:211]
	ds_read_b128 v[208:211], v2 offset:1648
	v_mul_f64 v[114:115], v[230:231], v[114:115]
	v_fma_f64 v[236:237], v[228:229], v[112:113], -v[114:115]
	ds_read_b128 v[112:115], v2 offset:1664
	s_waitcnt vmcnt(6) lgkmcnt(2)
	v_mul_f64 v[214:215], v[108:109], v[142:143]
	v_fmac_f64_e32 v[214:215], v[110:111], v[140:141]
	v_add_f64 v[212:213], v[212:213], v[214:215]
	s_waitcnt vmcnt(5) lgkmcnt(1)
	v_mul_f64 v[214:215], v[208:209], v[154:155]
	v_fmac_f64_e32 v[214:215], v[210:211], v[152:153]
	v_mul_f64 v[118:119], v[240:241], v[118:119]
	v_add_f64 v[212:213], v[212:213], v[214:215]
	v_fma_f64 v[238:239], v[238:239], v[116:117], -v[118:119]
	ds_read_b128 v[116:119], v2 offset:1680
	s_waitcnt vmcnt(4) lgkmcnt(1)
	v_mul_f64 v[214:215], v[112:113], v[162:163]
	v_fmac_f64_e32 v[214:215], v[114:115], v[160:161]
	v_add_f64 v[216:217], v[212:213], v[214:215]
	ds_read_b128 v[212:215], v2 offset:1696
	v_mul_f64 v[122:123], v[244:245], v[122:123]
	v_fma_f64 v[240:241], v[242:243], v[120:121], -v[122:123]
	ds_read_b128 v[120:123], v2 offset:1712
	s_waitcnt vmcnt(3) lgkmcnt(2)
	v_mul_f64 v[218:219], v[116:117], v[166:167]
	v_fmac_f64_e32 v[218:219], v[118:119], v[164:165]
	v_add_f64 v[216:217], v[216:217], v[218:219]
	s_waitcnt vmcnt(2) lgkmcnt(1)
	v_mul_f64 v[218:219], v[212:213], v[174:175]
	v_fmac_f64_e32 v[218:219], v[214:215], v[172:173]
	v_add_f64 v[216:217], v[216:217], v[218:219]
	;; [unrolled: 4-line block ×3, first 2 shown]
	ds_read_b128 v[216:219], v2 offset:1728
	ds_read_b128 v[224:227], v2 offset:1744
	v_mul_f64 v[6:7], v[158:159], v[6:7]
	v_fma_f64 v[4:5], v[156:157], v[4:5], -v[6:7]
	s_waitcnt vmcnt(0) lgkmcnt(1)
	v_mul_f64 v[222:223], v[216:217], v[82:83]
	v_fmac_f64_e32 v[222:223], v[218:219], v[80:81]
	v_add_f64 v[228:229], v[220:221], v[222:223]
	scratch_load_dwordx4 v[220:223], off, off offset:880
	s_waitcnt vmcnt(0) lgkmcnt(0)
	v_mul_f64 v[230:231], v[224:225], v[222:223]
	v_fmac_f64_e32 v[230:231], v[226:227], v[220:221]
	v_add_f64 v[244:245], v[228:229], v[230:231]
	v_add_f64 v[228:229], v[246:247], 0
	;; [unrolled: 1-line block ×8, first 2 shown]
	scratch_load_dwordx4 v[228:231], off, off offset:256
	v_add_f64 v[0:1], v[242:243], v[234:235]
	v_add_f64 v[0:1], v[0:1], v[236:237]
	;; [unrolled: 1-line block ×5, first 2 shown]
	v_mul_f64 v[4:5], v[150:151], v[10:11]
	v_fma_f64 v[4:5], v[148:149], v[8:9], -v[4:5]
	v_add_f64 v[0:1], v[0:1], v[4:5]
	v_mul_f64 v[4:5], v[146:147], v[14:15]
	v_fma_f64 v[4:5], v[144:145], v[12:13], -v[4:5]
	v_add_f64 v[0:1], v[0:1], v[4:5]
	;; [unrolled: 3-line block ×27, first 2 shown]
	s_waitcnt vmcnt(0)
	v_add_f64 v[4:5], v[228:229], -v[0:1]
	v_accvgpr_read_b32 v0, a110
	v_add_f64 v[6:7], v[230:231], -v[244:245]
	v_cmp_lt_u32_e32 vcc, 14, v0
	scratch_store_dwordx4 off, v[4:7], off offset:256
	s_and_saveexec_b64 s[0:1], vcc
	s_cbranch_execz .LBB54_315
; %bb.314:
	scratch_load_dwordx4 v[6:9], off, s47
	v_mov_b32_e32 v3, v2
	v_mov_b32_e32 v4, v2
	;; [unrolled: 1-line block ×3, first 2 shown]
	v_accvgpr_read_b32 v0, a111
	scratch_store_dwordx4 off, v[2:5], off offset:240
	s_waitcnt vmcnt(1)
	ds_write_b128 v0, v[6:9]
.LBB54_315:
	s_or_b64 exec, exec, s[0:1]
	s_waitcnt lgkmcnt(0)
	; wave barrier
	scratch_load_dwordx4 v[132:135], off, off offset:256
	scratch_load_dwordx4 v[160:163], off, off offset:272
	;; [unrolled: 1-line block ×16, first 2 shown]
	ds_read_b128 v[156:159], v2 offset:1120
	ds_read_b128 v[172:175], v2 offset:1136
	scratch_load_dwordx4 v[24:27], off, off offset:512
	ds_read_b128 v[232:235], v2 offset:1152
	ds_read_b128 v[228:231], v2 offset:1168
	scratch_load_dwordx4 v[28:31], off, off offset:528
	ds_read_b128 v[236:239], v2 offset:1184
	ds_read_b128 v[184:187], v2 offset:1200
	;; [unrolled: 1-line block ×5, first 2 shown]
	scratch_load_dwordx4 v[32:35], off, off offset:544
	ds_read_b128 v[220:223], v2 offset:1264
	ds_read_b128 v[216:219], v2 offset:1280
	;; [unrolled: 1-line block ×3, first 2 shown]
	scratch_load_dwordx4 v[36:39], off, off offset:560
	ds_read_b128 v[64:67], v2 offset:1312
	ds_read_b128 v[60:63], v2 offset:1328
	;; [unrolled: 1-line block ×5, first 2 shown]
	scratch_load_dwordx4 v[52:55], off, off offset:576
	scratch_load_dwordx4 v[68:71], off, off offset:592
	;; [unrolled: 1-line block ×11, first 2 shown]
	ds_read_b128 v[144:147], v2 offset:1424
	ds_read_b128 v[148:151], v2 offset:1440
	;; [unrolled: 1-line block ×3, first 2 shown]
	s_waitcnt vmcnt(30) lgkmcnt(14)
	v_mul_f64 v[0:1], v[156:157], v[134:135]
	s_waitcnt vmcnt(29)
	v_mul_f64 v[108:109], v[172:173], v[162:163]
	v_fmac_f64_e32 v[0:1], v[158:159], v[132:133]
	s_waitcnt vmcnt(28)
	v_mul_f64 v[110:111], v[232:233], v[166:167]
	v_fmac_f64_e32 v[108:109], v[174:175], v[160:161]
	v_add_f64 v[0:1], v[0:1], 0
	s_waitcnt vmcnt(27)
	v_mul_f64 v[112:113], v[228:229], v[170:171]
	v_fmac_f64_e32 v[110:111], v[234:235], v[164:165]
	v_add_f64 v[0:1], v[0:1], v[108:109]
	;; [unrolled: 4-line block ×4, first 2 shown]
	s_waitcnt vmcnt(24) lgkmcnt(13)
	v_mul_f64 v[118:119], v[224:225], v[190:191]
	v_fmac_f64_e32 v[116:117], v[186:187], v[180:181]
	v_add_f64 v[0:1], v[0:1], v[114:115]
	s_waitcnt vmcnt(23) lgkmcnt(12)
	v_mul_f64 v[120:121], v[196:197], v[194:195]
	v_fmac_f64_e32 v[118:119], v[226:227], v[188:189]
	v_add_f64 v[0:1], v[0:1], v[116:117]
	s_waitcnt vmcnt(22) lgkmcnt(11)
	v_mul_f64 v[122:123], v[208:209], v[202:203]
	v_fmac_f64_e32 v[120:121], v[198:199], v[192:193]
	v_add_f64 v[0:1], v[0:1], v[118:119]
	s_waitcnt vmcnt(21) lgkmcnt(10)
	v_mul_f64 v[124:125], v[220:221], v[206:207]
	v_fmac_f64_e32 v[122:123], v[210:211], v[200:201]
	v_add_f64 v[0:1], v[0:1], v[120:121]
	s_waitcnt vmcnt(20) lgkmcnt(9)
	v_mul_f64 v[126:127], v[216:217], v[214:215]
	v_fmac_f64_e32 v[124:125], v[222:223], v[204:205]
	v_add_f64 v[0:1], v[0:1], v[122:123]
	s_waitcnt vmcnt(19) lgkmcnt(8)
	v_mul_f64 v[128:129], v[40:41], v[6:7]
	v_fmac_f64_e32 v[126:127], v[218:219], v[212:213]
	v_add_f64 v[0:1], v[0:1], v[124:125]
	s_waitcnt vmcnt(18) lgkmcnt(7)
	v_mul_f64 v[130:131], v[64:65], v[10:11]
	v_fmac_f64_e32 v[128:129], v[42:43], v[4:5]
	v_add_f64 v[0:1], v[0:1], v[126:127]
	s_waitcnt vmcnt(17) lgkmcnt(6)
	v_mul_f64 v[136:137], v[60:61], v[14:15]
	v_fmac_f64_e32 v[130:131], v[66:67], v[8:9]
	v_add_f64 v[0:1], v[0:1], v[128:129]
	s_waitcnt vmcnt(16) lgkmcnt(5)
	v_mul_f64 v[138:139], v[56:57], v[18:19]
	v_fmac_f64_e32 v[136:137], v[62:63], v[12:13]
	v_add_f64 v[0:1], v[0:1], v[130:131]
	v_fmac_f64_e32 v[138:139], v[58:59], v[16:17]
	v_add_f64 v[0:1], v[0:1], v[136:137]
	v_add_f64 v[0:1], v[0:1], v[138:139]
	ds_read_b128 v[136:139], v2 offset:1392
	s_waitcnt vmcnt(15) lgkmcnt(5)
	v_mul_f64 v[140:141], v[48:49], v[22:23]
	v_fmac_f64_e32 v[140:141], v[50:51], v[20:21]
	s_waitcnt vmcnt(14) lgkmcnt(4)
	v_mul_f64 v[112:113], v[44:45], v[26:27]
	scratch_load_dwordx4 v[108:111], off, off offset:752
	v_add_f64 v[0:1], v[0:1], v[140:141]
	v_fmac_f64_e32 v[112:113], v[46:47], v[24:25]
	v_add_f64 v[0:1], v[0:1], v[112:113]
	scratch_load_dwordx4 v[112:115], off, off offset:768
	ds_read_b128 v[140:143], v2 offset:1408
	s_waitcnt vmcnt(15) lgkmcnt(1)
	v_mul_f64 v[116:117], v[136:137], v[30:31]
	v_fmac_f64_e32 v[116:117], v[138:139], v[28:29]
	v_add_f64 v[0:1], v[0:1], v[116:117]
	scratch_load_dwordx4 v[116:119], off, off offset:784
	s_waitcnt vmcnt(15) lgkmcnt(0)
	v_mul_f64 v[120:121], v[140:141], v[34:35]
	v_fmac_f64_e32 v[120:121], v[142:143], v[32:33]
	s_waitcnt vmcnt(14)
	v_mul_f64 v[124:125], v[144:145], v[38:39]
	v_add_f64 v[0:1], v[0:1], v[120:121]
	scratch_load_dwordx4 v[120:123], off, off offset:800
	v_fmac_f64_e32 v[124:125], v[146:147], v[36:37]
	v_add_f64 v[0:1], v[0:1], v[124:125]
	s_waitcnt vmcnt(14)
	v_mul_f64 v[124:125], v[148:149], v[54:55]
	scratch_load_dwordx4 v[128:131], off, off offset:816
	v_fmac_f64_e32 v[124:125], v[150:151], v[52:53]
	v_add_f64 v[0:1], v[0:1], v[124:125]
	scratch_load_dwordx4 v[124:127], off, off offset:832
	v_mul_f64 v[134:135], v[158:159], v[134:135]
	v_fma_f64 v[244:245], v[156:157], v[132:133], -v[134:135]
	ds_read_b128 v[156:159], v2 offset:1472
	s_waitcnt vmcnt(15)
	v_mul_f64 v[132:133], v[152:153], v[70:71]
	v_fmac_f64_e32 v[132:133], v[154:155], v[68:69]
	v_add_f64 v[0:1], v[0:1], v[132:133]
	v_mul_f64 v[132:133], v[174:175], v[162:163]
	v_fma_f64 v[246:247], v[172:173], v[160:161], -v[132:133]
	scratch_load_dwordx4 v[132:135], off, off offset:848
	ds_read_b128 v[160:163], v2 offset:1488
	v_mul_f64 v[166:167], v[234:235], v[166:167]
	v_fma_f64 v[248:249], v[232:233], v[164:165], -v[166:167]
	ds_read_b128 v[164:167], v2 offset:1504
	s_waitcnt vmcnt(15) lgkmcnt(2)
	v_mul_f64 v[172:173], v[156:157], v[74:75]
	v_fmac_f64_e32 v[172:173], v[158:159], v[72:73]
	v_add_f64 v[0:1], v[0:1], v[172:173]
	s_waitcnt vmcnt(14) lgkmcnt(1)
	v_mul_f64 v[172:173], v[160:161], v[78:79]
	v_fmac_f64_e32 v[172:173], v[162:163], v[76:77]
	v_mul_f64 v[170:171], v[230:231], v[170:171]
	v_fma_f64 v[250:251], v[228:229], v[168:169], -v[170:171]
	ds_read_b128 v[168:171], v2 offset:1520
	v_add_f64 v[0:1], v[0:1], v[172:173]
	s_waitcnt vmcnt(13) lgkmcnt(1)
	v_mul_f64 v[172:173], v[164:165], v[82:83]
	v_fmac_f64_e32 v[172:173], v[166:167], v[80:81]
	v_add_f64 v[0:1], v[0:1], v[172:173]
	ds_read_b128 v[172:175], v2 offset:1536
	v_mul_f64 v[178:179], v[238:239], v[178:179]
	v_fma_f64 v[236:237], v[236:237], v[176:177], -v[178:179]
	ds_read_b128 v[176:179], v2 offset:1552
	s_waitcnt vmcnt(12) lgkmcnt(2)
	v_mul_f64 v[228:229], v[168:169], v[86:87]
	v_fmac_f64_e32 v[228:229], v[170:171], v[84:85]
	v_add_f64 v[0:1], v[0:1], v[228:229]
	s_waitcnt vmcnt(11) lgkmcnt(1)
	v_mul_f64 v[228:229], v[172:173], v[90:91]
	v_mul_f64 v[182:183], v[186:187], v[182:183]
	v_fmac_f64_e32 v[228:229], v[174:175], v[88:89]
	v_fma_f64 v[238:239], v[184:185], v[180:181], -v[182:183]
	ds_read_b128 v[180:183], v2 offset:1568
	s_waitcnt vmcnt(10) lgkmcnt(1)
	v_mul_f64 v[184:185], v[176:177], v[94:95]
	v_add_f64 v[0:1], v[0:1], v[228:229]
	v_fmac_f64_e32 v[184:185], v[178:179], v[92:93]
	v_add_f64 v[0:1], v[0:1], v[184:185]
	ds_read_b128 v[184:187], v2 offset:1584
	v_mul_f64 v[190:191], v[226:227], v[190:191]
	v_fma_f64 v[252:253], v[224:225], v[188:189], -v[190:191]
	ds_read_b128 v[188:191], v2 offset:1600
	s_waitcnt vmcnt(9) lgkmcnt(2)
	v_mul_f64 v[228:229], v[180:181], v[98:99]
	v_fmac_f64_e32 v[228:229], v[182:183], v[96:97]
	s_waitcnt vmcnt(8) lgkmcnt(1)
	v_mul_f64 v[224:225], v[184:185], v[102:103]
	v_mul_f64 v[194:195], v[198:199], v[194:195]
	v_add_f64 v[0:1], v[0:1], v[228:229]
	v_fmac_f64_e32 v[224:225], v[186:187], v[100:101]
	v_fma_f64 v[254:255], v[196:197], v[192:193], -v[194:195]
	s_waitcnt vmcnt(7) lgkmcnt(0)
	v_mul_f64 v[196:197], v[188:189], v[106:107]
	ds_read_b128 v[192:195], v2 offset:1616
	v_add_f64 v[0:1], v[0:1], v[224:225]
	v_fmac_f64_e32 v[196:197], v[190:191], v[104:105]
	v_add_f64 v[0:1], v[0:1], v[196:197]
	ds_read_b128 v[196:199], v2 offset:1632
	v_mul_f64 v[202:203], v[210:211], v[202:203]
	v_fma_f64 v[240:241], v[208:209], v[200:201], -v[202:203]
	ds_read_b128 v[200:203], v2 offset:1648
	s_waitcnt vmcnt(6) lgkmcnt(2)
	v_mul_f64 v[224:225], v[192:193], v[110:111]
	v_fmac_f64_e32 v[224:225], v[194:195], v[108:109]
	s_waitcnt vmcnt(5) lgkmcnt(1)
	v_mul_f64 v[208:209], v[196:197], v[114:115]
	v_add_f64 v[0:1], v[0:1], v[224:225]
	v_fmac_f64_e32 v[208:209], v[198:199], v[112:113]
	v_add_f64 v[208:209], v[0:1], v[208:209]
	v_mul_f64 v[0:1], v[222:223], v[206:207]
	v_fma_f64 v[0:1], v[220:221], v[204:205], -v[0:1]
	ds_read_b128 v[204:207], v2 offset:1664
	s_waitcnt vmcnt(4) lgkmcnt(1)
	v_mul_f64 v[210:211], v[200:201], v[118:119]
	v_fmac_f64_e32 v[210:211], v[202:203], v[116:117]
	v_add_f64 v[220:221], v[208:209], v[210:211]
	ds_read_b128 v[208:211], v2 offset:1680
	v_mul_f64 v[214:215], v[218:219], v[214:215]
	v_fma_f64 v[242:243], v[216:217], v[212:213], -v[214:215]
	ds_read_b128 v[212:215], v2 offset:1696
	s_waitcnt vmcnt(3) lgkmcnt(2)
	v_mul_f64 v[216:217], v[204:205], v[122:123]
	v_fmac_f64_e32 v[216:217], v[206:207], v[120:121]
	s_waitcnt vmcnt(2) lgkmcnt(1)
	v_mul_f64 v[218:219], v[208:209], v[130:131]
	v_add_f64 v[216:217], v[220:221], v[216:217]
	v_fmac_f64_e32 v[218:219], v[210:211], v[128:129]
	v_add_f64 v[216:217], v[216:217], v[218:219]
	s_waitcnt vmcnt(1) lgkmcnt(0)
	v_mul_f64 v[218:219], v[212:213], v[126:127]
	v_fmac_f64_e32 v[218:219], v[214:215], v[124:125]
	v_add_f64 v[220:221], v[216:217], v[218:219]
	ds_read_b128 v[216:219], v2 offset:1712
	ds_read_b128 v[224:227], v2 offset:1728
	scratch_load_dwordx4 v[232:235], off, off offset:880
	v_accvgpr_write_b32 a113, v1
	v_accvgpr_write_b32 a112, v0
	s_waitcnt vmcnt(1) lgkmcnt(1)
	v_mul_f64 v[222:223], v[216:217], v[134:135]
	v_fmac_f64_e32 v[222:223], v[218:219], v[132:133]
	v_add_f64 v[228:229], v[220:221], v[222:223]
	scratch_load_dwordx4 v[220:223], off, off offset:864
	v_mul_f64 v[6:7], v[42:43], v[6:7]
	v_fma_f64 v[4:5], v[40:41], v[4:5], -v[6:7]
	s_waitcnt vmcnt(0) lgkmcnt(0)
	v_mul_f64 v[230:231], v[224:225], v[222:223]
	v_fmac_f64_e32 v[230:231], v[226:227], v[220:221]
	v_add_f64 v[0:1], v[228:229], v[230:231]
	ds_read_b128 v[228:231], v2 offset:1744
	s_waitcnt lgkmcnt(0)
	v_mul_f64 v[2:3], v[228:229], v[234:235]
	v_fmac_f64_e32 v[2:3], v[230:231], v[232:233]
	v_add_f64 v[2:3], v[0:1], v[2:3]
	v_add_f64 v[0:1], v[244:245], 0
	;; [unrolled: 1-line block ×7, first 2 shown]
	scratch_load_dwordx4 v[236:239], off, off offset:240
	v_add_f64 v[0:1], v[0:1], v[252:253]
	v_add_f64 v[0:1], v[0:1], v[254:255]
	;; [unrolled: 1-line block ×3, first 2 shown]
	v_accvgpr_read_b32 v0, a112
	v_accvgpr_read_b32 v1, a113
	v_add_f64 v[0:1], v[254:255], v[0:1]
	v_add_f64 v[0:1], v[0:1], v[242:243]
	v_add_f64 v[0:1], v[0:1], v[4:5]
	v_mul_f64 v[4:5], v[66:67], v[10:11]
	v_fma_f64 v[4:5], v[64:65], v[8:9], -v[4:5]
	v_add_f64 v[0:1], v[0:1], v[4:5]
	v_mul_f64 v[4:5], v[62:63], v[14:15]
	v_fma_f64 v[4:5], v[60:61], v[12:13], -v[4:5]
	v_add_f64 v[0:1], v[0:1], v[4:5]
	;; [unrolled: 3-line block ×28, first 2 shown]
	s_waitcnt vmcnt(0)
	v_add_f64 v[4:5], v[236:237], -v[0:1]
	v_accvgpr_read_b32 v0, a110
	v_add_f64 v[6:7], v[238:239], -v[2:3]
	v_cmp_lt_u32_e32 vcc, 13, v0
	scratch_store_dwordx4 off, v[4:7], off offset:240
	s_and_saveexec_b64 s[0:1], vcc
	s_cbranch_execz .LBB54_317
; %bb.316:
	scratch_load_dwordx4 v[2:5], off, s46
	v_mov_b32_e32 v6, 0
	v_mov_b32_e32 v7, v6
	v_mov_b32_e32 v8, v6
	v_mov_b32_e32 v9, v6
	v_accvgpr_read_b32 v0, a111
	scratch_store_dwordx4 off, v[6:9], off offset:224
	s_waitcnt vmcnt(1)
	ds_write_b128 v0, v[2:5]
.LBB54_317:
	s_or_b64 exec, exec, s[0:1]
	s_waitcnt lgkmcnt(0)
	; wave barrier
	scratch_load_dwordx4 v[112:115], off, off offset:240
	scratch_load_dwordx4 v[116:119], off, off offset:256
	;; [unrolled: 1-line block ×30, first 2 shown]
	v_mov_b32_e32 v2, 0
	ds_read_b128 v[144:147], v2 offset:1104
	ds_read_b128 v[156:159], v2 offset:1120
	;; [unrolled: 1-line block ×20, first 2 shown]
	s_waitcnt vmcnt(29) lgkmcnt(14)
	v_mul_f64 v[0:1], v[144:145], v[114:115]
	s_waitcnt vmcnt(28)
	v_mul_f64 v[88:89], v[156:157], v[118:119]
	v_fmac_f64_e32 v[0:1], v[146:147], v[112:113]
	s_waitcnt vmcnt(27)
	v_mul_f64 v[90:91], v[168:169], v[122:123]
	v_fmac_f64_e32 v[88:89], v[158:159], v[116:117]
	v_add_f64 v[0:1], v[0:1], 0
	s_waitcnt vmcnt(26)
	v_mul_f64 v[92:93], v[180:181], v[154:155]
	v_fmac_f64_e32 v[90:91], v[170:171], v[120:121]
	v_add_f64 v[0:1], v[0:1], v[88:89]
	;; [unrolled: 4-line block ×4, first 2 shown]
	s_waitcnt vmcnt(23) lgkmcnt(13)
	v_mul_f64 v[98:99], v[212:213], v[174:175]
	v_fmac_f64_e32 v[96:97], v[206:207], v[164:165]
	v_add_f64 v[0:1], v[0:1], v[94:95]
	s_waitcnt vmcnt(22) lgkmcnt(12)
	v_mul_f64 v[100:101], v[216:217], v[178:179]
	v_fmac_f64_e32 v[98:99], v[214:215], v[172:173]
	v_add_f64 v[0:1], v[0:1], v[96:97]
	;; [unrolled: 4-line block ×9, first 2 shown]
	v_fmac_f64_e32 v[126:127], v[82:83], v[234:235]
	v_add_f64 v[0:1], v[0:1], v[124:125]
	scratch_load_dwordx4 v[88:91], off, off offset:720
	s_waitcnt vmcnt(15) lgkmcnt(4)
	v_mul_f64 v[128:129], v[76:77], v[14:15]
	v_add_f64 v[0:1], v[0:1], v[126:127]
	ds_read_b128 v[124:127], v2 offset:1376
	v_fmac_f64_e32 v[128:129], v[78:79], v[12:13]
	v_add_f64 v[0:1], v[0:1], v[128:129]
	ds_read_b128 v[128:131], v2 offset:1392
	s_waitcnt vmcnt(14) lgkmcnt(5)
	v_mul_f64 v[92:93], v[72:73], v[18:19]
	v_fmac_f64_e32 v[92:93], v[74:75], v[16:17]
	v_add_f64 v[0:1], v[0:1], v[92:93]
	s_waitcnt vmcnt(13) lgkmcnt(1)
	v_mul_f64 v[96:97], v[124:125], v[22:23]
	scratch_load_dwordx4 v[92:95], off, off offset:736
	v_fmac_f64_e32 v[96:97], v[126:127], v[20:21]
	v_add_f64 v[0:1], v[0:1], v[96:97]
	s_waitcnt vmcnt(13) lgkmcnt(0)
	v_mul_f64 v[100:101], v[128:129], v[26:27]
	scratch_load_dwordx4 v[96:99], off, off offset:752
	v_fmac_f64_e32 v[100:101], v[130:131], v[24:25]
	v_add_f64 v[0:1], v[0:1], v[100:101]
	scratch_load_dwordx4 v[100:103], off, off offset:768
	s_waitcnt vmcnt(14)
	v_mul_f64 v[104:105], v[132:133], v[30:31]
	v_fmac_f64_e32 v[104:105], v[134:135], v[28:29]
	v_add_f64 v[0:1], v[0:1], v[104:105]
	s_waitcnt vmcnt(13)
	v_mul_f64 v[104:105], v[136:137], v[34:35]
	v_fmac_f64_e32 v[104:105], v[138:139], v[32:33]
	v_add_f64 v[0:1], v[0:1], v[104:105]
	scratch_load_dwordx4 v[104:107], off, off offset:784
	s_waitcnt vmcnt(13)
	v_mul_f64 v[108:109], v[140:141], v[38:39]
	v_fmac_f64_e32 v[108:109], v[142:143], v[36:37]
	v_add_f64 v[0:1], v[0:1], v[108:109]
	scratch_load_dwordx4 v[108:111], off, off offset:800
	v_mul_f64 v[114:115], v[146:147], v[114:115]
	v_fma_f64 v[246:247], v[144:145], v[112:113], -v[114:115]
	v_mul_f64 v[112:113], v[158:159], v[118:119]
	ds_read_b128 v[148:151], v2 offset:1456
	ds_read_b128 v[144:147], v2 offset:1472
	v_fma_f64 v[248:249], v[156:157], v[116:117], -v[112:113]
	scratch_load_dwordx4 v[116:119], off, off offset:816
	scratch_load_dwordx4 v[112:115], off, off offset:832
	v_mul_f64 v[122:123], v[170:171], v[122:123]
	v_fma_f64 v[250:251], v[168:169], v[120:121], -v[122:123]
	scratch_load_dwordx4 v[120:123], off, off offset:848
	s_waitcnt vmcnt(16) lgkmcnt(1)
	v_mul_f64 v[156:157], v[148:149], v[42:43]
	v_fmac_f64_e32 v[156:157], v[150:151], v[40:41]
	v_mul_f64 v[154:155], v[182:183], v[154:155]
	v_add_f64 v[0:1], v[0:1], v[156:157]
	v_fma_f64 v[252:253], v[180:181], v[152:153], -v[154:155]
	ds_read_b128 v[152:155], v2 offset:1488
	s_waitcnt vmcnt(15) lgkmcnt(1)
	v_mul_f64 v[156:157], v[144:145], v[46:47]
	v_fmac_f64_e32 v[156:157], v[146:147], v[44:45]
	v_add_f64 v[0:1], v[0:1], v[156:157]
	ds_read_b128 v[156:159], v2 offset:1504
	v_mul_f64 v[162:163], v[194:195], v[162:163]
	v_fma_f64 v[254:255], v[192:193], v[160:161], -v[162:163]
	ds_read_b128 v[160:163], v2 offset:1520
	s_waitcnt vmcnt(14) lgkmcnt(2)
	v_mul_f64 v[168:169], v[152:153], v[50:51]
	v_fmac_f64_e32 v[168:169], v[154:155], v[48:49]
	v_add_f64 v[0:1], v[0:1], v[168:169]
	s_waitcnt vmcnt(13) lgkmcnt(1)
	v_mul_f64 v[168:169], v[156:157], v[54:55]
	v_fmac_f64_e32 v[168:169], v[158:159], v[52:53]
	v_mul_f64 v[166:167], v[206:207], v[166:167]
	v_add_f64 v[0:1], v[0:1], v[168:169]
	v_fma_f64 v[232:233], v[204:205], v[164:165], -v[166:167]
	ds_read_b128 v[164:167], v2 offset:1536
	s_waitcnt vmcnt(12) lgkmcnt(1)
	v_mul_f64 v[168:169], v[160:161], v[58:59]
	v_fmac_f64_e32 v[168:169], v[162:163], v[56:57]
	v_add_f64 v[0:1], v[0:1], v[168:169]
	ds_read_b128 v[168:171], v2 offset:1552
	v_accvgpr_write_b32 a115, v7
	v_accvgpr_write_b32 a114, v6
	;; [unrolled: 1-line block ×4, first 2 shown]
	s_waitcnt vmcnt(11) lgkmcnt(1)
	v_mul_f64 v[6:7], v[164:165], v[62:63]
	v_mul_f64 v[174:175], v[214:215], v[174:175]
	v_fmac_f64_e32 v[6:7], v[166:167], v[60:61]
	v_fma_f64 v[8:9], v[212:213], v[172:173], -v[174:175]
	ds_read_b128 v[172:175], v2 offset:1568
	v_add_f64 v[0:1], v[0:1], v[6:7]
	s_waitcnt vmcnt(10) lgkmcnt(1)
	v_mul_f64 v[6:7], v[168:169], v[66:67]
	v_fmac_f64_e32 v[6:7], v[170:171], v[64:65]
	v_add_f64 v[0:1], v[0:1], v[6:7]
	v_mul_f64 v[6:7], v[218:219], v[178:179]
	v_fma_f64 v[4:5], v[216:217], v[176:177], -v[6:7]
	ds_read_b128 v[176:179], v2 offset:1584
	ds_read_b128 v[180:183], v2 offset:1600
	s_waitcnt vmcnt(9) lgkmcnt(2)
	v_mul_f64 v[6:7], v[172:173], v[70:71]
	v_fmac_f64_e32 v[6:7], v[174:175], v[68:69]
	v_add_f64 v[0:1], v[0:1], v[6:7]
	s_waitcnt vmcnt(8) lgkmcnt(1)
	v_mul_f64 v[6:7], v[176:177], v[90:91]
	v_fmac_f64_e32 v[6:7], v[178:179], v[88:89]
	v_add_f64 v[0:1], v[0:1], v[6:7]
	v_mul_f64 v[6:7], v[222:223], v[186:187]
	v_fma_f64 v[10:11], v[220:221], v[184:185], -v[6:7]
	ds_read_b128 v[184:187], v2 offset:1616
	v_mul_f64 v[6:7], v[226:227], v[190:191]
	v_fma_f64 v[6:7], v[224:225], v[188:189], -v[6:7]
	ds_read_b128 v[188:191], v2 offset:1632
	s_waitcnt vmcnt(7) lgkmcnt(2)
	v_mul_f64 v[192:193], v[180:181], v[94:95]
	v_fmac_f64_e32 v[192:193], v[182:183], v[92:93]
	v_add_f64 v[0:1], v[0:1], v[192:193]
	s_waitcnt vmcnt(6) lgkmcnt(1)
	v_mul_f64 v[192:193], v[184:185], v[98:99]
	v_fmac_f64_e32 v[192:193], v[186:187], v[96:97]
	v_add_f64 v[0:1], v[0:1], v[192:193]
	s_waitcnt vmcnt(5) lgkmcnt(0)
	v_mul_f64 v[204:205], v[188:189], v[102:103]
	ds_read_b128 v[192:195], v2 offset:1648
	v_fmac_f64_e32 v[204:205], v[190:191], v[100:101]
	v_add_f64 v[204:205], v[0:1], v[204:205]
	v_mul_f64 v[0:1], v[230:231], v[198:199]
	v_fma_f64 v[0:1], v[228:229], v[196:197], -v[0:1]
	ds_read_b128 v[196:199], v2 offset:1664
	v_mul_f64 v[202:203], v[240:241], v[202:203]
	s_waitcnt vmcnt(4) lgkmcnt(1)
	v_mul_f64 v[206:207], v[192:193], v[106:107]
	v_fma_f64 v[238:239], v[238:239], v[200:201], -v[202:203]
	ds_read_b128 v[200:203], v2 offset:1680
	v_fmac_f64_e32 v[206:207], v[194:195], v[104:105]
	v_add_f64 v[212:213], v[204:205], v[206:207]
	ds_read_b128 v[204:207], v2 offset:1696
	s_waitcnt vmcnt(3) lgkmcnt(2)
	v_mul_f64 v[214:215], v[196:197], v[110:111]
	v_mul_f64 v[210:211], v[244:245], v[210:211]
	v_fmac_f64_e32 v[214:215], v[198:199], v[108:109]
	v_fma_f64 v[240:241], v[242:243], v[208:209], -v[210:211]
	ds_read_b128 v[208:211], v2 offset:1712
	ds_read_b128 v[216:219], v2 offset:1728
	v_add_f64 v[212:213], v[212:213], v[214:215]
	s_waitcnt vmcnt(2) lgkmcnt(3)
	v_mul_f64 v[214:215], v[200:201], v[118:119]
	v_fmac_f64_e32 v[214:215], v[202:203], v[116:117]
	v_add_f64 v[212:213], v[212:213], v[214:215]
	s_waitcnt vmcnt(1) lgkmcnt(2)
	v_mul_f64 v[214:215], v[204:205], v[114:115]
	v_fmac_f64_e32 v[214:215], v[206:207], v[112:113]
	v_add_f64 v[212:213], v[212:213], v[214:215]
	s_waitcnt vmcnt(0) lgkmcnt(1)
	v_mul_f64 v[214:215], v[208:209], v[122:123]
	v_fmac_f64_e32 v[214:215], v[210:211], v[120:121]
	v_add_f64 v[220:221], v[212:213], v[214:215]
	scratch_load_dwordx4 v[212:215], off, off offset:864
	ds_read_b128 v[224:227], v2 offset:1744
	s_waitcnt vmcnt(0) lgkmcnt(1)
	v_mul_f64 v[222:223], v[216:217], v[214:215]
	v_fmac_f64_e32 v[222:223], v[218:219], v[212:213]
	v_add_f64 v[228:229], v[220:221], v[222:223]
	scratch_load_dwordx4 v[220:223], off, off offset:880
	s_waitcnt vmcnt(0) lgkmcnt(0)
	v_mul_f64 v[230:231], v[224:225], v[222:223]
	v_fmac_f64_e32 v[230:231], v[226:227], v[220:221]
	v_add_f64 v[244:245], v[228:229], v[230:231]
	v_add_f64 v[228:229], v[246:247], 0
	;; [unrolled: 1-line block ×8, first 2 shown]
	scratch_load_dwordx4 v[228:231], off, off offset:224
	v_add_f64 v[4:5], v[8:9], v[4:5]
	v_add_f64 v[242:243], v[4:5], v[10:11]
	;; [unrolled: 1-line block ×3, first 2 shown]
	v_accvgpr_read_b32 v6, a112
	v_add_f64 v[0:1], v[4:5], v[0:1]
	v_accvgpr_read_b32 v8, a114
	v_accvgpr_read_b32 v9, a115
	v_add_f64 v[0:1], v[0:1], v[238:239]
	v_accvgpr_read_b32 v7, a113
	v_mul_f64 v[4:5], v[86:87], v[8:9]
	v_add_f64 v[0:1], v[0:1], v[240:241]
	v_fma_f64 v[4:5], v[84:85], v[6:7], -v[4:5]
	v_add_f64 v[0:1], v[0:1], v[4:5]
	v_mul_f64 v[4:5], v[82:83], v[236:237]
	v_fma_f64 v[4:5], v[80:81], v[234:235], -v[4:5]
	v_add_f64 v[0:1], v[0:1], v[4:5]
	v_mul_f64 v[4:5], v[78:79], v[14:15]
	;; [unrolled: 3-line block ×27, first 2 shown]
	v_fma_f64 v[4:5], v[224:225], v[220:221], -v[4:5]
	v_add_f64 v[0:1], v[0:1], v[4:5]
	s_waitcnt vmcnt(0)
	v_add_f64 v[4:5], v[228:229], -v[0:1]
	v_accvgpr_read_b32 v0, a110
	v_add_f64 v[6:7], v[230:231], -v[244:245]
	v_cmp_lt_u32_e32 vcc, 12, v0
	scratch_store_dwordx4 off, v[4:7], off offset:224
	s_and_saveexec_b64 s[0:1], vcc
	s_cbranch_execz .LBB54_319
; %bb.318:
	scratch_load_dwordx4 v[6:9], off, s45
	v_mov_b32_e32 v3, v2
	v_mov_b32_e32 v4, v2
	;; [unrolled: 1-line block ×3, first 2 shown]
	v_accvgpr_read_b32 v0, a111
	scratch_store_dwordx4 off, v[2:5], off offset:208
	s_waitcnt vmcnt(1)
	ds_write_b128 v0, v[6:9]
.LBB54_319:
	s_or_b64 exec, exec, s[0:1]
	s_waitcnt lgkmcnt(0)
	; wave barrier
	scratch_load_dwordx4 v[88:91], off, off offset:224
	scratch_load_dwordx4 v[92:95], off, off offset:240
	;; [unrolled: 1-line block ×17, first 2 shown]
	ds_read_b128 v[212:215], v2 offset:1088
	ds_read_b128 v[204:207], v2 offset:1104
	;; [unrolled: 1-line block ×3, first 2 shown]
	scratch_load_dwordx4 v[20:23], off, off offset:496
	ds_read_b128 v[216:219], v2 offset:1136
	ds_read_b128 v[208:211], v2 offset:1152
	;; [unrolled: 1-line block ×5, first 2 shown]
	scratch_load_dwordx4 v[24:27], off, off offset:512
	ds_read_b128 v[180:183], v2 offset:1216
	ds_read_b128 v[160:163], v2 offset:1232
	;; [unrolled: 1-line block ×3, first 2 shown]
	scratch_load_dwordx4 v[28:31], off, off offset:528
	ds_read_b128 v[172:175], v2 offset:1264
	ds_read_b128 v[148:151], v2 offset:1280
	;; [unrolled: 1-line block ×5, first 2 shown]
	scratch_load_dwordx4 v[36:39], off, off offset:544
	ds_read_b128 v[48:51], v2 offset:1344
	scratch_load_dwordx4 v[52:55], off, off offset:560
	scratch_load_dwordx4 v[56:59], off, off offset:576
	;; [unrolled: 1-line block ×9, first 2 shown]
	ds_read_b128 v[140:143], v2 offset:1360
	ds_read_b128 v[232:235], v2 offset:1424
	;; [unrolled: 1-line block ×3, first 2 shown]
	s_waitcnt vmcnt(29) lgkmcnt(14)
	v_mul_f64 v[0:1], v[212:213], v[90:91]
	s_waitcnt vmcnt(28)
	v_mul_f64 v[152:153], v[204:205], v[94:95]
	v_fmac_f64_e32 v[0:1], v[214:215], v[88:89]
	s_waitcnt vmcnt(27)
	v_mul_f64 v[154:155], v[196:197], v[98:99]
	v_fmac_f64_e32 v[152:153], v[206:207], v[92:93]
	v_add_f64 v[0:1], v[0:1], 0
	s_waitcnt vmcnt(26)
	v_mul_f64 v[164:165], v[216:217], v[102:103]
	v_fmac_f64_e32 v[154:155], v[198:199], v[96:97]
	v_add_f64 v[0:1], v[0:1], v[152:153]
	;; [unrolled: 4-line block ×4, first 2 shown]
	s_waitcnt vmcnt(23) lgkmcnt(13)
	v_mul_f64 v[170:171], v[184:185], v[114:115]
	v_fmac_f64_e32 v[168:169], v[202:203], v[108:109]
	v_add_f64 v[0:1], v[0:1], v[166:167]
	s_waitcnt vmcnt(22) lgkmcnt(12)
	v_mul_f64 v[176:177], v[156:157], v[118:119]
	v_fmac_f64_e32 v[170:171], v[186:187], v[112:113]
	v_add_f64 v[0:1], v[0:1], v[168:169]
	;; [unrolled: 4-line block ×10, first 2 shown]
	v_fmac_f64_e32 v[224:225], v[34:35], v[12:13]
	v_add_f64 v[0:1], v[0:1], v[222:223]
	ds_read_b128 v[220:223], v2 offset:1376
	v_add_f64 v[0:1], v[0:1], v[224:225]
	ds_read_b128 v[224:227], v2 offset:1392
	s_waitcnt vmcnt(13) lgkmcnt(5)
	v_mul_f64 v[164:165], v[48:49], v[18:19]
	scratch_load_dwordx4 v[152:155], off, off offset:704
	v_fmac_f64_e32 v[164:165], v[50:51], v[16:17]
	s_waitcnt vmcnt(13) lgkmcnt(4)
	v_mul_f64 v[168:169], v[140:141], v[22:23]
	v_add_f64 v[0:1], v[0:1], v[164:165]
	v_fmac_f64_e32 v[168:169], v[142:143], v[20:21]
	scratch_load_dwordx4 v[164:167], off, off offset:720
	v_add_f64 v[0:1], v[0:1], v[168:169]
	s_waitcnt vmcnt(13) lgkmcnt(1)
	v_mul_f64 v[176:177], v[220:221], v[26:27]
	scratch_load_dwordx4 v[168:171], off, off offset:736
	v_fmac_f64_e32 v[176:177], v[222:223], v[24:25]
	s_waitcnt vmcnt(13) lgkmcnt(0)
	v_mul_f64 v[188:189], v[224:225], v[30:31]
	v_add_f64 v[0:1], v[0:1], v[176:177]
	scratch_load_dwordx4 v[176:179], off, off offset:752
	v_fmac_f64_e32 v[188:189], v[226:227], v[28:29]
	v_add_f64 v[0:1], v[0:1], v[188:189]
	s_waitcnt vmcnt(13)
	v_mul_f64 v[188:189], v[228:229], v[38:39]
	v_fmac_f64_e32 v[188:189], v[230:231], v[36:37]
	v_add_f64 v[0:1], v[0:1], v[188:189]
	scratch_load_dwordx4 v[188:191], off, off offset:768
	s_waitcnt vmcnt(13)
	v_mul_f64 v[192:193], v[232:233], v[54:55]
	v_fmac_f64_e32 v[192:193], v[234:235], v[52:53]
	v_mul_f64 v[90:91], v[214:215], v[90:91]
	v_add_f64 v[0:1], v[0:1], v[192:193]
	scratch_load_dwordx4 v[192:195], off, off offset:784
	v_fma_f64 v[244:245], v[212:213], v[88:89], -v[90:91]
	v_mul_f64 v[88:89], v[206:207], v[94:95]
	ds_read_b128 v[236:239], v2 offset:1440
	ds_read_b128 v[212:215], v2 offset:1456
	v_fma_f64 v[246:247], v[204:205], v[92:93], -v[88:89]
	scratch_load_dwordx4 v[92:95], off, off offset:800
	scratch_load_dwordx4 v[88:91], off, off offset:816
	v_mul_f64 v[98:99], v[198:199], v[98:99]
	v_fma_f64 v[248:249], v[196:197], v[96:97], -v[98:99]
	scratch_load_dwordx4 v[96:99], off, off offset:832
	s_waitcnt vmcnt(16) lgkmcnt(1)
	v_mul_f64 v[204:205], v[236:237], v[58:59]
	v_mul_f64 v[102:103], v[218:219], v[102:103]
	v_fmac_f64_e32 v[204:205], v[238:239], v[56:57]
	v_fma_f64 v[216:217], v[216:217], v[100:101], -v[102:103]
	ds_read_b128 v[100:103], v2 offset:1472
	s_waitcnt vmcnt(15) lgkmcnt(1)
	v_mul_f64 v[196:197], v[212:213], v[62:63]
	v_add_f64 v[0:1], v[0:1], v[204:205]
	v_fmac_f64_e32 v[196:197], v[214:215], v[60:61]
	v_add_f64 v[0:1], v[0:1], v[196:197]
	ds_read_b128 v[196:199], v2 offset:1488
	v_mul_f64 v[106:107], v[210:211], v[106:107]
	v_fma_f64 v[218:219], v[208:209], v[104:105], -v[106:107]
	ds_read_b128 v[104:107], v2 offset:1504
	s_waitcnt vmcnt(14) lgkmcnt(2)
	v_mul_f64 v[204:205], v[100:101], v[66:67]
	v_fmac_f64_e32 v[204:205], v[102:103], v[64:65]
	v_add_f64 v[0:1], v[0:1], v[204:205]
	s_waitcnt vmcnt(13) lgkmcnt(1)
	v_mul_f64 v[204:205], v[196:197], v[70:71]
	v_mul_f64 v[110:111], v[202:203], v[110:111]
	v_fmac_f64_e32 v[204:205], v[198:199], v[68:69]
	v_fma_f64 v[250:251], v[200:201], v[108:109], -v[110:111]
	ds_read_b128 v[108:111], v2 offset:1520
	s_waitcnt vmcnt(12) lgkmcnt(1)
	v_mul_f64 v[200:201], v[104:105], v[74:75]
	v_add_f64 v[0:1], v[0:1], v[204:205]
	v_fmac_f64_e32 v[200:201], v[106:107], v[72:73]
	v_add_f64 v[0:1], v[0:1], v[200:201]
	ds_read_b128 v[200:203], v2 offset:1536
	v_mul_f64 v[114:115], v[186:187], v[114:115]
	v_fma_f64 v[252:253], v[184:185], v[112:113], -v[114:115]
	ds_read_b128 v[112:115], v2 offset:1552
	s_waitcnt vmcnt(11) lgkmcnt(2)
	v_mul_f64 v[184:185], v[108:109], v[78:79]
	v_fmac_f64_e32 v[184:185], v[110:111], v[76:77]
	v_add_f64 v[0:1], v[0:1], v[184:185]
	s_waitcnt vmcnt(10) lgkmcnt(1)
	v_mul_f64 v[184:185], v[200:201], v[82:83]
	v_mul_f64 v[118:119], v[158:159], v[118:119]
	v_fmac_f64_e32 v[184:185], v[202:203], v[80:81]
	v_fma_f64 v[254:255], v[156:157], v[116:117], -v[118:119]
	s_waitcnt vmcnt(9) lgkmcnt(0)
	v_mul_f64 v[156:157], v[112:113], v[86:87]
	v_add_f64 v[0:1], v[0:1], v[184:185]
	ds_read_b128 v[116:119], v2 offset:1568
	v_fmac_f64_e32 v[156:157], v[114:115], v[84:85]
	v_add_f64 v[0:1], v[0:1], v[156:157]
	ds_read_b128 v[156:159], v2 offset:1584
	v_mul_f64 v[122:123], v[182:183], v[122:123]
	v_fma_f64 v[240:241], v[180:181], v[120:121], -v[122:123]
	ds_read_b128 v[120:123], v2 offset:1600
	v_accvgpr_write_b32 a115, v7
	v_mul_f64 v[126:127], v[162:163], v[126:127]
	v_accvgpr_write_b32 a114, v6
	v_accvgpr_write_b32 a113, v5
	;; [unrolled: 1-line block ×3, first 2 shown]
	v_fma_f64 v[4:5], v[160:161], v[124:125], -v[126:127]
	ds_read_b128 v[124:127], v2 offset:1616
	s_waitcnt vmcnt(8) lgkmcnt(3)
	v_mul_f64 v[184:185], v[116:117], v[154:155]
	v_fmac_f64_e32 v[184:185], v[118:119], v[152:153]
	s_waitcnt vmcnt(7) lgkmcnt(2)
	v_mul_f64 v[180:181], v[156:157], v[166:167]
	v_add_f64 v[0:1], v[0:1], v[184:185]
	v_fmac_f64_e32 v[180:181], v[158:159], v[164:165]
	s_waitcnt vmcnt(6) lgkmcnt(1)
	v_mul_f64 v[6:7], v[120:121], v[170:171]
	ds_read_b128 v[160:163], v2 offset:1632
	v_add_f64 v[0:1], v[0:1], v[180:181]
	v_fmac_f64_e32 v[6:7], v[122:123], v[168:169]
	v_add_f64 v[0:1], v[0:1], v[6:7]
	s_waitcnt vmcnt(5) lgkmcnt(1)
	v_mul_f64 v[6:7], v[124:125], v[178:179]
	v_fmac_f64_e32 v[6:7], v[126:127], v[176:177]
	v_add_f64 v[0:1], v[0:1], v[6:7]
	v_mul_f64 v[6:7], v[146:147], v[130:131]
	v_fma_f64 v[6:7], v[144:145], v[128:129], -v[6:7]
	ds_read_b128 v[128:131], v2 offset:1648
	s_waitcnt vmcnt(4) lgkmcnt(1)
	v_mul_f64 v[144:145], v[160:161], v[190:191]
	v_fmac_f64_e32 v[144:145], v[162:163], v[188:189]
	v_add_f64 v[180:181], v[0:1], v[144:145]
	v_mul_f64 v[0:1], v[174:175], v[134:135]
	v_fma_f64 v[0:1], v[172:173], v[132:133], -v[0:1]
	ds_read_b128 v[132:135], v2 offset:1664
	ds_read_b128 v[144:147], v2 offset:1680
	v_mul_f64 v[138:139], v[150:151], v[138:139]
	v_fma_f64 v[242:243], v[148:149], v[136:137], -v[138:139]
	ds_read_b128 v[136:139], v2 offset:1696
	s_waitcnt vmcnt(3) lgkmcnt(3)
	v_mul_f64 v[172:173], v[128:129], v[194:195]
	v_fmac_f64_e32 v[172:173], v[130:131], v[192:193]
	s_waitcnt vmcnt(2) lgkmcnt(2)
	v_mul_f64 v[148:149], v[132:133], v[94:95]
	v_add_f64 v[172:173], v[180:181], v[172:173]
	v_fmac_f64_e32 v[148:149], v[134:135], v[92:93]
	s_waitcnt vmcnt(1) lgkmcnt(1)
	v_mul_f64 v[150:151], v[144:145], v[90:91]
	v_add_f64 v[148:149], v[172:173], v[148:149]
	v_fmac_f64_e32 v[150:151], v[146:147], v[88:89]
	v_add_f64 v[148:149], v[148:149], v[150:151]
	ds_read_b128 v[172:175], v2 offset:1712
	scratch_load_dwordx4 v[208:211], off, off offset:880
	s_waitcnt vmcnt(1) lgkmcnt(1)
	v_mul_f64 v[150:151], v[136:137], v[98:99]
	v_fmac_f64_e32 v[150:151], v[138:139], v[96:97]
	v_add_f64 v[180:181], v[148:149], v[150:151]
	scratch_load_dwordx4 v[148:151], off, off offset:848
	ds_read_b128 v[184:187], v2 offset:1728
	v_accvgpr_write_b32 a117, v1
	v_accvgpr_write_b32 a116, v0
	s_waitcnt vmcnt(0) lgkmcnt(1)
	v_mul_f64 v[182:183], v[172:173], v[150:151]
	v_fmac_f64_e32 v[182:183], v[174:175], v[148:149]
	v_add_f64 v[204:205], v[180:181], v[182:183]
	scratch_load_dwordx4 v[180:183], off, off offset:864
	s_waitcnt vmcnt(0) lgkmcnt(0)
	v_mul_f64 v[206:207], v[184:185], v[182:183]
	v_fmac_f64_e32 v[206:207], v[186:187], v[180:181]
	v_add_f64 v[0:1], v[204:205], v[206:207]
	ds_read_b128 v[204:207], v2 offset:1744
	s_waitcnt lgkmcnt(0)
	v_mul_f64 v[2:3], v[204:205], v[210:211]
	v_fmac_f64_e32 v[2:3], v[206:207], v[208:209]
	v_add_f64 v[2:3], v[0:1], v[2:3]
	v_add_f64 v[0:1], v[244:245], 0
	;; [unrolled: 1-line block ×6, first 2 shown]
	scratch_load_dwordx4 v[216:219], off, off offset:208
	v_add_f64 v[0:1], v[0:1], v[250:251]
	v_add_f64 v[0:1], v[0:1], v[252:253]
	;; [unrolled: 1-line block ×6, first 2 shown]
	v_accvgpr_read_b32 v0, a116
	v_accvgpr_read_b32 v1, a117
	v_add_f64 v[0:1], v[254:255], v[0:1]
	v_add_f64 v[0:1], v[0:1], v[242:243]
	v_accvgpr_read_b32 v243, a115
	v_accvgpr_read_b32 v242, a114
	;; [unrolled: 1-line block ×4, first 2 shown]
	v_mul_f64 v[4:5], v[46:47], v[242:243]
	v_fma_f64 v[4:5], v[44:45], v[240:241], -v[4:5]
	v_add_f64 v[0:1], v[0:1], v[4:5]
	v_mul_f64 v[4:5], v[42:43], v[10:11]
	v_fma_f64 v[4:5], v[40:41], v[8:9], -v[4:5]
	v_add_f64 v[0:1], v[0:1], v[4:5]
	;; [unrolled: 3-line block ×29, first 2 shown]
	s_waitcnt vmcnt(0)
	v_add_f64 v[4:5], v[216:217], -v[0:1]
	v_accvgpr_read_b32 v0, a110
	v_add_f64 v[6:7], v[218:219], -v[2:3]
	v_cmp_lt_u32_e32 vcc, 11, v0
	scratch_store_dwordx4 off, v[4:7], off offset:208
	s_and_saveexec_b64 s[0:1], vcc
	s_cbranch_execz .LBB54_321
; %bb.320:
	scratch_load_dwordx4 v[2:5], off, s44
	v_mov_b32_e32 v6, 0
	v_mov_b32_e32 v7, v6
	;; [unrolled: 1-line block ×4, first 2 shown]
	v_accvgpr_read_b32 v0, a111
	scratch_store_dwordx4 off, v[6:9], off offset:192
	s_waitcnt vmcnt(1)
	ds_write_b128 v0, v[2:5]
.LBB54_321:
	s_or_b64 exec, exec, s[0:1]
	s_waitcnt lgkmcnt(0)
	; wave barrier
	scratch_load_dwordx4 v[96:99], off, off offset:208
	scratch_load_dwordx4 v[100:103], off, off offset:224
	;; [unrolled: 1-line block ×30, first 2 shown]
	v_mov_b32_e32 v2, 0
	ds_read_b128 v[136:139], v2 offset:1072
	ds_read_b128 v[144:147], v2 offset:1088
	;; [unrolled: 1-line block ×20, first 2 shown]
	s_waitcnt vmcnt(29) lgkmcnt(14)
	v_mul_f64 v[0:1], v[136:137], v[98:99]
	s_waitcnt vmcnt(28)
	v_mul_f64 v[72:73], v[144:145], v[102:103]
	v_fmac_f64_e32 v[0:1], v[138:139], v[96:97]
	s_waitcnt vmcnt(27)
	v_mul_f64 v[74:75], v[148:149], v[106:107]
	v_fmac_f64_e32 v[72:73], v[146:147], v[100:101]
	v_add_f64 v[0:1], v[0:1], 0
	s_waitcnt vmcnt(26)
	v_mul_f64 v[76:77], v[164:165], v[110:111]
	v_fmac_f64_e32 v[74:75], v[150:151], v[104:105]
	v_add_f64 v[0:1], v[0:1], v[72:73]
	s_waitcnt vmcnt(25)
	v_mul_f64 v[78:79], v[176:177], v[114:115]
	v_fmac_f64_e32 v[76:77], v[166:167], v[108:109]
	v_add_f64 v[0:1], v[0:1], v[74:75]
	s_waitcnt vmcnt(24)
	v_mul_f64 v[80:81], v[188:189], v[154:155]
	v_fmac_f64_e32 v[78:79], v[178:179], v[112:113]
	v_add_f64 v[0:1], v[0:1], v[76:77]
	s_waitcnt vmcnt(23) lgkmcnt(13)
	v_mul_f64 v[82:83], v[200:201], v[158:159]
	v_fmac_f64_e32 v[80:81], v[190:191], v[152:153]
	v_add_f64 v[0:1], v[0:1], v[78:79]
	s_waitcnt vmcnt(22) lgkmcnt(12)
	v_mul_f64 v[84:85], v[208:209], v[162:163]
	v_fmac_f64_e32 v[82:83], v[202:203], v[156:157]
	v_add_f64 v[0:1], v[0:1], v[80:81]
	;; [unrolled: 4-line block ×9, first 2 shown]
	s_waitcnt vmcnt(14) lgkmcnt(4)
	v_mul_f64 v[120:121], v[68:69], v[6:7]
	v_fmac_f64_e32 v[118:119], v[244:245], v[204:205]
	v_accvgpr_write_b32 a115, v7
	v_add_f64 v[0:1], v[0:1], v[116:117]
	v_fmac_f64_e32 v[120:121], v[70:71], v[4:5]
	v_accvgpr_write_b32 a114, v6
	v_accvgpr_write_b32 a113, v5
	;; [unrolled: 1-line block ×3, first 2 shown]
	v_add_f64 v[0:1], v[0:1], v[118:119]
	ds_read_b128 v[116:119], v2 offset:1344
	s_waitcnt vmcnt(13)
	v_mov_b64_e32 v[4:5], v[8:9]
	v_mov_b64_e32 v[6:7], v[10:11]
	s_waitcnt lgkmcnt(4)
	v_mul_f64 v[76:77], v[64:65], v[6:7]
	scratch_load_dwordx4 v[72:75], off, off offset:688
	v_add_f64 v[0:1], v[0:1], v[120:121]
	v_fmac_f64_e32 v[76:77], v[66:67], v[4:5]
	v_add_f64 v[0:1], v[0:1], v[76:77]
	scratch_load_dwordx4 v[76:79], off, off offset:704
	ds_read_b128 v[120:123], v2 offset:1360
	s_waitcnt vmcnt(14) lgkmcnt(1)
	v_mul_f64 v[80:81], v[116:117], v[236:237]
	v_fmac_f64_e32 v[80:81], v[118:119], v[234:235]
	v_add_f64 v[0:1], v[0:1], v[80:81]
	scratch_load_dwordx4 v[80:83], off, off offset:720
	s_waitcnt vmcnt(14) lgkmcnt(0)
	v_mul_f64 v[84:85], v[120:121], v[18:19]
	v_fmac_f64_e32 v[84:85], v[122:123], v[16:17]
	s_waitcnt vmcnt(13)
	v_mul_f64 v[88:89], v[124:125], v[22:23]
	v_add_f64 v[0:1], v[0:1], v[84:85]
	v_fmac_f64_e32 v[88:89], v[126:127], v[20:21]
	scratch_load_dwordx4 v[84:87], off, off offset:736
	v_add_f64 v[0:1], v[0:1], v[88:89]
	s_waitcnt vmcnt(13)
	v_mul_f64 v[88:89], v[128:129], v[26:27]
	v_fmac_f64_e32 v[88:89], v[130:131], v[24:25]
	v_add_f64 v[0:1], v[0:1], v[88:89]
	scratch_load_dwordx4 v[88:91], off, off offset:752
	s_waitcnt vmcnt(13)
	v_mul_f64 v[92:93], v[132:133], v[30:31]
	v_fmac_f64_e32 v[92:93], v[134:135], v[28:29]
	v_add_f64 v[0:1], v[0:1], v[92:93]
	scratch_load_dwordx4 v[92:95], off, off offset:768
	v_mul_f64 v[98:99], v[138:139], v[98:99]
	v_fma_f64 v[246:247], v[136:137], v[96:97], -v[98:99]
	v_mul_f64 v[96:97], v[146:147], v[102:103]
	ds_read_b128 v[140:143], v2 offset:1424
	ds_read_b128 v[136:139], v2 offset:1440
	v_fma_f64 v[248:249], v[144:145], v[100:101], -v[96:97]
	scratch_load_dwordx4 v[100:103], off, off offset:784
	scratch_load_dwordx4 v[96:99], off, off offset:800
	s_waitcnt vmcnt(15) lgkmcnt(1)
	v_mul_f64 v[144:145], v[140:141], v[34:35]
	v_fmac_f64_e32 v[144:145], v[142:143], v[32:33]
	v_mul_f64 v[106:107], v[150:151], v[106:107]
	v_add_f64 v[0:1], v[0:1], v[144:145]
	s_waitcnt vmcnt(14) lgkmcnt(0)
	v_mul_f64 v[144:145], v[136:137], v[38:39]
	v_fma_f64 v[250:251], v[148:149], v[104:105], -v[106:107]
	v_mul_f64 v[104:105], v[166:167], v[110:111]
	v_fmac_f64_e32 v[144:145], v[138:139], v[36:37]
	v_fma_f64 v[252:253], v[164:165], v[108:109], -v[104:105]
	scratch_load_dwordx4 v[104:107], off, off offset:816
	v_add_f64 v[0:1], v[0:1], v[144:145]
	ds_read_b128 v[144:147], v2 offset:1456
	ds_read_b128 v[148:151], v2 offset:1472
	v_mul_f64 v[108:109], v[178:179], v[114:115]
	v_fma_f64 v[254:255], v[176:177], v[112:113], -v[108:109]
	scratch_load_dwordx4 v[108:111], off, off offset:832
	s_waitcnt vmcnt(15) lgkmcnt(1)
	v_mul_f64 v[112:113], v[144:145], v[42:43]
	v_fmac_f64_e32 v[112:113], v[146:147], v[40:41]
	v_add_f64 v[0:1], v[0:1], v[112:113]
	v_mul_f64 v[112:113], v[190:191], v[154:155]
	v_fma_f64 v[232:233], v[188:189], v[152:153], -v[112:113]
	scratch_load_dwordx4 v[112:115], off, off offset:848
	ds_read_b128 v[152:155], v2 offset:1488
	s_waitcnt vmcnt(15) lgkmcnt(1)
	v_mul_f64 v[164:165], v[148:149], v[46:47]
	v_mul_f64 v[158:159], v[202:203], v[158:159]
	v_fmac_f64_e32 v[164:165], v[150:151], v[44:45]
	v_fma_f64 v[12:13], v[200:201], v[156:157], -v[158:159]
	ds_read_b128 v[156:159], v2 offset:1504
	s_waitcnt vmcnt(14) lgkmcnt(1)
	v_mul_f64 v[6:7], v[152:153], v[50:51]
	v_add_f64 v[0:1], v[0:1], v[164:165]
	v_fmac_f64_e32 v[6:7], v[154:155], v[48:49]
	v_accvgpr_write_b32 a119, v11
	v_add_f64 v[0:1], v[0:1], v[6:7]
	v_mul_f64 v[6:7], v[210:211], v[162:163]
	v_accvgpr_write_b32 a118, v10
	v_accvgpr_write_b32 a117, v9
	;; [unrolled: 1-line block ×3, first 2 shown]
	v_fma_f64 v[8:9], v[208:209], v[160:161], -v[6:7]
	ds_read_b128 v[160:163], v2 offset:1520
	ds_read_b128 v[164:167], v2 offset:1536
	s_waitcnt vmcnt(13) lgkmcnt(2)
	v_mul_f64 v[6:7], v[156:157], v[54:55]
	v_fmac_f64_e32 v[6:7], v[158:159], v[52:53]
	v_add_f64 v[0:1], v[0:1], v[6:7]
	s_waitcnt vmcnt(12) lgkmcnt(1)
	v_mul_f64 v[6:7], v[160:161], v[62:63]
	v_fmac_f64_e32 v[6:7], v[162:163], v[60:61]
	v_add_f64 v[0:1], v[0:1], v[6:7]
	v_mul_f64 v[6:7], v[214:215], v[170:171]
	v_fma_f64 v[10:11], v[212:213], v[168:169], -v[6:7]
	s_waitcnt vmcnt(11) lgkmcnt(0)
	v_mul_f64 v[6:7], v[164:165], v[58:59]
	v_fmac_f64_e32 v[6:7], v[166:167], v[56:57]
	ds_read_b128 v[168:171], v2 offset:1552
	v_add_f64 v[0:1], v[0:1], v[6:7]
	v_mul_f64 v[6:7], v[218:219], v[174:175]
	v_fma_f64 v[4:5], v[216:217], v[172:173], -v[6:7]
	ds_read_b128 v[172:175], v2 offset:1568
	s_waitcnt vmcnt(10) lgkmcnt(1)
	v_mul_f64 v[6:7], v[168:169], v[74:75]
	ds_read_b128 v[176:179], v2 offset:1584
	v_fmac_f64_e32 v[6:7], v[170:171], v[72:73]
	v_add_f64 v[0:1], v[0:1], v[6:7]
	s_waitcnt vmcnt(9) lgkmcnt(1)
	v_mul_f64 v[6:7], v[172:173], v[78:79]
	v_fmac_f64_e32 v[6:7], v[174:175], v[76:77]
	v_add_f64 v[0:1], v[0:1], v[6:7]
	v_mul_f64 v[6:7], v[222:223], v[182:183]
	v_fma_f64 v[14:15], v[220:221], v[180:181], -v[6:7]
	ds_read_b128 v[180:183], v2 offset:1600
	s_waitcnt vmcnt(8) lgkmcnt(1)
	v_mul_f64 v[6:7], v[176:177], v[82:83]
	v_fmac_f64_e32 v[6:7], v[178:179], v[80:81]
	v_add_f64 v[0:1], v[0:1], v[6:7]
	v_mul_f64 v[6:7], v[226:227], v[186:187]
	v_fma_f64 v[6:7], v[224:225], v[184:185], -v[6:7]
	ds_read_b128 v[184:187], v2 offset:1616
	s_waitcnt vmcnt(7) lgkmcnt(1)
	v_mul_f64 v[188:189], v[180:181], v[86:87]
	v_fmac_f64_e32 v[188:189], v[182:183], v[84:85]
	v_add_f64 v[0:1], v[0:1], v[188:189]
	ds_read_b128 v[188:191], v2 offset:1632
	s_waitcnt vmcnt(6) lgkmcnt(1)
	v_mul_f64 v[200:201], v[184:185], v[90:91]
	v_fmac_f64_e32 v[200:201], v[186:187], v[88:89]
	v_add_f64 v[200:201], v[0:1], v[200:201]
	v_mul_f64 v[0:1], v[230:231], v[194:195]
	v_fma_f64 v[0:1], v[228:229], v[192:193], -v[0:1]
	ds_read_b128 v[192:195], v2 offset:1648
	s_waitcnt vmcnt(5) lgkmcnt(1)
	v_mul_f64 v[202:203], v[188:189], v[94:95]
	v_fmac_f64_e32 v[202:203], v[190:191], v[92:93]
	v_mul_f64 v[198:199], v[240:241], v[198:199]
	v_fma_f64 v[238:239], v[238:239], v[196:197], -v[198:199]
	ds_read_b128 v[196:199], v2 offset:1664
	v_add_f64 v[200:201], v[200:201], v[202:203]
	s_waitcnt vmcnt(4) lgkmcnt(1)
	v_mul_f64 v[202:203], v[192:193], v[102:103]
	v_fmac_f64_e32 v[202:203], v[194:195], v[100:101]
	v_add_f64 v[208:209], v[200:201], v[202:203]
	ds_read_b128 v[200:203], v2 offset:1680
	v_mul_f64 v[206:207], v[244:245], v[206:207]
	v_fma_f64 v[240:241], v[242:243], v[204:205], -v[206:207]
	ds_read_b128 v[204:207], v2 offset:1696
	s_waitcnt vmcnt(3) lgkmcnt(2)
	v_mul_f64 v[210:211], v[196:197], v[98:99]
	v_fmac_f64_e32 v[210:211], v[198:199], v[96:97]
	v_add_f64 v[208:209], v[208:209], v[210:211]
	s_waitcnt vmcnt(2) lgkmcnt(1)
	v_mul_f64 v[210:211], v[200:201], v[106:107]
	v_fmac_f64_e32 v[210:211], v[202:203], v[104:105]
	v_add_f64 v[208:209], v[208:209], v[210:211]
	;; [unrolled: 4-line block ×3, first 2 shown]
	ds_read_b128 v[208:211], v2 offset:1712
	ds_read_b128 v[216:219], v2 offset:1728
	;; [unrolled: 1-line block ×3, first 2 shown]
	s_waitcnt vmcnt(0) lgkmcnt(2)
	v_mul_f64 v[214:215], v[208:209], v[114:115]
	v_fmac_f64_e32 v[214:215], v[210:211], v[112:113]
	v_add_f64 v[220:221], v[212:213], v[214:215]
	scratch_load_dwordx4 v[212:215], off, off offset:864
	s_waitcnt vmcnt(0) lgkmcnt(1)
	v_mul_f64 v[222:223], v[216:217], v[214:215]
	v_fmac_f64_e32 v[222:223], v[218:219], v[212:213]
	v_add_f64 v[228:229], v[220:221], v[222:223]
	scratch_load_dwordx4 v[220:223], off, off offset:880
	s_waitcnt vmcnt(0) lgkmcnt(0)
	v_mul_f64 v[230:231], v[224:225], v[222:223]
	v_fmac_f64_e32 v[230:231], v[226:227], v[220:221]
	v_add_f64 v[244:245], v[228:229], v[230:231]
	v_add_f64 v[228:229], v[246:247], 0
	v_add_f64 v[228:229], v[228:229], v[248:249]
	v_add_f64 v[228:229], v[228:229], v[250:251]
	v_add_f64 v[228:229], v[228:229], v[252:253]
	v_add_f64 v[228:229], v[228:229], v[254:255]
	v_add_f64 v[228:229], v[228:229], v[232:233]
	v_add_f64 v[12:13], v[228:229], v[12:13]
	scratch_load_dwordx4 v[228:231], off, off offset:192
	v_add_f64 v[8:9], v[12:13], v[8:9]
	v_add_f64 v[8:9], v[8:9], v[10:11]
	;; [unrolled: 1-line block ×5, first 2 shown]
	v_accvgpr_read_b32 v6, a112
	v_accvgpr_read_b32 v8, a114
	;; [unrolled: 1-line block ×3, first 2 shown]
	v_add_f64 v[0:1], v[4:5], v[0:1]
	v_accvgpr_read_b32 v7, a113
	v_mul_f64 v[4:5], v[70:71], v[8:9]
	v_add_f64 v[0:1], v[0:1], v[238:239]
	v_fma_f64 v[4:5], v[68:69], v[6:7], -v[4:5]
	v_accvgpr_read_b32 v6, a116
	v_add_f64 v[0:1], v[0:1], v[240:241]
	v_accvgpr_read_b32 v8, a118
	v_accvgpr_read_b32 v9, a119
	v_add_f64 v[0:1], v[0:1], v[4:5]
	v_accvgpr_read_b32 v7, a117
	v_mul_f64 v[4:5], v[66:67], v[8:9]
	v_fma_f64 v[4:5], v[64:65], v[6:7], -v[4:5]
	v_add_f64 v[0:1], v[0:1], v[4:5]
	v_mul_f64 v[4:5], v[118:119], v[236:237]
	v_fma_f64 v[4:5], v[116:117], v[234:235], -v[4:5]
	v_add_f64 v[0:1], v[0:1], v[4:5]
	;; [unrolled: 3-line block ×27, first 2 shown]
	s_waitcnt vmcnt(0)
	v_add_f64 v[4:5], v[228:229], -v[0:1]
	v_accvgpr_read_b32 v0, a110
	v_add_f64 v[6:7], v[230:231], -v[244:245]
	v_cmp_lt_u32_e32 vcc, 10, v0
	scratch_store_dwordx4 off, v[4:7], off offset:192
	s_and_saveexec_b64 s[0:1], vcc
	s_cbranch_execz .LBB54_323
; %bb.322:
	scratch_load_dwordx4 v[6:9], off, s43
	v_mov_b32_e32 v3, v2
	v_mov_b32_e32 v4, v2
	;; [unrolled: 1-line block ×3, first 2 shown]
	v_accvgpr_read_b32 v0, a111
	scratch_store_dwordx4 off, v[2:5], off offset:176
	s_waitcnt vmcnt(1)
	ds_write_b128 v0, v[6:9]
.LBB54_323:
	s_or_b64 exec, exec, s[0:1]
	s_waitcnt lgkmcnt(0)
	; wave barrier
	scratch_load_dwordx4 v[72:75], off, off offset:192
	scratch_load_dwordx4 v[76:79], off, off offset:208
	;; [unrolled: 1-line block ×17, first 2 shown]
	ds_read_b128 v[176:179], v2 offset:1056
	ds_read_b128 v[192:195], v2 offset:1072
	;; [unrolled: 1-line block ×3, first 2 shown]
	scratch_load_dwordx4 v[20:23], off, off offset:464
	ds_read_b128 v[236:239], v2 offset:1104
	ds_read_b128 v[232:235], v2 offset:1120
	;; [unrolled: 1-line block ×5, first 2 shown]
	scratch_load_dwordx4 v[168:171], off, off offset:480
	ds_read_b128 v[224:227], v2 offset:1184
	ds_read_b128 v[212:215], v2 offset:1200
	;; [unrolled: 1-line block ×3, first 2 shown]
	scratch_load_dwordx4 v[12:15], off, off offset:496
	ds_read_b128 v[216:219], v2 offset:1232
	ds_read_b128 v[204:207], v2 offset:1248
	;; [unrolled: 1-line block ×5, first 2 shown]
	scratch_load_dwordx4 v[28:31], off, off offset:512
	ds_read_b128 v[32:35], v2 offset:1312
	scratch_load_dwordx4 v[36:39], off, off offset:528
	scratch_load_dwordx4 v[40:43], off, off offset:544
	;; [unrolled: 1-line block ×9, first 2 shown]
	ds_read_b128 v[132:135], v2 offset:1328
	s_waitcnt lgkmcnt(2)
	v_accvgpr_write_b32 a119, v19
	v_accvgpr_write_b32 a118, v18
	;; [unrolled: 1-line block ×4, first 2 shown]
	ds_read_b128 v[172:175], v2 offset:1392
	s_waitcnt vmcnt(29)
	v_mul_f64 v[0:1], v[176:177], v[74:75]
	s_waitcnt vmcnt(28)
	v_mul_f64 v[136:137], v[192:193], v[78:79]
	v_fmac_f64_e32 v[0:1], v[178:179], v[72:73]
	s_waitcnt vmcnt(27)
	v_mul_f64 v[138:139], v[188:189], v[82:83]
	v_fmac_f64_e32 v[136:137], v[194:195], v[76:77]
	v_add_f64 v[0:1], v[0:1], 0
	s_waitcnt vmcnt(26)
	v_mul_f64 v[140:141], v[236:237], v[86:87]
	v_fmac_f64_e32 v[138:139], v[190:191], v[80:81]
	v_add_f64 v[0:1], v[0:1], v[136:137]
	;; [unrolled: 4-line block ×14, first 2 shown]
	v_fmac_f64_e32 v[164:165], v[18:19], v[4:5]
	v_add_f64 v[0:1], v[0:1], v[162:163]
	s_waitcnt vmcnt(13) lgkmcnt(2)
	v_mul_f64 v[140:141], v[32:33], v[26:27]
	scratch_load_dwordx4 v[136:139], off, off offset:672
	v_add_f64 v[0:1], v[0:1], v[164:165]
	v_fmac_f64_e32 v[140:141], v[34:35], v[24:25]
	v_add_f64 v[0:1], v[0:1], v[140:141]
	ds_read_b128 v[160:163], v2 offset:1344
	scratch_load_dwordx4 v[140:143], off, off offset:688
	ds_read_b128 v[164:167], v2 offset:1360
	s_waitcnt vmcnt(13)
	v_mov_b64_e32 v[16:17], v[168:169]
	v_mov_b64_e32 v[18:19], v[170:171]
	ds_read_b128 v[168:171], v2 offset:1376
	s_waitcnt lgkmcnt(4)
	v_mul_f64 v[144:145], v[132:133], v[22:23]
	v_fmac_f64_e32 v[144:145], v[134:135], v[20:21]
	s_waitcnt lgkmcnt(2)
	v_mul_f64 v[148:149], v[160:161], v[18:19]
	v_add_f64 v[0:1], v[0:1], v[144:145]
	v_fmac_f64_e32 v[148:149], v[162:163], v[16:17]
	s_waitcnt vmcnt(12) lgkmcnt(1)
	v_mul_f64 v[152:153], v[164:165], v[14:15]
	scratch_load_dwordx4 v[144:147], off, off offset:704
	v_add_f64 v[0:1], v[0:1], v[148:149]
	v_fmac_f64_e32 v[152:153], v[166:167], v[12:13]
	scratch_load_dwordx4 v[148:151], off, off offset:720
	v_add_f64 v[0:1], v[0:1], v[152:153]
	s_waitcnt vmcnt(13) lgkmcnt(0)
	v_mul_f64 v[152:153], v[168:169], v[30:31]
	v_fmac_f64_e32 v[152:153], v[170:171], v[28:29]
	v_add_f64 v[0:1], v[0:1], v[152:153]
	scratch_load_dwordx4 v[152:155], off, off offset:736
	s_waitcnt vmcnt(13)
	v_mul_f64 v[156:157], v[172:173], v[38:39]
	v_fmac_f64_e32 v[156:157], v[174:175], v[36:37]
	v_mul_f64 v[74:75], v[178:179], v[74:75]
	v_add_f64 v[0:1], v[0:1], v[156:157]
	scratch_load_dwordx4 v[156:159], off, off offset:752
	v_fma_f64 v[244:245], v[176:177], v[72:73], -v[74:75]
	v_mul_f64 v[72:73], v[194:195], v[78:79]
	ds_read_b128 v[180:183], v2 offset:1408
	ds_read_b128 v[176:179], v2 offset:1424
	v_fma_f64 v[246:247], v[192:193], v[76:77], -v[72:73]
	scratch_load_dwordx4 v[76:79], off, off offset:768
	scratch_load_dwordx4 v[72:75], off, off offset:784
	v_mul_f64 v[82:83], v[190:191], v[82:83]
	v_fma_f64 v[248:249], v[188:189], v[80:81], -v[82:83]
	v_mul_f64 v[80:81], v[238:239], v[86:87]
	v_fma_f64 v[236:237], v[236:237], v[84:85], -v[80:81]
	scratch_load_dwordx4 v[80:83], off, off offset:800
	ds_read_b128 v[188:191], v2 offset:1440
	v_mul_f64 v[84:85], v[234:235], v[90:91]
	s_waitcnt vmcnt(16) lgkmcnt(2)
	v_mul_f64 v[192:193], v[180:181], v[42:43]
	v_fma_f64 v[238:239], v[232:233], v[88:89], -v[84:85]
	scratch_load_dwordx4 v[84:87], off, off offset:816
	v_fmac_f64_e32 v[192:193], v[182:183], v[40:41]
	v_add_f64 v[0:1], v[0:1], v[192:193]
	s_waitcnt vmcnt(16) lgkmcnt(1)
	v_mul_f64 v[192:193], v[176:177], v[46:47]
	v_fmac_f64_e32 v[192:193], v[178:179], v[44:45]
	v_add_f64 v[0:1], v[0:1], v[192:193]
	ds_read_b128 v[192:195], v2 offset:1456
	s_waitcnt vmcnt(15) lgkmcnt(1)
	v_mul_f64 v[88:89], v[188:189], v[50:51]
	v_fmac_f64_e32 v[88:89], v[190:191], v[48:49]
	v_add_f64 v[0:1], v[0:1], v[88:89]
	v_mul_f64 v[88:89], v[230:231], v[94:95]
	v_fma_f64 v[250:251], v[228:229], v[92:93], -v[88:89]
	scratch_load_dwordx4 v[88:91], off, off offset:832
	scratch_load_dwordx4 v[232:235], off, off offset:880
	ds_read_b128 v[92:95], v2 offset:1472
	v_mul_f64 v[98:99], v[222:223], v[98:99]
	v_fma_f64 v[252:253], v[220:221], v[96:97], -v[98:99]
	ds_read_b128 v[96:99], v2 offset:1488
	v_mul_f64 v[102:103], v[210:211], v[102:103]
	s_waitcnt vmcnt(16) lgkmcnt(2)
	v_mul_f64 v[228:229], v[192:193], v[54:55]
	v_fma_f64 v[254:255], v[208:209], v[100:101], -v[102:103]
	ds_read_b128 v[100:103], v2 offset:1504
	ds_read_b128 v[208:211], v2 offset:1520
	v_fmac_f64_e32 v[228:229], v[194:195], v[52:53]
	s_waitcnt vmcnt(15) lgkmcnt(3)
	v_mul_f64 v[220:221], v[92:93], v[58:59]
	v_add_f64 v[0:1], v[0:1], v[228:229]
	v_fmac_f64_e32 v[220:221], v[94:95], v[56:57]
	v_mul_f64 v[106:107], v[226:227], v[106:107]
	v_add_f64 v[0:1], v[0:1], v[220:221]
	s_waitcnt vmcnt(14) lgkmcnt(2)
	v_mul_f64 v[220:221], v[96:97], v[62:63]
	v_fma_f64 v[240:241], v[224:225], v[104:105], -v[106:107]
	ds_read_b128 v[104:107], v2 offset:1536
	v_fmac_f64_e32 v[220:221], v[98:99], v[60:61]
	v_mul_f64 v[110:111], v[214:215], v[110:111]
	v_add_f64 v[0:1], v[0:1], v[220:221]
	s_waitcnt vmcnt(13) lgkmcnt(2)
	v_mul_f64 v[220:221], v[100:101], v[70:71]
	v_fma_f64 v[8:9], v[212:213], v[108:109], -v[110:111]
	ds_read_b128 v[108:111], v2 offset:1552
	v_fmac_f64_e32 v[220:221], v[102:103], v[68:69]
	v_accvgpr_write_b32 a115, v7
	v_add_f64 v[0:1], v[0:1], v[220:221]
	s_waitcnt vmcnt(12) lgkmcnt(2)
	v_mul_f64 v[220:221], v[208:209], v[66:67]
	v_accvgpr_write_b32 a114, v6
	v_accvgpr_write_b32 a113, v5
	;; [unrolled: 1-line block ×3, first 2 shown]
	v_fmac_f64_e32 v[220:221], v[210:211], v[64:65]
	s_waitcnt vmcnt(11) lgkmcnt(1)
	v_mul_f64 v[6:7], v[104:105], v[138:139]
	v_add_f64 v[0:1], v[0:1], v[220:221]
	v_fmac_f64_e32 v[6:7], v[106:107], v[136:137]
	v_add_f64 v[0:1], v[0:1], v[6:7]
	s_waitcnt vmcnt(10) lgkmcnt(0)
	v_mul_f64 v[6:7], v[108:109], v[142:143]
	v_fmac_f64_e32 v[6:7], v[110:111], v[140:141]
	ds_read_b128 v[212:215], v2 offset:1568
	v_add_f64 v[0:1], v[0:1], v[6:7]
	v_mul_f64 v[6:7], v[202:203], v[114:115]
	v_fma_f64 v[6:7], v[200:201], v[112:113], -v[6:7]
	ds_read_b128 v[112:115], v2 offset:1584
	v_mul_f64 v[118:119], v[218:219], v[118:119]
	v_fma_f64 v[4:5], v[216:217], v[116:117], -v[118:119]
	ds_read_b128 v[116:119], v2 offset:1600
	s_waitcnt vmcnt(9) lgkmcnt(2)
	v_mul_f64 v[200:201], v[212:213], v[146:147]
	v_fmac_f64_e32 v[200:201], v[214:215], v[144:145]
	s_waitcnt vmcnt(8) lgkmcnt(1)
	v_mul_f64 v[10:11], v[112:113], v[150:151]
	v_add_f64 v[0:1], v[0:1], v[200:201]
	v_fmac_f64_e32 v[10:11], v[114:115], v[148:149]
	v_add_f64 v[0:1], v[0:1], v[10:11]
	ds_read_b128 v[200:203], v2 offset:1616
	s_waitcnt vmcnt(7) lgkmcnt(1)
	v_mul_f64 v[10:11], v[116:117], v[154:155]
	v_fmac_f64_e32 v[10:11], v[118:119], v[152:153]
	v_add_f64 v[10:11], v[0:1], v[10:11]
	v_mul_f64 v[0:1], v[206:207], v[122:123]
	v_fma_f64 v[0:1], v[204:205], v[120:121], -v[0:1]
	ds_read_b128 v[120:123], v2 offset:1632
	v_mul_f64 v[126:127], v[198:199], v[126:127]
	v_fma_f64 v[124:125], v[196:197], v[124:125], -v[126:127]
	s_waitcnt vmcnt(6) lgkmcnt(1)
	v_mul_f64 v[204:205], v[200:201], v[158:159]
	v_accvgpr_write_b32 a120, v124
	v_fmac_f64_e32 v[204:205], v[202:203], v[156:157]
	v_accvgpr_write_b32 a121, v125
	ds_read_b128 v[124:127], v2 offset:1648
	s_waitcnt vmcnt(5) lgkmcnt(1)
	v_mul_f64 v[196:197], v[120:121], v[78:79]
	v_add_f64 v[10:11], v[10:11], v[204:205]
	v_fmac_f64_e32 v[196:197], v[122:123], v[76:77]
	v_add_f64 v[10:11], v[10:11], v[196:197]
	ds_read_b128 v[196:199], v2 offset:1664
	v_mul_f64 v[130:131], v[186:187], v[130:131]
	v_fma_f64 v[242:243], v[184:185], v[128:129], -v[130:131]
	ds_read_b128 v[128:131], v2 offset:1680
	s_waitcnt vmcnt(4) lgkmcnt(2)
	v_mul_f64 v[184:185], v[124:125], v[74:75]
	v_fmac_f64_e32 v[184:185], v[126:127], v[72:73]
	v_add_f64 v[10:11], v[10:11], v[184:185]
	s_waitcnt vmcnt(3) lgkmcnt(1)
	v_mul_f64 v[184:185], v[196:197], v[82:83]
	v_fmac_f64_e32 v[184:185], v[198:199], v[80:81]
	v_add_f64 v[10:11], v[10:11], v[184:185]
	;; [unrolled: 4-line block ×3, first 2 shown]
	ds_read_b128 v[184:187], v2 offset:1696
	ds_read_b128 v[216:219], v2 offset:1712
	;; [unrolled: 1-line block ×3, first 2 shown]
	s_waitcnt vmcnt(1) lgkmcnt(2)
	v_mul_f64 v[204:205], v[184:185], v[90:91]
	v_fmac_f64_e32 v[204:205], v[186:187], v[88:89]
	v_add_f64 v[10:11], v[10:11], v[204:205]
	scratch_load_dwordx4 v[204:207], off, off offset:848
	s_waitcnt vmcnt(0) lgkmcnt(1)
	v_mul_f64 v[220:221], v[216:217], v[206:207]
	v_fmac_f64_e32 v[220:221], v[218:219], v[204:205]
	v_add_f64 v[10:11], v[10:11], v[220:221]
	scratch_load_dwordx4 v[220:223], off, off offset:864
	s_waitcnt vmcnt(0) lgkmcnt(0)
	v_mul_f64 v[228:229], v[224:225], v[222:223]
	v_fmac_f64_e32 v[228:229], v[226:227], v[220:221]
	v_add_f64 v[10:11], v[10:11], v[228:229]
	ds_read_b128 v[228:231], v2 offset:1744
	s_waitcnt lgkmcnt(0)
	v_mul_f64 v[2:3], v[228:229], v[234:235]
	v_fmac_f64_e32 v[2:3], v[230:231], v[232:233]
	v_add_f64 v[2:3], v[10:11], v[2:3]
	v_add_f64 v[10:11], v[244:245], 0
	;; [unrolled: 1-line block ×6, first 2 shown]
	scratch_load_dwordx4 v[236:239], off, off offset:176
	v_add_f64 v[10:11], v[10:11], v[250:251]
	v_add_f64 v[10:11], v[10:11], v[252:253]
	;; [unrolled: 1-line block ×8, first 2 shown]
	v_accvgpr_read_b32 v0, a120
	v_accvgpr_read_b32 v1, a121
	v_add_f64 v[0:1], v[254:255], v[0:1]
	v_add_f64 v[0:1], v[0:1], v[242:243]
	v_accvgpr_read_b32 v6, a112
	v_accvgpr_read_b32 v243, a119
	;; [unrolled: 1-line block ×8, first 2 shown]
	v_mul_f64 v[4:5], v[242:243], v[8:9]
	v_fma_f64 v[4:5], v[240:241], v[6:7], -v[4:5]
	v_add_f64 v[0:1], v[0:1], v[4:5]
	v_mul_f64 v[4:5], v[34:35], v[26:27]
	v_fma_f64 v[4:5], v[32:33], v[24:25], -v[4:5]
	v_add_f64 v[0:1], v[0:1], v[4:5]
	;; [unrolled: 3-line block ×29, first 2 shown]
	s_waitcnt vmcnt(0)
	v_add_f64 v[4:5], v[236:237], -v[0:1]
	v_accvgpr_read_b32 v0, a110
	v_add_f64 v[6:7], v[238:239], -v[2:3]
	v_cmp_lt_u32_e32 vcc, 9, v0
	scratch_store_dwordx4 off, v[4:7], off offset:176
	s_and_saveexec_b64 s[0:1], vcc
	s_cbranch_execz .LBB54_325
; %bb.324:
	scratch_load_dwordx4 v[2:5], off, s42
	v_mov_b32_e32 v6, 0
	v_mov_b32_e32 v7, v6
	;; [unrolled: 1-line block ×4, first 2 shown]
	v_accvgpr_read_b32 v0, a111
	scratch_store_dwordx4 off, v[6:9], off offset:160
	s_waitcnt vmcnt(1)
	ds_write_b128 v0, v[2:5]
.LBB54_325:
	s_or_b64 exec, exec, s[0:1]
	s_waitcnt lgkmcnt(0)
	; wave barrier
	scratch_load_dwordx4 v[80:83], off, off offset:176
	scratch_load_dwordx4 v[84:87], off, off offset:192
	;; [unrolled: 1-line block ×29, first 2 shown]
	v_mov_b32_e32 v2, 0
	ds_read_b128 v[132:135], v2 offset:1040
	ds_read_b128 v[136:139], v2 offset:1056
	;; [unrolled: 1-line block ×22, first 2 shown]
	s_waitcnt vmcnt(28) lgkmcnt(14)
	v_mul_f64 v[0:1], v[132:133], v[82:83]
	s_waitcnt vmcnt(27)
	v_mul_f64 v[56:57], v[136:137], v[86:87]
	v_fmac_f64_e32 v[0:1], v[134:135], v[80:81]
	s_waitcnt vmcnt(26)
	v_mul_f64 v[58:59], v[140:141], v[90:91]
	v_fmac_f64_e32 v[56:57], v[138:139], v[84:85]
	v_add_f64 v[0:1], v[0:1], 0
	s_waitcnt vmcnt(25)
	v_mul_f64 v[60:61], v[148:149], v[94:95]
	v_fmac_f64_e32 v[58:59], v[142:143], v[88:89]
	v_add_f64 v[0:1], v[0:1], v[56:57]
	s_waitcnt vmcnt(24)
	v_mul_f64 v[62:63], v[160:161], v[98:99]
	v_fmac_f64_e32 v[60:61], v[150:151], v[92:93]
	v_add_f64 v[0:1], v[0:1], v[58:59]
	s_waitcnt vmcnt(23)
	v_mul_f64 v[64:65], v[172:173], v[102:103]
	v_fmac_f64_e32 v[62:63], v[162:163], v[96:97]
	v_add_f64 v[0:1], v[0:1], v[60:61]
	s_waitcnt vmcnt(22)
	v_mul_f64 v[66:67], v[184:185], v[106:107]
	v_fmac_f64_e32 v[64:65], v[174:175], v[100:101]
	v_add_f64 v[0:1], v[0:1], v[62:63]
	s_waitcnt vmcnt(21)
	v_mul_f64 v[68:69], v[196:197], v[146:147]
	v_fmac_f64_e32 v[66:67], v[186:187], v[104:105]
	v_add_f64 v[0:1], v[0:1], v[64:65]
	s_waitcnt vmcnt(20) lgkmcnt(13)
	v_mul_f64 v[70:71], v[204:205], v[154:155]
	v_fmac_f64_e32 v[68:69], v[198:199], v[144:145]
	v_add_f64 v[0:1], v[0:1], v[66:67]
	s_waitcnt vmcnt(19) lgkmcnt(12)
	v_mul_f64 v[72:73], v[208:209], v[158:159]
	v_fmac_f64_e32 v[70:71], v[206:207], v[152:153]
	v_add_f64 v[0:1], v[0:1], v[68:69]
	;; [unrolled: 4-line block ×8, first 2 shown]
	v_fmac_f64_e32 v[112:113], v[240:241], v[192:193]
	v_add_f64 v[0:1], v[0:1], v[110:111]
	s_waitcnt vmcnt(12) lgkmcnt(5)
	v_mul_f64 v[60:61], v[242:243], v[202:203]
	scratch_load_dwordx4 v[56:59], off, off offset:640
	ds_read_b128 v[108:111], v2 offset:1328
	v_add_f64 v[0:1], v[0:1], v[112:113]
	v_fmac_f64_e32 v[60:61], v[244:245], v[200:201]
	v_add_f64 v[0:1], v[0:1], v[60:61]
	s_waitcnt vmcnt(12) lgkmcnt(5)
	v_mul_f64 v[64:65], v[52:53], v[6:7]
	scratch_load_dwordx4 v[60:63], off, off offset:656
	v_accvgpr_write_b32 a115, v7
	v_fmac_f64_e32 v[64:65], v[54:55], v[4:5]
	v_accvgpr_write_b32 a114, v6
	v_accvgpr_write_b32 a113, v5
	;; [unrolled: 1-line block ×3, first 2 shown]
	ds_read_b128 v[112:115], v2 offset:1344
	s_waitcnt vmcnt(12)
	v_mov_b64_e32 v[4:5], v[8:9]
	v_mov_b64_e32 v[6:7], v[10:11]
	s_waitcnt lgkmcnt(1)
	v_mul_f64 v[68:69], v[108:109], v[6:7]
	v_fmac_f64_e32 v[68:69], v[110:111], v[4:5]
	s_waitcnt vmcnt(11)
	v_mov_b64_e32 v[4:5], v[12:13]
	v_add_f64 v[0:1], v[0:1], v[64:65]
	v_mov_b64_e32 v[6:7], v[14:15]
	scratch_load_dwordx4 v[64:67], off, off offset:672
	v_add_f64 v[0:1], v[0:1], v[68:69]
	s_waitcnt lgkmcnt(0)
	v_mul_f64 v[68:69], v[112:113], v[6:7]
	v_fmac_f64_e32 v[68:69], v[114:115], v[4:5]
	v_add_f64 v[0:1], v[0:1], v[68:69]
	scratch_load_dwordx4 v[68:71], off, off offset:688
	s_waitcnt vmcnt(12)
	v_mul_f64 v[76:77], v[116:117], v[236:237]
	scratch_load_dwordx4 v[72:75], off, off offset:704
	v_fmac_f64_e32 v[76:77], v[118:119], v[234:235]
	v_add_f64 v[0:1], v[0:1], v[76:77]
	s_waitcnt vmcnt(12)
	v_mul_f64 v[76:77], v[120:121], v[22:23]
	v_fmac_f64_e32 v[76:77], v[122:123], v[20:21]
	v_add_f64 v[0:1], v[0:1], v[76:77]
	scratch_load_dwordx4 v[76:79], off, off offset:720
	v_mul_f64 v[82:83], v[134:135], v[82:83]
	v_fma_f64 v[246:247], v[132:133], v[80:81], -v[82:83]
	scratch_load_dwordx4 v[80:83], off, off offset:736
	v_mul_f64 v[86:87], v[138:139], v[86:87]
	v_fma_f64 v[248:249], v[136:137], v[84:85], -v[86:87]
	scratch_load_dwordx4 v[84:87], off, off offset:752
	v_mul_f64 v[90:91], v[142:143], v[90:91]
	s_waitcnt vmcnt(14)
	v_mul_f64 v[132:133], v[124:125], v[26:27]
	v_fma_f64 v[250:251], v[140:141], v[88:89], -v[90:91]
	scratch_load_dwordx4 v[88:91], off, off offset:768
	v_fmac_f64_e32 v[132:133], v[126:127], v[24:25]
	s_waitcnt vmcnt(14)
	v_mul_f64 v[136:137], v[128:129], v[30:31]
	v_mul_f64 v[94:95], v[150:151], v[94:95]
	v_add_f64 v[0:1], v[0:1], v[132:133]
	v_fmac_f64_e32 v[136:137], v[130:131], v[28:29]
	v_fma_f64 v[252:253], v[148:149], v[92:93], -v[94:95]
	v_mul_f64 v[92:93], v[162:163], v[98:99]
	ds_read_b128 v[132:135], v2 offset:1424
	v_add_f64 v[0:1], v[0:1], v[136:137]
	ds_read_b128 v[136:139], v2 offset:1440
	v_fma_f64 v[254:255], v[160:161], v[96:97], -v[92:93]
	scratch_load_dwordx4 v[96:99], off, off offset:784
	scratch_load_dwordx4 v[92:95], off, off offset:800
	v_mul_f64 v[102:103], v[174:175], v[102:103]
	v_fma_f64 v[232:233], v[172:173], v[100:101], -v[102:103]
	scratch_load_dwordx4 v[100:103], off, off offset:816
	v_mul_f64 v[106:107], v[186:187], v[106:107]
	v_fma_f64 v[16:17], v[184:185], v[104:105], -v[106:107]
	scratch_load_dwordx4 v[104:107], off, off offset:832
	s_waitcnt vmcnt(17) lgkmcnt(1)
	v_mul_f64 v[140:141], v[132:133], v[34:35]
	v_fmac_f64_e32 v[140:141], v[134:135], v[32:33]
	v_add_f64 v[0:1], v[0:1], v[140:141]
	ds_read_b128 v[140:143], v2 offset:1456
	v_accvgpr_write_b32 a123, v15
	v_mul_f64 v[6:7], v[198:199], v[146:147]
	v_accvgpr_write_b32 a122, v14
	v_accvgpr_write_b32 a121, v13
	;; [unrolled: 1-line block ×3, first 2 shown]
	v_fma_f64 v[12:13], v[196:197], v[144:145], -v[6:7]
	ds_read_b128 v[144:147], v2 offset:1472
	s_waitcnt vmcnt(16) lgkmcnt(2)
	v_mul_f64 v[148:149], v[136:137], v[38:39]
	v_fmac_f64_e32 v[148:149], v[138:139], v[36:37]
	v_add_f64 v[0:1], v[0:1], v[148:149]
	s_waitcnt vmcnt(15) lgkmcnt(1)
	v_mul_f64 v[6:7], v[140:141], v[42:43]
	ds_read_b128 v[148:151], v2 offset:1488
	v_fmac_f64_e32 v[6:7], v[142:143], v[40:41]
	v_add_f64 v[0:1], v[0:1], v[6:7]
	s_waitcnt vmcnt(14) lgkmcnt(1)
	v_mul_f64 v[6:7], v[144:145], v[46:47]
	v_fmac_f64_e32 v[6:7], v[146:147], v[44:45]
	v_accvgpr_write_b32 a119, v11
	v_add_f64 v[0:1], v[0:1], v[6:7]
	v_mul_f64 v[6:7], v[206:207], v[154:155]
	v_accvgpr_write_b32 a118, v10
	v_accvgpr_write_b32 a117, v9
	;; [unrolled: 1-line block ×3, first 2 shown]
	v_fma_f64 v[10:11], v[204:205], v[152:153], -v[6:7]
	ds_read_b128 v[152:155], v2 offset:1504
	s_waitcnt vmcnt(13) lgkmcnt(1)
	v_mul_f64 v[6:7], v[148:149], v[50:51]
	v_fmac_f64_e32 v[6:7], v[150:151], v[48:49]
	v_add_f64 v[0:1], v[0:1], v[6:7]
	v_mul_f64 v[6:7], v[210:211], v[158:159]
	v_fma_f64 v[8:9], v[208:209], v[156:157], -v[6:7]
	ds_read_b128 v[156:159], v2 offset:1520
	ds_read_b128 v[160:163], v2 offset:1536
	s_waitcnt vmcnt(12) lgkmcnt(2)
	v_mul_f64 v[6:7], v[152:153], v[58:59]
	v_fmac_f64_e32 v[6:7], v[154:155], v[56:57]
	v_add_f64 v[0:1], v[0:1], v[6:7]
	s_waitcnt vmcnt(11) lgkmcnt(1)
	v_mul_f64 v[6:7], v[156:157], v[62:63]
	v_fmac_f64_e32 v[6:7], v[158:159], v[60:61]
	v_add_f64 v[0:1], v[0:1], v[6:7]
	v_mul_f64 v[6:7], v[214:215], v[166:167]
	v_fma_f64 v[14:15], v[212:213], v[164:165], -v[6:7]
	ds_read_b128 v[164:167], v2 offset:1552
	v_mul_f64 v[170:171], v[218:219], v[170:171]
	v_fma_f64 v[4:5], v[216:217], v[168:169], -v[170:171]
	ds_read_b128 v[168:171], v2 offset:1568
	s_waitcnt vmcnt(10) lgkmcnt(2)
	v_mul_f64 v[6:7], v[160:161], v[66:67]
	v_fmac_f64_e32 v[6:7], v[162:163], v[64:65]
	v_add_f64 v[0:1], v[0:1], v[6:7]
	s_waitcnt vmcnt(9) lgkmcnt(1)
	v_mul_f64 v[6:7], v[164:165], v[70:71]
	ds_read_b128 v[172:175], v2 offset:1584
	v_fmac_f64_e32 v[6:7], v[166:167], v[68:69]
	v_add_f64 v[0:1], v[0:1], v[6:7]
	s_waitcnt vmcnt(8) lgkmcnt(1)
	v_mul_f64 v[6:7], v[168:169], v[74:75]
	v_fmac_f64_e32 v[6:7], v[170:171], v[72:73]
	v_add_f64 v[0:1], v[0:1], v[6:7]
	v_mul_f64 v[6:7], v[222:223], v[178:179]
	v_fma_f64 v[18:19], v[220:221], v[176:177], -v[6:7]
	ds_read_b128 v[176:179], v2 offset:1600
	s_waitcnt vmcnt(7) lgkmcnt(1)
	v_mul_f64 v[6:7], v[172:173], v[78:79]
	v_fmac_f64_e32 v[6:7], v[174:175], v[76:77]
	v_add_f64 v[0:1], v[0:1], v[6:7]
	v_mul_f64 v[6:7], v[226:227], v[182:183]
	v_fma_f64 v[6:7], v[224:225], v[180:181], -v[6:7]
	ds_read_b128 v[180:183], v2 offset:1616
	s_waitcnt vmcnt(6) lgkmcnt(1)
	v_mul_f64 v[184:185], v[176:177], v[82:83]
	v_fmac_f64_e32 v[184:185], v[178:179], v[80:81]
	v_add_f64 v[0:1], v[0:1], v[184:185]
	ds_read_b128 v[184:187], v2 offset:1632
	s_waitcnt vmcnt(5) lgkmcnt(1)
	v_mul_f64 v[196:197], v[180:181], v[86:87]
	v_fmac_f64_e32 v[196:197], v[182:183], v[84:85]
	v_add_f64 v[196:197], v[0:1], v[196:197]
	v_mul_f64 v[0:1], v[230:231], v[190:191]
	v_fma_f64 v[0:1], v[228:229], v[188:189], -v[0:1]
	ds_read_b128 v[188:191], v2 offset:1648
	s_waitcnt vmcnt(4) lgkmcnt(1)
	v_mul_f64 v[198:199], v[184:185], v[90:91]
	v_fmac_f64_e32 v[198:199], v[186:187], v[88:89]
	v_mul_f64 v[194:195], v[240:241], v[194:195]
	v_fma_f64 v[238:239], v[238:239], v[192:193], -v[194:195]
	ds_read_b128 v[192:195], v2 offset:1664
	v_add_f64 v[196:197], v[196:197], v[198:199]
	s_waitcnt vmcnt(3) lgkmcnt(1)
	v_mul_f64 v[198:199], v[188:189], v[98:99]
	v_fmac_f64_e32 v[198:199], v[190:191], v[96:97]
	v_add_f64 v[204:205], v[196:197], v[198:199]
	ds_read_b128 v[196:199], v2 offset:1680
	v_mul_f64 v[202:203], v[244:245], v[202:203]
	v_fma_f64 v[240:241], v[242:243], v[200:201], -v[202:203]
	ds_read_b128 v[200:203], v2 offset:1696
	s_waitcnt vmcnt(2) lgkmcnt(2)
	v_mul_f64 v[206:207], v[192:193], v[94:95]
	v_fmac_f64_e32 v[206:207], v[194:195], v[92:93]
	v_add_f64 v[204:205], v[204:205], v[206:207]
	s_waitcnt vmcnt(1) lgkmcnt(1)
	v_mul_f64 v[206:207], v[196:197], v[102:103]
	v_fmac_f64_e32 v[206:207], v[198:199], v[100:101]
	v_add_f64 v[204:205], v[204:205], v[206:207]
	;; [unrolled: 4-line block ×3, first 2 shown]
	scratch_load_dwordx4 v[204:207], off, off offset:848
	ds_read_b128 v[208:211], v2 offset:1712
	ds_read_b128 v[216:219], v2 offset:1728
	;; [unrolled: 1-line block ×3, first 2 shown]
	s_waitcnt vmcnt(0) lgkmcnt(2)
	v_mul_f64 v[214:215], v[208:209], v[206:207]
	v_fmac_f64_e32 v[214:215], v[210:211], v[204:205]
	v_add_f64 v[220:221], v[212:213], v[214:215]
	scratch_load_dwordx4 v[212:215], off, off offset:864
	s_waitcnt vmcnt(0) lgkmcnt(1)
	v_mul_f64 v[222:223], v[216:217], v[214:215]
	v_fmac_f64_e32 v[222:223], v[218:219], v[212:213]
	v_add_f64 v[228:229], v[220:221], v[222:223]
	scratch_load_dwordx4 v[220:223], off, off offset:880
	s_waitcnt vmcnt(0) lgkmcnt(0)
	v_mul_f64 v[230:231], v[224:225], v[222:223]
	v_fmac_f64_e32 v[230:231], v[226:227], v[220:221]
	v_add_f64 v[244:245], v[228:229], v[230:231]
	v_add_f64 v[228:229], v[246:247], 0
	;; [unrolled: 1-line block ×8, first 2 shown]
	scratch_load_dwordx4 v[228:231], off, off offset:160
	v_add_f64 v[12:13], v[16:17], v[12:13]
	v_add_f64 v[10:11], v[12:13], v[10:11]
	;; [unrolled: 1-line block ×7, first 2 shown]
	v_accvgpr_read_b32 v6, a112
	v_accvgpr_read_b32 v8, a114
	;; [unrolled: 1-line block ×3, first 2 shown]
	v_add_f64 v[0:1], v[4:5], v[0:1]
	v_accvgpr_read_b32 v7, a113
	v_mul_f64 v[4:5], v[54:55], v[8:9]
	v_add_f64 v[0:1], v[0:1], v[238:239]
	v_fma_f64 v[4:5], v[52:53], v[6:7], -v[4:5]
	v_accvgpr_read_b32 v6, a116
	v_add_f64 v[0:1], v[0:1], v[240:241]
	v_accvgpr_read_b32 v8, a118
	v_accvgpr_read_b32 v9, a119
	v_add_f64 v[0:1], v[0:1], v[4:5]
	v_accvgpr_read_b32 v7, a117
	v_mul_f64 v[4:5], v[110:111], v[8:9]
	v_fma_f64 v[4:5], v[108:109], v[6:7], -v[4:5]
	v_accvgpr_read_b32 v6, a120
	v_accvgpr_read_b32 v8, a122
	;; [unrolled: 1-line block ×3, first 2 shown]
	v_add_f64 v[0:1], v[0:1], v[4:5]
	v_accvgpr_read_b32 v7, a121
	v_mul_f64 v[4:5], v[114:115], v[8:9]
	v_fma_f64 v[4:5], v[112:113], v[6:7], -v[4:5]
	v_add_f64 v[0:1], v[0:1], v[4:5]
	v_mul_f64 v[4:5], v[118:119], v[236:237]
	v_fma_f64 v[4:5], v[116:117], v[234:235], -v[4:5]
	v_add_f64 v[0:1], v[0:1], v[4:5]
	v_mul_f64 v[4:5], v[122:123], v[22:23]
	v_fma_f64 v[4:5], v[120:121], v[20:21], -v[4:5]
	v_add_f64 v[0:1], v[0:1], v[4:5]
	v_mul_f64 v[4:5], v[126:127], v[26:27]
	v_fma_f64 v[4:5], v[124:125], v[24:25], -v[4:5]
	v_add_f64 v[0:1], v[0:1], v[4:5]
	v_mul_f64 v[4:5], v[130:131], v[30:31]
	v_fma_f64 v[4:5], v[128:129], v[28:29], -v[4:5]
	v_add_f64 v[0:1], v[0:1], v[4:5]
	v_mul_f64 v[4:5], v[134:135], v[34:35]
	v_fma_f64 v[4:5], v[132:133], v[32:33], -v[4:5]
	v_add_f64 v[0:1], v[0:1], v[4:5]
	v_mul_f64 v[4:5], v[138:139], v[38:39]
	v_fma_f64 v[4:5], v[136:137], v[36:37], -v[4:5]
	v_add_f64 v[0:1], v[0:1], v[4:5]
	v_mul_f64 v[4:5], v[142:143], v[42:43]
	v_fma_f64 v[4:5], v[140:141], v[40:41], -v[4:5]
	v_add_f64 v[0:1], v[0:1], v[4:5]
	v_mul_f64 v[4:5], v[146:147], v[46:47]
	v_fma_f64 v[4:5], v[144:145], v[44:45], -v[4:5]
	v_add_f64 v[0:1], v[0:1], v[4:5]
	v_mul_f64 v[4:5], v[150:151], v[50:51]
	v_fma_f64 v[4:5], v[148:149], v[48:49], -v[4:5]
	v_add_f64 v[0:1], v[0:1], v[4:5]
	v_mul_f64 v[4:5], v[154:155], v[58:59]
	v_fma_f64 v[4:5], v[152:153], v[56:57], -v[4:5]
	v_add_f64 v[0:1], v[0:1], v[4:5]
	v_mul_f64 v[4:5], v[158:159], v[62:63]
	v_fma_f64 v[4:5], v[156:157], v[60:61], -v[4:5]
	v_add_f64 v[0:1], v[0:1], v[4:5]
	v_mul_f64 v[4:5], v[162:163], v[66:67]
	v_fma_f64 v[4:5], v[160:161], v[64:65], -v[4:5]
	v_add_f64 v[0:1], v[0:1], v[4:5]
	v_mul_f64 v[4:5], v[166:167], v[70:71]
	v_fma_f64 v[4:5], v[164:165], v[68:69], -v[4:5]
	v_add_f64 v[0:1], v[0:1], v[4:5]
	v_mul_f64 v[4:5], v[170:171], v[74:75]
	v_fma_f64 v[4:5], v[168:169], v[72:73], -v[4:5]
	v_add_f64 v[0:1], v[0:1], v[4:5]
	v_mul_f64 v[4:5], v[174:175], v[78:79]
	v_fma_f64 v[4:5], v[172:173], v[76:77], -v[4:5]
	v_add_f64 v[0:1], v[0:1], v[4:5]
	v_mul_f64 v[4:5], v[178:179], v[82:83]
	v_fma_f64 v[4:5], v[176:177], v[80:81], -v[4:5]
	v_add_f64 v[0:1], v[0:1], v[4:5]
	v_mul_f64 v[4:5], v[182:183], v[86:87]
	v_fma_f64 v[4:5], v[180:181], v[84:85], -v[4:5]
	v_add_f64 v[0:1], v[0:1], v[4:5]
	v_mul_f64 v[4:5], v[186:187], v[90:91]
	v_fma_f64 v[4:5], v[184:185], v[88:89], -v[4:5]
	v_add_f64 v[0:1], v[0:1], v[4:5]
	v_mul_f64 v[4:5], v[190:191], v[98:99]
	v_fma_f64 v[4:5], v[188:189], v[96:97], -v[4:5]
	v_add_f64 v[0:1], v[0:1], v[4:5]
	v_mul_f64 v[4:5], v[194:195], v[94:95]
	v_fma_f64 v[4:5], v[192:193], v[92:93], -v[4:5]
	v_add_f64 v[0:1], v[0:1], v[4:5]
	v_mul_f64 v[4:5], v[198:199], v[102:103]
	v_fma_f64 v[4:5], v[196:197], v[100:101], -v[4:5]
	v_add_f64 v[0:1], v[0:1], v[4:5]
	v_mul_f64 v[4:5], v[202:203], v[106:107]
	v_fma_f64 v[4:5], v[200:201], v[104:105], -v[4:5]
	v_add_f64 v[0:1], v[0:1], v[4:5]
	v_mul_f64 v[4:5], v[210:211], v[206:207]
	v_fma_f64 v[4:5], v[208:209], v[204:205], -v[4:5]
	v_add_f64 v[0:1], v[0:1], v[4:5]
	v_mul_f64 v[4:5], v[218:219], v[214:215]
	v_fma_f64 v[4:5], v[216:217], v[212:213], -v[4:5]
	v_add_f64 v[0:1], v[0:1], v[4:5]
	v_mul_f64 v[4:5], v[226:227], v[222:223]
	v_fma_f64 v[4:5], v[224:225], v[220:221], -v[4:5]
	v_add_f64 v[0:1], v[0:1], v[4:5]
	s_waitcnt vmcnt(0)
	v_add_f64 v[4:5], v[228:229], -v[0:1]
	v_accvgpr_read_b32 v0, a110
	v_add_f64 v[6:7], v[230:231], -v[244:245]
	v_cmp_lt_u32_e32 vcc, 8, v0
	scratch_store_dwordx4 off, v[4:7], off offset:160
	s_and_saveexec_b64 s[0:1], vcc
	s_cbranch_execz .LBB54_327
; %bb.326:
	scratch_load_dwordx4 v[6:9], off, s41
	v_mov_b32_e32 v3, v2
	v_mov_b32_e32 v4, v2
	;; [unrolled: 1-line block ×3, first 2 shown]
	v_accvgpr_read_b32 v0, a111
	scratch_store_dwordx4 off, v[2:5], off offset:144
	s_waitcnt vmcnt(1)
	ds_write_b128 v0, v[6:9]
.LBB54_327:
	s_or_b64 exec, exec, s[0:1]
	s_waitcnt lgkmcnt(0)
	; wave barrier
	scratch_load_dwordx4 v[80:83], off, off offset:160
	scratch_load_dwordx4 v[84:87], off, off offset:176
	;; [unrolled: 1-line block ×17, first 2 shown]
	ds_read_b128 v[136:139], v2 offset:1024
	ds_read_b128 v[132:135], v2 offset:1040
	scratch_load_dwordx4 v[4:7], off, off offset:432
	ds_read_b128 v[236:239], v2 offset:1056
	ds_read_b128 v[228:231], v2 offset:1072
	;; [unrolled: 1-line block ×5, first 2 shown]
	scratch_load_dwordx4 v[8:11], off, off offset:448
	ds_read_b128 v[232:235], v2 offset:1136
	ds_read_b128 v[216:219], v2 offset:1152
	;; [unrolled: 1-line block ×3, first 2 shown]
	scratch_load_dwordx4 v[12:15], off, off offset:464
	ds_read_b128 v[220:223], v2 offset:1184
	ds_read_b128 v[172:175], v2 offset:1200
	;; [unrolled: 1-line block ×5, first 2 shown]
	scratch_load_dwordx4 v[16:19], off, off offset:480
	ds_read_b128 v[208:211], v2 offset:1264
	ds_read_b128 v[204:207], v2 offset:1280
	ds_read_b128 v[20:23], v2 offset:1296
	scratch_load_dwordx4 v[24:27], off, off offset:496
	scratch_load_dwordx4 v[28:31], off, off offset:512
	;; [unrolled: 1-line block ×8, first 2 shown]
	ds_read_b128 v[116:119], v2 offset:1344
	ds_read_b128 v[120:123], v2 offset:1360
	;; [unrolled: 1-line block ×4, first 2 shown]
	s_waitcnt vmcnt(28) lgkmcnt(14)
	v_mul_f64 v[0:1], v[136:137], v[82:83]
	s_waitcnt vmcnt(27)
	v_mul_f64 v[56:57], v[132:133], v[86:87]
	v_fmac_f64_e32 v[0:1], v[138:139], v[80:81]
	s_waitcnt vmcnt(26)
	v_mul_f64 v[58:59], v[236:237], v[90:91]
	v_fmac_f64_e32 v[56:57], v[134:135], v[84:85]
	v_add_f64 v[0:1], v[0:1], 0
	s_waitcnt vmcnt(25)
	v_mul_f64 v[60:61], v[228:229], v[94:95]
	v_fmac_f64_e32 v[58:59], v[238:239], v[88:89]
	v_add_f64 v[0:1], v[0:1], v[56:57]
	;; [unrolled: 4-line block ×6, first 2 shown]
	s_waitcnt vmcnt(20) lgkmcnt(13)
	v_mul_f64 v[70:71], v[216:217], v[154:155]
	v_fmac_f64_e32 v[68:69], v[234:235], v[144:145]
	v_add_f64 v[0:1], v[0:1], v[66:67]
	s_waitcnt vmcnt(19) lgkmcnt(12)
	v_mul_f64 v[72:73], v[160:161], v[158:159]
	v_fmac_f64_e32 v[70:71], v[218:219], v[152:153]
	v_add_f64 v[0:1], v[0:1], v[68:69]
	;; [unrolled: 4-line block ×7, first 2 shown]
	v_fmac_f64_e32 v[110:111], v[198:199], v[188:189]
	v_add_f64 v[0:1], v[0:1], v[108:109]
	s_waitcnt vmcnt(13) lgkmcnt(6)
	v_mul_f64 v[112:113], v[208:209], v[194:195]
	v_add_f64 v[0:1], v[0:1], v[110:111]
	scratch_load_dwordx4 v[56:59], off, off offset:624
	scratch_load_dwordx4 v[60:63], off, off offset:640
	ds_read_b128 v[108:111], v2 offset:1312
	s_waitcnt vmcnt(14) lgkmcnt(6)
	v_mul_f64 v[114:115], v[204:205], v[202:203]
	v_fmac_f64_e32 v[112:113], v[210:211], v[192:193]
	v_add_f64 v[0:1], v[0:1], v[112:113]
	v_fmac_f64_e32 v[114:115], v[206:207], v[200:201]
	s_waitcnt vmcnt(13) lgkmcnt(5)
	v_mul_f64 v[64:65], v[20:21], v[6:7]
	v_accvgpr_write_b32 a115, v7
	v_add_f64 v[0:1], v[0:1], v[114:115]
	v_fmac_f64_e32 v[64:65], v[22:23], v[4:5]
	v_accvgpr_write_b32 a114, v6
	v_accvgpr_write_b32 a113, v5
	;; [unrolled: 1-line block ×3, first 2 shown]
	ds_read_b128 v[112:115], v2 offset:1328
	s_waitcnt vmcnt(12)
	v_mov_b64_e32 v[4:5], v[8:9]
	v_mov_b64_e32 v[6:7], v[10:11]
	s_waitcnt lgkmcnt(1)
	v_mul_f64 v[68:69], v[108:109], v[6:7]
	v_fmac_f64_e32 v[68:69], v[110:111], v[4:5]
	s_waitcnt vmcnt(11)
	v_mov_b64_e32 v[4:5], v[12:13]
	v_add_f64 v[0:1], v[0:1], v[64:65]
	v_mov_b64_e32 v[6:7], v[14:15]
	v_add_f64 v[0:1], v[0:1], v[68:69]
	s_waitcnt lgkmcnt(0)
	v_mul_f64 v[68:69], v[112:113], v[6:7]
	scratch_load_dwordx4 v[64:67], off, off offset:656
	v_fmac_f64_e32 v[68:69], v[114:115], v[4:5]
	v_add_f64 v[0:1], v[0:1], v[68:69]
	scratch_load_dwordx4 v[68:71], off, off offset:672
	scratch_load_dwordx4 v[72:75], off, off offset:688
	s_waitcnt vmcnt(13)
	v_mul_f64 v[76:77], v[116:117], v[18:19]
	v_fmac_f64_e32 v[76:77], v[118:119], v[16:17]
	v_add_f64 v[0:1], v[0:1], v[76:77]
	s_waitcnt vmcnt(12)
	v_mul_f64 v[76:77], v[120:121], v[26:27]
	v_fmac_f64_e32 v[76:77], v[122:123], v[24:25]
	v_add_f64 v[0:1], v[0:1], v[76:77]
	scratch_load_dwordx4 v[76:79], off, off offset:704
	v_mul_f64 v[82:83], v[138:139], v[82:83]
	v_fma_f64 v[244:245], v[136:137], v[80:81], -v[82:83]
	scratch_load_dwordx4 v[80:83], off, off offset:720
	v_mul_f64 v[86:87], v[134:135], v[86:87]
	v_fma_f64 v[246:247], v[132:133], v[84:85], -v[86:87]
	scratch_load_dwordx4 v[84:87], off, off offset:736
	s_waitcnt vmcnt(14)
	v_mul_f64 v[136:137], v[124:125], v[30:31]
	v_mul_f64 v[90:91], v[238:239], v[90:91]
	v_fmac_f64_e32 v[136:137], v[126:127], v[28:29]
	v_fma_f64 v[236:237], v[236:237], v[88:89], -v[90:91]
	scratch_load_dwordx4 v[88:91], off, off offset:752
	v_add_f64 v[0:1], v[0:1], v[136:137]
	s_waitcnt vmcnt(14)
	v_mul_f64 v[136:137], v[128:129], v[34:35]
	v_mul_f64 v[94:95], v[230:231], v[94:95]
	v_fmac_f64_e32 v[136:137], v[130:131], v[32:33]
	v_fma_f64 v[238:239], v[228:229], v[92:93], -v[94:95]
	v_mul_f64 v[92:93], v[226:227], v[98:99]
	ds_read_b128 v[132:135], v2 offset:1408
	v_add_f64 v[0:1], v[0:1], v[136:137]
	ds_read_b128 v[136:139], v2 offset:1424
	v_fma_f64 v[248:249], v[224:225], v[96:97], -v[92:93]
	scratch_load_dwordx4 v[96:99], off, off offset:768
	scratch_load_dwordx4 v[92:95], off, off offset:784
	v_mul_f64 v[102:103], v[150:151], v[102:103]
	v_fma_f64 v[250:251], v[148:149], v[100:101], -v[102:103]
	scratch_load_dwordx4 v[100:103], off, off offset:800
	v_mul_f64 v[106:107], v[142:143], v[106:107]
	v_fma_f64 v[252:253], v[140:141], v[104:105], -v[106:107]
	v_mul_f64 v[104:105], v[234:235], v[146:147]
	v_fma_f64 v[254:255], v[232:233], v[144:145], -v[104:105]
	scratch_load_dwordx4 v[104:107], off, off offset:816
	ds_read_b128 v[140:143], v2 offset:1440
	ds_read_b128 v[144:147], v2 offset:1456
	s_waitcnt vmcnt(17) lgkmcnt(3)
	v_mul_f64 v[228:229], v[132:133], v[38:39]
	v_fmac_f64_e32 v[228:229], v[134:135], v[36:37]
	s_waitcnt vmcnt(16) lgkmcnt(2)
	v_mul_f64 v[224:225], v[136:137], v[42:43]
	v_add_f64 v[0:1], v[0:1], v[228:229]
	v_fmac_f64_e32 v[224:225], v[138:139], v[40:41]
	s_waitcnt vmcnt(15) lgkmcnt(1)
	v_mul_f64 v[148:149], v[140:141], v[46:47]
	v_add_f64 v[0:1], v[0:1], v[224:225]
	v_fmac_f64_e32 v[148:149], v[142:143], v[44:45]
	v_add_f64 v[0:1], v[0:1], v[148:149]
	ds_read_b128 v[148:151], v2 offset:1472
	v_mul_f64 v[154:155], v[218:219], v[154:155]
	v_fma_f64 v[240:241], v[216:217], v[152:153], -v[154:155]
	ds_read_b128 v[152:155], v2 offset:1488
	v_accvgpr_write_b32 a123, v15
	v_mul_f64 v[158:159], v[162:163], v[158:159]
	v_accvgpr_write_b32 a122, v14
	v_accvgpr_write_b32 a121, v13
	;; [unrolled: 1-line block ×3, first 2 shown]
	v_fma_f64 v[12:13], v[160:161], v[156:157], -v[158:159]
	ds_read_b128 v[156:159], v2 offset:1504
	ds_read_b128 v[160:163], v2 offset:1520
	s_waitcnt vmcnt(14) lgkmcnt(4)
	v_mul_f64 v[224:225], v[144:145], v[50:51]
	v_fmac_f64_e32 v[224:225], v[146:147], v[48:49]
	s_waitcnt vmcnt(13) lgkmcnt(3)
	v_mul_f64 v[216:217], v[148:149], v[54:55]
	v_add_f64 v[0:1], v[0:1], v[224:225]
	v_fmac_f64_e32 v[216:217], v[150:151], v[52:53]
	s_waitcnt vmcnt(12) lgkmcnt(2)
	v_mul_f64 v[6:7], v[152:153], v[58:59]
	v_add_f64 v[0:1], v[0:1], v[216:217]
	v_fmac_f64_e32 v[6:7], v[154:155], v[56:57]
	v_add_f64 v[0:1], v[0:1], v[6:7]
	s_waitcnt vmcnt(11) lgkmcnt(1)
	v_mul_f64 v[6:7], v[156:157], v[62:63]
	v_fmac_f64_e32 v[6:7], v[158:159], v[60:61]
	v_accvgpr_write_b32 a119, v11
	v_add_f64 v[0:1], v[0:1], v[6:7]
	v_mul_f64 v[6:7], v[222:223], v[166:167]
	v_accvgpr_write_b32 a118, v10
	v_accvgpr_write_b32 a117, v9
	;; [unrolled: 1-line block ×3, first 2 shown]
	v_fma_f64 v[8:9], v[220:221], v[164:165], -v[6:7]
	ds_read_b128 v[164:167], v2 offset:1536
	v_mul_f64 v[170:171], v[174:175], v[170:171]
	v_fma_f64 v[6:7], v[172:173], v[168:169], -v[170:171]
	ds_read_b128 v[168:171], v2 offset:1552
	s_waitcnt vmcnt(10) lgkmcnt(2)
	v_mul_f64 v[216:217], v[160:161], v[66:67]
	v_fmac_f64_e32 v[216:217], v[162:163], v[64:65]
	s_waitcnt vmcnt(9) lgkmcnt(1)
	v_mul_f64 v[10:11], v[164:165], v[70:71]
	v_add_f64 v[0:1], v[0:1], v[216:217]
	v_fmac_f64_e32 v[10:11], v[166:167], v[68:69]
	v_add_f64 v[0:1], v[0:1], v[10:11]
	s_waitcnt vmcnt(8) lgkmcnt(0)
	v_mul_f64 v[10:11], v[168:169], v[74:75]
	v_fmac_f64_e32 v[10:11], v[170:171], v[72:73]
	ds_read_b128 v[172:175], v2 offset:1568
	v_add_f64 v[0:1], v[0:1], v[10:11]
	v_mul_f64 v[10:11], v[214:215], v[178:179]
	v_fma_f64 v[10:11], v[212:213], v[176:177], -v[10:11]
	ds_read_b128 v[176:179], v2 offset:1584
	v_mul_f64 v[182:183], v[186:187], v[182:183]
	v_fma_f64 v[4:5], v[184:185], v[180:181], -v[182:183]
	ds_read_b128 v[180:183], v2 offset:1600
	ds_read_b128 v[184:187], v2 offset:1616
	s_waitcnt vmcnt(7) lgkmcnt(3)
	v_mul_f64 v[212:213], v[172:173], v[78:79]
	v_fmac_f64_e32 v[212:213], v[174:175], v[76:77]
	s_waitcnt vmcnt(6) lgkmcnt(2)
	v_mul_f64 v[14:15], v[176:177], v[82:83]
	v_add_f64 v[0:1], v[0:1], v[212:213]
	v_fmac_f64_e32 v[14:15], v[178:179], v[80:81]
	v_add_f64 v[0:1], v[0:1], v[14:15]
	s_waitcnt vmcnt(5) lgkmcnt(1)
	v_mul_f64 v[14:15], v[180:181], v[86:87]
	v_fmac_f64_e32 v[14:15], v[182:183], v[84:85]
	v_add_f64 v[14:15], v[0:1], v[14:15]
	v_mul_f64 v[0:1], v[198:199], v[190:191]
	v_fma_f64 v[0:1], v[196:197], v[188:189], -v[0:1]
	ds_read_b128 v[188:191], v2 offset:1632
	v_mul_f64 v[194:195], v[210:211], v[194:195]
	s_waitcnt vmcnt(4) lgkmcnt(1)
	v_mul_f64 v[196:197], v[184:185], v[90:91]
	v_fma_f64 v[192:193], v[208:209], v[192:193], -v[194:195]
	v_fmac_f64_e32 v[196:197], v[186:187], v[88:89]
	v_accvgpr_write_b32 a124, v192
	v_accvgpr_write_b32 a125, v193
	ds_read_b128 v[192:195], v2 offset:1648
	v_add_f64 v[14:15], v[14:15], v[196:197]
	s_waitcnt vmcnt(3) lgkmcnt(1)
	v_mul_f64 v[196:197], v[188:189], v[98:99]
	v_fmac_f64_e32 v[196:197], v[190:191], v[96:97]
	v_add_f64 v[14:15], v[14:15], v[196:197]
	ds_read_b128 v[196:199], v2 offset:1664
	v_mul_f64 v[202:203], v[206:207], v[202:203]
	v_fma_f64 v[242:243], v[204:205], v[200:201], -v[202:203]
	ds_read_b128 v[200:203], v2 offset:1680
	s_waitcnt vmcnt(2) lgkmcnt(2)
	v_mul_f64 v[204:205], v[192:193], v[94:95]
	v_fmac_f64_e32 v[204:205], v[194:195], v[92:93]
	v_add_f64 v[14:15], v[14:15], v[204:205]
	s_waitcnt vmcnt(1) lgkmcnt(1)
	v_mul_f64 v[204:205], v[196:197], v[102:103]
	v_fmac_f64_e32 v[204:205], v[198:199], v[100:101]
	v_add_f64 v[14:15], v[14:15], v[204:205]
	;; [unrolled: 4-line block ×3, first 2 shown]
	scratch_load_dwordx4 v[204:207], off, off offset:832
	scratch_load_dwordx4 v[232:235], off, off offset:880
	ds_read_b128 v[208:211], v2 offset:1696
	ds_read_b128 v[216:219], v2 offset:1712
	;; [unrolled: 1-line block ×3, first 2 shown]
	s_waitcnt vmcnt(1) lgkmcnt(2)
	v_mul_f64 v[212:213], v[208:209], v[206:207]
	v_fmac_f64_e32 v[212:213], v[210:211], v[204:205]
	v_add_f64 v[14:15], v[14:15], v[212:213]
	scratch_load_dwordx4 v[212:215], off, off offset:848
	s_waitcnt vmcnt(0) lgkmcnt(1)
	v_mul_f64 v[220:221], v[216:217], v[214:215]
	v_fmac_f64_e32 v[220:221], v[218:219], v[212:213]
	v_add_f64 v[14:15], v[14:15], v[220:221]
	scratch_load_dwordx4 v[220:223], off, off offset:864
	s_waitcnt vmcnt(0) lgkmcnt(0)
	v_mul_f64 v[228:229], v[224:225], v[222:223]
	v_fmac_f64_e32 v[228:229], v[226:227], v[220:221]
	v_add_f64 v[14:15], v[14:15], v[228:229]
	ds_read_b128 v[228:231], v2 offset:1744
	s_waitcnt lgkmcnt(0)
	v_mul_f64 v[2:3], v[228:229], v[234:235]
	v_fmac_f64_e32 v[2:3], v[230:231], v[232:233]
	v_add_f64 v[2:3], v[14:15], v[2:3]
	v_add_f64 v[14:15], v[244:245], 0
	;; [unrolled: 1-line block ×5, first 2 shown]
	scratch_load_dwordx4 v[236:239], off, off offset:144
	v_add_f64 v[14:15], v[14:15], v[248:249]
	v_add_f64 v[14:15], v[14:15], v[250:251]
	;; [unrolled: 1-line block ×10, first 2 shown]
	v_accvgpr_read_b32 v6, a112
	v_add_f64 v[254:255], v[4:5], v[0:1]
	v_accvgpr_read_b32 v0, a124
	v_accvgpr_read_b32 v8, a114
	;; [unrolled: 1-line block ×5, first 2 shown]
	v_mul_f64 v[4:5], v[22:23], v[8:9]
	v_add_f64 v[0:1], v[254:255], v[0:1]
	v_fma_f64 v[4:5], v[20:21], v[6:7], -v[4:5]
	v_accvgpr_read_b32 v6, a116
	v_add_f64 v[0:1], v[0:1], v[242:243]
	v_accvgpr_read_b32 v8, a118
	v_accvgpr_read_b32 v9, a119
	v_add_f64 v[0:1], v[0:1], v[4:5]
	v_accvgpr_read_b32 v7, a117
	v_mul_f64 v[4:5], v[110:111], v[8:9]
	v_fma_f64 v[4:5], v[108:109], v[6:7], -v[4:5]
	v_accvgpr_read_b32 v6, a120
	v_accvgpr_read_b32 v8, a122
	;; [unrolled: 1-line block ×3, first 2 shown]
	v_add_f64 v[0:1], v[0:1], v[4:5]
	v_accvgpr_read_b32 v7, a121
	v_mul_f64 v[4:5], v[114:115], v[8:9]
	v_fma_f64 v[4:5], v[112:113], v[6:7], -v[4:5]
	v_add_f64 v[0:1], v[0:1], v[4:5]
	v_mul_f64 v[4:5], v[118:119], v[18:19]
	v_fma_f64 v[4:5], v[116:117], v[16:17], -v[4:5]
	v_add_f64 v[0:1], v[0:1], v[4:5]
	;; [unrolled: 3-line block ×27, first 2 shown]
	s_waitcnt vmcnt(0)
	v_add_f64 v[4:5], v[236:237], -v[0:1]
	v_accvgpr_read_b32 v0, a110
	v_add_f64 v[6:7], v[238:239], -v[2:3]
	v_cmp_lt_u32_e32 vcc, 7, v0
	scratch_store_dwordx4 off, v[4:7], off offset:144
	s_and_saveexec_b64 s[0:1], vcc
	s_cbranch_execz .LBB54_329
; %bb.328:
	scratch_load_dwordx4 v[2:5], off, s40
	v_mov_b32_e32 v6, 0
	v_mov_b32_e32 v7, v6
	;; [unrolled: 1-line block ×4, first 2 shown]
	v_accvgpr_read_b32 v0, a111
	scratch_store_dwordx4 off, v[6:9], off offset:128
	s_waitcnt vmcnt(1)
	ds_write_b128 v0, v[2:5]
.LBB54_329:
	s_or_b64 exec, exec, s[0:1]
	s_waitcnt lgkmcnt(0)
	; wave barrier
	scratch_load_dwordx4 v[68:71], off, off offset:144
	scratch_load_dwordx4 v[72:75], off, off offset:160
	;; [unrolled: 1-line block ×28, first 2 shown]
	v_mov_b32_e32 v2, 0
	ds_read_b128 v[124:127], v2 offset:1008
	ds_read_b128 v[128:131], v2 offset:1024
	;; [unrolled: 1-line block ×23, first 2 shown]
	s_waitcnt vmcnt(27) lgkmcnt(14)
	v_mul_f64 v[0:1], v[124:125], v[70:71]
	s_waitcnt vmcnt(26)
	v_mul_f64 v[40:41], v[128:129], v[74:75]
	v_fmac_f64_e32 v[0:1], v[126:127], v[68:69]
	s_waitcnt vmcnt(25)
	v_mul_f64 v[42:43], v[132:133], v[78:79]
	v_fmac_f64_e32 v[40:41], v[130:131], v[72:73]
	v_add_f64 v[0:1], v[0:1], 0
	s_waitcnt vmcnt(24)
	v_mul_f64 v[44:45], v[136:137], v[82:83]
	v_fmac_f64_e32 v[42:43], v[134:135], v[76:77]
	v_add_f64 v[0:1], v[0:1], v[40:41]
	;; [unrolled: 4-line block ×7, first 2 shown]
	s_waitcnt vmcnt(18) lgkmcnt(13)
	v_mul_f64 v[56:57], v[200:201], v[146:147]
	v_fmac_f64_e32 v[54:55], v[194:195], v[112:113]
	v_add_f64 v[0:1], v[0:1], v[52:53]
	s_waitcnt vmcnt(17) lgkmcnt(12)
	v_mul_f64 v[58:59], v[204:205], v[150:151]
	v_fmac_f64_e32 v[56:57], v[202:203], v[144:145]
	v_add_f64 v[0:1], v[0:1], v[54:55]
	;; [unrolled: 4-line block ×7, first 2 shown]
	scratch_load_dwordx4 v[40:43], off, off offset:592
	scratch_load_dwordx4 v[44:47], off, off offset:608
	s_waitcnt vmcnt(13) lgkmcnt(6)
	v_mul_f64 v[102:103], v[228:229], v[186:187]
	v_fmac_f64_e32 v[100:101], v[226:227], v[176:177]
	v_add_f64 v[0:1], v[0:1], v[66:67]
	v_add_f64 v[0:1], v[0:1], v[100:101]
	v_fmac_f64_e32 v[102:103], v[230:231], v[184:185]
	v_add_f64 v[0:1], v[0:1], v[102:103]
	ds_read_b128 v[100:103], v2 offset:1312
	s_waitcnt vmcnt(12) lgkmcnt(6)
	v_mul_f64 v[48:49], v[238:239], v[190:191]
	v_fmac_f64_e32 v[48:49], v[240:241], v[188:189]
	v_add_f64 v[0:1], v[0:1], v[48:49]
	s_waitcnt vmcnt(11) lgkmcnt(5)
	v_mul_f64 v[48:49], v[242:243], v[198:199]
	v_fmac_f64_e32 v[48:49], v[244:245], v[196:197]
	v_add_f64 v[0:1], v[0:1], v[48:49]
	scratch_load_dwordx4 v[48:51], off, off offset:624
	scratch_load_dwordx4 v[52:55], off, off offset:640
	s_waitcnt vmcnt(12) lgkmcnt(0)
	v_mul_f64 v[56:57], v[100:101], v[6:7]
	v_accvgpr_write_b32 a115, v7
	v_fmac_f64_e32 v[56:57], v[102:103], v[4:5]
	v_accvgpr_write_b32 a114, v6
	v_accvgpr_write_b32 a113, v5
	;; [unrolled: 1-line block ×3, first 2 shown]
	s_waitcnt vmcnt(11)
	v_mov_b64_e32 v[4:5], v[8:9]
	v_mov_b64_e32 v[6:7], v[10:11]
	v_add_f64 v[0:1], v[0:1], v[56:57]
	v_mul_f64 v[56:57], v[104:105], v[6:7]
	v_fmac_f64_e32 v[56:57], v[106:107], v[4:5]
	v_add_f64 v[0:1], v[0:1], v[56:57]
	scratch_load_dwordx4 v[56:59], off, off offset:656
	s_waitcnt vmcnt(11)
	v_mov_b64_e32 v[4:5], v[12:13]
	v_mov_b64_e32 v[6:7], v[14:15]
	v_mul_f64 v[60:61], v[108:109], v[6:7]
	v_fmac_f64_e32 v[60:61], v[110:111], v[4:5]
	s_waitcnt vmcnt(10)
	v_mov_b64_e32 v[4:5], v[16:17]
	v_mov_b64_e32 v[6:7], v[18:19]
	v_add_f64 v[0:1], v[0:1], v[60:61]
	scratch_load_dwordx4 v[60:63], off, off offset:672
	v_mul_f64 v[64:65], v[116:117], v[6:7]
	v_fmac_f64_e32 v[64:65], v[118:119], v[4:5]
	v_add_f64 v[0:1], v[0:1], v[64:65]
	scratch_load_dwordx4 v[64:67], off, off offset:688
	v_mul_f64 v[70:71], v[126:127], v[70:71]
	v_fma_f64 v[246:247], v[124:125], v[68:69], -v[70:71]
	s_waitcnt vmcnt(11)
	v_mul_f64 v[124:125], v[120:121], v[236:237]
	scratch_load_dwordx4 v[68:71], off, off offset:704
	v_fmac_f64_e32 v[124:125], v[122:123], v[234:235]
	v_mul_f64 v[74:75], v[130:131], v[74:75]
	v_mul_f64 v[78:79], v[134:135], v[78:79]
	v_add_f64 v[0:1], v[0:1], v[124:125]
	v_fma_f64 v[248:249], v[128:129], v[72:73], -v[74:75]
	ds_read_b128 v[124:127], v2 offset:1392
	ds_read_b128 v[128:131], v2 offset:1408
	scratch_load_dwordx4 v[72:75], off, off offset:720
	v_fma_f64 v[250:251], v[132:133], v[76:77], -v[78:79]
	v_mul_f64 v[76:77], v[138:139], v[82:83]
	v_fma_f64 v[252:253], v[136:137], v[80:81], -v[76:77]
	scratch_load_dwordx4 v[76:79], off, off offset:736
	s_waitcnt vmcnt(13) lgkmcnt(1)
	v_mul_f64 v[132:133], v[124:125], v[26:27]
	v_fmac_f64_e32 v[132:133], v[126:127], v[24:25]
	v_add_f64 v[0:1], v[0:1], v[132:133]
	s_waitcnt vmcnt(12) lgkmcnt(0)
	v_mul_f64 v[132:133], v[128:129], v[30:31]
	scratch_load_dwordx4 v[80:83], off, off offset:752
	v_fmac_f64_e32 v[132:133], v[130:131], v[28:29]
	v_mul_f64 v[86:87], v[142:143], v[86:87]
	v_add_f64 v[0:1], v[0:1], v[132:133]
	v_fma_f64 v[254:255], v[140:141], v[84:85], -v[86:87]
	ds_read_b128 v[132:135], v2 offset:1424
	v_mul_f64 v[84:85], v[158:159], v[90:91]
	v_fma_f64 v[232:233], v[156:157], v[88:89], -v[84:85]
	scratch_load_dwordx4 v[88:91], off, off offset:768
	scratch_load_dwordx4 v[84:87], off, off offset:784
	v_accvgpr_write_b32 a127, v19
	s_waitcnt vmcnt(14) lgkmcnt(0)
	v_mul_f64 v[6:7], v[132:133], v[34:35]
	v_fmac_f64_e32 v[6:7], v[134:135], v[32:33]
	v_mul_f64 v[94:95], v[170:171], v[94:95]
	v_add_f64 v[0:1], v[0:1], v[6:7]
	v_mul_f64 v[6:7], v[182:183], v[98:99]
	v_accvgpr_write_b32 a126, v18
	v_accvgpr_write_b32 a125, v17
	;; [unrolled: 1-line block ×3, first 2 shown]
	v_fma_f64 v[20:21], v[168:169], v[92:93], -v[94:95]
	ds_read_b128 v[136:139], v2 offset:1440
	v_fma_f64 v[16:17], v[180:181], v[96:97], -v[6:7]
	scratch_load_dwordx4 v[96:99], off, off offset:800
	scratch_load_dwordx4 v[92:95], off, off offset:816
	v_accvgpr_write_b32 a123, v15
	v_mul_f64 v[6:7], v[194:195], v[114:115]
	v_accvgpr_write_b32 a122, v14
	v_accvgpr_write_b32 a121, v13
	;; [unrolled: 1-line block ×3, first 2 shown]
	v_fma_f64 v[12:13], v[192:193], v[112:113], -v[6:7]
	scratch_load_dwordx4 v[112:115], off, off offset:832
	ds_read_b128 v[140:143], v2 offset:1456
	s_waitcnt vmcnt(16) lgkmcnt(1)
	v_mul_f64 v[6:7], v[136:137], v[38:39]
	v_fmac_f64_e32 v[6:7], v[138:139], v[36:37]
	v_accvgpr_write_b32 a119, v11
	v_add_f64 v[0:1], v[0:1], v[6:7]
	v_mul_f64 v[6:7], v[202:203], v[146:147]
	v_accvgpr_write_b32 a118, v10
	v_accvgpr_write_b32 a117, v9
	v_accvgpr_write_b32 a116, v8
	v_fma_f64 v[10:11], v[200:201], v[144:145], -v[6:7]
	ds_read_b128 v[144:147], v2 offset:1472
	s_waitcnt vmcnt(15) lgkmcnt(1)
	v_mul_f64 v[6:7], v[140:141], v[42:43]
	v_fmac_f64_e32 v[6:7], v[142:143], v[40:41]
	v_add_f64 v[0:1], v[0:1], v[6:7]
	v_mul_f64 v[6:7], v[206:207], v[150:151]
	v_fma_f64 v[14:15], v[204:205], v[148:149], -v[6:7]
	ds_read_b128 v[148:151], v2 offset:1488
	v_mul_f64 v[154:155], v[210:211], v[154:155]
	v_fma_f64 v[8:9], v[208:209], v[152:153], -v[154:155]
	ds_read_b128 v[152:155], v2 offset:1504
	s_waitcnt vmcnt(14) lgkmcnt(2)
	v_mul_f64 v[6:7], v[144:145], v[46:47]
	v_fmac_f64_e32 v[6:7], v[146:147], v[44:45]
	v_add_f64 v[0:1], v[0:1], v[6:7]
	s_waitcnt vmcnt(13) lgkmcnt(1)
	v_mul_f64 v[6:7], v[148:149], v[50:51]
	ds_read_b128 v[156:159], v2 offset:1520
	v_fmac_f64_e32 v[6:7], v[150:151], v[48:49]
	v_add_f64 v[0:1], v[0:1], v[6:7]
	s_waitcnt vmcnt(12) lgkmcnt(1)
	v_mul_f64 v[6:7], v[152:153], v[54:55]
	v_fmac_f64_e32 v[6:7], v[154:155], v[52:53]
	v_add_f64 v[0:1], v[0:1], v[6:7]
	v_mul_f64 v[6:7], v[214:215], v[162:163]
	v_fma_f64 v[18:19], v[212:213], v[160:161], -v[6:7]
	ds_read_b128 v[160:163], v2 offset:1536
	s_waitcnt vmcnt(11) lgkmcnt(1)
	v_mul_f64 v[6:7], v[156:157], v[58:59]
	v_fmac_f64_e32 v[6:7], v[158:159], v[56:57]
	v_add_f64 v[0:1], v[0:1], v[6:7]
	v_mul_f64 v[6:7], v[218:219], v[166:167]
	v_fma_f64 v[4:5], v[216:217], v[164:165], -v[6:7]
	ds_read_b128 v[164:167], v2 offset:1552
	ds_read_b128 v[168:171], v2 offset:1568
	s_waitcnt vmcnt(10) lgkmcnt(2)
	v_mul_f64 v[6:7], v[160:161], v[62:63]
	v_fmac_f64_e32 v[6:7], v[162:163], v[60:61]
	v_add_f64 v[0:1], v[0:1], v[6:7]
	s_waitcnt vmcnt(9) lgkmcnt(1)
	v_mul_f64 v[6:7], v[164:165], v[66:67]
	v_fmac_f64_e32 v[6:7], v[166:167], v[64:65]
	v_add_f64 v[0:1], v[0:1], v[6:7]
	v_mul_f64 v[6:7], v[222:223], v[174:175]
	v_fma_f64 v[22:23], v[220:221], v[172:173], -v[6:7]
	ds_read_b128 v[172:175], v2 offset:1584
	v_mul_f64 v[6:7], v[226:227], v[178:179]
	v_fma_f64 v[6:7], v[224:225], v[176:177], -v[6:7]
	ds_read_b128 v[176:179], v2 offset:1600
	s_waitcnt vmcnt(8) lgkmcnt(2)
	v_mul_f64 v[180:181], v[168:169], v[70:71]
	v_fmac_f64_e32 v[180:181], v[170:171], v[68:69]
	v_add_f64 v[0:1], v[0:1], v[180:181]
	s_waitcnt vmcnt(7) lgkmcnt(1)
	v_mul_f64 v[180:181], v[172:173], v[74:75]
	v_fmac_f64_e32 v[180:181], v[174:175], v[72:73]
	s_waitcnt vmcnt(6) lgkmcnt(0)
	v_mul_f64 v[192:193], v[176:177], v[78:79]
	v_add_f64 v[0:1], v[0:1], v[180:181]
	v_fmac_f64_e32 v[192:193], v[178:179], v[76:77]
	ds_read_b128 v[180:183], v2 offset:1616
	v_add_f64 v[192:193], v[0:1], v[192:193]
	v_mul_f64 v[0:1], v[230:231], v[186:187]
	v_fma_f64 v[0:1], v[228:229], v[184:185], -v[0:1]
	ds_read_b128 v[184:187], v2 offset:1632
	s_waitcnt vmcnt(5) lgkmcnt(1)
	v_mul_f64 v[194:195], v[180:181], v[82:83]
	v_fmac_f64_e32 v[194:195], v[182:183], v[80:81]
	v_mul_f64 v[190:191], v[240:241], v[190:191]
	v_add_f64 v[192:193], v[192:193], v[194:195]
	v_fma_f64 v[238:239], v[238:239], v[188:189], -v[190:191]
	ds_read_b128 v[188:191], v2 offset:1648
	s_waitcnt vmcnt(4) lgkmcnt(1)
	v_mul_f64 v[194:195], v[184:185], v[90:91]
	v_fmac_f64_e32 v[194:195], v[186:187], v[88:89]
	v_add_f64 v[200:201], v[192:193], v[194:195]
	ds_read_b128 v[192:195], v2 offset:1664
	v_mul_f64 v[198:199], v[244:245], v[198:199]
	v_fma_f64 v[240:241], v[242:243], v[196:197], -v[198:199]
	ds_read_b128 v[196:199], v2 offset:1680
	ds_read_b128 v[208:211], v2 offset:1712
	s_waitcnt vmcnt(3) lgkmcnt(3)
	v_mul_f64 v[202:203], v[188:189], v[86:87]
	v_fmac_f64_e32 v[202:203], v[190:191], v[84:85]
	v_add_f64 v[200:201], v[200:201], v[202:203]
	s_waitcnt vmcnt(2) lgkmcnt(2)
	v_mul_f64 v[202:203], v[192:193], v[98:99]
	v_fmac_f64_e32 v[202:203], v[194:195], v[96:97]
	v_add_f64 v[200:201], v[200:201], v[202:203]
	;; [unrolled: 4-line block ×3, first 2 shown]
	ds_read_b128 v[200:203], v2 offset:1696
	ds_read_b128 v[216:219], v2 offset:1728
	;; [unrolled: 1-line block ×3, first 2 shown]
	s_waitcnt vmcnt(0) lgkmcnt(2)
	v_mul_f64 v[206:207], v[200:201], v[114:115]
	v_fmac_f64_e32 v[206:207], v[202:203], v[112:113]
	v_add_f64 v[212:213], v[204:205], v[206:207]
	scratch_load_dwordx4 v[204:207], off, off offset:848
	s_waitcnt vmcnt(0)
	v_mul_f64 v[214:215], v[208:209], v[206:207]
	v_fmac_f64_e32 v[214:215], v[210:211], v[204:205]
	v_add_f64 v[220:221], v[212:213], v[214:215]
	scratch_load_dwordx4 v[212:215], off, off offset:864
	s_waitcnt vmcnt(0) lgkmcnt(1)
	v_mul_f64 v[222:223], v[216:217], v[214:215]
	v_fmac_f64_e32 v[222:223], v[218:219], v[212:213]
	v_add_f64 v[228:229], v[220:221], v[222:223]
	scratch_load_dwordx4 v[220:223], off, off offset:880
	s_waitcnt vmcnt(0) lgkmcnt(0)
	v_mul_f64 v[230:231], v[224:225], v[222:223]
	v_fmac_f64_e32 v[230:231], v[226:227], v[220:221]
	v_add_f64 v[244:245], v[228:229], v[230:231]
	v_add_f64 v[228:229], v[246:247], 0
	;; [unrolled: 1-line block ×8, first 2 shown]
	scratch_load_dwordx4 v[228:231], off, off offset:128
	v_add_f64 v[16:17], v[20:21], v[16:17]
	v_add_f64 v[12:13], v[16:17], v[12:13]
	;; [unrolled: 1-line block ×9, first 2 shown]
	v_accvgpr_read_b32 v6, a112
	v_accvgpr_read_b32 v8, a114
	;; [unrolled: 1-line block ×3, first 2 shown]
	v_add_f64 v[0:1], v[4:5], v[0:1]
	v_accvgpr_read_b32 v7, a113
	v_mul_f64 v[4:5], v[102:103], v[8:9]
	v_add_f64 v[0:1], v[0:1], v[238:239]
	v_fma_f64 v[4:5], v[100:101], v[6:7], -v[4:5]
	v_accvgpr_read_b32 v6, a116
	v_add_f64 v[0:1], v[0:1], v[240:241]
	v_accvgpr_read_b32 v8, a118
	v_accvgpr_read_b32 v9, a119
	v_add_f64 v[0:1], v[0:1], v[4:5]
	v_accvgpr_read_b32 v7, a117
	v_mul_f64 v[4:5], v[106:107], v[8:9]
	v_fma_f64 v[4:5], v[104:105], v[6:7], -v[4:5]
	v_accvgpr_read_b32 v6, a120
	v_accvgpr_read_b32 v8, a122
	;; [unrolled: 1-line block ×3, first 2 shown]
	v_add_f64 v[0:1], v[0:1], v[4:5]
	v_accvgpr_read_b32 v7, a121
	v_mul_f64 v[4:5], v[110:111], v[8:9]
	v_fma_f64 v[4:5], v[108:109], v[6:7], -v[4:5]
	v_accvgpr_read_b32 v6, a124
	v_accvgpr_read_b32 v8, a126
	;; [unrolled: 1-line block ×3, first 2 shown]
	v_add_f64 v[0:1], v[0:1], v[4:5]
	v_accvgpr_read_b32 v7, a125
	v_mul_f64 v[4:5], v[118:119], v[8:9]
	v_fma_f64 v[4:5], v[116:117], v[6:7], -v[4:5]
	v_add_f64 v[0:1], v[0:1], v[4:5]
	v_mul_f64 v[4:5], v[122:123], v[236:237]
	v_fma_f64 v[4:5], v[120:121], v[234:235], -v[4:5]
	v_add_f64 v[0:1], v[0:1], v[4:5]
	;; [unrolled: 3-line block ×25, first 2 shown]
	s_waitcnt vmcnt(0)
	v_add_f64 v[4:5], v[228:229], -v[0:1]
	v_accvgpr_read_b32 v0, a110
	v_add_f64 v[6:7], v[230:231], -v[244:245]
	v_cmp_lt_u32_e32 vcc, 6, v0
	scratch_store_dwordx4 off, v[4:7], off offset:128
	s_and_saveexec_b64 s[0:1], vcc
	s_cbranch_execz .LBB54_331
; %bb.330:
	scratch_load_dwordx4 v[6:9], off, s39
	v_mov_b32_e32 v3, v2
	v_mov_b32_e32 v4, v2
	;; [unrolled: 1-line block ×3, first 2 shown]
	v_accvgpr_read_b32 v0, a111
	scratch_store_dwordx4 off, v[2:5], off offset:112
	s_waitcnt vmcnt(1)
	ds_write_b128 v0, v[6:9]
.LBB54_331:
	s_or_b64 exec, exec, s[0:1]
	s_waitcnt lgkmcnt(0)
	; wave barrier
	scratch_load_dwordx4 v[40:43], off, off offset:128
	scratch_load_dwordx4 v[44:47], off, off offset:144
	;; [unrolled: 1-line block ×18, first 2 shown]
	ds_read_b128 v[164:167], v2 offset:992
	ds_read_b128 v[232:235], v2 offset:1008
	;; [unrolled: 1-line block ×6, first 2 shown]
	scratch_load_dwordx4 v[140:143], off, off offset:416
	ds_read_b128 v[224:227], v2 offset:1088
	ds_read_b128 v[212:215], v2 offset:1104
	;; [unrolled: 1-line block ×3, first 2 shown]
	scratch_load_dwordx4 v[4:7], off, off offset:432
	ds_read_b128 v[228:231], v2 offset:1136
	ds_read_b128 v[216:219], v2 offset:1152
	;; [unrolled: 1-line block ×5, first 2 shown]
	scratch_load_dwordx4 v[8:11], off, off offset:448
	ds_read_b128 v[208:211], v2 offset:1216
	ds_read_b128 v[196:199], v2 offset:1232
	;; [unrolled: 1-line block ×3, first 2 shown]
	scratch_load_dwordx4 v[12:15], off, off offset:464
	ds_read_b128 v[200:203], v2 offset:1264
	scratch_load_dwordx4 v[16:19], off, off offset:480
	scratch_load_dwordx4 v[20:23], off, off offset:496
	;; [unrolled: 1-line block ×7, first 2 shown]
	ds_read_b128 v[236:239], v2 offset:1280
	ds_read_b128 v[156:159], v2 offset:1344
	;; [unrolled: 1-line block ×4, first 2 shown]
	s_waitcnt vmcnt(28) lgkmcnt(14)
	v_mul_f64 v[0:1], v[164:165], v[42:43]
	s_waitcnt vmcnt(27)
	v_mul_f64 v[108:109], v[232:233], v[46:47]
	v_fmac_f64_e32 v[0:1], v[166:167], v[40:41]
	s_waitcnt vmcnt(26)
	v_mul_f64 v[110:111], v[168:169], v[50:51]
	v_fmac_f64_e32 v[108:109], v[234:235], v[44:45]
	v_add_f64 v[0:1], v[0:1], 0
	s_waitcnt vmcnt(25)
	v_mul_f64 v[116:117], v[220:221], v[54:55]
	v_fmac_f64_e32 v[110:111], v[170:171], v[48:49]
	v_add_f64 v[0:1], v[0:1], v[108:109]
	;; [unrolled: 4-line block ×6, first 2 shown]
	s_waitcnt vmcnt(20) lgkmcnt(13)
	v_mul_f64 v[126:127], v[180:181], v[78:79]
	v_fmac_f64_e32 v[124:125], v[214:215], v[68:69]
	v_add_f64 v[0:1], v[0:1], v[122:123]
	s_waitcnt vmcnt(19) lgkmcnt(12)
	v_mul_f64 v[128:129], v[228:229], v[82:83]
	v_fmac_f64_e32 v[126:127], v[182:183], v[76:77]
	v_add_f64 v[0:1], v[0:1], v[124:125]
	;; [unrolled: 4-line block ×9, first 2 shown]
	v_add_f64 v[0:1], v[0:1], v[148:149]
	v_fmac_f64_e32 v[150:151], v[186:187], v[112:113]
	s_waitcnt vmcnt(11) lgkmcnt(4)
	v_mul_f64 v[116:117], v[200:201], v[138:139]
	v_add_f64 v[0:1], v[0:1], v[150:151]
	v_fmac_f64_e32 v[116:117], v[202:203], v[136:137]
	v_add_f64 v[0:1], v[0:1], v[116:117]
	ds_read_b128 v[144:147], v2 offset:1296
	s_waitcnt vmcnt(10) lgkmcnt(4)
	v_mul_f64 v[116:117], v[236:237], v[142:143]
	scratch_load_dwordx4 v[108:111], off, off offset:592
	v_fmac_f64_e32 v[116:117], v[238:239], v[140:141]
	v_add_f64 v[0:1], v[0:1], v[116:117]
	scratch_load_dwordx4 v[116:119], off, off offset:608
	ds_read_b128 v[148:151], v2 offset:1312
	scratch_load_dwordx4 v[120:123], off, off offset:624
	s_waitcnt vmcnt(12) lgkmcnt(1)
	v_mul_f64 v[124:125], v[144:145], v[6:7]
	v_fmac_f64_e32 v[124:125], v[146:147], v[4:5]
	v_add_f64 v[0:1], v[0:1], v[124:125]
	s_waitcnt vmcnt(11) lgkmcnt(0)
	v_mul_f64 v[124:125], v[148:149], v[10:11]
	v_fmac_f64_e32 v[124:125], v[150:151], v[8:9]
	s_waitcnt vmcnt(10)
	v_mul_f64 v[128:129], v[152:153], v[14:15]
	v_add_f64 v[0:1], v[0:1], v[124:125]
	scratch_load_dwordx4 v[124:127], off, off offset:640
	v_fmac_f64_e32 v[128:129], v[154:155], v[12:13]
	v_add_f64 v[0:1], v[0:1], v[128:129]
	scratch_load_dwordx4 v[128:131], off, off offset:656
	s_waitcnt vmcnt(11)
	v_mul_f64 v[132:133], v[156:157], v[18:19]
	v_fmac_f64_e32 v[132:133], v[158:159], v[16:17]
	v_add_f64 v[0:1], v[0:1], v[132:133]
	scratch_load_dwordx4 v[132:135], off, off offset:672
	v_mul_f64 v[42:43], v[166:167], v[42:43]
	v_fma_f64 v[244:245], v[164:165], v[40:41], -v[42:43]
	scratch_load_dwordx4 v[40:43], off, off offset:688
	v_mul_f64 v[46:47], v[234:235], v[46:47]
	v_fma_f64 v[246:247], v[232:233], v[44:45], -v[46:47]
	;; [unrolled: 3-line block ×3, first 2 shown]
	v_mul_f64 v[48:49], v[222:223], v[54:55]
	v_fma_f64 v[250:251], v[220:221], v[52:53], -v[48:49]
	scratch_load_dwordx4 v[48:51], off, off offset:720
	scratch_load_dwordx4 v[52:55], off, off offset:736
	s_waitcnt vmcnt(15)
	v_mul_f64 v[164:165], v[160:161], v[22:23]
	v_fmac_f64_e32 v[164:165], v[162:163], v[20:21]
	v_add_f64 v[0:1], v[0:1], v[164:165]
	ds_read_b128 v[164:167], v2 offset:1376
	ds_read_b128 v[168:171], v2 offset:1392
	v_mul_f64 v[58:59], v[174:175], v[58:59]
	v_fma_f64 v[252:253], v[172:173], v[56:57], -v[58:59]
	ds_read_b128 v[172:175], v2 offset:1408
	v_mul_f64 v[56:57], v[178:179], v[62:63]
	v_fma_f64 v[254:255], v[176:177], v[60:61], -v[56:57]
	scratch_load_dwordx4 v[60:63], off, off offset:752
	scratch_load_dwordx4 v[56:59], off, off offset:768
	s_waitcnt vmcnt(16) lgkmcnt(2)
	v_mul_f64 v[232:233], v[164:165], v[34:35]
	v_fmac_f64_e32 v[232:233], v[166:167], v[32:33]
	s_waitcnt vmcnt(15) lgkmcnt(1)
	v_mul_f64 v[220:221], v[168:169], v[38:39]
	v_mul_f64 v[66:67], v[226:227], v[66:67]
	v_add_f64 v[0:1], v[0:1], v[232:233]
	v_fmac_f64_e32 v[220:221], v[170:171], v[36:37]
	v_fma_f64 v[240:241], v[224:225], v[64:65], -v[66:67]
	s_waitcnt vmcnt(14) lgkmcnt(0)
	v_mul_f64 v[64:65], v[172:173], v[30:31]
	v_add_f64 v[0:1], v[0:1], v[220:221]
	v_fmac_f64_e32 v[64:65], v[174:175], v[28:29]
	v_accvgpr_write_b32 a139, v23
	v_add_f64 v[0:1], v[0:1], v[64:65]
	v_mul_f64 v[64:65], v[214:215], v[70:71]
	v_accvgpr_write_b32 a138, v22
	v_accvgpr_write_b32 a137, v21
	;; [unrolled: 1-line block ×3, first 2 shown]
	ds_read_b128 v[176:179], v2 offset:1424
	v_fma_f64 v[20:21], v[212:213], v[68:69], -v[64:65]
	scratch_load_dwordx4 v[68:71], off, off offset:784
	scratch_load_dwordx4 v[64:67], off, off offset:800
	v_accvgpr_write_b32 a123, v7
	v_accvgpr_write_b32 a122, v6
	;; [unrolled: 1-line block ×5, first 2 shown]
	v_mul_f64 v[6:7], v[182:183], v[78:79]
	v_accvgpr_write_b32 a134, v18
	v_accvgpr_write_b32 a133, v17
	;; [unrolled: 1-line block ×3, first 2 shown]
	v_fma_f64 v[16:17], v[180:181], v[76:77], -v[6:7]
	s_waitcnt vmcnt(15) lgkmcnt(0)
	v_mul_f64 v[76:77], v[176:177], v[26:27]
	v_fmac_f64_e32 v[76:77], v[178:179], v[24:25]
	v_accvgpr_write_b32 a131, v15
	v_add_f64 v[0:1], v[0:1], v[76:77]
	v_mul_f64 v[76:77], v[230:231], v[82:83]
	v_accvgpr_write_b32 a130, v14
	v_accvgpr_write_b32 a129, v13
	;; [unrolled: 1-line block ×3, first 2 shown]
	v_fma_f64 v[12:13], v[228:229], v[80:81], -v[76:77]
	scratch_load_dwordx4 v[76:79], off, off offset:816
	scratch_load_dwordx4 v[232:235], off, off offset:880
	ds_read_b128 v[180:183], v2 offset:1440
	ds_read_b128 v[80:83], v2 offset:1456
	v_accvgpr_write_b32 a127, v11
	v_accvgpr_write_b32 a126, v10
	v_accvgpr_write_b32 a125, v9
	v_accvgpr_write_b32 a124, v8
	s_waitcnt vmcnt(16) lgkmcnt(1)
	v_mul_f64 v[10:11], v[180:181], v[74:75]
	v_fmac_f64_e32 v[10:11], v[182:183], v[72:73]
	v_add_f64 v[0:1], v[0:1], v[10:11]
	v_mul_f64 v[10:11], v[218:219], v[86:87]
	v_fma_f64 v[10:11], v[216:217], v[84:85], -v[10:11]
	ds_read_b128 v[84:87], v2 offset:1472
	v_mul_f64 v[90:91], v[190:191], v[90:91]
	v_fma_f64 v[8:9], v[188:189], v[88:89], -v[90:91]
	ds_read_b128 v[88:91], v2 offset:1488
	s_waitcnt vmcnt(15) lgkmcnt(2)
	v_mul_f64 v[212:213], v[80:81], v[110:111]
	v_fmac_f64_e32 v[212:213], v[82:83], v[108:109]
	s_waitcnt vmcnt(14) lgkmcnt(1)
	v_mul_f64 v[14:15], v[84:85], v[118:119]
	v_add_f64 v[0:1], v[0:1], v[212:213]
	v_fmac_f64_e32 v[14:15], v[86:87], v[116:117]
	v_add_f64 v[0:1], v[0:1], v[14:15]
	s_waitcnt vmcnt(13) lgkmcnt(0)
	v_mul_f64 v[14:15], v[88:89], v[122:123]
	v_fmac_f64_e32 v[14:15], v[90:91], v[120:121]
	ds_read_b128 v[188:191], v2 offset:1504
	v_add_f64 v[0:1], v[0:1], v[14:15]
	v_mul_f64 v[14:15], v[206:207], v[94:95]
	v_fma_f64 v[14:15], v[204:205], v[92:93], -v[14:15]
	ds_read_b128 v[92:95], v2 offset:1520
	v_mul_f64 v[98:99], v[194:195], v[98:99]
	v_fma_f64 v[6:7], v[192:193], v[96:97], -v[98:99]
	ds_read_b128 v[96:99], v2 offset:1536
	ds_read_b128 v[192:195], v2 offset:1552
	s_waitcnt vmcnt(12) lgkmcnt(3)
	v_mul_f64 v[204:205], v[188:189], v[126:127]
	v_fmac_f64_e32 v[204:205], v[190:191], v[124:125]
	s_waitcnt vmcnt(11) lgkmcnt(2)
	v_mul_f64 v[18:19], v[92:93], v[130:131]
	v_add_f64 v[0:1], v[0:1], v[204:205]
	v_fmac_f64_e32 v[18:19], v[94:95], v[128:129]
	v_add_f64 v[0:1], v[0:1], v[18:19]
	s_waitcnt vmcnt(10) lgkmcnt(1)
	v_mul_f64 v[18:19], v[96:97], v[134:135]
	v_fmac_f64_e32 v[18:19], v[98:99], v[132:133]
	v_add_f64 v[0:1], v[0:1], v[18:19]
	v_mul_f64 v[18:19], v[210:211], v[102:103]
	v_fma_f64 v[18:19], v[208:209], v[100:101], -v[18:19]
	ds_read_b128 v[100:103], v2 offset:1568
	v_mul_f64 v[106:107], v[198:199], v[106:107]
	v_fma_f64 v[4:5], v[196:197], v[104:105], -v[106:107]
	ds_read_b128 v[104:107], v2 offset:1584
	s_waitcnt vmcnt(9) lgkmcnt(2)
	v_mul_f64 v[204:205], v[192:193], v[42:43]
	v_fmac_f64_e32 v[204:205], v[194:195], v[40:41]
	s_waitcnt vmcnt(8) lgkmcnt(1)
	v_mul_f64 v[22:23], v[100:101], v[46:47]
	v_add_f64 v[0:1], v[0:1], v[204:205]
	v_fmac_f64_e32 v[22:23], v[102:103], v[44:45]
	v_add_f64 v[0:1], v[0:1], v[22:23]
	s_waitcnt vmcnt(7) lgkmcnt(0)
	v_mul_f64 v[22:23], v[104:105], v[50:51]
	ds_read_b128 v[196:199], v2 offset:1600
	v_fmac_f64_e32 v[22:23], v[106:107], v[48:49]
	v_add_f64 v[0:1], v[0:1], v[22:23]
	v_mul_f64 v[22:23], v[186:187], v[114:115]
	v_fma_f64 v[22:23], v[184:185], v[112:113], -v[22:23]
	ds_read_b128 v[112:115], v2 offset:1616
	s_waitcnt vmcnt(6) lgkmcnt(1)
	v_mul_f64 v[184:185], v[196:197], v[54:55]
	v_fmac_f64_e32 v[184:185], v[198:199], v[52:53]
	v_add_f64 v[184:185], v[0:1], v[184:185]
	v_mul_f64 v[0:1], v[202:203], v[138:139]
	v_fma_f64 v[0:1], v[200:201], v[136:137], -v[0:1]
	ds_read_b128 v[136:139], v2 offset:1632
	s_waitcnt vmcnt(5) lgkmcnt(1)
	v_mul_f64 v[186:187], v[112:113], v[62:63]
	v_fmac_f64_e32 v[186:187], v[114:115], v[60:61]
	v_add_f64 v[200:201], v[184:185], v[186:187]
	ds_read_b128 v[184:187], v2 offset:1648
	v_mul_f64 v[142:143], v[238:239], v[142:143]
	v_fma_f64 v[242:243], v[236:237], v[140:141], -v[142:143]
	ds_read_b128 v[140:143], v2 offset:1664
	ds_read_b128 v[208:211], v2 offset:1696
	s_waitcnt vmcnt(4) lgkmcnt(3)
	v_mul_f64 v[202:203], v[136:137], v[58:59]
	v_fmac_f64_e32 v[202:203], v[138:139], v[56:57]
	v_add_f64 v[200:201], v[200:201], v[202:203]
	s_waitcnt vmcnt(3) lgkmcnt(2)
	v_mul_f64 v[202:203], v[184:185], v[70:71]
	v_fmac_f64_e32 v[202:203], v[186:187], v[68:69]
	v_add_f64 v[200:201], v[200:201], v[202:203]
	;; [unrolled: 4-line block ×3, first 2 shown]
	ds_read_b128 v[200:203], v2 offset:1680
	ds_read_b128 v[216:219], v2 offset:1712
	;; [unrolled: 1-line block ×3, first 2 shown]
	s_waitcnt vmcnt(1) lgkmcnt(2)
	v_mul_f64 v[206:207], v[200:201], v[78:79]
	v_fmac_f64_e32 v[206:207], v[202:203], v[76:77]
	v_add_f64 v[212:213], v[204:205], v[206:207]
	scratch_load_dwordx4 v[204:207], off, off offset:832
	s_waitcnt vmcnt(0)
	v_mul_f64 v[214:215], v[208:209], v[206:207]
	v_fmac_f64_e32 v[214:215], v[210:211], v[204:205]
	v_add_f64 v[220:221], v[212:213], v[214:215]
	scratch_load_dwordx4 v[212:215], off, off offset:848
	s_waitcnt vmcnt(0) lgkmcnt(1)
	v_mul_f64 v[222:223], v[216:217], v[214:215]
	v_fmac_f64_e32 v[222:223], v[218:219], v[212:213]
	v_add_f64 v[228:229], v[220:221], v[222:223]
	scratch_load_dwordx4 v[220:223], off, off offset:864
	s_waitcnt vmcnt(0) lgkmcnt(0)
	v_mul_f64 v[230:231], v[224:225], v[222:223]
	v_fmac_f64_e32 v[230:231], v[226:227], v[220:221]
	v_add_f64 v[236:237], v[228:229], v[230:231]
	ds_read_b128 v[228:231], v2 offset:1744
	s_waitcnt lgkmcnt(0)
	v_mul_f64 v[2:3], v[228:229], v[234:235]
	v_fmac_f64_e32 v[2:3], v[230:231], v[232:233]
	v_add_f64 v[2:3], v[236:237], v[2:3]
	v_add_f64 v[236:237], v[244:245], 0
	;; [unrolled: 1-line block ×9, first 2 shown]
	scratch_load_dwordx4 v[236:239], off, off offset:112
	v_add_f64 v[16:17], v[20:21], v[16:17]
	v_add_f64 v[12:13], v[16:17], v[12:13]
	;; [unrolled: 1-line block ×8, first 2 shown]
	v_accvgpr_read_b32 v6, a120
	v_accvgpr_read_b32 v8, a122
	;; [unrolled: 1-line block ×3, first 2 shown]
	v_add_f64 v[254:255], v[4:5], v[22:23]
	v_accvgpr_read_b32 v7, a121
	v_mul_f64 v[4:5], v[146:147], v[8:9]
	v_add_f64 v[0:1], v[254:255], v[0:1]
	v_fma_f64 v[4:5], v[144:145], v[6:7], -v[4:5]
	v_accvgpr_read_b32 v6, a124
	v_add_f64 v[0:1], v[0:1], v[242:243]
	v_accvgpr_read_b32 v8, a126
	v_accvgpr_read_b32 v9, a127
	v_add_f64 v[0:1], v[0:1], v[4:5]
	v_accvgpr_read_b32 v7, a125
	v_mul_f64 v[4:5], v[150:151], v[8:9]
	v_fma_f64 v[4:5], v[148:149], v[6:7], -v[4:5]
	v_accvgpr_read_b32 v6, a128
	v_accvgpr_read_b32 v8, a130
	v_accvgpr_read_b32 v9, a131
	v_add_f64 v[0:1], v[0:1], v[4:5]
	v_accvgpr_read_b32 v7, a129
	v_mul_f64 v[4:5], v[154:155], v[8:9]
	v_fma_f64 v[4:5], v[152:153], v[6:7], -v[4:5]
	v_accvgpr_read_b32 v6, a132
	;; [unrolled: 7-line block ×3, first 2 shown]
	v_accvgpr_read_b32 v8, a138
	v_accvgpr_read_b32 v9, a139
	v_add_f64 v[0:1], v[0:1], v[4:5]
	v_accvgpr_read_b32 v7, a137
	v_mul_f64 v[4:5], v[162:163], v[8:9]
	v_fma_f64 v[4:5], v[160:161], v[6:7], -v[4:5]
	v_add_f64 v[0:1], v[0:1], v[4:5]
	v_mul_f64 v[4:5], v[166:167], v[34:35]
	v_fma_f64 v[4:5], v[164:165], v[32:33], -v[4:5]
	v_add_f64 v[0:1], v[0:1], v[4:5]
	;; [unrolled: 3-line block ×25, first 2 shown]
	s_waitcnt vmcnt(0)
	v_add_f64 v[4:5], v[236:237], -v[0:1]
	v_accvgpr_read_b32 v0, a110
	v_add_f64 v[6:7], v[238:239], -v[2:3]
	v_cmp_lt_u32_e32 vcc, 5, v0
	scratch_store_dwordx4 off, v[4:7], off offset:112
	s_and_saveexec_b64 s[0:1], vcc
	s_cbranch_execz .LBB54_333
; %bb.332:
	scratch_load_dwordx4 v[2:5], off, s38
	v_mov_b32_e32 v6, 0
	v_mov_b32_e32 v7, v6
	;; [unrolled: 1-line block ×4, first 2 shown]
	v_accvgpr_read_b32 v0, a111
	scratch_store_dwordx4 off, v[6:9], off offset:96
	s_waitcnt vmcnt(1)
	ds_write_b128 v0, v[2:5]
.LBB54_333:
	s_or_b64 exec, exec, s[0:1]
	s_waitcnt lgkmcnt(0)
	; wave barrier
	scratch_load_dwordx4 v[56:59], off, off offset:112
	scratch_load_dwordx4 v[60:63], off, off offset:128
	;; [unrolled: 1-line block ×28, first 2 shown]
	v_mov_b32_e32 v2, 0
	ds_read_b128 v[116:119], v2 offset:976
	ds_read_b128 v[120:123], v2 offset:992
	;; [unrolled: 1-line block ×22, first 2 shown]
	s_waitcnt vmcnt(27) lgkmcnt(14)
	v_mul_f64 v[0:1], v[116:117], v[58:59]
	s_waitcnt vmcnt(26)
	v_mul_f64 v[32:33], v[120:121], v[62:63]
	v_fmac_f64_e32 v[0:1], v[118:119], v[56:57]
	s_waitcnt vmcnt(25)
	v_mul_f64 v[34:35], v[124:125], v[66:67]
	v_fmac_f64_e32 v[32:33], v[122:123], v[60:61]
	v_add_f64 v[0:1], v[0:1], 0
	v_fmac_f64_e32 v[34:35], v[126:127], v[64:65]
	v_add_f64 v[0:1], v[0:1], v[32:33]
	v_add_f64 v[0:1], v[0:1], v[34:35]
	scratch_load_dwordx4 v[32:35], off, off offset:560
	s_waitcnt vmcnt(25)
	v_mul_f64 v[36:37], v[128:129], v[70:71]
	s_waitcnt vmcnt(24)
	v_mul_f64 v[38:39], v[132:133], v[74:75]
	v_fmac_f64_e32 v[36:37], v[130:131], v[68:69]
	s_waitcnt vmcnt(23)
	v_mul_f64 v[40:41], v[140:141], v[78:79]
	v_fmac_f64_e32 v[38:39], v[134:135], v[72:73]
	v_add_f64 v[0:1], v[0:1], v[36:37]
	s_waitcnt vmcnt(22)
	v_mul_f64 v[42:43], v[152:153], v[82:83]
	v_fmac_f64_e32 v[40:41], v[142:143], v[76:77]
	v_add_f64 v[0:1], v[0:1], v[38:39]
	;; [unrolled: 4-line block ×3, first 2 shown]
	s_waitcnt vmcnt(20) lgkmcnt(13)
	v_mul_f64 v[46:47], v[176:177], v[94:95]
	v_fmac_f64_e32 v[44:45], v[166:167], v[84:85]
	v_add_f64 v[0:1], v[0:1], v[42:43]
	s_waitcnt vmcnt(19) lgkmcnt(12)
	v_mul_f64 v[48:49], v[188:189], v[98:99]
	v_fmac_f64_e32 v[46:47], v[178:179], v[92:93]
	v_add_f64 v[0:1], v[0:1], v[44:45]
	;; [unrolled: 4-line block ×9, first 2 shown]
	v_add_f64 v[0:1], v[0:1], v[104:105]
	v_fmac_f64_e32 v[106:107], v[222:223], v[168:169]
	s_waitcnt vmcnt(11) lgkmcnt(4)
	v_mul_f64 v[40:41], v[224:225], v[174:175]
	v_add_f64 v[0:1], v[0:1], v[106:107]
	v_fmac_f64_e32 v[40:41], v[226:227], v[172:173]
	scratch_load_dwordx4 v[36:39], off, off offset:576
	v_add_f64 v[0:1], v[0:1], v[40:41]
	s_waitcnt vmcnt(11) lgkmcnt(3)
	v_mul_f64 v[40:41], v[228:229], v[182:183]
	v_fmac_f64_e32 v[40:41], v[230:231], v[180:181]
	s_waitcnt vmcnt(10) lgkmcnt(2)
	v_mul_f64 v[44:45], v[238:239], v[186:187]
	v_add_f64 v[0:1], v[0:1], v[40:41]
	v_fmac_f64_e32 v[44:45], v[240:241], v[184:185]
	scratch_load_dwordx4 v[40:43], off, off offset:592
	ds_read_b128 v[88:91], v2 offset:1312
	v_add_f64 v[0:1], v[0:1], v[44:45]
	s_waitcnt vmcnt(10) lgkmcnt(2)
	v_mul_f64 v[44:45], v[242:243], v[194:195]
	v_fmac_f64_e32 v[44:45], v[244:245], v[192:193]
	v_add_f64 v[0:1], v[0:1], v[44:45]
	scratch_load_dwordx4 v[44:47], off, off offset:608
	ds_read_b128 v[104:107], v2 offset:1328
	s_waitcnt vmcnt(10) lgkmcnt(1)
	v_mul_f64 v[48:49], v[88:89], v[6:7]
	v_accvgpr_write_b32 a115, v7
	v_fmac_f64_e32 v[48:49], v[90:91], v[4:5]
	v_accvgpr_write_b32 a114, v6
	v_accvgpr_write_b32 a113, v5
	;; [unrolled: 1-line block ×3, first 2 shown]
	s_waitcnt vmcnt(9)
	v_mov_b64_e32 v[4:5], v[8:9]
	v_add_f64 v[0:1], v[0:1], v[48:49]
	scratch_load_dwordx4 v[48:51], off, off offset:624
	v_mov_b64_e32 v[6:7], v[10:11]
	s_waitcnt lgkmcnt(0)
	v_mul_f64 v[52:53], v[104:105], v[6:7]
	v_fmac_f64_e32 v[52:53], v[106:107], v[4:5]
	v_add_f64 v[0:1], v[0:1], v[52:53]
	scratch_load_dwordx4 v[52:55], off, off offset:640
	v_mul_f64 v[58:59], v[118:119], v[58:59]
	v_fma_f64 v[246:247], v[116:117], v[56:57], -v[58:59]
	scratch_load_dwordx4 v[56:59], off, off offset:656
	s_waitcnt vmcnt(11)
	v_mov_b64_e32 v[4:5], v[12:13]
	v_mov_b64_e32 v[6:7], v[14:15]
	v_mul_f64 v[112:113], v[108:109], v[6:7]
	v_fmac_f64_e32 v[112:113], v[110:111], v[4:5]
	v_mul_f64 v[62:63], v[122:123], v[62:63]
	v_add_f64 v[0:1], v[0:1], v[112:113]
	ds_read_b128 v[112:115], v2 offset:1360
	ds_read_b128 v[116:119], v2 offset:1376
	v_fma_f64 v[248:249], v[120:121], v[60:61], -v[62:63]
	scratch_load_dwordx4 v[60:63], off, off offset:672
	v_mul_f64 v[66:67], v[126:127], v[66:67]
	v_fma_f64 v[250:251], v[124:125], v[64:65], -v[66:67]
	scratch_load_dwordx4 v[64:67], off, off offset:688
	s_waitcnt vmcnt(12)
	v_mov_b64_e32 v[4:5], v[16:17]
	v_mov_b64_e32 v[6:7], v[18:19]
	s_waitcnt lgkmcnt(1)
	v_mul_f64 v[120:121], v[112:113], v[6:7]
	v_fmac_f64_e32 v[120:121], v[114:115], v[4:5]
	s_waitcnt vmcnt(11)
	v_mov_b64_e32 v[4:5], v[20:21]
	v_mov_b64_e32 v[6:7], v[22:23]
	v_mul_f64 v[70:71], v[130:131], v[70:71]
	v_add_f64 v[0:1], v[0:1], v[120:121]
	s_waitcnt lgkmcnt(0)
	v_mul_f64 v[120:121], v[116:117], v[6:7]
	v_fma_f64 v[252:253], v[128:129], v[68:69], -v[70:71]
	scratch_load_dwordx4 v[68:71], off, off offset:704
	v_fmac_f64_e32 v[120:121], v[118:119], v[4:5]
	v_mul_f64 v[74:75], v[134:135], v[74:75]
	v_add_f64 v[0:1], v[0:1], v[120:121]
	ds_read_b128 v[120:123], v2 offset:1392
	ds_read_b128 v[124:127], v2 offset:1408
	v_fma_f64 v[254:255], v[132:133], v[72:73], -v[74:75]
	scratch_load_dwordx4 v[72:75], off, off offset:720
	v_mul_f64 v[78:79], v[142:143], v[78:79]
	v_fma_f64 v[232:233], v[140:141], v[76:77], -v[78:79]
	scratch_load_dwordx4 v[76:79], off, off offset:736
	s_waitcnt vmcnt(13) lgkmcnt(1)
	v_mul_f64 v[128:129], v[120:121], v[236:237]
	v_fmac_f64_e32 v[128:129], v[122:123], v[234:235]
	v_mul_f64 v[82:83], v[154:155], v[82:83]
	s_waitcnt vmcnt(12) lgkmcnt(0)
	v_mul_f64 v[6:7], v[124:125], v[30:31]
	v_add_f64 v[0:1], v[0:1], v[128:129]
	v_fma_f64 v[24:25], v[152:153], v[80:81], -v[82:83]
	v_fmac_f64_e32 v[6:7], v[126:127], v[28:29]
	scratch_load_dwordx4 v[80:83], off, off offset:752
	v_accvgpr_write_b32 a131, v23
	v_add_f64 v[0:1], v[0:1], v[6:7]
	v_mul_f64 v[6:7], v[166:167], v[86:87]
	v_accvgpr_write_b32 a130, v22
	v_accvgpr_write_b32 a129, v21
	;; [unrolled: 1-line block ×3, first 2 shown]
	v_fma_f64 v[20:21], v[164:165], v[84:85], -v[6:7]
	scratch_load_dwordx4 v[84:87], off, off offset:768
	ds_read_b128 v[132:135], v2 offset:1424
	ds_read_b128 v[128:131], v2 offset:1440
	v_accvgpr_write_b32 a127, v19
	v_mul_f64 v[6:7], v[178:179], v[94:95]
	v_accvgpr_write_b32 a123, v15
	v_accvgpr_write_b32 a126, v18
	;; [unrolled: 1-line block ×4, first 2 shown]
	v_fma_f64 v[16:17], v[176:177], v[92:93], -v[6:7]
	v_mul_f64 v[6:7], v[190:191], v[98:99]
	v_accvgpr_write_b32 a122, v14
	v_accvgpr_write_b32 a121, v13
	;; [unrolled: 1-line block ×3, first 2 shown]
	v_fma_f64 v[12:13], v[188:189], v[96:97], -v[6:7]
	scratch_load_dwordx4 v[96:99], off, off offset:784
	scratch_load_dwordx4 v[92:95], off, off offset:800
	s_waitcnt vmcnt(15) lgkmcnt(1)
	v_mul_f64 v[6:7], v[132:133], v[34:35]
	v_fmac_f64_e32 v[6:7], v[134:135], v[32:33]
	v_add_f64 v[0:1], v[0:1], v[6:7]
	v_mul_f64 v[6:7], v[198:199], v[102:103]
	v_fma_f64 v[14:15], v[196:197], v[100:101], -v[6:7]
	scratch_load_dwordx4 v[100:103], off, off offset:816
	v_accvgpr_write_b32 a119, v11
	v_mul_f64 v[6:7], v[202:203], v[138:139]
	v_accvgpr_write_b32 a118, v10
	v_accvgpr_write_b32 a117, v9
	;; [unrolled: 1-line block ×3, first 2 shown]
	v_fma_f64 v[10:11], v[200:201], v[136:137], -v[6:7]
	ds_read_b128 v[136:139], v2 offset:1456
	ds_read_b128 v[140:143], v2 offset:1472
	s_waitcnt vmcnt(15) lgkmcnt(2)
	v_mul_f64 v[6:7], v[128:129], v[38:39]
	v_fmac_f64_e32 v[6:7], v[130:131], v[36:37]
	v_add_f64 v[0:1], v[0:1], v[6:7]
	s_waitcnt vmcnt(14) lgkmcnt(1)
	v_mul_f64 v[6:7], v[136:137], v[42:43]
	v_fmac_f64_e32 v[6:7], v[138:139], v[40:41]
	v_add_f64 v[0:1], v[0:1], v[6:7]
	v_mul_f64 v[6:7], v[206:207], v[146:147]
	v_fma_f64 v[18:19], v[204:205], v[144:145], -v[6:7]
	ds_read_b128 v[144:147], v2 offset:1488
	s_waitcnt vmcnt(13) lgkmcnt(1)
	v_mul_f64 v[6:7], v[140:141], v[46:47]
	v_fmac_f64_e32 v[6:7], v[142:143], v[44:45]
	v_add_f64 v[0:1], v[0:1], v[6:7]
	v_mul_f64 v[6:7], v[210:211], v[150:151]
	v_fma_f64 v[8:9], v[208:209], v[148:149], -v[6:7]
	ds_read_b128 v[148:151], v2 offset:1504
	s_waitcnt vmcnt(12) lgkmcnt(1)
	v_mul_f64 v[6:7], v[144:145], v[50:51]
	ds_read_b128 v[152:155], v2 offset:1520
	v_fmac_f64_e32 v[6:7], v[146:147], v[48:49]
	v_add_f64 v[0:1], v[0:1], v[6:7]
	v_mul_f64 v[6:7], v[214:215], v[158:159]
	v_fma_f64 v[22:23], v[212:213], v[156:157], -v[6:7]
	s_waitcnt vmcnt(11) lgkmcnt(1)
	v_mul_f64 v[6:7], v[148:149], v[54:55]
	v_fmac_f64_e32 v[6:7], v[150:151], v[52:53]
	ds_read_b128 v[156:159], v2 offset:1536
	v_add_f64 v[0:1], v[0:1], v[6:7]
	s_waitcnt vmcnt(10) lgkmcnt(1)
	v_mul_f64 v[6:7], v[152:153], v[58:59]
	v_fmac_f64_e32 v[6:7], v[154:155], v[56:57]
	v_add_f64 v[0:1], v[0:1], v[6:7]
	v_mul_f64 v[6:7], v[218:219], v[162:163]
	v_fma_f64 v[4:5], v[216:217], v[160:161], -v[6:7]
	ds_read_b128 v[160:163], v2 offset:1552
	ds_read_b128 v[164:167], v2 offset:1568
	s_waitcnt vmcnt(9) lgkmcnt(2)
	v_mul_f64 v[6:7], v[156:157], v[62:63]
	v_fmac_f64_e32 v[6:7], v[158:159], v[60:61]
	v_add_f64 v[0:1], v[0:1], v[6:7]
	s_waitcnt vmcnt(8) lgkmcnt(1)
	v_mul_f64 v[6:7], v[160:161], v[66:67]
	v_fmac_f64_e32 v[6:7], v[162:163], v[64:65]
	v_add_f64 v[0:1], v[0:1], v[6:7]
	v_mul_f64 v[6:7], v[222:223], v[170:171]
	v_fma_f64 v[26:27], v[220:221], v[168:169], -v[6:7]
	ds_read_b128 v[168:171], v2 offset:1584
	v_mul_f64 v[6:7], v[226:227], v[174:175]
	v_fma_f64 v[6:7], v[224:225], v[172:173], -v[6:7]
	ds_read_b128 v[172:175], v2 offset:1600
	s_waitcnt vmcnt(7) lgkmcnt(2)
	v_mul_f64 v[176:177], v[164:165], v[70:71]
	v_fmac_f64_e32 v[176:177], v[166:167], v[68:69]
	v_add_f64 v[0:1], v[0:1], v[176:177]
	s_waitcnt vmcnt(6) lgkmcnt(1)
	v_mul_f64 v[176:177], v[168:169], v[74:75]
	v_fmac_f64_e32 v[176:177], v[170:171], v[72:73]
	v_add_f64 v[0:1], v[0:1], v[176:177]
	s_waitcnt vmcnt(5) lgkmcnt(0)
	v_mul_f64 v[188:189], v[172:173], v[78:79]
	ds_read_b128 v[176:179], v2 offset:1616
	v_fmac_f64_e32 v[188:189], v[174:175], v[76:77]
	v_add_f64 v[188:189], v[0:1], v[188:189]
	v_mul_f64 v[0:1], v[230:231], v[182:183]
	v_fma_f64 v[0:1], v[228:229], v[180:181], -v[0:1]
	ds_read_b128 v[180:183], v2 offset:1632
	v_mul_f64 v[186:187], v[240:241], v[186:187]
	s_waitcnt vmcnt(4) lgkmcnt(1)
	v_mul_f64 v[190:191], v[176:177], v[82:83]
	v_fma_f64 v[238:239], v[238:239], v[184:185], -v[186:187]
	ds_read_b128 v[184:187], v2 offset:1648
	v_fmac_f64_e32 v[190:191], v[178:179], v[80:81]
	v_add_f64 v[196:197], v[188:189], v[190:191]
	ds_read_b128 v[188:191], v2 offset:1664
	s_waitcnt vmcnt(3) lgkmcnt(2)
	v_mul_f64 v[198:199], v[180:181], v[86:87]
	v_mul_f64 v[194:195], v[244:245], v[194:195]
	v_fmac_f64_e32 v[198:199], v[182:183], v[84:85]
	v_fma_f64 v[240:241], v[242:243], v[192:193], -v[194:195]
	ds_read_b128 v[192:195], v2 offset:1680
	ds_read_b128 v[200:203], v2 offset:1696
	v_add_f64 v[196:197], v[196:197], v[198:199]
	s_waitcnt vmcnt(2) lgkmcnt(3)
	v_mul_f64 v[198:199], v[184:185], v[98:99]
	v_fmac_f64_e32 v[198:199], v[186:187], v[96:97]
	v_add_f64 v[196:197], v[196:197], v[198:199]
	s_waitcnt vmcnt(1) lgkmcnt(2)
	v_mul_f64 v[198:199], v[188:189], v[94:95]
	v_fmac_f64_e32 v[198:199], v[190:191], v[92:93]
	;; [unrolled: 4-line block ×3, first 2 shown]
	v_add_f64 v[204:205], v[196:197], v[198:199]
	scratch_load_dwordx4 v[196:199], off, off offset:832
	ds_read_b128 v[208:211], v2 offset:1712
	ds_read_b128 v[216:219], v2 offset:1728
	;; [unrolled: 1-line block ×3, first 2 shown]
	s_waitcnt vmcnt(0) lgkmcnt(3)
	v_mul_f64 v[206:207], v[200:201], v[198:199]
	v_fmac_f64_e32 v[206:207], v[202:203], v[196:197]
	v_add_f64 v[212:213], v[204:205], v[206:207]
	scratch_load_dwordx4 v[204:207], off, off offset:848
	s_waitcnt vmcnt(0) lgkmcnt(2)
	v_mul_f64 v[214:215], v[208:209], v[206:207]
	v_fmac_f64_e32 v[214:215], v[210:211], v[204:205]
	v_add_f64 v[220:221], v[212:213], v[214:215]
	scratch_load_dwordx4 v[212:215], off, off offset:864
	;; [unrolled: 5-line block ×3, first 2 shown]
	s_waitcnt vmcnt(0) lgkmcnt(0)
	v_mul_f64 v[230:231], v[224:225], v[222:223]
	v_fmac_f64_e32 v[230:231], v[226:227], v[220:221]
	v_add_f64 v[244:245], v[228:229], v[230:231]
	v_add_f64 v[228:229], v[246:247], 0
	;; [unrolled: 1-line block ×8, first 2 shown]
	scratch_load_dwordx4 v[228:231], off, off offset:96
	v_add_f64 v[20:21], v[24:25], v[20:21]
	v_add_f64 v[16:17], v[20:21], v[16:17]
	;; [unrolled: 1-line block ×11, first 2 shown]
	v_accvgpr_read_b32 v6, a112
	v_accvgpr_read_b32 v8, a114
	;; [unrolled: 1-line block ×3, first 2 shown]
	v_add_f64 v[0:1], v[4:5], v[0:1]
	v_accvgpr_read_b32 v7, a113
	v_mul_f64 v[4:5], v[90:91], v[8:9]
	v_add_f64 v[0:1], v[0:1], v[238:239]
	v_fma_f64 v[4:5], v[88:89], v[6:7], -v[4:5]
	v_accvgpr_read_b32 v6, a116
	v_add_f64 v[0:1], v[0:1], v[240:241]
	v_accvgpr_read_b32 v8, a118
	v_accvgpr_read_b32 v9, a119
	v_add_f64 v[0:1], v[0:1], v[4:5]
	v_accvgpr_read_b32 v7, a117
	v_mul_f64 v[4:5], v[106:107], v[8:9]
	v_fma_f64 v[4:5], v[104:105], v[6:7], -v[4:5]
	v_accvgpr_read_b32 v6, a120
	v_accvgpr_read_b32 v8, a122
	v_accvgpr_read_b32 v9, a123
	v_add_f64 v[0:1], v[0:1], v[4:5]
	v_accvgpr_read_b32 v7, a121
	v_mul_f64 v[4:5], v[110:111], v[8:9]
	v_fma_f64 v[4:5], v[108:109], v[6:7], -v[4:5]
	v_accvgpr_read_b32 v6, a124
	;; [unrolled: 7-line block ×3, first 2 shown]
	v_accvgpr_read_b32 v8, a130
	v_accvgpr_read_b32 v9, a131
	v_add_f64 v[0:1], v[0:1], v[4:5]
	v_accvgpr_read_b32 v7, a129
	v_mul_f64 v[4:5], v[118:119], v[8:9]
	v_fma_f64 v[4:5], v[116:117], v[6:7], -v[4:5]
	v_add_f64 v[0:1], v[0:1], v[4:5]
	v_mul_f64 v[4:5], v[122:123], v[236:237]
	v_fma_f64 v[4:5], v[120:121], v[234:235], -v[4:5]
	v_add_f64 v[0:1], v[0:1], v[4:5]
	;; [unrolled: 3-line block ×24, first 2 shown]
	s_waitcnt vmcnt(0)
	v_add_f64 v[4:5], v[228:229], -v[0:1]
	v_accvgpr_read_b32 v0, a110
	v_add_f64 v[6:7], v[230:231], -v[244:245]
	v_cmp_lt_u32_e32 vcc, 4, v0
	scratch_store_dwordx4 off, v[4:7], off offset:96
	s_and_saveexec_b64 s[0:1], vcc
	s_cbranch_execz .LBB54_335
; %bb.334:
	scratch_load_dwordx4 v[6:9], off, s37
	v_mov_b32_e32 v3, v2
	v_mov_b32_e32 v4, v2
	;; [unrolled: 1-line block ×3, first 2 shown]
	v_accvgpr_read_b32 v0, a111
	scratch_store_dwordx4 off, v[2:5], off offset:80
	s_waitcnt vmcnt(1)
	ds_write_b128 v0, v[6:9]
.LBB54_335:
	s_or_b64 exec, exec, s[0:1]
	s_waitcnt lgkmcnt(0)
	; wave barrier
	scratch_load_dwordx4 v[56:59], off, off offset:96
	scratch_load_dwordx4 v[60:63], off, off offset:112
	;; [unrolled: 1-line block ×18, first 2 shown]
	ds_read_b128 v[116:119], v2 offset:960
	ds_read_b128 v[220:223], v2 offset:976
	;; [unrolled: 1-line block ×6, first 2 shown]
	scratch_load_dwordx4 v[180:183], off, off offset:384
	ds_read_b128 v[204:207], v2 offset:1056
	ds_read_b128 v[132:135], v2 offset:1072
	scratch_load_dwordx4 v[184:187], off, off offset:400
	ds_read_b128 v[224:227], v2 offset:1088
	ds_read_b128 v[216:219], v2 offset:1104
	;; [unrolled: 1-line block ×5, first 2 shown]
	scratch_load_dwordx4 v[192:195], off, off offset:416
	ds_read_b128 v[200:203], v2 offset:1168
	ds_read_b128 v[164:167], v2 offset:1184
	scratch_load_dwordx4 v[4:7], off, off offset:432
	ds_read_b128 v[212:215], v2 offset:1200
	ds_read_b128 v[188:191], v2 offset:1216
	;; [unrolled: 1-line block ×3, first 2 shown]
	scratch_load_dwordx4 v[8:11], off, off offset:448
	scratch_load_dwordx4 v[12:15], off, off offset:464
	;; [unrolled: 1-line block ×6, first 2 shown]
	ds_read_b128 v[228:231], v2 offset:1248
	ds_read_b128 v[232:235], v2 offset:1264
	;; [unrolled: 1-line block ×4, first 2 shown]
	s_waitcnt vmcnt(27) lgkmcnt(14)
	v_mul_f64 v[0:1], v[116:117], v[58:59]
	s_waitcnt vmcnt(26)
	v_mul_f64 v[32:33], v[220:221], v[62:63]
	v_fmac_f64_e32 v[0:1], v[118:119], v[56:57]
	s_waitcnt vmcnt(25)
	v_mul_f64 v[34:35], v[208:209], v[66:67]
	v_fmac_f64_e32 v[32:33], v[222:223], v[60:61]
	v_add_f64 v[0:1], v[0:1], 0
	v_fmac_f64_e32 v[34:35], v[210:211], v[64:65]
	v_add_f64 v[0:1], v[0:1], v[32:33]
	v_add_f64 v[0:1], v[0:1], v[34:35]
	scratch_load_dwordx4 v[32:35], off, off offset:544
	s_waitcnt vmcnt(25)
	v_mul_f64 v[36:37], v[120:121], v[70:71]
	s_waitcnt vmcnt(24)
	v_mul_f64 v[38:39], v[128:129], v[74:75]
	v_fmac_f64_e32 v[36:37], v[122:123], v[68:69]
	s_waitcnt vmcnt(23)
	v_mul_f64 v[40:41], v[124:125], v[78:79]
	v_fmac_f64_e32 v[38:39], v[130:131], v[72:73]
	v_add_f64 v[0:1], v[0:1], v[36:37]
	s_waitcnt vmcnt(22)
	v_mul_f64 v[42:43], v[204:205], v[82:83]
	v_fmac_f64_e32 v[40:41], v[126:127], v[76:77]
	v_add_f64 v[0:1], v[0:1], v[38:39]
	;; [unrolled: 4-line block ×3, first 2 shown]
	s_waitcnt vmcnt(20) lgkmcnt(13)
	v_mul_f64 v[46:47], v[224:225], v[94:95]
	v_fmac_f64_e32 v[44:45], v[134:135], v[84:85]
	v_add_f64 v[0:1], v[0:1], v[42:43]
	s_waitcnt vmcnt(19) lgkmcnt(12)
	v_mul_f64 v[48:49], v[216:217], v[98:99]
	v_fmac_f64_e32 v[46:47], v[226:227], v[92:93]
	v_add_f64 v[0:1], v[0:1], v[44:45]
	;; [unrolled: 4-line block ×9, first 2 shown]
	v_fmac_f64_e32 v[106:107], v[190:191], v[168:169]
	v_add_f64 v[0:1], v[0:1], v[104:105]
	s_waitcnt vmcnt(11) lgkmcnt(4)
	v_mul_f64 v[40:41], v[176:177], v[174:175]
	v_add_f64 v[0:1], v[0:1], v[106:107]
	v_fmac_f64_e32 v[40:41], v[178:179], v[172:173]
	scratch_load_dwordx4 v[36:39], off, off offset:560
	v_add_f64 v[0:1], v[0:1], v[40:41]
	s_waitcnt vmcnt(11) lgkmcnt(3)
	v_mul_f64 v[40:41], v[228:229], v[182:183]
	v_fmac_f64_e32 v[40:41], v[230:231], v[180:181]
	v_add_f64 v[0:1], v[0:1], v[40:41]
	scratch_load_dwordx4 v[40:43], off, off offset:576
	ds_read_b128 v[88:91], v2 offset:1296
	s_waitcnt vmcnt(11) lgkmcnt(3)
	v_mul_f64 v[44:45], v[232:233], v[186:187]
	v_fmac_f64_e32 v[44:45], v[234:235], v[184:185]
	v_add_f64 v[0:1], v[0:1], v[44:45]
	s_waitcnt vmcnt(10) lgkmcnt(2)
	v_mul_f64 v[44:45], v[236:237], v[194:195]
	v_fmac_f64_e32 v[44:45], v[238:239], v[192:193]
	s_waitcnt vmcnt(9) lgkmcnt(0)
	v_mul_f64 v[48:49], v[88:89], v[6:7]
	ds_read_b128 v[104:107], v2 offset:1312
	v_add_f64 v[0:1], v[0:1], v[44:45]
	scratch_load_dwordx4 v[44:47], off, off offset:592
	v_fmac_f64_e32 v[48:49], v[90:91], v[4:5]
	v_accvgpr_write_b32 a115, v7
	v_add_f64 v[0:1], v[0:1], v[48:49]
	scratch_load_dwordx4 v[48:51], off, off offset:608
	v_accvgpr_write_b32 a114, v6
	v_accvgpr_write_b32 a113, v5
	;; [unrolled: 1-line block ×3, first 2 shown]
	s_waitcnt vmcnt(10)
	v_mov_b64_e32 v[4:5], v[8:9]
	v_mov_b64_e32 v[6:7], v[10:11]
	s_waitcnt lgkmcnt(0)
	v_mul_f64 v[52:53], v[104:105], v[6:7]
	v_fmac_f64_e32 v[52:53], v[106:107], v[4:5]
	v_add_f64 v[0:1], v[0:1], v[52:53]
	scratch_load_dwordx4 v[52:55], off, off offset:624
	v_mul_f64 v[58:59], v[118:119], v[58:59]
	v_fma_f64 v[244:245], v[116:117], v[56:57], -v[58:59]
	scratch_load_dwordx4 v[56:59], off, off offset:640
	v_mul_f64 v[62:63], v[222:223], v[62:63]
	v_fma_f64 v[246:247], v[220:221], v[60:61], -v[62:63]
	scratch_load_dwordx4 v[60:63], off, off offset:656
	s_waitcnt vmcnt(12)
	v_mov_b64_e32 v[4:5], v[12:13]
	v_mul_f64 v[66:67], v[210:211], v[66:67]
	v_mov_b64_e32 v[6:7], v[14:15]
	v_fma_f64 v[248:249], v[208:209], v[64:65], -v[66:67]
	scratch_load_dwordx4 v[64:67], off, off offset:672
	v_mul_f64 v[112:113], v[108:109], v[6:7]
	v_fmac_f64_e32 v[112:113], v[110:111], v[4:5]
	v_add_f64 v[0:1], v[0:1], v[112:113]
	ds_read_b128 v[112:115], v2 offset:1344
	ds_read_b128 v[116:119], v2 offset:1360
	s_waitcnt vmcnt(12)
	v_mov_b64_e32 v[4:5], v[16:17]
	v_mul_f64 v[70:71], v[122:123], v[70:71]
	v_mov_b64_e32 v[6:7], v[18:19]
	v_fma_f64 v[250:251], v[120:121], v[68:69], -v[70:71]
	scratch_load_dwordx4 v[68:71], off, off offset:688
	v_mul_f64 v[74:75], v[130:131], v[74:75]
	s_waitcnt lgkmcnt(1)
	v_mul_f64 v[220:221], v[112:113], v[6:7]
	v_fma_f64 v[252:253], v[128:129], v[72:73], -v[74:75]
	scratch_load_dwordx4 v[72:75], off, off offset:704
	v_fmac_f64_e32 v[220:221], v[114:115], v[4:5]
	s_waitcnt vmcnt(13)
	v_mov_b64_e32 v[4:5], v[20:21]
	ds_read_b128 v[120:123], v2 offset:1376
	v_mul_f64 v[78:79], v[126:127], v[78:79]
	v_mov_b64_e32 v[6:7], v[22:23]
	v_fma_f64 v[254:255], v[124:125], v[76:77], -v[78:79]
	scratch_load_dwordx4 v[76:79], off, off offset:720
	s_waitcnt lgkmcnt(1)
	v_mul_f64 v[208:209], v[116:117], v[6:7]
	ds_read_b128 v[124:127], v2 offset:1392
	v_fmac_f64_e32 v[208:209], v[118:119], v[4:5]
	s_waitcnt vmcnt(13)
	v_mov_b64_e32 v[4:5], v[24:25]
	v_mul_f64 v[82:83], v[206:207], v[82:83]
	v_mov_b64_e32 v[6:7], v[26:27]
	v_fma_f64 v[240:241], v[204:205], v[80:81], -v[82:83]
	scratch_load_dwordx4 v[80:83], off, off offset:736
	v_add_f64 v[0:1], v[0:1], v[220:221]
	s_waitcnt lgkmcnt(1)
	v_mul_f64 v[128:129], v[120:121], v[6:7]
	v_add_f64 v[0:1], v[0:1], v[208:209]
	v_fmac_f64_e32 v[128:129], v[122:123], v[4:5]
	v_add_f64 v[0:1], v[0:1], v[128:129]
	s_waitcnt vmcnt(13) lgkmcnt(0)
	v_mul_f64 v[128:129], v[124:125], v[30:31]
	v_accvgpr_write_b32 a135, v27
	v_fmac_f64_e32 v[128:129], v[126:127], v[28:29]
	v_mul_f64 v[86:87], v[134:135], v[86:87]
	v_accvgpr_write_b32 a134, v26
	v_accvgpr_write_b32 a133, v25
	;; [unrolled: 1-line block ×3, first 2 shown]
	v_add_f64 v[0:1], v[0:1], v[128:129]
	v_fma_f64 v[24:25], v[132:133], v[84:85], -v[86:87]
	scratch_load_dwordx4 v[84:87], off, off offset:752
	ds_read_b128 v[132:135], v2 offset:1408
	ds_read_b128 v[128:131], v2 offset:1424
	v_accvgpr_write_b32 a131, v23
	v_mul_f64 v[6:7], v[226:227], v[94:95]
	v_accvgpr_write_b32 a127, v19
	v_accvgpr_write_b32 a130, v22
	;; [unrolled: 1-line block ×4, first 2 shown]
	v_fma_f64 v[20:21], v[224:225], v[92:93], -v[6:7]
	v_mul_f64 v[92:93], v[218:219], v[98:99]
	v_accvgpr_write_b32 a119, v11
	v_accvgpr_write_b32 a126, v18
	;; [unrolled: 1-line block ×4, first 2 shown]
	v_fma_f64 v[16:17], v[216:217], v[96:97], -v[92:93]
	scratch_load_dwordx4 v[96:99], off, off offset:768
	scratch_load_dwordx4 v[92:95], off, off offset:784
	v_accvgpr_write_b32 a118, v10
	v_accvgpr_write_b32 a117, v9
	;; [unrolled: 1-line block ×3, first 2 shown]
	s_waitcnt vmcnt(15) lgkmcnt(1)
	v_mul_f64 v[10:11], v[132:133], v[34:35]
	v_fmac_f64_e32 v[10:11], v[134:135], v[32:33]
	v_accvgpr_write_b32 a123, v15
	v_add_f64 v[0:1], v[0:1], v[10:11]
	v_mul_f64 v[10:11], v[198:199], v[102:103]
	v_accvgpr_write_b32 a122, v14
	v_accvgpr_write_b32 a121, v13
	;; [unrolled: 1-line block ×3, first 2 shown]
	v_fma_f64 v[12:13], v[196:197], v[100:101], -v[10:11]
	scratch_load_dwordx4 v[100:103], off, off offset:800
	v_mul_f64 v[138:139], v[142:143], v[138:139]
	v_fma_f64 v[10:11], v[140:141], v[136:137], -v[138:139]
	ds_read_b128 v[136:139], v2 offset:1440
	ds_read_b128 v[140:143], v2 offset:1456
	s_waitcnt vmcnt(15) lgkmcnt(2)
	v_mul_f64 v[14:15], v[128:129], v[38:39]
	v_fmac_f64_e32 v[14:15], v[130:131], v[36:37]
	v_add_f64 v[0:1], v[0:1], v[14:15]
	s_waitcnt vmcnt(14) lgkmcnt(1)
	v_mul_f64 v[14:15], v[136:137], v[42:43]
	v_fmac_f64_e32 v[14:15], v[138:139], v[40:41]
	v_add_f64 v[0:1], v[0:1], v[14:15]
	v_mul_f64 v[14:15], v[154:155], v[146:147]
	v_fma_f64 v[14:15], v[152:153], v[144:145], -v[14:15]
	ds_read_b128 v[144:147], v2 offset:1472
	s_waitcnt vmcnt(13) lgkmcnt(1)
	v_mul_f64 v[152:153], v[140:141], v[46:47]
	v_mul_f64 v[150:151], v[202:203], v[150:151]
	v_fmac_f64_e32 v[152:153], v[142:143], v[44:45]
	v_fma_f64 v[8:9], v[200:201], v[148:149], -v[150:151]
	ds_read_b128 v[148:151], v2 offset:1488
	s_waitcnt vmcnt(12) lgkmcnt(1)
	v_mul_f64 v[18:19], v[144:145], v[50:51]
	v_add_f64 v[0:1], v[0:1], v[152:153]
	v_fmac_f64_e32 v[18:19], v[146:147], v[48:49]
	v_add_f64 v[0:1], v[0:1], v[18:19]
	ds_read_b128 v[152:155], v2 offset:1504
	v_mul_f64 v[18:19], v[166:167], v[158:159]
	v_fma_f64 v[18:19], v[164:165], v[156:157], -v[18:19]
	ds_read_b128 v[156:159], v2 offset:1520
	v_mul_f64 v[162:163], v[214:215], v[162:163]
	s_waitcnt vmcnt(11) lgkmcnt(2)
	v_mul_f64 v[164:165], v[148:149], v[54:55]
	v_fma_f64 v[6:7], v[212:213], v[160:161], -v[162:163]
	ds_read_b128 v[160:163], v2 offset:1536
	v_fmac_f64_e32 v[164:165], v[150:151], v[52:53]
	v_add_f64 v[0:1], v[0:1], v[164:165]
	s_waitcnt vmcnt(10) lgkmcnt(2)
	v_mul_f64 v[164:165], v[152:153], v[58:59]
	v_fmac_f64_e32 v[164:165], v[154:155], v[56:57]
	s_waitcnt vmcnt(9) lgkmcnt(1)
	v_mul_f64 v[22:23], v[156:157], v[62:63]
	v_add_f64 v[0:1], v[0:1], v[164:165]
	v_fmac_f64_e32 v[22:23], v[158:159], v[60:61]
	v_add_f64 v[0:1], v[0:1], v[22:23]
	ds_read_b128 v[164:167], v2 offset:1552
	s_waitcnt vmcnt(8) lgkmcnt(1)
	v_mul_f64 v[22:23], v[160:161], v[66:67]
	v_fmac_f64_e32 v[22:23], v[162:163], v[64:65]
	v_add_f64 v[0:1], v[0:1], v[22:23]
	v_mul_f64 v[22:23], v[190:191], v[170:171]
	v_fma_f64 v[22:23], v[188:189], v[168:169], -v[22:23]
	ds_read_b128 v[168:171], v2 offset:1568
	v_mul_f64 v[174:175], v[178:179], v[174:175]
	v_fma_f64 v[4:5], v[176:177], v[172:173], -v[174:175]
	ds_read_b128 v[172:175], v2 offset:1584
	s_waitcnt vmcnt(7) lgkmcnt(2)
	v_mul_f64 v[188:189], v[164:165], v[70:71]
	v_fmac_f64_e32 v[188:189], v[166:167], v[68:69]
	s_waitcnt vmcnt(6) lgkmcnt(1)
	v_mul_f64 v[26:27], v[168:169], v[74:75]
	ds_read_b128 v[176:179], v2 offset:1600
	v_add_f64 v[0:1], v[0:1], v[188:189]
	v_fmac_f64_e32 v[26:27], v[170:171], v[72:73]
	v_add_f64 v[0:1], v[0:1], v[26:27]
	s_waitcnt vmcnt(5) lgkmcnt(1)
	v_mul_f64 v[26:27], v[172:173], v[78:79]
	v_fmac_f64_e32 v[26:27], v[174:175], v[76:77]
	v_add_f64 v[0:1], v[0:1], v[26:27]
	v_mul_f64 v[26:27], v[230:231], v[182:183]
	v_fma_f64 v[26:27], v[228:229], v[180:181], -v[26:27]
	ds_read_b128 v[180:183], v2 offset:1616
	s_waitcnt vmcnt(4) lgkmcnt(1)
	v_mul_f64 v[188:189], v[176:177], v[82:83]
	v_fmac_f64_e32 v[188:189], v[178:179], v[80:81]
	v_add_f64 v[196:197], v[0:1], v[188:189]
	v_mul_f64 v[0:1], v[234:235], v[186:187]
	v_fma_f64 v[0:1], v[232:233], v[184:185], -v[0:1]
	ds_read_b128 v[184:187], v2 offset:1632
	ds_read_b128 v[188:191], v2 offset:1648
	s_waitcnt vmcnt(3) lgkmcnt(2)
	v_mul_f64 v[198:199], v[180:181], v[86:87]
	v_mul_f64 v[194:195], v[238:239], v[194:195]
	v_fmac_f64_e32 v[198:199], v[182:183], v[84:85]
	v_fma_f64 v[242:243], v[236:237], v[192:193], -v[194:195]
	ds_read_b128 v[192:195], v2 offset:1664
	ds_read_b128 v[200:203], v2 offset:1680
	v_add_f64 v[196:197], v[196:197], v[198:199]
	s_waitcnt vmcnt(2) lgkmcnt(3)
	v_mul_f64 v[198:199], v[184:185], v[98:99]
	v_fmac_f64_e32 v[198:199], v[186:187], v[96:97]
	v_add_f64 v[196:197], v[196:197], v[198:199]
	s_waitcnt vmcnt(1) lgkmcnt(2)
	v_mul_f64 v[198:199], v[188:189], v[94:95]
	v_fmac_f64_e32 v[198:199], v[190:191], v[92:93]
	v_add_f64 v[196:197], v[196:197], v[198:199]
	scratch_load_dwordx4 v[232:235], off, off offset:880
	s_waitcnt vmcnt(1) lgkmcnt(1)
	v_mul_f64 v[198:199], v[192:193], v[102:103]
	v_fmac_f64_e32 v[198:199], v[194:195], v[100:101]
	v_add_f64 v[204:205], v[196:197], v[198:199]
	scratch_load_dwordx4 v[196:199], off, off offset:816
	ds_read_b128 v[208:211], v2 offset:1696
	ds_read_b128 v[216:219], v2 offset:1712
	;; [unrolled: 1-line block ×3, first 2 shown]
	s_waitcnt vmcnt(0) lgkmcnt(3)
	v_mul_f64 v[206:207], v[200:201], v[198:199]
	v_fmac_f64_e32 v[206:207], v[202:203], v[196:197]
	v_add_f64 v[212:213], v[204:205], v[206:207]
	scratch_load_dwordx4 v[204:207], off, off offset:832
	s_waitcnt vmcnt(0) lgkmcnt(2)
	v_mul_f64 v[214:215], v[208:209], v[206:207]
	v_fmac_f64_e32 v[214:215], v[210:211], v[204:205]
	v_add_f64 v[220:221], v[212:213], v[214:215]
	scratch_load_dwordx4 v[212:215], off, off offset:848
	;; [unrolled: 5-line block ×3, first 2 shown]
	s_waitcnt vmcnt(0) lgkmcnt(0)
	v_mul_f64 v[230:231], v[224:225], v[222:223]
	v_fmac_f64_e32 v[230:231], v[226:227], v[220:221]
	v_add_f64 v[236:237], v[228:229], v[230:231]
	ds_read_b128 v[228:231], v2 offset:1744
	s_waitcnt lgkmcnt(0)
	v_mul_f64 v[2:3], v[228:229], v[234:235]
	v_fmac_f64_e32 v[2:3], v[230:231], v[232:233]
	v_add_f64 v[2:3], v[236:237], v[2:3]
	v_add_f64 v[236:237], v[244:245], 0
	;; [unrolled: 1-line block ×9, first 2 shown]
	scratch_load_dwordx4 v[236:239], off, off offset:80
	v_add_f64 v[20:21], v[24:25], v[20:21]
	v_add_f64 v[16:17], v[20:21], v[16:17]
	;; [unrolled: 1-line block ×10, first 2 shown]
	v_accvgpr_read_b32 v6, a112
	v_accvgpr_read_b32 v8, a114
	;; [unrolled: 1-line block ×3, first 2 shown]
	v_add_f64 v[254:255], v[4:5], v[26:27]
	v_accvgpr_read_b32 v7, a113
	v_mul_f64 v[4:5], v[90:91], v[8:9]
	v_add_f64 v[0:1], v[254:255], v[0:1]
	v_fma_f64 v[4:5], v[88:89], v[6:7], -v[4:5]
	v_accvgpr_read_b32 v6, a116
	v_add_f64 v[0:1], v[0:1], v[242:243]
	v_accvgpr_read_b32 v8, a118
	v_accvgpr_read_b32 v9, a119
	v_add_f64 v[0:1], v[0:1], v[4:5]
	v_accvgpr_read_b32 v7, a117
	v_mul_f64 v[4:5], v[106:107], v[8:9]
	v_fma_f64 v[4:5], v[104:105], v[6:7], -v[4:5]
	v_accvgpr_read_b32 v6, a120
	v_accvgpr_read_b32 v8, a122
	v_accvgpr_read_b32 v9, a123
	v_add_f64 v[0:1], v[0:1], v[4:5]
	v_accvgpr_read_b32 v7, a121
	v_mul_f64 v[4:5], v[110:111], v[8:9]
	v_fma_f64 v[4:5], v[108:109], v[6:7], -v[4:5]
	v_accvgpr_read_b32 v6, a124
	;; [unrolled: 7-line block ×4, first 2 shown]
	v_accvgpr_read_b32 v8, a134
	v_accvgpr_read_b32 v9, a135
	v_add_f64 v[0:1], v[0:1], v[4:5]
	v_accvgpr_read_b32 v7, a133
	v_mul_f64 v[4:5], v[122:123], v[8:9]
	v_fma_f64 v[4:5], v[120:121], v[6:7], -v[4:5]
	v_add_f64 v[0:1], v[0:1], v[4:5]
	v_mul_f64 v[4:5], v[126:127], v[30:31]
	v_fma_f64 v[4:5], v[124:125], v[28:29], -v[4:5]
	v_add_f64 v[0:1], v[0:1], v[4:5]
	;; [unrolled: 3-line block ×24, first 2 shown]
	s_waitcnt vmcnt(0)
	v_add_f64 v[4:5], v[236:237], -v[0:1]
	v_accvgpr_read_b32 v0, a110
	v_add_f64 v[6:7], v[238:239], -v[2:3]
	v_cmp_lt_u32_e32 vcc, 3, v0
	scratch_store_dwordx4 off, v[4:7], off offset:80
	s_and_saveexec_b64 s[0:1], vcc
	s_cbranch_execz .LBB54_337
; %bb.336:
	scratch_load_dwordx4 v[2:5], off, s68
	v_mov_b32_e32 v6, 0
	v_mov_b32_e32 v7, v6
	;; [unrolled: 1-line block ×4, first 2 shown]
	v_accvgpr_read_b32 v0, a111
	scratch_store_dwordx4 off, v[6:9], off offset:64
	s_waitcnt vmcnt(1)
	ds_write_b128 v0, v[2:5]
.LBB54_337:
	s_or_b64 exec, exec, s[0:1]
	s_waitcnt lgkmcnt(0)
	; wave barrier
	scratch_load_dwordx4 v[48:51], off, off offset:80
	scratch_load_dwordx4 v[52:55], off, off offset:96
	;; [unrolled: 1-line block ×28, first 2 shown]
	v_mov_b32_e32 v2, 0
	ds_read_b128 v[104:107], v2 offset:944
	ds_read_b128 v[112:115], v2 offset:960
	;; [unrolled: 1-line block ×18, first 2 shown]
	scratch_load_dwordx4 a[112:115], off, off offset:528
	scratch_load_dwordx4 v[234:237], off, off offset:544
	ds_read_b128 v[220:223], v2 offset:1232
	ds_read_b128 v[224:227], v2 offset:1248
	ds_read_b128 v[228:231], v2 offset:1264
	ds_read_b128 v[238:241], v2 offset:1280
	ds_read_b128 v[242:245], v2 offset:1296
	s_waitcnt vmcnt(29) lgkmcnt(14)
	v_mul_f64 v[0:1], v[104:105], v[50:51]
	s_waitcnt vmcnt(28)
	v_mul_f64 v[24:25], v[112:113], v[54:55]
	v_fmac_f64_e32 v[0:1], v[106:107], v[48:49]
	s_waitcnt vmcnt(27)
	v_mul_f64 v[26:27], v[116:117], v[58:59]
	v_fmac_f64_e32 v[24:25], v[114:115], v[52:53]
	v_add_f64 v[0:1], v[0:1], 0
	s_waitcnt vmcnt(26)
	v_mul_f64 v[28:29], v[120:121], v[62:63]
	v_fmac_f64_e32 v[26:27], v[118:119], v[56:57]
	v_add_f64 v[0:1], v[0:1], v[24:25]
	;; [unrolled: 4-line block ×7, first 2 shown]
	s_waitcnt vmcnt(20) lgkmcnt(13)
	v_mul_f64 v[40:41], v[172:173], v[86:87]
	v_fmac_f64_e32 v[38:39], v[162:163], v[80:81]
	v_add_f64 v[0:1], v[0:1], v[36:37]
	s_waitcnt vmcnt(19) lgkmcnt(12)
	v_mul_f64 v[42:43], v[184:185], v[94:95]
	v_fmac_f64_e32 v[40:41], v[174:175], v[84:85]
	v_add_f64 v[0:1], v[0:1], v[38:39]
	;; [unrolled: 4-line block ×8, first 2 shown]
	v_add_f64 v[0:1], v[0:1], v[96:97]
	v_fmac_f64_e32 v[98:99], v[214:215], v[152:153]
	s_waitcnt vmcnt(12) lgkmcnt(5)
	v_mul_f64 v[32:33], v[216:217], v[158:159]
	v_add_f64 v[0:1], v[0:1], v[98:99]
	v_fmac_f64_e32 v[32:33], v[218:219], v[156:157]
	v_add_f64 v[0:1], v[0:1], v[32:33]
	s_waitcnt vmcnt(11) lgkmcnt(4)
	v_mul_f64 v[32:33], v[220:221], v[166:167]
	v_fmac_f64_e32 v[32:33], v[222:223], v[164:165]
	v_add_f64 v[0:1], v[0:1], v[32:33]
	scratch_load_dwordx4 v[32:35], off, off offset:560
	s_waitcnt vmcnt(11) lgkmcnt(3)
	v_mul_f64 v[36:37], v[224:225], v[170:171]
	v_fmac_f64_e32 v[36:37], v[226:227], v[168:169]
	v_add_f64 v[0:1], v[0:1], v[36:37]
	s_waitcnt vmcnt(10) lgkmcnt(2)
	v_mul_f64 v[36:37], v[228:229], v[178:179]
	v_fmac_f64_e32 v[36:37], v[230:231], v[176:177]
	v_add_f64 v[0:1], v[0:1], v[36:37]
	scratch_load_dwordx4 v[36:39], off, off offset:576
	s_waitcnt vmcnt(10) lgkmcnt(1)
	v_mul_f64 v[40:41], v[238:239], v[182:183]
	v_fmac_f64_e32 v[40:41], v[240:241], v[180:181]
	v_add_f64 v[0:1], v[0:1], v[40:41]
	scratch_load_dwordx4 v[40:43], off, off offset:592
	ds_read_b128 v[88:91], v2 offset:1312
	s_waitcnt vmcnt(10) lgkmcnt(1)
	v_mul_f64 v[44:45], v[242:243], v[190:191]
	v_fmac_f64_e32 v[44:45], v[244:245], v[188:189]
	v_add_f64 v[0:1], v[0:1], v[44:45]
	scratch_load_dwordx4 v[44:47], off, off offset:608
	v_mul_f64 v[50:51], v[106:107], v[50:51]
	v_fma_f64 v[246:247], v[104:105], v[48:49], -v[50:51]
	scratch_load_dwordx4 v[48:51], off, off offset:624
	v_mul_f64 v[54:55], v[114:115], v[54:55]
	v_fma_f64 v[248:249], v[112:113], v[52:53], -v[54:55]
	scratch_load_dwordx4 v[52:55], off, off offset:640
	s_waitcnt vmcnt(12) lgkmcnt(0)
	v_mul_f64 v[96:97], v[88:89], v[6:7]
	v_fmac_f64_e32 v[96:97], v[90:91], v[4:5]
	v_mul_f64 v[58:59], v[118:119], v[58:59]
	v_add_f64 v[0:1], v[0:1], v[96:97]
	ds_read_b128 v[96:99], v2 offset:1328
	ds_read_b128 v[104:107], v2 offset:1344
	v_fma_f64 v[250:251], v[116:117], v[56:57], -v[58:59]
	scratch_load_dwordx4 v[56:59], off, off offset:656
	v_mul_f64 v[62:63], v[122:123], v[62:63]
	v_accvgpr_write_b32 a119, v7
	v_fma_f64 v[252:253], v[120:121], v[60:61], -v[62:63]
	scratch_load_dwordx4 v[60:63], off, off offset:672
	v_accvgpr_write_b32 a118, v6
	v_accvgpr_write_b32 a117, v5
	;; [unrolled: 1-line block ×3, first 2 shown]
	s_waitcnt vmcnt(13)
	v_mov_b64_e32 v[4:5], v[8:9]
	v_mov_b64_e32 v[6:7], v[10:11]
	v_mul_f64 v[66:67], v[126:127], v[66:67]
	s_waitcnt lgkmcnt(1)
	v_mul_f64 v[112:113], v[96:97], v[6:7]
	v_fma_f64 v[254:255], v[124:125], v[64:65], -v[66:67]
	scratch_load_dwordx4 v[64:67], off, off offset:688
	v_fmac_f64_e32 v[112:113], v[98:99], v[4:5]
	s_waitcnt vmcnt(13)
	v_mov_b64_e32 v[4:5], v[12:13]
	v_mov_b64_e32 v[6:7], v[14:15]
	v_add_f64 v[0:1], v[0:1], v[112:113]
	s_waitcnt lgkmcnt(0)
	v_mul_f64 v[112:113], v[104:105], v[6:7]
	v_fmac_f64_e32 v[112:113], v[106:107], v[4:5]
	v_add_f64 v[0:1], v[0:1], v[112:113]
	ds_read_b128 v[112:115], v2 offset:1360
	ds_read_b128 v[116:119], v2 offset:1376
	v_mul_f64 v[70:71], v[130:131], v[70:71]
	v_fma_f64 v[232:233], v[128:129], v[68:69], -v[70:71]
	scratch_load_dwordx4 v[68:71], off, off offset:704
	v_mul_f64 v[74:75], v[134:135], v[74:75]
	v_accvgpr_write_b32 a123, v11
	s_waitcnt vmcnt(13)
	v_mov_b64_e32 v[4:5], v[16:17]
	v_fma_f64 v[28:29], v[132:133], v[72:73], -v[74:75]
	scratch_load_dwordx4 v[72:75], off, off offset:720
	v_accvgpr_write_b32 a122, v10
	v_accvgpr_write_b32 a121, v9
	;; [unrolled: 1-line block ×3, first 2 shown]
	v_mov_b64_e32 v[6:7], v[18:19]
	s_waitcnt vmcnt(13)
	v_mov_b64_e32 v[8:9], v[20:21]
	s_waitcnt lgkmcnt(1)
	v_mul_f64 v[120:121], v[112:113], v[6:7]
	v_mov_b64_e32 v[10:11], v[22:23]
	v_fmac_f64_e32 v[120:121], v[114:115], v[4:5]
	s_waitcnt lgkmcnt(0)
	v_mul_f64 v[6:7], v[116:117], v[10:11]
	v_add_f64 v[0:1], v[0:1], v[120:121]
	v_fmac_f64_e32 v[6:7], v[118:119], v[8:9]
	v_add_f64 v[0:1], v[0:1], v[6:7]
	v_mul_f64 v[6:7], v[150:151], v[78:79]
	v_accvgpr_write_b32 a135, v23
	v_fma_f64 v[24:25], v[148:149], v[76:77], -v[6:7]
	scratch_load_dwordx4 v[76:79], off, off offset:736
	v_mul_f64 v[6:7], v[162:163], v[82:83]
	ds_read_b128 v[124:127], v2 offset:1392
	ds_read_b128 v[120:123], v2 offset:1408
	v_accvgpr_write_b32 a131, v19
	v_accvgpr_write_b32 a134, v22
	;; [unrolled: 1-line block ×4, first 2 shown]
	v_fma_f64 v[20:21], v[160:161], v[80:81], -v[6:7]
	v_mul_f64 v[6:7], v[174:175], v[86:87]
	v_accvgpr_write_b32 a130, v18
	v_accvgpr_write_b32 a129, v17
	;; [unrolled: 1-line block ×3, first 2 shown]
	v_fma_f64 v[16:17], v[172:173], v[84:85], -v[6:7]
	scratch_load_dwordx4 v[84:87], off, off offset:752
	scratch_load_dwordx4 v[80:83], off, off offset:768
	s_waitcnt vmcnt(15)
	v_accvgpr_read_b32 v8, a112
	v_accvgpr_read_b32 v10, a114
	;; [unrolled: 1-line block ×4, first 2 shown]
	s_waitcnt lgkmcnt(1)
	v_mul_f64 v[6:7], v[124:125], v[10:11]
	v_fmac_f64_e32 v[6:7], v[126:127], v[8:9]
	v_add_f64 v[0:1], v[0:1], v[6:7]
	s_waitcnt vmcnt(14) lgkmcnt(0)
	v_mul_f64 v[6:7], v[120:121], v[236:237]
	v_fmac_f64_e32 v[6:7], v[122:123], v[234:235]
	v_accvgpr_write_b32 a127, v15
	v_add_f64 v[0:1], v[0:1], v[6:7]
	v_mul_f64 v[6:7], v[186:187], v[94:95]
	v_accvgpr_write_b32 a126, v14
	v_accvgpr_write_b32 a125, v13
	v_accvgpr_write_b32 a124, v12
	v_fma_f64 v[14:15], v[184:185], v[92:93], -v[6:7]
	scratch_load_dwordx4 v[92:95], off, off offset:784
	v_mul_f64 v[6:7], v[194:195], v[102:103]
	v_fma_f64 v[12:13], v[192:193], v[100:101], -v[6:7]
	scratch_load_dwordx4 v[100:103], off, off offset:800
	v_mul_f64 v[6:7], v[198:199], v[110:111]
	v_fma_f64 v[18:19], v[196:197], v[108:109], -v[6:7]
	scratch_load_dwordx4 v[108:111], off, off offset:816
	ds_read_b128 v[128:131], v2 offset:1424
	ds_read_b128 v[132:135], v2 offset:1440
	;; [unrolled: 1-line block ×4, first 2 shown]
	v_mul_f64 v[182:183], v[240:241], v[182:183]
	s_waitcnt vmcnt(16) lgkmcnt(3)
	v_mul_f64 v[6:7], v[128:129], v[34:35]
	v_fmac_f64_e32 v[6:7], v[130:131], v[32:33]
	v_add_f64 v[0:1], v[0:1], v[6:7]
	v_mul_f64 v[6:7], v[202:203], v[138:139]
	v_fma_f64 v[10:11], v[200:201], v[136:137], -v[6:7]
	ds_read_b128 v[136:139], v2 offset:1456
	s_waitcnt vmcnt(15) lgkmcnt(3)
	v_mul_f64 v[6:7], v[132:133], v[38:39]
	v_fmac_f64_e32 v[6:7], v[134:135], v[36:37]
	v_add_f64 v[0:1], v[0:1], v[6:7]
	v_mul_f64 v[6:7], v[206:207], v[142:143]
	v_fma_f64 v[22:23], v[204:205], v[140:141], -v[6:7]
	ds_read_b128 v[140:143], v2 offset:1472
	;; [unrolled: 7-line block ×3, first 2 shown]
	s_waitcnt vmcnt(13) lgkmcnt(1)
	v_mul_f64 v[6:7], v[140:141], v[46:47]
	v_fmac_f64_e32 v[6:7], v[142:143], v[44:45]
	v_add_f64 v[0:1], v[0:1], v[6:7]
	v_fma_f64 v[238:239], v[238:239], v[180:181], -v[182:183]
	s_waitcnt vmcnt(12) lgkmcnt(0)
	v_mul_f64 v[6:7], v[144:145], v[50:51]
	v_fmac_f64_e32 v[6:7], v[146:147], v[48:49]
	v_add_f64 v[0:1], v[0:1], v[6:7]
	v_mul_f64 v[6:7], v[214:215], v[154:155]
	v_fma_f64 v[26:27], v[212:213], v[152:153], -v[6:7]
	s_waitcnt vmcnt(11)
	v_mul_f64 v[6:7], v[148:149], v[54:55]
	v_fmac_f64_e32 v[6:7], v[150:151], v[52:53]
	ds_read_b128 v[152:155], v2 offset:1520
	v_add_f64 v[0:1], v[0:1], v[6:7]
	v_mul_f64 v[6:7], v[218:219], v[158:159]
	v_fma_f64 v[4:5], v[216:217], v[156:157], -v[6:7]
	ds_read_b128 v[156:159], v2 offset:1536
	s_waitcnt vmcnt(10) lgkmcnt(1)
	v_mul_f64 v[6:7], v[152:153], v[58:59]
	v_fmac_f64_e32 v[6:7], v[154:155], v[56:57]
	v_add_f64 v[0:1], v[0:1], v[6:7]
	ds_read_b128 v[180:183], v2 offset:1632
	s_waitcnt vmcnt(9) lgkmcnt(1)
	v_mul_f64 v[6:7], v[156:157], v[62:63]
	v_fmac_f64_e32 v[6:7], v[158:159], v[60:61]
	v_add_f64 v[0:1], v[0:1], v[6:7]
	v_mul_f64 v[6:7], v[222:223], v[166:167]
	v_fma_f64 v[30:31], v[220:221], v[164:165], -v[6:7]
	ds_read_b128 v[164:167], v2 offset:1568
	s_waitcnt vmcnt(8)
	v_mul_f64 v[6:7], v[160:161], v[66:67]
	v_fmac_f64_e32 v[6:7], v[162:163], v[64:65]
	v_add_f64 v[0:1], v[0:1], v[6:7]
	v_mul_f64 v[6:7], v[226:227], v[170:171]
	v_fma_f64 v[6:7], v[224:225], v[168:169], -v[6:7]
	ds_read_b128 v[168:171], v2 offset:1584
	s_waitcnt vmcnt(7) lgkmcnt(1)
	v_mul_f64 v[172:173], v[164:165], v[70:71]
	v_fmac_f64_e32 v[172:173], v[166:167], v[68:69]
	v_add_f64 v[0:1], v[0:1], v[172:173]
	ds_read_b128 v[172:175], v2 offset:1600
	s_waitcnt vmcnt(6) lgkmcnt(1)
	v_mul_f64 v[184:185], v[168:169], v[74:75]
	v_fmac_f64_e32 v[184:185], v[170:171], v[72:73]
	v_add_f64 v[184:185], v[0:1], v[184:185]
	v_mul_f64 v[0:1], v[230:231], v[178:179]
	v_fma_f64 v[0:1], v[228:229], v[176:177], -v[0:1]
	ds_read_b128 v[176:179], v2 offset:1616
	s_waitcnt vmcnt(5) lgkmcnt(1)
	v_mul_f64 v[186:187], v[172:173], v[78:79]
	v_fmac_f64_e32 v[186:187], v[174:175], v[76:77]
	v_add_f64 v[184:185], v[184:185], v[186:187]
	v_mul_f64 v[190:191], v[244:245], v[190:191]
	s_waitcnt vmcnt(4) lgkmcnt(0)
	v_mul_f64 v[186:187], v[176:177], v[86:87]
	v_fmac_f64_e32 v[186:187], v[178:179], v[84:85]
	v_add_f64 v[192:193], v[184:185], v[186:187]
	ds_read_b128 v[184:187], v2 offset:1648
	v_fma_f64 v[240:241], v[242:243], v[188:189], -v[190:191]
	ds_read_b128 v[188:191], v2 offset:1664
	s_waitcnt vmcnt(3)
	v_mul_f64 v[194:195], v[180:181], v[82:83]
	v_fmac_f64_e32 v[194:195], v[182:183], v[80:81]
	v_add_f64 v[192:193], v[192:193], v[194:195]
	s_waitcnt vmcnt(2) lgkmcnt(1)
	v_mul_f64 v[194:195], v[184:185], v[94:95]
	v_fmac_f64_e32 v[194:195], v[186:187], v[92:93]
	v_add_f64 v[192:193], v[192:193], v[194:195]
	s_waitcnt vmcnt(1) lgkmcnt(0)
	v_mul_f64 v[194:195], v[188:189], v[102:103]
	v_fmac_f64_e32 v[194:195], v[190:191], v[100:101]
	v_add_f64 v[196:197], v[192:193], v[194:195]
	ds_read_b128 v[192:195], v2 offset:1680
	ds_read_b128 v[200:203], v2 offset:1696
	;; [unrolled: 1-line block ×5, first 2 shown]
	s_waitcnt vmcnt(0) lgkmcnt(4)
	v_mul_f64 v[198:199], v[192:193], v[110:111]
	v_fmac_f64_e32 v[198:199], v[194:195], v[108:109]
	v_add_f64 v[204:205], v[196:197], v[198:199]
	scratch_load_dwordx4 v[196:199], off, off offset:832
	s_waitcnt vmcnt(0) lgkmcnt(3)
	v_mul_f64 v[206:207], v[200:201], v[198:199]
	v_fmac_f64_e32 v[206:207], v[202:203], v[196:197]
	v_add_f64 v[212:213], v[204:205], v[206:207]
	scratch_load_dwordx4 v[204:207], off, off offset:848
	;; [unrolled: 5-line block ×4, first 2 shown]
	s_waitcnt vmcnt(0) lgkmcnt(0)
	v_mul_f64 v[230:231], v[224:225], v[222:223]
	v_fmac_f64_e32 v[230:231], v[226:227], v[220:221]
	v_add_f64 v[242:243], v[228:229], v[230:231]
	v_add_f64 v[228:229], v[246:247], 0
	;; [unrolled: 1-line block ×8, first 2 shown]
	scratch_load_dwordx4 v[228:231], off, off offset:64
	v_add_f64 v[24:25], v[28:29], v[24:25]
	v_add_f64 v[20:21], v[24:25], v[20:21]
	;; [unrolled: 1-line block ×13, first 2 shown]
	v_accvgpr_read_b32 v6, a116
	v_accvgpr_read_b32 v8, a118
	;; [unrolled: 1-line block ×3, first 2 shown]
	v_add_f64 v[0:1], v[4:5], v[0:1]
	v_accvgpr_read_b32 v7, a117
	v_mul_f64 v[4:5], v[90:91], v[8:9]
	v_add_f64 v[0:1], v[0:1], v[238:239]
	v_fma_f64 v[4:5], v[88:89], v[6:7], -v[4:5]
	v_accvgpr_read_b32 v6, a120
	v_add_f64 v[0:1], v[0:1], v[240:241]
	v_accvgpr_read_b32 v8, a122
	v_accvgpr_read_b32 v9, a123
	v_add_f64 v[0:1], v[0:1], v[4:5]
	v_accvgpr_read_b32 v7, a121
	v_mul_f64 v[4:5], v[98:99], v[8:9]
	v_fma_f64 v[4:5], v[96:97], v[6:7], -v[4:5]
	v_accvgpr_read_b32 v6, a124
	v_accvgpr_read_b32 v8, a126
	v_accvgpr_read_b32 v9, a127
	v_add_f64 v[0:1], v[0:1], v[4:5]
	v_accvgpr_read_b32 v7, a125
	v_mul_f64 v[4:5], v[106:107], v[8:9]
	v_fma_f64 v[4:5], v[104:105], v[6:7], -v[4:5]
	v_accvgpr_read_b32 v6, a128
	;; [unrolled: 7-line block ×4, first 2 shown]
	v_accvgpr_read_b32 v8, a114
	v_accvgpr_read_b32 v9, a115
	v_add_f64 v[0:1], v[0:1], v[4:5]
	v_accvgpr_read_b32 v7, a113
	v_mul_f64 v[4:5], v[126:127], v[8:9]
	v_fma_f64 v[4:5], v[124:125], v[6:7], -v[4:5]
	v_add_f64 v[0:1], v[0:1], v[4:5]
	v_mul_f64 v[4:5], v[122:123], v[236:237]
	v_fma_f64 v[4:5], v[120:121], v[234:235], -v[4:5]
	v_add_f64 v[0:1], v[0:1], v[4:5]
	;; [unrolled: 3-line block ×23, first 2 shown]
	s_waitcnt vmcnt(0)
	v_add_f64 v[4:5], v[228:229], -v[0:1]
	v_accvgpr_read_b32 v0, a110
	v_add_f64 v[6:7], v[230:231], -v[242:243]
	v_cmp_lt_u32_e32 vcc, 2, v0
	scratch_store_dwordx4 off, v[4:7], off offset:64
	s_and_saveexec_b64 s[0:1], vcc
	s_cbranch_execz .LBB54_339
; %bb.338:
	scratch_load_dwordx4 v[6:9], off, s69
	v_mov_b32_e32 v3, v2
	v_mov_b32_e32 v4, v2
	;; [unrolled: 1-line block ×3, first 2 shown]
	v_accvgpr_read_b32 v0, a111
	scratch_store_dwordx4 off, v[2:5], off offset:48
	s_waitcnt vmcnt(1)
	ds_write_b128 v0, v[6:9]
.LBB54_339:
	s_or_b64 exec, exec, s[0:1]
	s_waitcnt lgkmcnt(0)
	; wave barrier
	scratch_load_dwordx4 v[48:51], off, off offset:64
	scratch_load_dwordx4 v[52:55], off, off offset:80
	;; [unrolled: 1-line block ×18, first 2 shown]
	ds_read_b128 v[104:107], v2 offset:928
	ds_read_b128 v[208:211], v2 offset:944
	;; [unrolled: 1-line block ×6, first 2 shown]
	scratch_load_dwordx4 v[164:167], off, off offset:352
	ds_read_b128 v[192:195], v2 offset:1024
	ds_read_b128 v[124:127], v2 offset:1040
	scratch_load_dwordx4 v[168:171], off, off offset:368
	ds_read_b128 v[212:215], v2 offset:1056
	ds_read_b128 v[204:207], v2 offset:1072
	;; [unrolled: 1-line block ×5, first 2 shown]
	scratch_load_dwordx4 v[176:179], off, off offset:384
	ds_read_b128 v[200:203], v2 offset:1136
	ds_read_b128 v[172:175], v2 offset:1152
	scratch_load_dwordx4 v[180:183], off, off offset:400
	ds_read_b128 v[216:219], v2 offset:1168
	ds_read_b128 v[184:187], v2 offset:1184
	;; [unrolled: 1-line block ×3, first 2 shown]
	scratch_load_dwordx4 v[188:191], off, off offset:416
	scratch_load_dwordx4 v[4:7], off, off offset:432
	;; [unrolled: 1-line block ×8, first 2 shown]
	ds_read_b128 v[220:223], v2 offset:1216
	ds_read_b128 v[224:227], v2 offset:1232
	;; [unrolled: 1-line block ×5, first 2 shown]
	s_waitcnt vmcnt(29) lgkmcnt(14)
	v_mul_f64 v[0:1], v[104:105], v[50:51]
	s_waitcnt vmcnt(28)
	v_mul_f64 v[24:25], v[208:209], v[54:55]
	v_fmac_f64_e32 v[0:1], v[106:107], v[48:49]
	s_waitcnt vmcnt(27)
	v_mul_f64 v[26:27], v[196:197], v[58:59]
	v_fmac_f64_e32 v[24:25], v[210:211], v[52:53]
	v_add_f64 v[0:1], v[0:1], 0
	s_waitcnt vmcnt(26)
	v_mul_f64 v[28:29], v[112:113], v[62:63]
	v_fmac_f64_e32 v[26:27], v[198:199], v[56:57]
	v_add_f64 v[0:1], v[0:1], v[24:25]
	;; [unrolled: 4-line block ×7, first 2 shown]
	s_waitcnt vmcnt(20) lgkmcnt(13)
	v_mul_f64 v[40:41], v[204:205], v[86:87]
	v_fmac_f64_e32 v[38:39], v[214:215], v[80:81]
	v_add_f64 v[0:1], v[0:1], v[36:37]
	s_waitcnt vmcnt(19) lgkmcnt(12)
	v_mul_f64 v[42:43], v[128:129], v[94:95]
	v_fmac_f64_e32 v[40:41], v[206:207], v[84:85]
	v_add_f64 v[0:1], v[0:1], v[38:39]
	;; [unrolled: 4-line block ×8, first 2 shown]
	v_fmac_f64_e32 v[98:99], v[186:187], v[152:153]
	v_add_f64 v[0:1], v[0:1], v[96:97]
	s_waitcnt vmcnt(12) lgkmcnt(5)
	v_mul_f64 v[32:33], v[160:161], v[158:159]
	v_add_f64 v[0:1], v[0:1], v[98:99]
	v_fmac_f64_e32 v[32:33], v[162:163], v[156:157]
	v_add_f64 v[0:1], v[0:1], v[32:33]
	s_waitcnt vmcnt(11) lgkmcnt(4)
	v_mul_f64 v[32:33], v[220:221], v[166:167]
	v_fmac_f64_e32 v[32:33], v[222:223], v[164:165]
	v_add_f64 v[0:1], v[0:1], v[32:33]
	scratch_load_dwordx4 v[32:35], off, off offset:544
	s_waitcnt vmcnt(11) lgkmcnt(3)
	v_mul_f64 v[36:37], v[224:225], v[170:171]
	v_fmac_f64_e32 v[36:37], v[226:227], v[168:169]
	v_add_f64 v[0:1], v[0:1], v[36:37]
	s_waitcnt vmcnt(10) lgkmcnt(2)
	v_mul_f64 v[36:37], v[228:229], v[178:179]
	v_fmac_f64_e32 v[36:37], v[230:231], v[176:177]
	v_add_f64 v[0:1], v[0:1], v[36:37]
	scratch_load_dwordx4 v[36:39], off, off offset:560
	s_waitcnt vmcnt(10) lgkmcnt(1)
	v_mul_f64 v[40:41], v[232:233], v[182:183]
	v_fmac_f64_e32 v[40:41], v[234:235], v[180:181]
	ds_read_b128 v[88:91], v2 offset:1296
	s_waitcnt vmcnt(9) lgkmcnt(1)
	v_mul_f64 v[44:45], v[236:237], v[190:191]
	v_add_f64 v[0:1], v[0:1], v[40:41]
	scratch_load_dwordx4 v[40:43], off, off offset:576
	v_fmac_f64_e32 v[44:45], v[238:239], v[188:189]
	v_add_f64 v[0:1], v[0:1], v[44:45]
	scratch_load_dwordx4 v[44:47], off, off offset:592
	v_mul_f64 v[50:51], v[106:107], v[50:51]
	v_fma_f64 v[242:243], v[104:105], v[48:49], -v[50:51]
	scratch_load_dwordx4 v[48:51], off, off offset:608
	s_waitcnt vmcnt(11) lgkmcnt(0)
	v_mul_f64 v[96:97], v[88:89], v[6:7]
	v_mul_f64 v[54:55], v[210:211], v[54:55]
	v_fmac_f64_e32 v[96:97], v[90:91], v[4:5]
	v_fma_f64 v[244:245], v[208:209], v[52:53], -v[54:55]
	scratch_load_dwordx4 v[52:55], off, off offset:624
	v_mul_f64 v[58:59], v[198:199], v[58:59]
	v_add_f64 v[0:1], v[0:1], v[96:97]
	ds_read_b128 v[96:99], v2 offset:1312
	ds_read_b128 v[104:107], v2 offset:1328
	v_fma_f64 v[246:247], v[196:197], v[56:57], -v[58:59]
	scratch_load_dwordx4 v[56:59], off, off offset:640
	v_mul_f64 v[62:63], v[114:115], v[62:63]
	v_accvgpr_write_b32 a123, v7
	v_fma_f64 v[248:249], v[112:113], v[60:61], -v[62:63]
	scratch_load_dwordx4 v[60:63], off, off offset:656
	v_accvgpr_write_b32 a122, v6
	v_accvgpr_write_b32 a121, v5
	;; [unrolled: 1-line block ×3, first 2 shown]
	s_waitcnt vmcnt(13)
	v_mov_b64_e32 v[4:5], v[8:9]
	v_mov_b64_e32 v[6:7], v[10:11]
	s_waitcnt lgkmcnt(1)
	v_mul_f64 v[208:209], v[96:97], v[6:7]
	v_fmac_f64_e32 v[208:209], v[98:99], v[4:5]
	s_waitcnt vmcnt(12)
	v_mov_b64_e32 v[4:5], v[12:13]
	ds_read_b128 v[112:115], v2 offset:1344
	v_mov_b64_e32 v[6:7], v[14:15]
	s_waitcnt lgkmcnt(1)
	v_mul_f64 v[196:197], v[104:105], v[6:7]
	v_mul_f64 v[66:67], v[122:123], v[66:67]
	;; [unrolled: 1-line block ×3, first 2 shown]
	v_fmac_f64_e32 v[196:197], v[106:107], v[4:5]
	v_fma_f64 v[250:251], v[120:121], v[64:65], -v[66:67]
	scratch_load_dwordx4 v[64:67], off, off offset:672
	v_fma_f64 v[252:253], v[116:117], v[68:69], -v[70:71]
	ds_read_b128 v[116:119], v2 offset:1360
	s_waitcnt vmcnt(12)
	v_mov_b64_e32 v[4:5], v[16:17]
	v_mov_b64_e32 v[6:7], v[18:19]
	scratch_load_dwordx4 v[68:71], off, off offset:688
	s_waitcnt lgkmcnt(1)
	v_mul_f64 v[120:121], v[112:113], v[6:7]
	v_mul_f64 v[74:75], v[194:195], v[74:75]
	v_add_f64 v[0:1], v[0:1], v[208:209]
	v_fmac_f64_e32 v[120:121], v[114:115], v[4:5]
	v_fma_f64 v[240:241], v[192:193], v[72:73], -v[74:75]
	s_waitcnt vmcnt(12)
	v_mov_b64_e32 v[4:5], v[20:21]
	scratch_load_dwordx4 v[72:75], off, off offset:704
	v_add_f64 v[0:1], v[0:1], v[196:197]
	v_mov_b64_e32 v[6:7], v[22:23]
	v_add_f64 v[0:1], v[0:1], v[120:121]
	s_waitcnt lgkmcnt(0)
	v_mul_f64 v[120:121], v[116:117], v[6:7]
	v_fmac_f64_e32 v[120:121], v[118:119], v[4:5]
	v_mul_f64 v[78:79], v[126:127], v[78:79]
	v_add_f64 v[0:1], v[0:1], v[120:121]
	v_fma_f64 v[28:29], v[124:125], v[76:77], -v[78:79]
	scratch_load_dwordx4 v[76:79], off, off offset:720
	ds_read_b128 v[124:127], v2 offset:1376
	ds_read_b128 v[120:123], v2 offset:1392
	v_mul_f64 v[6:7], v[214:215], v[82:83]
	v_fma_f64 v[24:25], v[212:213], v[80:81], -v[6:7]
	s_waitcnt vmcnt(13)
	v_accvgpr_read_b32 v4, a112
	v_accvgpr_write_b32 a127, v11
	v_accvgpr_write_b32 a139, v23
	v_mul_f64 v[80:81], v[206:207], v[86:87]
	v_accvgpr_read_b32 v6, a114
	v_accvgpr_read_b32 v7, a115
	v_accvgpr_write_b32 a126, v10
	v_accvgpr_write_b32 a125, v9
	;; [unrolled: 1-line block ×6, first 2 shown]
	v_fma_f64 v[20:21], v[204:205], v[84:85], -v[80:81]
	scratch_load_dwordx4 v[84:87], off, off offset:736
	v_accvgpr_read_b32 v5, a113
	s_waitcnt lgkmcnt(1)
	v_mul_f64 v[10:11], v[124:125], v[6:7]
	v_fmac_f64_e32 v[10:11], v[126:127], v[4:5]
	s_waitcnt vmcnt(13)
	v_accvgpr_read_b32 v4, a116
	v_accvgpr_read_b32 v6, a118
	;; [unrolled: 1-line block ×3, first 2 shown]
	v_add_f64 v[0:1], v[0:1], v[10:11]
	v_accvgpr_read_b32 v5, a117
	s_waitcnt lgkmcnt(0)
	v_mul_f64 v[10:11], v[120:121], v[6:7]
	v_fmac_f64_e32 v[10:11], v[122:123], v[4:5]
	v_accvgpr_write_b32 a135, v19
	scratch_load_dwordx4 v[80:83], off, off offset:752
	v_add_f64 v[0:1], v[0:1], v[10:11]
	v_mul_f64 v[10:11], v[130:131], v[94:95]
	v_accvgpr_write_b32 a131, v15
	v_accvgpr_write_b32 a134, v18
	;; [unrolled: 1-line block ×4, first 2 shown]
	v_fma_f64 v[16:17], v[128:129], v[92:93], -v[10:11]
	v_mul_f64 v[92:93], v[134:135], v[102:103]
	v_accvgpr_write_b32 a130, v14
	v_accvgpr_write_b32 a129, v13
	;; [unrolled: 1-line block ×3, first 2 shown]
	v_fma_f64 v[12:13], v[132:133], v[100:101], -v[92:93]
	scratch_load_dwordx4 v[92:95], off, off offset:768
	ds_read_b128 v[128:131], v2 offset:1408
	ds_read_b128 v[132:135], v2 offset:1424
	scratch_load_dwordx4 v[100:103], off, off offset:784
	v_mul_f64 v[14:15], v[150:151], v[110:111]
	v_fma_f64 v[14:15], v[148:149], v[108:109], -v[14:15]
	s_waitcnt vmcnt(15) lgkmcnt(1)
	v_mul_f64 v[108:109], v[128:129], v[34:35]
	v_fmac_f64_e32 v[108:109], v[130:131], v[32:33]
	v_add_f64 v[0:1], v[0:1], v[108:109]
	v_mul_f64 v[108:109], v[202:203], v[138:139]
	v_fma_f64 v[10:11], v[200:201], v[136:137], -v[108:109]
	scratch_load_dwordx4 v[108:111], off, off offset:800
	s_waitcnt vmcnt(15) lgkmcnt(0)
	v_mul_f64 v[18:19], v[132:133], v[38:39]
	v_fmac_f64_e32 v[18:19], v[134:135], v[36:37]
	ds_read_b128 v[136:139], v2 offset:1440
	v_add_f64 v[0:1], v[0:1], v[18:19]
	v_mul_f64 v[18:19], v[174:175], v[142:143]
	v_fma_f64 v[18:19], v[172:173], v[140:141], -v[18:19]
	ds_read_b128 v[140:143], v2 offset:1456
	v_mul_f64 v[146:147], v[218:219], v[146:147]
	v_fma_f64 v[8:9], v[216:217], v[144:145], -v[146:147]
	ds_read_b128 v[144:147], v2 offset:1472
	s_waitcnt vmcnt(14) lgkmcnt(2)
	v_mul_f64 v[148:149], v[136:137], v[42:43]
	v_fmac_f64_e32 v[148:149], v[138:139], v[40:41]
	s_waitcnt vmcnt(13) lgkmcnt(1)
	v_mul_f64 v[22:23], v[140:141], v[46:47]
	v_add_f64 v[0:1], v[0:1], v[148:149]
	v_fmac_f64_e32 v[22:23], v[142:143], v[44:45]
	ds_read_b128 v[148:151], v2 offset:1488
	v_add_f64 v[0:1], v[0:1], v[22:23]
	s_waitcnt vmcnt(12) lgkmcnt(1)
	v_mul_f64 v[22:23], v[144:145], v[50:51]
	v_fmac_f64_e32 v[22:23], v[146:147], v[48:49]
	v_add_f64 v[0:1], v[0:1], v[22:23]
	v_mul_f64 v[22:23], v[186:187], v[154:155]
	v_fma_f64 v[22:23], v[184:185], v[152:153], -v[22:23]
	ds_read_b128 v[152:155], v2 offset:1504
	v_mul_f64 v[158:159], v[162:163], v[158:159]
	v_fma_f64 v[6:7], v[160:161], v[156:157], -v[158:159]
	ds_read_b128 v[156:159], v2 offset:1520
	s_waitcnt vmcnt(11) lgkmcnt(2)
	v_mul_f64 v[172:173], v[148:149], v[54:55]
	v_fmac_f64_e32 v[172:173], v[150:151], v[52:53]
	s_waitcnt vmcnt(10) lgkmcnt(1)
	v_mul_f64 v[26:27], v[152:153], v[58:59]
	v_add_f64 v[0:1], v[0:1], v[172:173]
	v_fmac_f64_e32 v[26:27], v[154:155], v[56:57]
	v_add_f64 v[0:1], v[0:1], v[26:27]
	s_waitcnt vmcnt(9) lgkmcnt(0)
	v_mul_f64 v[26:27], v[156:157], v[62:63]
	v_fmac_f64_e32 v[26:27], v[158:159], v[60:61]
	ds_read_b128 v[160:163], v2 offset:1536
	v_add_f64 v[0:1], v[0:1], v[26:27]
	v_mul_f64 v[26:27], v[222:223], v[166:167]
	v_fma_f64 v[26:27], v[220:221], v[164:165], -v[26:27]
	ds_read_b128 v[164:167], v2 offset:1552
	v_mul_f64 v[170:171], v[226:227], v[170:171]
	v_fma_f64 v[4:5], v[224:225], v[168:169], -v[170:171]
	ds_read_b128 v[168:171], v2 offset:1568
	s_waitcnt vmcnt(8) lgkmcnt(2)
	v_mul_f64 v[172:173], v[160:161], v[66:67]
	v_fmac_f64_e32 v[172:173], v[162:163], v[64:65]
	s_waitcnt vmcnt(7) lgkmcnt(1)
	v_mul_f64 v[30:31], v[164:165], v[70:71]
	v_add_f64 v[0:1], v[0:1], v[172:173]
	v_fmac_f64_e32 v[30:31], v[166:167], v[68:69]
	v_add_f64 v[0:1], v[0:1], v[30:31]
	ds_read_b128 v[172:175], v2 offset:1584
	s_waitcnt vmcnt(6) lgkmcnt(1)
	v_mul_f64 v[30:31], v[168:169], v[74:75]
	v_fmac_f64_e32 v[30:31], v[170:171], v[72:73]
	v_add_f64 v[30:31], v[0:1], v[30:31]
	v_mul_f64 v[0:1], v[230:231], v[178:179]
	v_fma_f64 v[0:1], v[228:229], v[176:177], -v[0:1]
	ds_read_b128 v[176:179], v2 offset:1600
	v_mul_f64 v[182:183], v[234:235], v[182:183]
	s_waitcnt vmcnt(5) lgkmcnt(1)
	v_mul_f64 v[184:185], v[172:173], v[78:79]
	v_fma_f64 v[180:181], v[232:233], v[180:181], -v[182:183]
	v_fmac_f64_e32 v[184:185], v[174:175], v[76:77]
	v_accvgpr_write_b32 a140, v180
	v_mul_f64 v[190:191], v[238:239], v[190:191]
	v_accvgpr_write_b32 a141, v181
	ds_read_b128 v[180:183], v2 offset:1616
	v_add_f64 v[30:31], v[30:31], v[184:185]
	v_fma_f64 v[254:255], v[236:237], v[188:189], -v[190:191]
	scratch_load_dwordx4 v[236:239], off, off offset:48
	s_waitcnt vmcnt(5) lgkmcnt(1)
	v_mul_f64 v[184:185], v[176:177], v[86:87]
	v_fmac_f64_e32 v[184:185], v[178:179], v[84:85]
	v_add_f64 v[30:31], v[30:31], v[184:185]
	ds_read_b128 v[184:187], v2 offset:1632
	ds_read_b128 v[188:191], v2 offset:1648
	s_waitcnt vmcnt(4) lgkmcnt(2)
	v_mul_f64 v[192:193], v[180:181], v[82:83]
	v_fmac_f64_e32 v[192:193], v[182:183], v[80:81]
	v_add_f64 v[30:31], v[30:31], v[192:193]
	s_waitcnt vmcnt(3) lgkmcnt(1)
	v_mul_f64 v[192:193], v[184:185], v[94:95]
	v_fmac_f64_e32 v[192:193], v[186:187], v[92:93]
	v_add_f64 v[30:31], v[30:31], v[192:193]
	;; [unrolled: 4-line block ×3, first 2 shown]
	ds_read_b128 v[192:195], v2 offset:1664
	ds_read_b128 v[200:203], v2 offset:1680
	scratch_load_dwordx4 v[232:235], off, off offset:880
	ds_read_b128 v[208:211], v2 offset:1696
	ds_read_b128 v[216:219], v2 offset:1712
	s_waitcnt vmcnt(2) lgkmcnt(3)
	v_mul_f64 v[196:197], v[192:193], v[110:111]
	v_fmac_f64_e32 v[196:197], v[194:195], v[108:109]
	v_add_f64 v[30:31], v[30:31], v[196:197]
	scratch_load_dwordx4 v[196:199], off, off offset:816
	ds_read_b128 v[224:227], v2 offset:1728
	s_waitcnt vmcnt(0) lgkmcnt(3)
	v_mul_f64 v[204:205], v[200:201], v[198:199]
	v_fmac_f64_e32 v[204:205], v[202:203], v[196:197]
	v_add_f64 v[30:31], v[30:31], v[204:205]
	scratch_load_dwordx4 v[204:207], off, off offset:832
	s_waitcnt vmcnt(0) lgkmcnt(2)
	v_mul_f64 v[212:213], v[208:209], v[206:207]
	v_fmac_f64_e32 v[212:213], v[210:211], v[204:205]
	v_add_f64 v[30:31], v[30:31], v[212:213]
	scratch_load_dwordx4 v[212:215], off, off offset:848
	;; [unrolled: 5-line block ×3, first 2 shown]
	s_waitcnt vmcnt(0) lgkmcnt(0)
	v_mul_f64 v[228:229], v[224:225], v[222:223]
	v_fmac_f64_e32 v[228:229], v[226:227], v[220:221]
	v_add_f64 v[30:31], v[30:31], v[228:229]
	ds_read_b128 v[228:231], v2 offset:1744
	s_waitcnt lgkmcnt(0)
	v_mul_f64 v[2:3], v[228:229], v[234:235]
	v_fmac_f64_e32 v[2:3], v[230:231], v[232:233]
	v_add_f64 v[2:3], v[30:31], v[2:3]
	v_add_f64 v[30:31], v[242:243], 0
	;; [unrolled: 1-line block ×21, first 2 shown]
	v_accvgpr_read_b32 v6, a120
	v_add_f64 v[242:243], v[4:5], v[0:1]
	v_accvgpr_read_b32 v0, a140
	v_accvgpr_read_b32 v8, a122
	;; [unrolled: 1-line block ×5, first 2 shown]
	v_mul_f64 v[4:5], v[90:91], v[8:9]
	v_add_f64 v[0:1], v[242:243], v[0:1]
	v_fma_f64 v[4:5], v[88:89], v[6:7], -v[4:5]
	v_accvgpr_read_b32 v6, a124
	v_add_f64 v[0:1], v[0:1], v[254:255]
	v_accvgpr_read_b32 v8, a126
	v_accvgpr_read_b32 v9, a127
	v_add_f64 v[0:1], v[0:1], v[4:5]
	v_accvgpr_read_b32 v7, a125
	v_mul_f64 v[4:5], v[98:99], v[8:9]
	v_fma_f64 v[4:5], v[96:97], v[6:7], -v[4:5]
	v_accvgpr_read_b32 v6, a128
	v_accvgpr_read_b32 v8, a130
	v_accvgpr_read_b32 v9, a131
	v_add_f64 v[0:1], v[0:1], v[4:5]
	v_accvgpr_read_b32 v7, a129
	v_mul_f64 v[4:5], v[106:107], v[8:9]
	v_fma_f64 v[4:5], v[104:105], v[6:7], -v[4:5]
	v_accvgpr_read_b32 v6, a132
	;; [unrolled: 7-line block ×5, first 2 shown]
	v_accvgpr_read_b32 v8, a118
	v_accvgpr_read_b32 v9, a119
	v_add_f64 v[0:1], v[0:1], v[4:5]
	v_accvgpr_read_b32 v7, a117
	v_mul_f64 v[4:5], v[122:123], v[8:9]
	v_fma_f64 v[4:5], v[120:121], v[6:7], -v[4:5]
	v_add_f64 v[0:1], v[0:1], v[4:5]
	v_mul_f64 v[4:5], v[130:131], v[34:35]
	v_fma_f64 v[4:5], v[128:129], v[32:33], -v[4:5]
	v_add_f64 v[0:1], v[0:1], v[4:5]
	;; [unrolled: 3-line block ×23, first 2 shown]
	v_add_f64 v[4:5], v[236:237], -v[0:1]
	v_accvgpr_read_b32 v0, a110
	v_add_f64 v[6:7], v[238:239], -v[2:3]
	v_cmp_lt_u32_e32 vcc, 1, v0
	scratch_store_dwordx4 off, v[4:7], off offset:48
	s_and_saveexec_b64 s[0:1], vcc
	s_cbranch_execz .LBB54_341
; %bb.340:
	scratch_load_dwordx4 v[2:5], off, s70
	v_mov_b32_e32 v6, 0
	v_mov_b32_e32 v7, v6
	;; [unrolled: 1-line block ×4, first 2 shown]
	v_accvgpr_read_b32 v0, a111
	scratch_store_dwordx4 off, v[6:9], off offset:32
	s_waitcnt vmcnt(1)
	ds_write_b128 v0, v[2:5]
.LBB54_341:
	s_or_b64 exec, exec, s[0:1]
	s_waitcnt lgkmcnt(0)
	; wave barrier
	scratch_load_dwordx4 v[40:43], off, off offset:48
	scratch_load_dwordx4 v[44:47], off, off offset:64
	;; [unrolled: 1-line block ×29, first 2 shown]
	v_mov_b32_e32 v2, 0
	ds_read_b128 v[80:83], v2 offset:912
	ds_read_b128 v[100:103], v2 offset:928
	;; [unrolled: 1-line block ×18, first 2 shown]
	scratch_load_dwordx4 a[112:115], off, off offset:512
	scratch_load_dwordx4 a[116:119], off, off offset:528
	;; [unrolled: 1-line block ×4, first 2 shown]
	ds_read_b128 v[228:231], v2 offset:1264
	ds_read_b128 v[238:241], v2 offset:1280
	ds_read_b128 v[242:245], v2 offset:1296
	ds_read_b128 v[224:227], v2 offset:1248
	s_waitcnt vmcnt(32) lgkmcnt(14)
	v_mul_f64 v[0:1], v[80:81], v[42:43]
	s_waitcnt vmcnt(31)
	v_mul_f64 v[20:21], v[100:101], v[46:47]
	v_fmac_f64_e32 v[0:1], v[82:83], v[40:41]
	s_waitcnt vmcnt(30)
	v_mul_f64 v[22:23], v[104:105], v[50:51]
	v_fmac_f64_e32 v[20:21], v[102:103], v[44:45]
	v_add_f64 v[0:1], v[0:1], 0
	s_waitcnt vmcnt(29)
	v_mul_f64 v[24:25], v[108:109], v[54:55]
	v_fmac_f64_e32 v[22:23], v[106:107], v[48:49]
	v_add_f64 v[0:1], v[0:1], v[20:21]
	s_waitcnt vmcnt(28)
	v_mul_f64 v[26:27], v[112:113], v[58:59]
	v_fmac_f64_e32 v[24:25], v[110:111], v[52:53]
	v_add_f64 v[0:1], v[0:1], v[22:23]
	s_waitcnt vmcnt(27)
	v_mul_f64 v[28:29], v[116:117], v[62:63]
	v_fmac_f64_e32 v[26:27], v[114:115], v[56:57]
	v_add_f64 v[0:1], v[0:1], v[24:25]
	s_waitcnt vmcnt(26)
	v_mul_f64 v[30:31], v[120:121], v[66:67]
	v_fmac_f64_e32 v[28:29], v[118:119], v[60:61]
	v_add_f64 v[0:1], v[0:1], v[26:27]
	s_waitcnt vmcnt(25)
	v_mul_f64 v[32:33], v[132:133], v[70:71]
	v_fmac_f64_e32 v[30:31], v[122:123], v[64:65]
	v_add_f64 v[0:1], v[0:1], v[28:29]
	s_waitcnt vmcnt(24) lgkmcnt(13)
	v_mul_f64 v[34:35], v[144:145], v[74:75]
	v_fmac_f64_e32 v[32:33], v[134:135], v[68:69]
	v_add_f64 v[0:1], v[0:1], v[30:31]
	s_waitcnt vmcnt(23) lgkmcnt(12)
	v_mul_f64 v[36:37], v[156:157], v[78:79]
	v_fmac_f64_e32 v[34:35], v[146:147], v[72:73]
	v_add_f64 v[0:1], v[0:1], v[32:33]
	;; [unrolled: 4-line block ×7, first 2 shown]
	v_fmac_f64_e32 v[218:219], v[198:199], v[124:125]
	v_add_f64 v[0:1], v[0:1], v[216:217]
	ds_read_b128 v[212:215], v2 offset:1200
	s_waitcnt vmcnt(17) lgkmcnt(7)
	v_mul_f64 v[220:221], v[200:201], v[130:131]
	v_add_f64 v[0:1], v[0:1], v[218:219]
	ds_read_b128 v[216:219], v2 offset:1216
	v_fmac_f64_e32 v[220:221], v[202:203], v[128:129]
	s_waitcnt vmcnt(16) lgkmcnt(7)
	v_mul_f64 v[20:21], v[204:205], v[138:139]
	v_add_f64 v[0:1], v[0:1], v[220:221]
	v_fmac_f64_e32 v[20:21], v[206:207], v[136:137]
	s_waitcnt vmcnt(15) lgkmcnt(6)
	v_mul_f64 v[24:25], v[208:209], v[142:143]
	ds_read_b128 v[220:223], v2 offset:1232
	v_add_f64 v[0:1], v[0:1], v[20:21]
	v_fmac_f64_e32 v[24:25], v[210:211], v[140:141]
	v_add_f64 v[0:1], v[0:1], v[24:25]
	s_waitcnt vmcnt(14) lgkmcnt(2)
	v_mul_f64 v[24:25], v[212:213], v[150:151]
	v_fmac_f64_e32 v[24:25], v[214:215], v[148:149]
	s_waitcnt vmcnt(13) lgkmcnt(1)
	v_mul_f64 v[28:29], v[216:217], v[154:155]
	v_add_f64 v[0:1], v[0:1], v[24:25]
	v_fmac_f64_e32 v[28:29], v[218:219], v[152:153]
	v_add_f64 v[0:1], v[0:1], v[28:29]
	s_waitcnt vmcnt(12) lgkmcnt(0)
	v_mul_f64 v[28:29], v[220:221], v[162:163]
	v_fmac_f64_e32 v[28:29], v[222:223], v[160:161]
	s_waitcnt vmcnt(11)
	v_mul_f64 v[32:33], v[224:225], v[166:167]
	v_add_f64 v[0:1], v[0:1], v[28:29]
	v_fmac_f64_e32 v[32:33], v[226:227], v[164:165]
	v_add_f64 v[0:1], v[0:1], v[32:33]
	s_waitcnt vmcnt(10)
	v_mul_f64 v[32:33], v[228:229], v[174:175]
	v_fmac_f64_e32 v[32:33], v[230:231], v[172:173]
	s_waitcnt vmcnt(9)
	v_mul_f64 v[36:37], v[238:239], v[178:179]
	v_add_f64 v[0:1], v[0:1], v[32:33]
	v_fmac_f64_e32 v[36:37], v[240:241], v[176:177]
	v_mul_f64 v[42:43], v[82:83], v[42:43]
	v_add_f64 v[0:1], v[0:1], v[36:37]
	scratch_load_dwordx4 v[36:39], off, off offset:576
	v_fma_f64 v[246:247], v[80:81], v[40:41], -v[42:43]
	ds_read_b128 v[80:83], v2 offset:1312
	s_waitcnt vmcnt(9)
	v_mul_f64 v[40:41], v[242:243], v[186:187]
	v_fmac_f64_e32 v[40:41], v[244:245], v[184:185]
	v_add_f64 v[0:1], v[0:1], v[40:41]
	v_mul_f64 v[40:41], v[102:103], v[46:47]
	v_fma_f64 v[248:249], v[100:101], v[44:45], -v[40:41]
	scratch_load_dwordx4 v[40:43], off, off offset:592
	s_waitcnt vmcnt(9) lgkmcnt(0)
	v_mul_f64 v[44:45], v[80:81], v[6:7]
	v_fmac_f64_e32 v[44:45], v[82:83], v[4:5]
	v_add_f64 v[0:1], v[0:1], v[44:45]
	scratch_load_dwordx4 v[44:47], off, off offset:608
	v_mul_f64 v[50:51], v[106:107], v[50:51]
	v_fma_f64 v[250:251], v[104:105], v[48:49], -v[50:51]
	ds_read_b128 v[100:103], v2 offset:1328
	v_mul_f64 v[48:49], v[110:111], v[54:55]
	v_fma_f64 v[252:253], v[108:109], v[52:53], -v[48:49]
	scratch_load_dwordx4 v[52:55], off, off offset:624
	scratch_load_dwordx4 v[48:51], off, off offset:640
	v_accvgpr_write_b32 a127, v7
	v_accvgpr_write_b32 a126, v6
	;; [unrolled: 1-line block ×4, first 2 shown]
	s_waitcnt vmcnt(11)
	v_mov_b64_e32 v[4:5], v[8:9]
	v_mul_f64 v[58:59], v[114:115], v[58:59]
	v_mov_b64_e32 v[6:7], v[10:11]
	v_fma_f64 v[232:233], v[112:113], v[56:57], -v[58:59]
	s_waitcnt lgkmcnt(0)
	v_mul_f64 v[56:57], v[100:101], v[6:7]
	v_fmac_f64_e32 v[56:57], v[102:103], v[4:5]
	v_add_f64 v[0:1], v[0:1], v[56:57]
	v_mul_f64 v[56:57], v[118:119], v[62:63]
	v_fma_f64 v[254:255], v[116:117], v[60:61], -v[56:57]
	scratch_load_dwordx4 v[56:59], off, off offset:656
	scratch_load_dwordx4 v[60:63], off, off offset:672
	ds_read_b128 v[104:107], v2 offset:1344
	ds_read_b128 v[112:115], v2 offset:1376
	v_mul_f64 v[66:67], v[122:123], v[66:67]
	v_fma_f64 v[32:33], v[120:121], v[64:65], -v[66:67]
	scratch_load_dwordx4 v[64:67], off, off offset:688
	s_waitcnt vmcnt(13)
	v_mov_b64_e32 v[4:5], v[12:13]
	v_mov_b64_e32 v[6:7], v[14:15]
	s_waitcnt lgkmcnt(1)
	v_mul_f64 v[108:109], v[104:105], v[6:7]
	v_fmac_f64_e32 v[108:109], v[106:107], v[4:5]
	v_mul_f64 v[6:7], v[134:135], v[70:71]
	v_add_f64 v[0:1], v[0:1], v[108:109]
	ds_read_b128 v[108:111], v2 offset:1360
	ds_read_b128 v[116:119], v2 offset:1392
	v_fma_f64 v[28:29], v[132:133], v[68:69], -v[6:7]
	scratch_load_dwordx4 v[68:71], off, off offset:704
	v_mul_f64 v[6:7], v[146:147], v[74:75]
	v_accvgpr_write_b32 a131, v11
	v_fma_f64 v[24:25], v[144:145], v[72:73], -v[6:7]
	scratch_load_dwordx4 v[72:75], off, off offset:720
	v_accvgpr_write_b32 a130, v10
	v_accvgpr_write_b32 a129, v9
	;; [unrolled: 1-line block ×3, first 2 shown]
	s_waitcnt vmcnt(14)
	v_mov_b64_e32 v[8:9], v[16:17]
	v_mov_b64_e32 v[10:11], v[18:19]
	s_waitcnt lgkmcnt(1)
	v_mul_f64 v[6:7], v[108:109], v[10:11]
	v_fmac_f64_e32 v[6:7], v[110:111], v[8:9]
	s_waitcnt vmcnt(13)
	v_accvgpr_read_b32 v8, a112
	v_add_f64 v[0:1], v[0:1], v[6:7]
	v_mul_f64 v[6:7], v[158:159], v[78:79]
	v_accvgpr_read_b32 v10, a114
	v_accvgpr_read_b32 v11, a115
	v_fma_f64 v[20:21], v[156:157], v[76:77], -v[6:7]
	v_accvgpr_read_b32 v9, a113
	v_mul_f64 v[6:7], v[112:113], v[10:11]
	scratch_load_dwordx4 v[76:79], off, off offset:736
	v_accvgpr_write_b32 a135, v15
	v_fmac_f64_e32 v[6:7], v[114:115], v[8:9]
	v_accvgpr_write_b32 a134, v14
	v_accvgpr_write_b32 a133, v13
	;; [unrolled: 1-line block ×4, first 2 shown]
	v_mul_f64 v[14:15], v[170:171], v[86:87]
	v_add_f64 v[0:1], v[0:1], v[6:7]
	v_mul_f64 v[6:7], v[182:183], v[90:91]
	v_accvgpr_write_b32 a138, v18
	v_accvgpr_write_b32 a137, v17
	v_accvgpr_write_b32 a136, v16
	v_fma_f64 v[16:17], v[168:169], v[84:85], -v[14:15]
	v_fma_f64 v[14:15], v[180:181], v[88:89], -v[6:7]
	ds_read_b128 v[120:123], v2 offset:1408
	scratch_load_dwordx4 v[88:91], off, off offset:752
	scratch_load_dwordx4 v[84:87], off, off offset:768
	s_waitcnt vmcnt(15)
	v_accvgpr_read_b32 v8, a116
	v_accvgpr_read_b32 v10, a118
	;; [unrolled: 1-line block ×3, first 2 shown]
	v_mul_f64 v[18:19], v[190:191], v[94:95]
	v_accvgpr_read_b32 v9, a117
	s_waitcnt lgkmcnt(1)
	v_mul_f64 v[6:7], v[116:117], v[10:11]
	v_fma_f64 v[18:19], v[188:189], v[92:93], -v[18:19]
	v_mul_f64 v[92:93], v[194:195], v[98:99]
	v_fmac_f64_e32 v[6:7], v[118:119], v[8:9]
	s_waitcnt vmcnt(14)
	v_accvgpr_read_b32 v8, a120
	v_fma_f64 v[12:13], v[192:193], v[96:97], -v[92:93]
	scratch_load_dwordx4 v[92:95], off, off offset:784
	v_accvgpr_read_b32 v10, a122
	v_accvgpr_read_b32 v11, a123
	v_mul_f64 v[96:97], v[202:203], v[130:131]
	v_add_f64 v[0:1], v[0:1], v[6:7]
	s_waitcnt lgkmcnt(0)
	v_mul_f64 v[6:7], v[120:121], v[10:11]
	v_fma_f64 v[10:11], v[200:201], v[128:129], -v[96:97]
	scratch_load_dwordx4 v[96:99], off, off offset:800
	v_mul_f64 v[22:23], v[198:199], v[126:127]
	v_fma_f64 v[22:23], v[196:197], v[124:125], -v[22:23]
	ds_read_b128 v[124:127], v2 offset:1424
	ds_read_b128 v[128:131], v2 offset:1440
	v_accvgpr_read_b32 v9, a121
	v_fmac_f64_e32 v[6:7], v[122:123], v[8:9]
	v_add_f64 v[0:1], v[0:1], v[6:7]
	s_waitcnt vmcnt(15) lgkmcnt(1)
	v_mul_f64 v[6:7], v[124:125], v[236:237]
	ds_read_b128 v[132:135], v2 offset:1456
	v_fmac_f64_e32 v[6:7], v[126:127], v[234:235]
	v_add_f64 v[0:1], v[0:1], v[6:7]
	s_waitcnt vmcnt(14) lgkmcnt(1)
	v_mul_f64 v[6:7], v[128:129], v[38:39]
	v_fmac_f64_e32 v[6:7], v[130:131], v[36:37]
	v_add_f64 v[0:1], v[0:1], v[6:7]
	v_mul_f64 v[6:7], v[206:207], v[138:139]
	v_fma_f64 v[26:27], v[204:205], v[136:137], -v[6:7]
	ds_read_b128 v[136:139], v2 offset:1472
	s_waitcnt vmcnt(13) lgkmcnt(1)
	v_mul_f64 v[6:7], v[132:133], v[42:43]
	v_fmac_f64_e32 v[6:7], v[134:135], v[40:41]
	v_add_f64 v[0:1], v[0:1], v[6:7]
	v_mul_f64 v[6:7], v[210:211], v[142:143]
	v_fma_f64 v[8:9], v[208:209], v[140:141], -v[6:7]
	ds_read_b128 v[140:143], v2 offset:1488
	ds_read_b128 v[144:147], v2 offset:1504
	s_waitcnt vmcnt(12) lgkmcnt(2)
	v_mul_f64 v[6:7], v[136:137], v[46:47]
	v_fmac_f64_e32 v[6:7], v[138:139], v[44:45]
	v_add_f64 v[0:1], v[0:1], v[6:7]
	s_waitcnt vmcnt(11) lgkmcnt(1)
	v_mul_f64 v[6:7], v[140:141], v[54:55]
	v_fmac_f64_e32 v[6:7], v[142:143], v[52:53]
	v_add_f64 v[0:1], v[0:1], v[6:7]
	v_mul_f64 v[6:7], v[214:215], v[150:151]
	v_fma_f64 v[30:31], v[212:213], v[148:149], -v[6:7]
	ds_read_b128 v[148:151], v2 offset:1520
	v_mul_f64 v[154:155], v[218:219], v[154:155]
	v_fma_f64 v[4:5], v[216:217], v[152:153], -v[154:155]
	ds_read_b128 v[152:155], v2 offset:1536
	s_waitcnt vmcnt(10) lgkmcnt(2)
	v_mul_f64 v[6:7], v[144:145], v[50:51]
	v_fmac_f64_e32 v[6:7], v[146:147], v[48:49]
	v_add_f64 v[0:1], v[0:1], v[6:7]
	s_waitcnt vmcnt(9) lgkmcnt(1)
	v_mul_f64 v[6:7], v[148:149], v[58:59]
	ds_read_b128 v[156:159], v2 offset:1552
	v_fmac_f64_e32 v[6:7], v[150:151], v[56:57]
	v_add_f64 v[0:1], v[0:1], v[6:7]
	s_waitcnt vmcnt(8) lgkmcnt(1)
	v_mul_f64 v[6:7], v[152:153], v[62:63]
	v_fmac_f64_e32 v[6:7], v[154:155], v[60:61]
	v_add_f64 v[0:1], v[0:1], v[6:7]
	v_mul_f64 v[6:7], v[222:223], v[162:163]
	v_fma_f64 v[34:35], v[220:221], v[160:161], -v[6:7]
	ds_read_b128 v[160:163], v2 offset:1568
	s_waitcnt vmcnt(7) lgkmcnt(1)
	v_mul_f64 v[6:7], v[156:157], v[66:67]
	v_fmac_f64_e32 v[6:7], v[158:159], v[64:65]
	v_add_f64 v[0:1], v[0:1], v[6:7]
	v_mul_f64 v[6:7], v[226:227], v[166:167]
	v_fma_f64 v[6:7], v[224:225], v[164:165], -v[6:7]
	ds_read_b128 v[164:167], v2 offset:1584
	s_waitcnt vmcnt(6) lgkmcnt(1)
	v_mul_f64 v[168:169], v[160:161], v[70:71]
	v_fmac_f64_e32 v[168:169], v[162:163], v[68:69]
	v_add_f64 v[0:1], v[0:1], v[168:169]
	ds_read_b128 v[168:171], v2 offset:1600
	s_waitcnt vmcnt(5) lgkmcnt(1)
	v_mul_f64 v[180:181], v[164:165], v[74:75]
	v_fmac_f64_e32 v[180:181], v[166:167], v[72:73]
	v_add_f64 v[180:181], v[0:1], v[180:181]
	v_mul_f64 v[0:1], v[230:231], v[174:175]
	v_fma_f64 v[0:1], v[228:229], v[172:173], -v[0:1]
	ds_read_b128 v[172:175], v2 offset:1616
	s_waitcnt vmcnt(4) lgkmcnt(1)
	v_mul_f64 v[182:183], v[168:169], v[78:79]
	v_fmac_f64_e32 v[182:183], v[170:171], v[76:77]
	v_mul_f64 v[178:179], v[240:241], v[178:179]
	v_fma_f64 v[238:239], v[238:239], v[176:177], -v[178:179]
	ds_read_b128 v[176:179], v2 offset:1632
	v_add_f64 v[180:181], v[180:181], v[182:183]
	s_waitcnt vmcnt(3) lgkmcnt(1)
	v_mul_f64 v[182:183], v[172:173], v[90:91]
	v_fmac_f64_e32 v[182:183], v[174:175], v[88:89]
	v_add_f64 v[188:189], v[180:181], v[182:183]
	ds_read_b128 v[180:183], v2 offset:1648
	v_mul_f64 v[186:187], v[244:245], v[186:187]
	v_fma_f64 v[242:243], v[242:243], v[184:185], -v[186:187]
	ds_read_b128 v[184:187], v2 offset:1664
	s_waitcnt vmcnt(2) lgkmcnt(2)
	v_mul_f64 v[190:191], v[176:177], v[86:87]
	v_fmac_f64_e32 v[190:191], v[178:179], v[84:85]
	v_add_f64 v[188:189], v[188:189], v[190:191]
	s_waitcnt vmcnt(1) lgkmcnt(1)
	v_mul_f64 v[190:191], v[180:181], v[94:95]
	v_fmac_f64_e32 v[190:191], v[182:183], v[92:93]
	v_add_f64 v[188:189], v[188:189], v[190:191]
	;; [unrolled: 4-line block ×3, first 2 shown]
	scratch_load_dwordx4 v[188:191], off, off offset:816
	ds_read_b128 v[192:195], v2 offset:1680
	ds_read_b128 v[200:203], v2 offset:1696
	ds_read_b128 v[208:211], v2 offset:1712
	ds_read_b128 v[216:219], v2 offset:1728
	ds_read_b128 v[224:227], v2 offset:1744
	s_waitcnt vmcnt(0) lgkmcnt(4)
	v_mul_f64 v[198:199], v[192:193], v[190:191]
	v_fmac_f64_e32 v[198:199], v[194:195], v[188:189]
	v_add_f64 v[204:205], v[196:197], v[198:199]
	scratch_load_dwordx4 v[196:199], off, off offset:832
	s_waitcnt vmcnt(0) lgkmcnt(3)
	v_mul_f64 v[206:207], v[200:201], v[198:199]
	v_fmac_f64_e32 v[206:207], v[202:203], v[196:197]
	v_add_f64 v[212:213], v[204:205], v[206:207]
	scratch_load_dwordx4 v[204:207], off, off offset:848
	;; [unrolled: 5-line block ×4, first 2 shown]
	s_waitcnt vmcnt(0) lgkmcnt(0)
	v_mul_f64 v[230:231], v[224:225], v[222:223]
	v_fmac_f64_e32 v[230:231], v[226:227], v[220:221]
	v_add_f64 v[244:245], v[228:229], v[230:231]
	v_add_f64 v[228:229], v[246:247], 0
	;; [unrolled: 1-line block ×8, first 2 shown]
	scratch_load_dwordx4 v[228:231], off, off offset:32
	v_add_f64 v[28:29], v[32:33], v[28:29]
	v_add_f64 v[24:25], v[28:29], v[24:25]
	;; [unrolled: 1-line block ×15, first 2 shown]
	v_accvgpr_read_b32 v6, a124
	v_accvgpr_read_b32 v8, a126
	;; [unrolled: 1-line block ×3, first 2 shown]
	v_add_f64 v[0:1], v[4:5], v[0:1]
	v_accvgpr_read_b32 v7, a125
	v_mul_f64 v[4:5], v[82:83], v[8:9]
	v_add_f64 v[0:1], v[0:1], v[238:239]
	v_fma_f64 v[4:5], v[80:81], v[6:7], -v[4:5]
	v_accvgpr_read_b32 v6, a128
	v_add_f64 v[0:1], v[0:1], v[242:243]
	v_accvgpr_read_b32 v8, a130
	v_accvgpr_read_b32 v9, a131
	v_add_f64 v[0:1], v[0:1], v[4:5]
	v_accvgpr_read_b32 v7, a129
	v_mul_f64 v[4:5], v[102:103], v[8:9]
	v_fma_f64 v[4:5], v[100:101], v[6:7], -v[4:5]
	v_accvgpr_read_b32 v6, a132
	v_accvgpr_read_b32 v8, a134
	v_accvgpr_read_b32 v9, a135
	v_add_f64 v[0:1], v[0:1], v[4:5]
	v_accvgpr_read_b32 v7, a133
	v_mul_f64 v[4:5], v[106:107], v[8:9]
	v_fma_f64 v[4:5], v[104:105], v[6:7], -v[4:5]
	v_accvgpr_read_b32 v6, a136
	;; [unrolled: 7-line block ×5, first 2 shown]
	v_accvgpr_read_b32 v8, a122
	v_accvgpr_read_b32 v9, a123
	v_add_f64 v[0:1], v[0:1], v[4:5]
	v_accvgpr_read_b32 v7, a121
	v_mul_f64 v[4:5], v[122:123], v[8:9]
	v_fma_f64 v[4:5], v[120:121], v[6:7], -v[4:5]
	v_add_f64 v[0:1], v[0:1], v[4:5]
	v_mul_f64 v[4:5], v[126:127], v[236:237]
	v_fma_f64 v[4:5], v[124:125], v[234:235], -v[4:5]
	v_add_f64 v[0:1], v[0:1], v[4:5]
	;; [unrolled: 3-line block ×22, first 2 shown]
	s_waitcnt vmcnt(0)
	v_add_f64 v[4:5], v[228:229], -v[0:1]
	v_accvgpr_read_b32 v0, a110
	v_add_f64 v[6:7], v[230:231], -v[244:245]
	v_cmp_ne_u32_e32 vcc, 0, v0
	scratch_store_dwordx4 off, v[4:7], off offset:32
	s_and_saveexec_b64 s[0:1], vcc
	s_cbranch_execz .LBB54_343
; %bb.342:
	scratch_load_dwordx4 v[6:9], off, off offset:16
	v_mov_b32_e32 v3, v2
	v_mov_b32_e32 v4, v2
	;; [unrolled: 1-line block ×3, first 2 shown]
	v_accvgpr_read_b32 v0, a111
	scratch_store_dwordx4 off, v[2:5], off offset:16
	s_waitcnt vmcnt(1)
	ds_write_b128 v0, v[6:9]
.LBB54_343:
	s_or_b64 exec, exec, s[0:1]
	s_waitcnt lgkmcnt(0)
	; wave barrier
	scratch_load_dwordx4 v[40:43], off, off offset:32
	scratch_load_dwordx4 v[44:47], off, off offset:48
	;; [unrolled: 1-line block ×17, first 2 shown]
	ds_read_b128 v[84:87], v2 offset:896
	ds_read_b128 v[104:107], v2 offset:912
	ds_read_b128 v[100:103], v2 offset:928
	scratch_load_dwordx4 v[140:143], off, off offset:304
	ds_read_b128 v[188:191], v2 offset:944
	ds_read_b128 v[112:115], v2 offset:960
	ds_read_b128 v[108:111], v2 offset:976
	scratch_load_dwordx4 v[148:151], off, off offset:320
	ds_read_b128 v[192:195], v2 offset:992
	ds_read_b128 v[116:119], v2 offset:1008
	scratch_load_dwordx4 v[152:155], off, off offset:336
	ds_read_b128 v[208:211], v2 offset:1024
	ds_read_b128 v[200:203], v2 offset:1040
	;; [unrolled: 1-line block ×5, first 2 shown]
	scratch_load_dwordx4 v[160:163], off, off offset:352
	ds_read_b128 v[204:207], v2 offset:1104
	ds_read_b128 v[168:171], v2 offset:1120
	;; [unrolled: 1-line block ×4, first 2 shown]
	scratch_load_dwordx4 v[164:167], off, off offset:368
	ds_read_b128 v[180:183], v2 offset:1168
	scratch_load_dwordx4 v[172:175], off, off offset:384
	scratch_load_dwordx4 v[176:179], off, off offset:400
	;; [unrolled: 1-line block ×9, first 2 shown]
	ds_read_b128 v[228:231], v2 offset:1248
	ds_read_b128 v[232:235], v2 offset:1264
	ds_read_b128 v[240:243], v2 offset:1280
	scratch_load_dwordx4 a[122:125], off, off offset:560
	s_and_b64 vcc, exec, s[18:19]
	scratch_load_dwordx4 a[110:113], off, off offset:512
	ds_read_b128 v[224:227], v2 offset:1232
	s_waitcnt vmcnt(32) lgkmcnt(14)
	v_mul_f64 v[0:1], v[84:85], v[42:43]
	s_waitcnt vmcnt(31)
	v_mul_f64 v[20:21], v[104:105], v[46:47]
	v_fmac_f64_e32 v[0:1], v[86:87], v[40:41]
	s_waitcnt vmcnt(30)
	v_mul_f64 v[22:23], v[100:101], v[50:51]
	v_fmac_f64_e32 v[20:21], v[106:107], v[44:45]
	v_add_f64 v[0:1], v[0:1], 0
	s_waitcnt vmcnt(29)
	v_mul_f64 v[24:25], v[188:189], v[54:55]
	v_fmac_f64_e32 v[22:23], v[102:103], v[48:49]
	v_add_f64 v[0:1], v[0:1], v[20:21]
	;; [unrolled: 4-line block ×6, first 2 shown]
	s_waitcnt vmcnt(24) lgkmcnt(13)
	v_mul_f64 v[34:35], v[208:209], v[74:75]
	v_fmac_f64_e32 v[32:33], v[118:119], v[68:69]
	v_add_f64 v[0:1], v[0:1], v[30:31]
	s_waitcnt vmcnt(23) lgkmcnt(12)
	v_mul_f64 v[36:37], v[200:201], v[78:79]
	v_fmac_f64_e32 v[34:35], v[210:211], v[72:73]
	v_add_f64 v[0:1], v[0:1], v[32:33]
	;; [unrolled: 4-line block ×6, first 2 shown]
	scratch_load_dwordx4 v[20:23], off, off offset:496
	s_waitcnt vmcnt(19) lgkmcnt(7)
	v_mul_f64 v[218:219], v[168:169], v[130:131]
	v_fmac_f64_e32 v[216:217], v[206:207], v[96:97]
	v_add_f64 v[0:1], v[0:1], v[214:215]
	s_waitcnt vmcnt(18) lgkmcnt(6)
	v_mul_f64 v[220:221], v[156:157], v[134:135]
	v_fmac_f64_e32 v[218:219], v[170:171], v[128:129]
	v_add_f64 v[0:1], v[0:1], v[216:217]
	ds_read_b128 v[212:215], v2 offset:1184
	s_waitcnt vmcnt(17) lgkmcnt(6)
	v_mul_f64 v[222:223], v[144:145], v[138:139]
	v_fmac_f64_e32 v[220:221], v[158:159], v[132:133]
	v_add_f64 v[0:1], v[0:1], v[218:219]
	v_add_f64 v[0:1], v[0:1], v[220:221]
	v_fmac_f64_e32 v[222:223], v[146:147], v[136:137]
	ds_read_b128 v[216:219], v2 offset:1200
	v_add_f64 v[0:1], v[0:1], v[222:223]
	s_waitcnt vmcnt(16) lgkmcnt(6)
	v_mul_f64 v[24:25], v[180:181], v[142:143]
	ds_read_b128 v[220:223], v2 offset:1216
	v_fmac_f64_e32 v[24:25], v[182:183], v[140:141]
	v_add_f64 v[0:1], v[0:1], v[24:25]
	s_waitcnt vmcnt(15) lgkmcnt(2)
	v_mul_f64 v[24:25], v[212:213], v[150:151]
	v_fmac_f64_e32 v[24:25], v[214:215], v[148:149]
	v_add_f64 v[0:1], v[0:1], v[24:25]
	s_waitcnt vmcnt(14) lgkmcnt(1)
	v_mul_f64 v[24:25], v[216:217], v[154:155]
	v_fmac_f64_e32 v[24:25], v[218:219], v[152:153]
	s_waitcnt vmcnt(13) lgkmcnt(0)
	v_mul_f64 v[32:33], v[220:221], v[162:163]
	v_add_f64 v[0:1], v[0:1], v[24:25]
	v_fmac_f64_e32 v[32:33], v[222:223], v[160:161]
	v_add_f64 v[0:1], v[0:1], v[32:33]
	s_waitcnt vmcnt(12)
	v_mul_f64 v[32:33], v[224:225], v[166:167]
	v_fmac_f64_e32 v[32:33], v[226:227], v[164:165]
	v_add_f64 v[0:1], v[0:1], v[32:33]
	s_waitcnt vmcnt(11)
	v_mul_f64 v[32:33], v[228:229], v[174:175]
	v_fmac_f64_e32 v[32:33], v[230:231], v[172:173]
	s_waitcnt vmcnt(10)
	v_mul_f64 v[36:37], v[232:233], v[178:179]
	v_mul_f64 v[42:43], v[86:87], v[42:43]
	v_add_f64 v[0:1], v[0:1], v[32:33]
	v_fmac_f64_e32 v[36:37], v[234:235], v[176:177]
	v_fma_f64 v[244:245], v[84:85], v[40:41], -v[42:43]
	ds_read_b128 v[84:87], v2 offset:1296
	s_waitcnt vmcnt(9)
	v_mul_f64 v[40:41], v[240:241], v[186:187]
	v_add_f64 v[0:1], v[0:1], v[36:37]
	v_fmac_f64_e32 v[40:41], v[242:243], v[184:185]
	v_add_f64 v[0:1], v[0:1], v[40:41]
	v_mul_f64 v[40:41], v[106:107], v[46:47]
	v_fma_f64 v[246:247], v[104:105], v[44:45], -v[40:41]
	scratch_load_dwordx4 v[44:47], off, off offset:576
	scratch_load_dwordx4 v[40:43], off, off offset:592
	v_mul_f64 v[50:51], v[102:103], v[50:51]
	v_fma_f64 v[248:249], v[100:101], v[48:49], -v[50:51]
	v_mul_f64 v[48:49], v[190:191], v[54:55]
	ds_read_b128 v[100:103], v2 offset:1312
	v_fma_f64 v[250:251], v[188:189], v[52:53], -v[48:49]
	scratch_load_dwordx4 v[48:51], off, off offset:608
	s_waitcnt vmcnt(11) lgkmcnt(1)
	v_mul_f64 v[104:105], v[84:85], v[6:7]
	v_accvgpr_write_b32 a129, v7
	v_mul_f64 v[52:53], v[114:115], v[58:59]
	v_fmac_f64_e32 v[104:105], v[86:87], v[4:5]
	v_accvgpr_write_b32 a128, v6
	v_accvgpr_write_b32 a127, v5
	;; [unrolled: 1-line block ×3, first 2 shown]
	v_fma_f64 v[252:253], v[112:113], v[56:57], -v[52:53]
	s_waitcnt vmcnt(10)
	v_mov_b64_e32 v[4:5], v[8:9]
	scratch_load_dwordx4 v[52:55], off, off offset:624
	v_mov_b64_e32 v[6:7], v[10:11]
	v_add_f64 v[0:1], v[0:1], v[104:105]
	ds_read_b128 v[104:107], v2 offset:1328
	s_waitcnt lgkmcnt(1)
	v_mul_f64 v[56:57], v[100:101], v[6:7]
	v_fmac_f64_e32 v[56:57], v[102:103], v[4:5]
	v_add_f64 v[0:1], v[0:1], v[56:57]
	v_mul_f64 v[56:57], v[110:111], v[62:63]
	v_fma_f64 v[236:237], v[108:109], v[60:61], -v[56:57]
	scratch_load_dwordx4 v[56:59], off, off offset:640
	scratch_load_dwordx4 v[60:63], off, off offset:656
	v_mul_f64 v[66:67], v[194:195], v[66:67]
	v_fma_f64 v[36:37], v[192:193], v[64:65], -v[66:67]
	scratch_load_dwordx4 v[64:67], off, off offset:672
	s_waitcnt vmcnt(13)
	v_mov_b64_e32 v[4:5], v[12:13]
	v_mov_b64_e32 v[6:7], v[14:15]
	s_waitcnt lgkmcnt(0)
	v_mul_f64 v[108:109], v[104:105], v[6:7]
	v_mul_f64 v[6:7], v[118:119], v[70:71]
	v_fma_f64 v[32:33], v[116:117], v[68:69], -v[6:7]
	v_mul_f64 v[68:69], v[210:211], v[74:75]
	v_fma_f64 v[28:29], v[208:209], v[72:73], -v[68:69]
	scratch_load_dwordx4 v[68:71], off, off offset:688
	v_mul_f64 v[72:73], v[202:203], v[78:79]
	v_fma_f64 v[238:239], v[200:201], v[76:77], -v[72:73]
	scratch_load_dwordx4 v[72:75], off, off offset:704
	v_fmac_f64_e32 v[108:109], v[106:107], v[4:5]
	v_add_f64 v[0:1], v[0:1], v[108:109]
	ds_read_b128 v[108:111], v2 offset:1344
	ds_read_b128 v[112:115], v2 offset:1360
	s_waitcnt vmcnt(14)
	v_mov_b64_e32 v[4:5], v[16:17]
	v_accvgpr_write_b32 a133, v11
	v_mov_b64_e32 v[6:7], v[18:19]
	v_accvgpr_write_b32 a132, v10
	v_accvgpr_write_b32 a131, v9
	v_accvgpr_write_b32 a130, v8
	s_waitcnt lgkmcnt(1)
	v_mul_f64 v[10:11], v[108:109], v[6:7]
	v_fmac_f64_e32 v[10:11], v[110:111], v[4:5]
	s_waitcnt vmcnt(9)
	v_mov_b64_e32 v[4:5], v[20:21]
	ds_read_b128 v[116:119], v2 offset:1376
	v_accvgpr_write_b32 a137, v15
	v_mov_b64_e32 v[6:7], v[22:23]
	v_accvgpr_write_b32 a136, v14
	v_accvgpr_write_b32 a135, v13
	;; [unrolled: 1-line block ×3, first 2 shown]
	v_add_f64 v[0:1], v[0:1], v[10:11]
	s_waitcnt lgkmcnt(1)
	v_mul_f64 v[10:11], v[112:113], v[6:7]
	v_accvgpr_write_b32 a145, v23
	v_mul_f64 v[14:15], v[122:123], v[90:91]
	v_fmac_f64_e32 v[10:11], v[114:115], v[4:5]
	v_accvgpr_write_b32 a144, v22
	v_accvgpr_write_b32 a143, v21
	;; [unrolled: 1-line block ×3, first 2 shown]
	v_fma_f64 v[20:21], v[120:121], v[88:89], -v[14:15]
	ds_read_b128 v[120:123], v2 offset:1392
	v_accvgpr_read_b32 v4, a110
	v_accvgpr_read_b32 v6, a112
	;; [unrolled: 1-line block ×3, first 2 shown]
	v_add_f64 v[0:1], v[0:1], v[10:11]
	v_accvgpr_read_b32 v5, a111
	s_waitcnt lgkmcnt(1)
	v_mul_f64 v[10:11], v[116:117], v[6:7]
	v_fmac_f64_e32 v[10:11], v[118:119], v[4:5]
	v_accvgpr_read_b32 v4, a114
	v_accvgpr_write_b32 a141, v19
	v_add_f64 v[0:1], v[0:1], v[10:11]
	v_mul_f64 v[10:11], v[126:127], v[94:95]
	v_accvgpr_read_b32 v6, a116
	v_accvgpr_read_b32 v7, a117
	v_accvgpr_write_b32 a140, v18
	v_accvgpr_write_b32 a139, v17
	;; [unrolled: 1-line block ×3, first 2 shown]
	v_fma_f64 v[16:17], v[124:125], v[92:93], -v[10:11]
	v_accvgpr_read_b32 v5, a115
	s_waitcnt lgkmcnt(0)
	v_mul_f64 v[10:11], v[120:121], v[6:7]
	ds_read_b128 v[124:127], v2 offset:1408
	v_fmac_f64_e32 v[10:11], v[122:123], v[4:5]
	v_add_f64 v[0:1], v[0:1], v[10:11]
	v_mul_f64 v[10:11], v[170:171], v[130:131]
	v_fma_f64 v[14:15], v[168:169], v[128:129], -v[10:11]
	ds_read_b128 v[128:131], v2 offset:1424
	v_accvgpr_read_b32 v4, a118
	v_mul_f64 v[10:11], v[158:159], v[134:135]
	v_accvgpr_read_b32 v6, a120
	v_accvgpr_read_b32 v7, a121
	v_fma_f64 v[22:23], v[156:157], v[132:133], -v[10:11]
	v_accvgpr_read_b32 v5, a119
	s_waitcnt lgkmcnt(1)
	v_mul_f64 v[10:11], v[124:125], v[6:7]
	ds_read_b128 v[132:135], v2 offset:1440
	v_fmac_f64_e32 v[10:11], v[126:127], v[4:5]
	v_accvgpr_read_b32 v4, a122
	v_add_f64 v[0:1], v[0:1], v[10:11]
	v_mul_f64 v[10:11], v[146:147], v[138:139]
	v_accvgpr_read_b32 v6, a124
	v_accvgpr_read_b32 v7, a125
	v_fma_f64 v[12:13], v[144:145], v[136:137], -v[10:11]
	v_accvgpr_read_b32 v5, a123
	s_waitcnt lgkmcnt(1)
	v_mul_f64 v[10:11], v[128:129], v[6:7]
	v_fmac_f64_e32 v[10:11], v[130:131], v[4:5]
	ds_read_b128 v[136:139], v2 offset:1456
	v_add_f64 v[0:1], v[0:1], v[10:11]
	s_waitcnt vmcnt(8) lgkmcnt(1)
	v_mul_f64 v[10:11], v[132:133], v[46:47]
	v_fmac_f64_e32 v[10:11], v[134:135], v[44:45]
	v_mul_f64 v[76:77], v[198:199], v[82:83]
	v_add_f64 v[0:1], v[0:1], v[10:11]
	v_mul_f64 v[10:11], v[182:183], v[142:143]
	v_fma_f64 v[24:25], v[196:197], v[80:81], -v[76:77]
	scratch_load_dwordx4 v[76:79], off, off offset:720
	v_fma_f64 v[26:27], v[180:181], v[140:141], -v[10:11]
	ds_read_b128 v[140:143], v2 offset:1472
	ds_read_b128 v[144:147], v2 offset:1488
	s_waitcnt vmcnt(8) lgkmcnt(2)
	v_mul_f64 v[10:11], v[136:137], v[42:43]
	scratch_load_dwordx4 v[80:83], off, off offset:736
	scratch_load_dwordx4 v[88:91], off, off offset:752
	v_fmac_f64_e32 v[10:11], v[138:139], v[40:41]
	v_add_f64 v[0:1], v[0:1], v[10:11]
	s_waitcnt vmcnt(9) lgkmcnt(1)
	v_mul_f64 v[10:11], v[140:141], v[50:51]
	v_fmac_f64_e32 v[10:11], v[142:143], v[48:49]
	v_add_f64 v[0:1], v[0:1], v[10:11]
	v_mul_f64 v[10:11], v[214:215], v[150:151]
	v_fma_f64 v[8:9], v[212:213], v[148:149], -v[10:11]
	ds_read_b128 v[148:151], v2 offset:1504
	s_waitcnt vmcnt(8) lgkmcnt(1)
	v_mul_f64 v[10:11], v[144:145], v[54:55]
	v_fmac_f64_e32 v[10:11], v[146:147], v[52:53]
	scratch_load_dwordx4 v[92:95], off, off offset:768
	v_add_f64 v[0:1], v[0:1], v[10:11]
	v_mul_f64 v[10:11], v[218:219], v[154:155]
	v_mul_f64 v[18:19], v[206:207], v[98:99]
	v_fma_f64 v[30:31], v[216:217], v[152:153], -v[10:11]
	ds_read_b128 v[152:155], v2 offset:1520
	v_fma_f64 v[18:19], v[204:205], v[96:97], -v[18:19]
	scratch_load_dwordx4 v[96:99], off, off offset:784
	s_waitcnt vmcnt(9) lgkmcnt(1)
	v_mul_f64 v[10:11], v[148:149], v[58:59]
	ds_read_b128 v[156:159], v2 offset:1536
	v_fmac_f64_e32 v[10:11], v[150:151], v[56:57]
	scratch_load_dwordx4 v[188:191], off, off offset:800
	scratch_load_dwordx4 v[196:199], off, off offset:816
	v_add_f64 v[0:1], v[0:1], v[10:11]
	v_mul_f64 v[10:11], v[222:223], v[162:163]
	v_fma_f64 v[6:7], v[220:221], v[160:161], -v[10:11]
	s_waitcnt vmcnt(10) lgkmcnt(1)
	v_mul_f64 v[10:11], v[152:153], v[62:63]
	v_fmac_f64_e32 v[10:11], v[154:155], v[60:61]
	ds_read_b128 v[160:163], v2 offset:1552
	v_add_f64 v[0:1], v[0:1], v[10:11]
	s_waitcnt vmcnt(9) lgkmcnt(1)
	v_mul_f64 v[10:11], v[156:157], v[66:67]
	scratch_load_dwordx4 v[204:207], off, off offset:832
	scratch_load_dwordx4 v[212:215], off, off offset:848
	v_fmac_f64_e32 v[10:11], v[158:159], v[64:65]
	v_add_f64 v[0:1], v[0:1], v[10:11]
	v_mul_f64 v[10:11], v[226:227], v[166:167]
	v_fma_f64 v[34:35], v[224:225], v[164:165], -v[10:11]
	ds_read_b128 v[164:167], v2 offset:1568
	ds_read_b128 v[168:171], v2 offset:1584
	scratch_load_dwordx4 v[220:223], off, off offset:864
	s_waitcnt vmcnt(11) lgkmcnt(2)
	v_mul_f64 v[10:11], v[160:161], v[70:71]
	v_fmac_f64_e32 v[10:11], v[162:163], v[68:69]
	v_add_f64 v[0:1], v[0:1], v[10:11]
	s_waitcnt vmcnt(10) lgkmcnt(1)
	v_mul_f64 v[10:11], v[164:165], v[74:75]
	v_fmac_f64_e32 v[10:11], v[166:167], v[72:73]
	v_add_f64 v[0:1], v[0:1], v[10:11]
	v_mul_f64 v[10:11], v[230:231], v[174:175]
	v_fma_f64 v[4:5], v[228:229], v[172:173], -v[10:11]
	scratch_load_dwordx4 v[228:231], off, off offset:880
	ds_read_b128 v[172:175], v2 offset:1600
	ds_read_b128 v[180:183], v2 offset:1632
	;; [unrolled: 1-line block ×7, first 2 shown]
	s_waitcnt vmcnt(10) lgkmcnt(7)
	v_mul_f64 v[10:11], v[168:169], v[78:79]
	v_fmac_f64_e32 v[10:11], v[170:171], v[76:77]
	v_add_f64 v[0:1], v[0:1], v[10:11]
	v_mul_f64 v[10:11], v[234:235], v[178:179]
	v_fma_f64 v[10:11], v[232:233], v[176:177], -v[10:11]
	ds_read_b128 v[176:179], v2 offset:1616
	s_waitcnt vmcnt(9) lgkmcnt(7)
	v_mul_f64 v[38:39], v[172:173], v[82:83]
	v_fmac_f64_e32 v[38:39], v[174:175], v[80:81]
	v_add_f64 v[0:1], v[0:1], v[38:39]
	v_mul_f64 v[38:39], v[242:243], v[186:187]
	v_fma_f64 v[254:255], v[240:241], v[184:185], -v[38:39]
	ds_read_b128 v[184:187], v2 offset:1648
	s_waitcnt vmcnt(8) lgkmcnt(1)
	v_mul_f64 v[38:39], v[176:177], v[90:91]
	v_fmac_f64_e32 v[38:39], v[178:179], v[88:89]
	v_add_f64 v[0:1], v[0:1], v[38:39]
	s_waitcnt vmcnt(7)
	v_mul_f64 v[38:39], v[180:181], v[94:95]
	v_fmac_f64_e32 v[38:39], v[182:183], v[92:93]
	v_add_f64 v[0:1], v[0:1], v[38:39]
	s_waitcnt vmcnt(6) lgkmcnt(0)
	v_mul_f64 v[38:39], v[184:185], v[98:99]
	v_fmac_f64_e32 v[38:39], v[186:187], v[96:97]
	v_add_f64 v[0:1], v[0:1], v[38:39]
	s_waitcnt vmcnt(5)
	v_mul_f64 v[38:39], v[192:193], v[190:191]
	v_fmac_f64_e32 v[38:39], v[194:195], v[188:189]
	v_add_f64 v[0:1], v[0:1], v[38:39]
	s_waitcnt vmcnt(4)
	;; [unrolled: 4-line block ×5, first 2 shown]
	v_mul_f64 v[38:39], v[224:225], v[222:223]
	v_fmac_f64_e32 v[38:39], v[226:227], v[220:221]
	v_add_f64 v[38:39], v[0:1], v[38:39]
	ds_read_b128 v[0:3], v2 offset:1744
	s_waitcnt vmcnt(0) lgkmcnt(0)
	v_mul_f64 v[232:233], v[0:1], v[230:231]
	v_fmac_f64_e32 v[232:233], v[2:3], v[228:229]
	v_add_f64 v[242:243], v[38:39], v[232:233]
	v_add_f64 v[38:39], v[244:245], 0
	;; [unrolled: 1-line block ×13, first 2 shown]
	scratch_load_dwordx4 v[232:235], off, off offset:16
	v_add_f64 v[16:17], v[20:21], v[16:17]
	v_add_f64 v[16:17], v[16:17], v[18:19]
	;; [unrolled: 1-line block ×12, first 2 shown]
	v_accvgpr_read_b32 v8, a126
	v_accvgpr_read_b32 v10, a128
	;; [unrolled: 1-line block ×4, first 2 shown]
	v_mul_f64 v[6:7], v[86:87], v[10:11]
	v_fma_f64 v[6:7], v[84:85], v[8:9], -v[6:7]
	v_accvgpr_read_b32 v8, a130
	v_add_f64 v[4:5], v[4:5], v[254:255]
	v_accvgpr_read_b32 v10, a132
	v_accvgpr_read_b32 v11, a133
	v_add_f64 v[4:5], v[4:5], v[6:7]
	v_accvgpr_read_b32 v9, a131
	v_mul_f64 v[6:7], v[102:103], v[10:11]
	v_fma_f64 v[6:7], v[100:101], v[8:9], -v[6:7]
	v_accvgpr_read_b32 v8, a134
	v_accvgpr_read_b32 v10, a136
	v_accvgpr_read_b32 v11, a137
	v_add_f64 v[4:5], v[4:5], v[6:7]
	v_accvgpr_read_b32 v9, a135
	v_mul_f64 v[6:7], v[106:107], v[10:11]
	v_fma_f64 v[6:7], v[104:105], v[8:9], -v[6:7]
	v_accvgpr_read_b32 v8, a138
	;; [unrolled: 7-line block ×7, first 2 shown]
	v_accvgpr_read_b32 v10, a124
	v_accvgpr_read_b32 v11, a125
	v_add_f64 v[4:5], v[4:5], v[6:7]
	v_accvgpr_read_b32 v9, a123
	v_mul_f64 v[6:7], v[130:131], v[10:11]
	v_fma_f64 v[6:7], v[128:129], v[8:9], -v[6:7]
	v_add_f64 v[4:5], v[4:5], v[6:7]
	v_mul_f64 v[6:7], v[134:135], v[46:47]
	v_fma_f64 v[6:7], v[132:133], v[44:45], -v[6:7]
	v_add_f64 v[4:5], v[4:5], v[6:7]
	;; [unrolled: 3-line block ×19, first 2 shown]
	v_mul_f64 v[6:7], v[226:227], v[222:223]
	v_fma_f64 v[6:7], v[224:225], v[220:221], -v[6:7]
	v_mul_f64 v[2:3], v[2:3], v[230:231]
	v_add_f64 v[4:5], v[4:5], v[6:7]
	v_fma_f64 v[0:1], v[0:1], v[228:229], -v[2:3]
	v_add_f64 v[0:1], v[4:5], v[0:1]
	s_waitcnt vmcnt(0)
	v_add_f64 v[0:1], v[232:233], -v[0:1]
	v_add_f64 v[2:3], v[234:235], -v[242:243]
	scratch_store_dwordx4 off, v[0:3], off offset:16
	s_cbranch_vccz .LBB54_452
; %bb.344:
	s_nop 0
	v_mov_b32_e32 v0, 0
	global_load_dword v1, v0, s[16:17] offset:212
	s_waitcnt vmcnt(0)
	v_readfirstlane_b32 s0, v1
	s_add_i32 s0, s0, -1
	s_cmp_lg_u32 s0, 53
	s_cbranch_scc0 .LBB54_346
; %bb.345:
	s_lshl_b32 s0, s0, 4
	s_add_i32 s0, s0, 16
	scratch_load_dwordx4 v[2:5], off, s0
	scratch_load_dwordx4 v[6:9], off, s12
	s_waitcnt vmcnt(1)
	scratch_store_dwordx4 off, v[2:5], s12
	s_waitcnt vmcnt(1)
	scratch_store_dwordx4 off, v[6:9], s0
.LBB54_346:
	global_load_dword v0, v0, s[16:17] offset:208
	s_waitcnt vmcnt(0)
	v_readfirstlane_b32 s0, v0
	s_add_i32 s0, s0, -1
	s_cmp_eq_u32 s0, 52
	s_cbranch_scc1 .LBB54_348
; %bb.347:
	s_lshl_b32 s0, s0, 4
	s_add_i32 s0, s0, 16
	scratch_load_dwordx4 v[0:3], off, s0
	scratch_load_dwordx4 v[4:7], off, s15
	s_waitcnt vmcnt(1)
	scratch_store_dwordx4 off, v[0:3], s15
	s_waitcnt vmcnt(1)
	scratch_store_dwordx4 off, v[4:7], s0
.LBB54_348:
	v_mov_b32_e32 v0, 0
	global_load_dword v1, v0, s[16:17] offset:204
	s_waitcnt vmcnt(0)
	v_readfirstlane_b32 s0, v1
	s_add_i32 s0, s0, -1
	s_cmp_eq_u32 s0, 51
	s_cbranch_scc1 .LBB54_350
; %bb.349:
	s_lshl_b32 s0, s0, 4
	s_add_i32 s0, s0, 16
	scratch_load_dwordx4 v[2:5], off, s0
	scratch_load_dwordx4 v[6:9], off, s14
	s_waitcnt vmcnt(1)
	scratch_store_dwordx4 off, v[2:5], s14
	s_waitcnt vmcnt(1)
	scratch_store_dwordx4 off, v[6:9], s0
.LBB54_350:
	global_load_dword v0, v0, s[16:17] offset:200
	s_waitcnt vmcnt(0)
	v_readfirstlane_b32 s0, v0
	s_add_i32 s0, s0, -1
	s_cmp_eq_u32 s0, 50
	s_cbranch_scc1 .LBB54_352
; %bb.351:
	s_lshl_b32 s0, s0, 4
	s_add_i32 s0, s0, 16
	scratch_load_dwordx4 v[0:3], off, s0
	scratch_load_dwordx4 v[4:7], off, s21
	s_waitcnt vmcnt(1)
	scratch_store_dwordx4 off, v[0:3], s21
	s_waitcnt vmcnt(1)
	scratch_store_dwordx4 off, v[4:7], s0
.LBB54_352:
	v_mov_b32_e32 v0, 0
	global_load_dword v1, v0, s[16:17] offset:196
	s_waitcnt vmcnt(0)
	v_readfirstlane_b32 s0, v1
	s_add_i32 s0, s0, -1
	s_cmp_eq_u32 s0, 49
	s_cbranch_scc1 .LBB54_354
; %bb.353:
	s_lshl_b32 s0, s0, 4
	s_add_i32 s0, s0, 16
	scratch_load_dwordx4 v[2:5], off, s0
	scratch_load_dwordx4 v[6:9], off, s20
	s_waitcnt vmcnt(1)
	scratch_store_dwordx4 off, v[2:5], s20
	s_waitcnt vmcnt(1)
	scratch_store_dwordx4 off, v[6:9], s0
.LBB54_354:
	;; [unrolled: 33-line block ×26, first 2 shown]
	global_load_dword v0, v0, s[16:17]
	s_waitcnt vmcnt(0)
	v_readfirstlane_b32 s0, v0
	s_add_i32 s0, s0, -1
	s_cmp_eq_u32 s0, 0
	s_cbranch_scc1 .LBB54_452
; %bb.451:
	s_lshl_b32 s0, s0, 4
	s_add_i32 s0, s0, 16
	scratch_load_dwordx4 v[0:3], off, s0
	scratch_load_dwordx4 v[4:7], off, off offset:16
	s_waitcnt vmcnt(1)
	scratch_store_dwordx4 off, v[0:3], off offset:16
	s_waitcnt vmcnt(1)
	scratch_store_dwordx4 off, v[4:7], s0
.LBB54_452:
	scratch_load_dwordx4 v[0:3], off, off offset:16
	s_nop 0
	scratch_load_dwordx4 v[4:7], off, s70
	scratch_load_dwordx4 v[8:11], off, s69
	;; [unrolled: 1-line block ×34, first 2 shown]
	v_accvgpr_read_b32 v141, a1
	v_accvgpr_read_b32 v140, a0
	;; [unrolled: 1-line block ×16, first 2 shown]
	s_waitcnt vmcnt(34)
	global_store_dwordx4 v[140:141], v[0:3], off
	scratch_load_dwordx4 v[0:3], off, s35
	s_nop 0
	scratch_load_dwordx4 v[140:143], off, s36
	s_waitcnt vmcnt(36)
	global_store_dwordx4 v[144:145], v[4:7], off
	v_accvgpr_read_b32 v145, a7
	v_accvgpr_read_b32 v144, a6
	v_accvgpr_read_b32 v4, a4
	v_accvgpr_read_b32 v5, a5
	s_waitcnt vmcnt(36)
	global_store_dwordx4 v[4:5], v[8:11], off
	scratch_load_dwordx4 v[4:7], off, s33
	s_nop 0
	scratch_load_dwordx4 v[8:11], off, s34
	s_waitcnt vmcnt(38)
	global_store_dwordx4 v[144:145], v[12:15], off
	scratch_load_dwordx4 v[12:15], off, s30
	s_nop 0
	scratch_load_dwordx4 v[144:147], off, s31
	s_waitcnt vmcnt(40)
	global_store_dwordx4 v[148:149], v[16:19], off
	scratch_load_dwordx4 v[16:19], off, s28
	s_nop 0
	scratch_load_dwordx4 v[148:151], off, s29
	s_waitcnt vmcnt(42)
	global_store_dwordx4 v[152:153], v[20:23], off
	v_accvgpr_read_b32 v153, a15
	v_accvgpr_read_b32 v152, a14
	v_accvgpr_read_b32 v21, a13
	v_accvgpr_read_b32 v20, a12
	s_waitcnt vmcnt(42)
	global_store_dwordx4 v[20:21], v[24:27], off
	scratch_load_dwordx4 v[20:23], off, s26
	s_nop 0
	scratch_load_dwordx4 v[24:27], off, s27
	s_waitcnt vmcnt(44)
	global_store_dwordx4 v[152:153], v[28:31], off
	scratch_load_dwordx4 v[28:31], off, s24
	s_nop 0
	scratch_load_dwordx4 v[152:155], off, s25
	;; [unrolled: 21-line block ×3, first 2 shown]
	s_waitcnt vmcnt(52)
	global_store_dwordx4 v[164:165], v[48:51], off
	scratch_load_dwordx4 v[48:51], off, s12
	s_nop 0
	scratch_load_dwordx4 v[164:167], off, s13
	s_waitcnt vmcnt(54)
	global_store_dwordx4 v[168:169], v[52:55], off
	s_nop 1
	v_accvgpr_read_b32 v53, a29
	v_accvgpr_read_b32 v52, a28
	s_waitcnt vmcnt(54)
	global_store_dwordx4 v[52:53], v[56:59], off
	v_accvgpr_read_b32 v53, a31
	v_accvgpr_read_b32 v52, a30
	s_waitcnt vmcnt(54)
	global_store_dwordx4 v[52:53], v[60:63], off
	;; [unrolled: 4-line block ×22, first 2 shown]
	s_nop 1
	v_accvgpr_read_b32 v0, a72
	v_accvgpr_read_b32 v1, a73
	s_waitcnt vmcnt(53)
	global_store_dwordx4 v[0:1], v[140:143], off
	v_accvgpr_read_b32 v0, a74
	v_accvgpr_read_b32 v1, a75
	s_waitcnt vmcnt(51)
	global_store_dwordx4 v[0:1], v[4:7], off
	;; [unrolled: 4-line block ×19, first 2 shown]
	s_endpgm
	.section	.rodata,"a",@progbits
	.p2align	6, 0x0
	.amdhsa_kernel _ZN9rocsolver6v33100L18getri_kernel_smallILi55E19rocblas_complex_numIdEPS3_EEvT1_iilPiilS6_bb
		.amdhsa_group_segment_fixed_size 1768
		.amdhsa_private_segment_fixed_size 912
		.amdhsa_kernarg_size 60
		.amdhsa_user_sgpr_count 2
		.amdhsa_user_sgpr_dispatch_ptr 0
		.amdhsa_user_sgpr_queue_ptr 0
		.amdhsa_user_sgpr_kernarg_segment_ptr 1
		.amdhsa_user_sgpr_dispatch_id 0
		.amdhsa_user_sgpr_kernarg_preload_length 0
		.amdhsa_user_sgpr_kernarg_preload_offset 0
		.amdhsa_user_sgpr_private_segment_size 0
		.amdhsa_uses_dynamic_stack 0
		.amdhsa_enable_private_segment 1
		.amdhsa_system_sgpr_workgroup_id_x 1
		.amdhsa_system_sgpr_workgroup_id_y 0
		.amdhsa_system_sgpr_workgroup_id_z 0
		.amdhsa_system_sgpr_workgroup_info 0
		.amdhsa_system_vgpr_workitem_id 0
		.amdhsa_next_free_vgpr 402
		.amdhsa_next_free_sgpr 71
		.amdhsa_accum_offset 256
		.amdhsa_reserve_vcc 1
		.amdhsa_float_round_mode_32 0
		.amdhsa_float_round_mode_16_64 0
		.amdhsa_float_denorm_mode_32 3
		.amdhsa_float_denorm_mode_16_64 3
		.amdhsa_dx10_clamp 1
		.amdhsa_ieee_mode 1
		.amdhsa_fp16_overflow 0
		.amdhsa_tg_split 0
		.amdhsa_exception_fp_ieee_invalid_op 0
		.amdhsa_exception_fp_denorm_src 0
		.amdhsa_exception_fp_ieee_div_zero 0
		.amdhsa_exception_fp_ieee_overflow 0
		.amdhsa_exception_fp_ieee_underflow 0
		.amdhsa_exception_fp_ieee_inexact 0
		.amdhsa_exception_int_div_zero 0
	.end_amdhsa_kernel
	.section	.text._ZN9rocsolver6v33100L18getri_kernel_smallILi55E19rocblas_complex_numIdEPS3_EEvT1_iilPiilS6_bb,"axG",@progbits,_ZN9rocsolver6v33100L18getri_kernel_smallILi55E19rocblas_complex_numIdEPS3_EEvT1_iilPiilS6_bb,comdat
.Lfunc_end54:
	.size	_ZN9rocsolver6v33100L18getri_kernel_smallILi55E19rocblas_complex_numIdEPS3_EEvT1_iilPiilS6_bb, .Lfunc_end54-_ZN9rocsolver6v33100L18getri_kernel_smallILi55E19rocblas_complex_numIdEPS3_EEvT1_iilPiilS6_bb
                                        ; -- End function
	.set _ZN9rocsolver6v33100L18getri_kernel_smallILi55E19rocblas_complex_numIdEPS3_EEvT1_iilPiilS6_bb.num_vgpr, 256
	.set _ZN9rocsolver6v33100L18getri_kernel_smallILi55E19rocblas_complex_numIdEPS3_EEvT1_iilPiilS6_bb.num_agpr, 146
	.set _ZN9rocsolver6v33100L18getri_kernel_smallILi55E19rocblas_complex_numIdEPS3_EEvT1_iilPiilS6_bb.numbered_sgpr, 71
	.set _ZN9rocsolver6v33100L18getri_kernel_smallILi55E19rocblas_complex_numIdEPS3_EEvT1_iilPiilS6_bb.num_named_barrier, 0
	.set _ZN9rocsolver6v33100L18getri_kernel_smallILi55E19rocblas_complex_numIdEPS3_EEvT1_iilPiilS6_bb.private_seg_size, 912
	.set _ZN9rocsolver6v33100L18getri_kernel_smallILi55E19rocblas_complex_numIdEPS3_EEvT1_iilPiilS6_bb.uses_vcc, 1
	.set _ZN9rocsolver6v33100L18getri_kernel_smallILi55E19rocblas_complex_numIdEPS3_EEvT1_iilPiilS6_bb.uses_flat_scratch, 0
	.set _ZN9rocsolver6v33100L18getri_kernel_smallILi55E19rocblas_complex_numIdEPS3_EEvT1_iilPiilS6_bb.has_dyn_sized_stack, 0
	.set _ZN9rocsolver6v33100L18getri_kernel_smallILi55E19rocblas_complex_numIdEPS3_EEvT1_iilPiilS6_bb.has_recursion, 0
	.set _ZN9rocsolver6v33100L18getri_kernel_smallILi55E19rocblas_complex_numIdEPS3_EEvT1_iilPiilS6_bb.has_indirect_call, 0
	.section	.AMDGPU.csdata,"",@progbits
; Kernel info:
; codeLenInByte = 127616
; TotalNumSgprs: 77
; NumVgprs: 256
; NumAgprs: 146
; TotalNumVgprs: 402
; ScratchSize: 912
; MemoryBound: 0
; FloatMode: 240
; IeeeMode: 1
; LDSByteSize: 1768 bytes/workgroup (compile time only)
; SGPRBlocks: 9
; VGPRBlocks: 50
; NumSGPRsForWavesPerEU: 77
; NumVGPRsForWavesPerEU: 402
; AccumOffset: 256
; Occupancy: 1
; WaveLimiterHint : 1
; COMPUTE_PGM_RSRC2:SCRATCH_EN: 1
; COMPUTE_PGM_RSRC2:USER_SGPR: 2
; COMPUTE_PGM_RSRC2:TRAP_HANDLER: 0
; COMPUTE_PGM_RSRC2:TGID_X_EN: 1
; COMPUTE_PGM_RSRC2:TGID_Y_EN: 0
; COMPUTE_PGM_RSRC2:TGID_Z_EN: 0
; COMPUTE_PGM_RSRC2:TIDIG_COMP_CNT: 0
; COMPUTE_PGM_RSRC3_GFX90A:ACCUM_OFFSET: 63
; COMPUTE_PGM_RSRC3_GFX90A:TG_SPLIT: 0
	.section	.text._ZN9rocsolver6v33100L18getri_kernel_smallILi56E19rocblas_complex_numIdEPS3_EEvT1_iilPiilS6_bb,"axG",@progbits,_ZN9rocsolver6v33100L18getri_kernel_smallILi56E19rocblas_complex_numIdEPS3_EEvT1_iilPiilS6_bb,comdat
	.globl	_ZN9rocsolver6v33100L18getri_kernel_smallILi56E19rocblas_complex_numIdEPS3_EEvT1_iilPiilS6_bb ; -- Begin function _ZN9rocsolver6v33100L18getri_kernel_smallILi56E19rocblas_complex_numIdEPS3_EEvT1_iilPiilS6_bb
	.p2align	8
	.type	_ZN9rocsolver6v33100L18getri_kernel_smallILi56E19rocblas_complex_numIdEPS3_EEvT1_iilPiilS6_bb,@function
_ZN9rocsolver6v33100L18getri_kernel_smallILi56E19rocblas_complex_numIdEPS3_EEvT1_iilPiilS6_bb: ; @_ZN9rocsolver6v33100L18getri_kernel_smallILi56E19rocblas_complex_numIdEPS3_EEvT1_iilPiilS6_bb
; %bb.0:
	v_mov_b32_e32 v252, v0
	v_cmp_gt_u32_e32 vcc, 56, v252
	s_and_saveexec_b64 s[4:5], vcc
	s_cbranch_execz .LBB55_238
; %bb.1:
	s_load_dword s8, s[0:1], 0x38
	s_load_dwordx4 s[12:15], s[0:1], 0x10
	s_load_dwordx4 s[4:7], s[0:1], 0x28
                                        ; implicit-def: $sgpr16_sgpr17
	s_waitcnt lgkmcnt(0)
	s_bitcmp1_b32 s8, 8
	s_cselect_b64 s[18:19], -1, 0
	s_ashr_i32 s3, s2, 31
	s_bfe_u32 s8, s8, 0x10008
	s_cmp_eq_u32 s8, 0
	s_cbranch_scc1 .LBB55_3
; %bb.2:
	s_load_dword s8, s[0:1], 0x20
	s_mul_i32 s9, s4, s3
	s_mul_hi_u32 s10, s4, s2
	s_mul_i32 s5, s5, s2
	s_add_i32 s10, s10, s9
	s_add_i32 s5, s10, s5
	s_mul_i32 s4, s4, s2
	s_waitcnt lgkmcnt(0)
	s_ashr_i32 s9, s8, 31
	s_lshl_b64 s[4:5], s[4:5], 2
	s_add_u32 s10, s14, s4
	s_addc_u32 s11, s15, s5
	s_lshl_b64 s[4:5], s[8:9], 2
	s_add_u32 s16, s10, s4
	s_addc_u32 s17, s11, s5
.LBB55_3:
	s_load_dwordx4 s[8:11], s[0:1], 0x0
	s_load_dword s4, s[0:1], 0x38
	s_mul_i32 s5, s12, s3
	s_mul_hi_u32 s14, s12, s2
	s_add_i32 s5, s14, s5
	s_waitcnt lgkmcnt(0)
	s_ashr_i32 s1, s10, 31
	s_mov_b32 s0, s10
	s_mul_i32 s10, s13, s2
	s_add_i32 s13, s5, s10
	s_mul_i32 s12, s12, s2
	s_lshl_b64 s[12:13], s[12:13], 4
	s_add_u32 s5, s8, s12
	s_addc_u32 s8, s9, s13
	s_lshl_b64 s[0:1], s[0:1], 4
	s_add_u32 s0, s5, s0
	s_addc_u32 s1, s8, s1
	s_add_i32 s5, s11, s11
	v_add_u32_e32 v14, s5, v252
	v_lshlrev_b32_e32 v38, 4, v252
	v_mov_b32_e32 v39, 0
	v_ashrrev_i32_e32 v15, 31, v14
	v_lshl_add_u64 v[0:1], s[0:1], 0, v[38:39]
	v_lshl_add_u64 v[10:11], v[14:15], 4, s[0:1]
	v_add_u32_e32 v14, s11, v14
	s_ashr_i32 s9, s11, 31
	s_mov_b32 s8, s11
	v_accvgpr_write_b32 a0, v0
	v_add_u32_e32 v22, s11, v14
	v_accvgpr_write_b32 a1, v1
	v_lshl_add_u64 v[0:1], s[8:9], 4, v[0:1]
	v_ashrrev_i32_e32 v23, 31, v22
	v_accvgpr_write_b32 a3, v1
	v_ashrrev_i32_e32 v15, 31, v14
	v_lshl_add_u64 v[18:19], v[22:23], 4, s[0:1]
	v_add_u32_e32 v22, s11, v22
	global_load_dwordx4 v[2:5], v38, s[0:1]
	global_load_dwordx4 v[6:9], v[0:1], off
	v_accvgpr_write_b32 a2, v0
	v_lshl_add_u64 v[0:1], v[14:15], 4, s[0:1]
	v_add_u32_e32 v30, s11, v22
	v_accvgpr_write_b32 a4, v10
	v_accvgpr_write_b32 a7, v1
	v_ashrrev_i32_e32 v23, 31, v22
	v_ashrrev_i32_e32 v31, 31, v30
	v_accvgpr_write_b32 a5, v11
	global_load_dwordx4 v[10:13], v[10:11], off
	v_accvgpr_write_b32 a6, v0
	global_load_dwordx4 v[14:17], v[0:1], off
	v_lshl_add_u64 v[0:1], v[22:23], 4, s[0:1]
	v_lshl_add_u64 v[26:27], v[30:31], 4, s[0:1]
	v_add_u32_e32 v30, s11, v30
	v_accvgpr_write_b32 a8, v18
	v_accvgpr_write_b32 a11, v1
	v_ashrrev_i32_e32 v31, 31, v30
	v_accvgpr_write_b32 a9, v19
	global_load_dwordx4 v[18:21], v[18:19], off
	v_accvgpr_write_b32 a10, v0
	global_load_dwordx4 v[22:25], v[0:1], off
	v_lshl_add_u64 v[0:1], v[30:31], 4, s[0:1]
	v_add_u32_e32 v30, s11, v30
	v_add_u32_e32 v40, s11, v30
	v_accvgpr_write_b32 a12, v26
	v_ashrrev_i32_e32 v31, 31, v30
	v_ashrrev_i32_e32 v41, 31, v40
	v_add_u32_e32 v42, s11, v40
	v_accvgpr_write_b32 a15, v1
	v_accvgpr_write_b32 a13, v27
	global_load_dwordx4 v[26:29], v[26:27], off
	v_lshl_add_u64 v[34:35], v[30:31], 4, s[0:1]
	v_accvgpr_write_b32 a14, v0
	global_load_dwordx4 v[30:33], v[0:1], off
	v_lshl_add_u64 v[0:1], v[40:41], 4, s[0:1]
	v_add_u32_e32 v48, s11, v42
	v_accvgpr_write_b32 a16, v34
	v_ashrrev_i32_e32 v43, 31, v42
	v_ashrrev_i32_e32 v49, 31, v48
	v_add_u32_e32 v50, s11, v48
	v_accvgpr_write_b32 a19, v1
	v_accvgpr_write_b32 a17, v35
	global_load_dwordx4 v[34:37], v[34:35], off
	v_lshl_add_u64 v[44:45], v[42:43], 4, s[0:1]
	v_accvgpr_write_b32 a18, v0
	global_load_dwordx4 v[40:43], v[0:1], off
	v_lshl_add_u64 v[0:1], v[48:49], 4, s[0:1]
	v_add_u32_e32 v56, s11, v50
	v_accvgpr_write_b32 a20, v44
	v_ashrrev_i32_e32 v51, 31, v50
	v_ashrrev_i32_e32 v57, 31, v56
	v_accvgpr_write_b32 a23, v1
	v_accvgpr_write_b32 a21, v45
	global_load_dwordx4 v[44:47], v[44:45], off
	v_lshl_add_u64 v[52:53], v[50:51], 4, s[0:1]
	v_accvgpr_write_b32 a22, v0
	global_load_dwordx4 v[48:51], v[0:1], off
	v_lshl_add_u64 v[0:1], v[56:57], 4, s[0:1]
	v_add_u32_e32 v56, s11, v56
	v_add_u32_e32 v64, s11, v56
	v_accvgpr_write_b32 a24, v52
	v_ashrrev_i32_e32 v57, 31, v56
	v_add_u32_e32 v66, s11, v64
	v_accvgpr_write_b32 a25, v53
	global_load_dwordx4 v[52:55], v[52:53], off
	v_lshl_add_u64 v[60:61], v[56:57], 4, s[0:1]
	v_add_u32_e32 v72, s11, v66
	v_ashrrev_i32_e32 v65, 31, v64
	v_accvgpr_write_b32 a27, v1
	global_load_dwordx4 v[56:59], v[0:1], off
	v_accvgpr_write_b32 a28, v60
	v_ashrrev_i32_e32 v67, 31, v66
	v_add_u32_e32 v80, s11, v72
	v_accvgpr_write_b32 a26, v0
	v_accvgpr_write_b32 a29, v61
	global_load_dwordx4 v[60:63], v[60:61], off
	v_lshl_add_u64 v[0:1], v[64:65], 4, s[0:1]
	v_lshl_add_u64 v[68:69], v[66:67], 4, s[0:1]
	v_ashrrev_i32_e32 v81, 31, v80
	v_ashrrev_i32_e32 v73, 31, v72
	v_accvgpr_write_b32 a31, v1
	global_load_dwordx4 v[64:67], v[0:1], off
	v_accvgpr_write_b32 a32, v68
	v_lshl_add_u64 v[76:77], v[80:81], 4, s[0:1]
	v_add_u32_e32 v80, s11, v80
	v_accvgpr_write_b32 a30, v0
	v_accvgpr_write_b32 a33, v69
	global_load_dwordx4 v[68:71], v[68:69], off
	v_lshl_add_u64 v[0:1], v[72:73], 4, s[0:1]
	v_add_u32_e32 v88, s11, v80
	v_accvgpr_write_b32 a35, v1
	global_load_dwordx4 v[72:75], v[0:1], off
	v_accvgpr_write_b32 a36, v76
	v_ashrrev_i32_e32 v81, 31, v80
	v_ashrrev_i32_e32 v89, 31, v88
	v_accvgpr_write_b32 a34, v0
	v_accvgpr_write_b32 a37, v77
	global_load_dwordx4 v[76:79], v[76:77], off
	v_lshl_add_u64 v[0:1], v[80:81], 4, s[0:1]
	v_lshl_add_u64 v[84:85], v[88:89], 4, s[0:1]
	global_load_dwordx4 v[80:83], v[0:1], off
	v_accvgpr_write_b32 a40, v84
	v_accvgpr_write_b32 a41, v85
	global_load_dwordx4 v[84:87], v[84:85], off
	v_add_u32_e32 v92, s11, v88
	v_accvgpr_write_b32 a39, v1
	v_ashrrev_i32_e32 v93, 31, v92
	v_accvgpr_write_b32 a38, v0
	v_lshl_add_u64 v[0:1], v[92:93], 4, s[0:1]
	global_load_dwordx4 v[88:91], v[0:1], off
	s_waitcnt vmcnt(21)
	scratch_store_dwordx4 off, v[2:5], off offset:16
	s_waitcnt vmcnt(21)
	scratch_store_dwordx4 off, v[6:9], off offset:32
	;; [unrolled: 2-line block ×21, first 2 shown]
	v_add_u32_e32 v6, s11, v92
	v_accvgpr_write_b32 a43, v1
	v_ashrrev_i32_e32 v7, 31, v6
	v_accvgpr_write_b32 a42, v0
	v_lshl_add_u64 v[0:1], v[6:7], 4, s[0:1]
	v_add_u32_e32 v6, s11, v6
	v_add_u32_e32 v14, s11, v6
	v_ashrrev_i32_e32 v15, 31, v14
	v_lshl_add_u64 v[10:11], v[14:15], 4, s[0:1]
	v_add_u32_e32 v14, s11, v14
	v_add_u32_e32 v22, s11, v14
	v_ashrrev_i32_e32 v23, 31, v22
	;; [unrolled: 4-line block ×6, first 2 shown]
	v_lshl_add_u64 v[52:53], v[56:57], 4, s[0:1]
	v_add_u32_e32 v56, s11, v56
	v_accvgpr_write_b32 a45, v1
	v_ashrrev_i32_e32 v7, 31, v6
	v_accvgpr_write_b32 a49, v11
	v_add_u32_e32 v64, s11, v56
	v_accvgpr_write_b32 a44, v0
	global_load_dwordx4 v[2:5], v[0:1], off
	v_accvgpr_write_b32 a48, v10
	global_load_dwordx4 v[10:13], v[10:11], off
	v_lshl_add_u64 v[0:1], v[6:7], 4, s[0:1]
	v_ashrrev_i32_e32 v65, 31, v64
	v_accvgpr_write_b32 a47, v1
	v_ashrrev_i32_e32 v15, 31, v14
	v_accvgpr_write_b32 a53, v19
	v_lshl_add_u64 v[60:61], v[64:65], 4, s[0:1]
	v_add_u32_e32 v64, s11, v64
	v_accvgpr_write_b32 a46, v0
	global_load_dwordx4 v[6:9], v[0:1], off
	v_accvgpr_write_b32 a52, v18
	global_load_dwordx4 v[18:21], v[18:19], off
	v_lshl_add_u64 v[0:1], v[14:15], 4, s[0:1]
	v_add_u32_e32 v72, s11, v64
	v_accvgpr_write_b32 a51, v1
	v_ashrrev_i32_e32 v23, 31, v22
	v_accvgpr_write_b32 a57, v27
	v_ashrrev_i32_e32 v73, 31, v72
	v_accvgpr_write_b32 a50, v0
	global_load_dwordx4 v[14:17], v[0:1], off
	v_accvgpr_write_b32 a56, v26
	global_load_dwordx4 v[26:29], v[26:27], off
	v_lshl_add_u64 v[0:1], v[22:23], 4, s[0:1]
	v_lshl_add_u64 v[68:69], v[72:73], 4, s[0:1]
	v_add_u32_e32 v72, s11, v72
	v_accvgpr_write_b32 a55, v1
	v_ashrrev_i32_e32 v31, 31, v30
	v_accvgpr_write_b32 a61, v35
	v_add_u32_e32 v80, s11, v72
	v_accvgpr_write_b32 a54, v0
	global_load_dwordx4 v[22:25], v[0:1], off
	v_accvgpr_write_b32 a60, v34
	global_load_dwordx4 v[34:37], v[34:35], off
	v_lshl_add_u64 v[0:1], v[30:31], 4, s[0:1]
	v_ashrrev_i32_e32 v81, 31, v80
	v_accvgpr_write_b32 a59, v1
	v_ashrrev_i32_e32 v41, 31, v40
	v_accvgpr_write_b32 a65, v45
	v_lshl_add_u64 v[76:77], v[80:81], 4, s[0:1]
	v_add_u32_e32 v80, s11, v80
	s_waitcnt vmcnt(29)
	scratch_store_dwordx4 off, v[88:91], off offset:352
	v_accvgpr_write_b32 a58, v0
	global_load_dwordx4 v[30:33], v[0:1], off
	v_accvgpr_write_b32 a64, v44
	global_load_dwordx4 v[44:47], v[44:45], off
	v_lshl_add_u64 v[0:1], v[40:41], 4, s[0:1]
	v_add_u32_e32 v88, s11, v80
	v_accvgpr_write_b32 a63, v1
	v_ashrrev_i32_e32 v49, 31, v48
	v_accvgpr_write_b32 a69, v53
	v_ashrrev_i32_e32 v89, 31, v88
	v_accvgpr_write_b32 a62, v0
	global_load_dwordx4 v[40:43], v[0:1], off
	v_accvgpr_write_b32 a68, v52
	global_load_dwordx4 v[52:55], v[52:53], off
	v_lshl_add_u64 v[0:1], v[48:49], 4, s[0:1]
	v_lshl_add_u64 v[84:85], v[88:89], 4, s[0:1]
	v_add_u32_e32 v88, s11, v88
	v_accvgpr_write_b32 a67, v1
	v_ashrrev_i32_e32 v57, 31, v56
	v_accvgpr_write_b32 a73, v61
	v_add_u32_e32 v96, s11, v88
	v_accvgpr_write_b32 a66, v0
	global_load_dwordx4 v[48:51], v[0:1], off
	v_accvgpr_write_b32 a72, v60
	global_load_dwordx4 v[60:63], v[60:61], off
	v_lshl_add_u64 v[0:1], v[56:57], 4, s[0:1]
	v_ashrrev_i32_e32 v97, 31, v96
	v_accvgpr_write_b32 a71, v1
	v_ashrrev_i32_e32 v65, 31, v64
	v_accvgpr_write_b32 a77, v69
	v_lshl_add_u64 v[92:93], v[96:97], 4, s[0:1]
	v_add_u32_e32 v96, s11, v96
	v_accvgpr_write_b32 a70, v0
	global_load_dwordx4 v[56:59], v[0:1], off
	v_accvgpr_write_b32 a76, v68
	global_load_dwordx4 v[68:71], v[68:69], off
	v_lshl_add_u64 v[0:1], v[64:65], 4, s[0:1]
	v_add_u32_e32 v104, s11, v96
	v_accvgpr_write_b32 a75, v1
	v_ashrrev_i32_e32 v73, 31, v72
	v_accvgpr_write_b32 a81, v77
	v_ashrrev_i32_e32 v105, 31, v104
	v_accvgpr_write_b32 a74, v0
	global_load_dwordx4 v[64:67], v[0:1], off
	v_accvgpr_write_b32 a80, v76
	global_load_dwordx4 v[76:79], v[76:77], off
	v_lshl_add_u64 v[0:1], v[72:73], 4, s[0:1]
	v_lshl_add_u64 v[100:101], v[104:105], 4, s[0:1]
	v_add_u32_e32 v104, s11, v104
	v_accvgpr_write_b32 a79, v1
	v_ashrrev_i32_e32 v81, 31, v80
	v_accvgpr_write_b32 a84, v84
	v_add_u32_e32 v112, s11, v104
	v_accvgpr_write_b32 a78, v0
	global_load_dwordx4 v[72:75], v[0:1], off
	v_accvgpr_write_b32 a85, v85
	global_load_dwordx4 v[84:87], v[84:85], off
	v_lshl_add_u64 v[0:1], v[80:81], 4, s[0:1]
	v_ashrrev_i32_e32 v113, 31, v112
	v_accvgpr_write_b32 a83, v1
	v_ashrrev_i32_e32 v89, 31, v88
	v_accvgpr_write_b32 a88, v92
	v_lshl_add_u64 v[108:109], v[112:113], 4, s[0:1]
	v_add_u32_e32 v112, s11, v112
	;; [unrolled: 32-line block ×3, first 2 shown]
	v_accvgpr_write_b32 a94, v0
	global_load_dwordx4 v[104:107], v[0:1], off
	v_accvgpr_write_b32 a101, v117
	global_load_dwordx4 v[116:119], v[116:117], off
	v_lshl_add_u64 v[0:1], v[112:113], 4, s[0:1]
	v_add_u32_e32 v136, s11, v128
	v_accvgpr_write_b32 a99, v1
	v_ashrrev_i32_e32 v121, 31, v120
	v_accvgpr_write_b32 a104, v124
	v_ashrrev_i32_e32 v137, 31, v136
	v_accvgpr_write_b32 a98, v0
	global_load_dwordx4 v[112:115], v[0:1], off
	v_accvgpr_write_b32 a105, v125
	global_load_dwordx4 v[124:127], v[124:125], off
	v_lshl_add_u64 v[0:1], v[120:121], 4, s[0:1]
	v_lshl_add_u64 v[132:133], v[136:137], 4, s[0:1]
	v_accvgpr_write_b32 a103, v1
	v_ashrrev_i32_e32 v129, 31, v128
	v_accvgpr_write_b32 a108, v132
	v_accvgpr_write_b32 a102, v0
	global_load_dwordx4 v[120:123], v[0:1], off
	v_accvgpr_write_b32 a109, v133
	global_load_dwordx4 v[132:135], v[132:133], off
	v_lshl_add_u64 v[0:1], v[128:129], 4, s[0:1]
	v_add_u32_e32 v136, s11, v136
	v_accvgpr_write_b32 a107, v1
	v_ashrrev_i32_e32 v137, 31, v136
	v_accvgpr_write_b32 a106, v0
	global_load_dwordx4 v[128:131], v[0:1], off
	v_lshl_add_u64 v[0:1], v[136:137], 4, s[0:1]
	s_movk_i32 s0, 0x50
	s_add_i32 s40, s0, 16
	s_movk_i32 s0, 0x60
	s_add_i32 s41, s0, 16
	;; [unrolled: 2-line block ×5, first 2 shown]
	s_movk_i32 s0, 0xa0
	global_load_dwordx4 v[136:139], v[0:1], off
	s_add_i32 s45, s0, 16
	s_movk_i32 s0, 0xb0
	s_add_i32 s46, s0, 16
	s_movk_i32 s0, 0xc0
	;; [unrolled: 2-line block ×45, first 2 shown]
	v_accvgpr_write_b32 a111, v1
	s_add_i32 s68, s0, 16
	v_accvgpr_write_b32 a110, v0
	s_mov_b32 s71, 32
	s_mov_b32 s70, 48
	;; [unrolled: 1-line block ×3, first 2 shown]
	s_movk_i32 s39, 0x50
	s_bitcmp0_b32 s4, 0
	s_mov_b64 s[4:5], -1
	s_waitcnt vmcnt(34)
	scratch_store_dwordx4 off, v[2:5], off offset:368
	s_waitcnt vmcnt(33)
	scratch_store_dwordx4 off, v[6:9], off offset:384
	scratch_store_dwordx4 off, v[10:13], off offset:400
	s_waitcnt vmcnt(33)
	scratch_store_dwordx4 off, v[14:17], off offset:416
	scratch_store_dwordx4 off, v[18:21], off offset:432
	s_waitcnt vmcnt(33)
	scratch_store_dwordx4 off, v[22:25], off offset:448
	scratch_store_dwordx4 off, v[26:29], off offset:464
	s_waitcnt vmcnt(32)
	scratch_store_dwordx4 off, v[30:33], off offset:480
	scratch_store_dwordx4 off, v[34:37], off offset:496
	s_waitcnt vmcnt(32)
	scratch_store_dwordx4 off, v[40:43], off offset:512
	scratch_store_dwordx4 off, v[44:47], off offset:528
	s_waitcnt vmcnt(32)
	scratch_store_dwordx4 off, v[48:51], off offset:544
	scratch_store_dwordx4 off, v[52:55], off offset:560
	s_waitcnt vmcnt(32)
	scratch_store_dwordx4 off, v[56:59], off offset:576
	scratch_store_dwordx4 off, v[60:63], off offset:592
	s_waitcnt vmcnt(32)
	scratch_store_dwordx4 off, v[64:67], off offset:608
	scratch_store_dwordx4 off, v[68:71], off offset:624
	s_waitcnt vmcnt(32)
	scratch_store_dwordx4 off, v[72:75], off offset:640
	scratch_store_dwordx4 off, v[76:79], off offset:656
	s_waitcnt vmcnt(32)
	scratch_store_dwordx4 off, v[80:83], off offset:672
	scratch_store_dwordx4 off, v[84:87], off offset:688
	s_waitcnt vmcnt(32)
	scratch_store_dwordx4 off, v[88:91], off offset:704
	scratch_store_dwordx4 off, v[92:95], off offset:720
	s_waitcnt vmcnt(32)
	scratch_store_dwordx4 off, v[96:99], off offset:736
	scratch_store_dwordx4 off, v[100:103], off offset:752
	s_waitcnt vmcnt(32)
	scratch_store_dwordx4 off, v[104:107], off offset:768
	scratch_store_dwordx4 off, v[108:111], off offset:784
	s_waitcnt vmcnt(32)
	scratch_store_dwordx4 off, v[112:115], off offset:800
	scratch_store_dwordx4 off, v[116:119], off offset:816
	s_waitcnt vmcnt(32)
	scratch_store_dwordx4 off, v[120:123], off offset:832
	scratch_store_dwordx4 off, v[124:127], off offset:848
	s_waitcnt vmcnt(32)
	scratch_store_dwordx4 off, v[128:131], off offset:864
	scratch_store_dwordx4 off, v[132:135], off offset:880
	s_waitcnt vmcnt(33)
	scratch_store_dwordx4 off, v[136:139], off offset:896
	s_cbranch_scc1 .LBB55_236
; %bb.4:
	v_cmp_eq_u32_e64 s[0:1], 0, v252
	s_and_saveexec_b64 s[4:5], s[0:1]
; %bb.5:
	v_mov_b32_e32 v0, 0
	ds_write_b32 v0, v0 offset:1792
; %bb.6:
	s_or_b64 exec, exec, s[4:5]
	s_waitcnt lgkmcnt(0)
	; wave barrier
	scratch_load_dwordx4 v[2:5], v38, off offset:16
	s_waitcnt vmcnt(0)
	v_cmp_eq_f64_e32 vcc, 0, v[2:3]
	v_cmp_eq_f64_e64 s[4:5], 0, v[4:5]
	s_and_b64 s[4:5], vcc, s[4:5]
	s_and_saveexec_b64 s[8:9], s[4:5]
	s_cbranch_execz .LBB55_10
; %bb.7:
	v_mov_b32_e32 v1, 0
	ds_read_b32 v0, v1 offset:1792
	v_add_u32_e32 v2, 1, v252
	s_waitcnt lgkmcnt(0)
	v_readfirstlane_b32 s4, v0
	s_cmp_eq_u32 s4, 0
	s_cselect_b64 s[10:11], -1, 0
	v_cmp_gt_i32_e32 vcc, s4, v2
	s_or_b64 s[10:11], s[10:11], vcc
	s_and_b64 exec, exec, s[10:11]
	s_cbranch_execz .LBB55_10
; %bb.8:
	s_mov_b64 s[10:11], 0
	v_mov_b32_e32 v3, s4
.LBB55_9:                               ; =>This Inner Loop Header: Depth=1
	ds_cmpst_rtn_b32 v3, v1, v3, v2 offset:1792
	s_waitcnt lgkmcnt(0)
	v_cmp_ne_u32_e32 vcc, 0, v3
	v_cmp_le_i32_e64 s[4:5], v3, v2
	s_and_b64 s[4:5], vcc, s[4:5]
	s_and_b64 s[4:5], exec, s[4:5]
	s_or_b64 s[10:11], s[4:5], s[10:11]
	s_andn2_b64 exec, exec, s[10:11]
	s_cbranch_execnz .LBB55_9
.LBB55_10:
	s_or_b64 exec, exec, s[8:9]
	v_mov_b32_e32 v2, 0
	; wave barrier
	ds_read_b32 v1, v2 offset:1792
	s_and_saveexec_b64 s[4:5], s[0:1]
	s_cbranch_execz .LBB55_12
; %bb.11:
	s_lshl_b64 s[8:9], s[2:3], 2
	s_add_u32 s8, s6, s8
	s_addc_u32 s9, s7, s9
	s_waitcnt lgkmcnt(0)
	global_store_dword v2, v1, s[8:9]
.LBB55_12:
	s_or_b64 exec, exec, s[4:5]
	s_waitcnt lgkmcnt(0)
	v_cmp_ne_u32_e32 vcc, 0, v1
	s_mov_b64 s[4:5], 0
	s_cbranch_vccnz .LBB55_236
; %bb.13:
	v_add_u32_e32 v14, 16, v38
	scratch_load_dwordx4 v[2:5], v14, off
                                        ; implicit-def: $vgpr6_vgpr7
                                        ; implicit-def: $vgpr10_vgpr11
	s_waitcnt vmcnt(0)
	v_cmp_ngt_f64_e64 s[4:5], |v[2:3]|, |v[4:5]|
	s_and_saveexec_b64 s[8:9], s[4:5]
	s_xor_b64 s[4:5], exec, s[8:9]
	s_cbranch_execz .LBB55_15
; %bb.14:
	v_div_scale_f64 v[6:7], s[8:9], v[4:5], v[4:5], v[2:3]
	v_rcp_f64_e32 v[8:9], v[6:7]
	v_div_scale_f64 v[10:11], vcc, v[2:3], v[4:5], v[2:3]
	v_fma_f64 v[12:13], -v[6:7], v[8:9], 1.0
	v_fmac_f64_e32 v[8:9], v[8:9], v[12:13]
	v_fma_f64 v[12:13], -v[6:7], v[8:9], 1.0
	v_fmac_f64_e32 v[8:9], v[8:9], v[12:13]
	v_mul_f64 v[12:13], v[10:11], v[8:9]
	v_fma_f64 v[6:7], -v[6:7], v[12:13], v[10:11]
	v_div_fmas_f64 v[6:7], v[6:7], v[8:9], v[12:13]
	v_div_fixup_f64 v[6:7], v[6:7], v[4:5], v[2:3]
	v_fmac_f64_e32 v[4:5], v[2:3], v[6:7]
	v_div_scale_f64 v[2:3], s[8:9], v[4:5], v[4:5], 1.0
	v_rcp_f64_e32 v[8:9], v[2:3]
	s_nop 0
	v_fma_f64 v[10:11], -v[2:3], v[8:9], 1.0
	v_fmac_f64_e32 v[8:9], v[8:9], v[10:11]
	v_fma_f64 v[10:11], -v[2:3], v[8:9], 1.0
	v_fmac_f64_e32 v[8:9], v[8:9], v[10:11]
	v_div_scale_f64 v[10:11], vcc, 1.0, v[4:5], 1.0
	v_mul_f64 v[12:13], v[10:11], v[8:9]
	v_fma_f64 v[2:3], -v[2:3], v[12:13], v[10:11]
	s_nop 1
	v_div_fmas_f64 v[2:3], v[2:3], v[8:9], v[12:13]
	v_div_fixup_f64 v[8:9], v[2:3], v[4:5], 1.0
	v_mul_f64 v[6:7], v[6:7], v[8:9]
	v_xor_b32_e32 v9, 0x80000000, v9
	v_xor_b32_e32 v11, 0x80000000, v7
	v_mov_b32_e32 v10, v6
                                        ; implicit-def: $vgpr2_vgpr3
.LBB55_15:
	s_andn2_saveexec_b64 s[4:5], s[4:5]
	s_cbranch_execz .LBB55_17
; %bb.16:
	v_div_scale_f64 v[6:7], s[8:9], v[2:3], v[2:3], v[4:5]
	v_rcp_f64_e32 v[8:9], v[6:7]
	v_div_scale_f64 v[10:11], vcc, v[4:5], v[2:3], v[4:5]
	v_fma_f64 v[12:13], -v[6:7], v[8:9], 1.0
	v_fmac_f64_e32 v[8:9], v[8:9], v[12:13]
	v_fma_f64 v[12:13], -v[6:7], v[8:9], 1.0
	v_fmac_f64_e32 v[8:9], v[8:9], v[12:13]
	v_mul_f64 v[12:13], v[10:11], v[8:9]
	v_fma_f64 v[6:7], -v[6:7], v[12:13], v[10:11]
	v_div_fmas_f64 v[6:7], v[6:7], v[8:9], v[12:13]
	v_div_fixup_f64 v[8:9], v[6:7], v[2:3], v[4:5]
	v_fmac_f64_e32 v[2:3], v[4:5], v[8:9]
	v_div_scale_f64 v[4:5], s[8:9], v[2:3], v[2:3], 1.0
	v_rcp_f64_e32 v[6:7], v[4:5]
	s_nop 0
	v_fma_f64 v[10:11], -v[4:5], v[6:7], 1.0
	v_fmac_f64_e32 v[6:7], v[6:7], v[10:11]
	v_fma_f64 v[10:11], -v[4:5], v[6:7], 1.0
	v_fmac_f64_e32 v[6:7], v[6:7], v[10:11]
	v_div_scale_f64 v[10:11], vcc, 1.0, v[2:3], 1.0
	v_mul_f64 v[12:13], v[10:11], v[6:7]
	v_fma_f64 v[4:5], -v[4:5], v[12:13], v[10:11]
	s_nop 1
	v_div_fmas_f64 v[4:5], v[4:5], v[6:7], v[12:13]
	v_div_fixup_f64 v[6:7], v[4:5], v[2:3], 1.0
	v_xor_b32_e32 v11, 0x80000000, v7
	v_mov_b32_e32 v10, v6
	v_mul_f64 v[8:9], v[8:9], -v[6:7]
.LBB55_17:
	s_or_b64 exec, exec, s[4:5]
	scratch_store_dwordx4 v14, v[6:9], off
	scratch_load_dwordx4 v[2:5], off, s71
	v_xor_b32_e32 v13, 0x80000000, v9
	v_mov_b32_e32 v12, v8
	v_add_u32_e32 v1, 0x380, v38
	ds_write_b128 v38, v[10:13]
	s_waitcnt vmcnt(0)
	ds_write_b128 v38, v[2:5] offset:896
	s_waitcnt lgkmcnt(0)
	; wave barrier
	s_and_saveexec_b64 s[4:5], s[0:1]
	s_cbranch_execz .LBB55_19
; %bb.18:
	scratch_load_dwordx4 v[2:5], v14, off
	ds_read_b128 v[6:9], v1
	v_mov_b32_e32 v0, 0
	ds_read_b128 v[10:13], v0 offset:16
	s_waitcnt vmcnt(0) lgkmcnt(1)
	v_mul_f64 v[16:17], v[8:9], v[4:5]
	v_mul_f64 v[4:5], v[6:7], v[4:5]
	v_fma_f64 v[6:7], v[6:7], v[2:3], -v[16:17]
	v_fmac_f64_e32 v[4:5], v[8:9], v[2:3]
	v_add_f64 v[2:3], v[6:7], 0
	v_add_f64 v[6:7], v[4:5], 0
	s_waitcnt lgkmcnt(0)
	v_mul_f64 v[8:9], v[6:7], v[12:13]
	v_mul_f64 v[4:5], v[2:3], v[12:13]
	v_fma_f64 v[2:3], v[2:3], v[10:11], -v[8:9]
	v_fmac_f64_e32 v[4:5], v[6:7], v[10:11]
	scratch_store_dwordx4 off, v[2:5], off offset:32
.LBB55_19:
	s_or_b64 exec, exec, s[4:5]
	; wave barrier
	scratch_load_dwordx4 v[2:5], off, s70
	v_cmp_gt_u32_e32 vcc, 2, v252
	s_waitcnt vmcnt(0)
	ds_write_b128 v1, v[2:5]
	s_waitcnt lgkmcnt(0)
	; wave barrier
	s_and_saveexec_b64 s[4:5], vcc
	s_cbranch_execz .LBB55_23
; %bb.20:
	scratch_load_dwordx4 v[2:5], v14, off
	ds_read_b128 v[6:9], v1
	s_waitcnt vmcnt(0) lgkmcnt(0)
	v_mul_f64 v[10:11], v[8:9], v[4:5]
	v_mul_f64 v[12:13], v[6:7], v[4:5]
	v_fma_f64 v[4:5], v[6:7], v[2:3], -v[10:11]
	v_fmac_f64_e32 v[12:13], v[8:9], v[2:3]
	v_add_f64 v[4:5], v[4:5], 0
	v_add_f64 v[2:3], v[12:13], 0
	s_and_saveexec_b64 s[8:9], s[0:1]
	s_cbranch_execz .LBB55_22
; %bb.21:
	scratch_load_dwordx4 v[6:9], off, off offset:32
	v_mov_b32_e32 v0, 0
	ds_read_b128 v[10:13], v0 offset:912
	s_waitcnt vmcnt(0) lgkmcnt(0)
	v_mul_f64 v[14:15], v[10:11], v[8:9]
	v_mul_f64 v[8:9], v[12:13], v[8:9]
	v_fmac_f64_e32 v[14:15], v[12:13], v[6:7]
	v_fma_f64 v[6:7], v[10:11], v[6:7], -v[8:9]
	v_add_f64 v[2:3], v[2:3], v[14:15]
	v_add_f64 v[4:5], v[4:5], v[6:7]
.LBB55_22:
	s_or_b64 exec, exec, s[8:9]
	v_mov_b32_e32 v0, 0
	ds_read_b128 v[6:9], v0 offset:32
	s_waitcnt lgkmcnt(0)
	v_mul_f64 v[12:13], v[2:3], v[8:9]
	v_mul_f64 v[10:11], v[4:5], v[8:9]
	v_fma_f64 v[8:9], v[4:5], v[6:7], -v[12:13]
	v_fmac_f64_e32 v[10:11], v[2:3], v[6:7]
	scratch_store_dwordx4 off, v[8:11], off offset:48
.LBB55_23:
	s_or_b64 exec, exec, s[4:5]
	; wave barrier
	scratch_load_dwordx4 v[2:5], off, s69
	v_cmp_gt_u32_e32 vcc, 3, v252
	v_add_u32_e32 v6, -1, v252
	s_waitcnt vmcnt(0)
	ds_write_b128 v1, v[2:5]
	s_waitcnt lgkmcnt(0)
	; wave barrier
	s_and_saveexec_b64 s[0:1], vcc
	s_cbranch_execz .LBB55_27
; %bb.24:
	v_add_u32_e32 v7, -1, v252
	v_add_u32_e32 v8, 0x380, v38
	v_add_u32_e32 v9, 16, v38
	v_mov_b64_e32 v[2:3], 0
	s_mov_b64 s[4:5], 0
	v_mov_b64_e32 v[4:5], 0
.LBB55_25:                              ; =>This Inner Loop Header: Depth=1
	scratch_load_dwordx4 v[10:13], v9, off
	ds_read_b128 v[14:17], v8
	v_add_u32_e32 v7, 1, v7
	v_cmp_lt_u32_e32 vcc, 1, v7
	v_add_u32_e32 v8, 16, v8
	v_add_u32_e32 v9, 16, v9
	s_or_b64 s[4:5], vcc, s[4:5]
	s_waitcnt vmcnt(0) lgkmcnt(0)
	v_mul_f64 v[18:19], v[16:17], v[12:13]
	v_mul_f64 v[12:13], v[14:15], v[12:13]
	v_fma_f64 v[14:15], v[14:15], v[10:11], -v[18:19]
	v_fmac_f64_e32 v[12:13], v[16:17], v[10:11]
	v_add_f64 v[4:5], v[4:5], v[14:15]
	v_add_f64 v[2:3], v[2:3], v[12:13]
	s_andn2_b64 exec, exec, s[4:5]
	s_cbranch_execnz .LBB55_25
; %bb.26:
	s_or_b64 exec, exec, s[4:5]
	v_mov_b32_e32 v0, 0
	ds_read_b128 v[8:11], v0 offset:48
	s_waitcnt lgkmcnt(0)
	v_mul_f64 v[14:15], v[2:3], v[10:11]
	v_mul_f64 v[12:13], v[4:5], v[10:11]
	v_fma_f64 v[10:11], v[4:5], v[8:9], -v[14:15]
	v_fmac_f64_e32 v[12:13], v[2:3], v[8:9]
	scratch_store_dwordx4 off, v[10:13], off offset:64
.LBB55_27:
	s_or_b64 exec, exec, s[0:1]
	; wave barrier
	scratch_load_dwordx4 v[2:5], off, s39
	v_cmp_gt_u32_e32 vcc, 4, v252
	s_waitcnt vmcnt(0)
	ds_write_b128 v1, v[2:5]
	s_waitcnt lgkmcnt(0)
	; wave barrier
	s_and_saveexec_b64 s[0:1], vcc
	s_cbranch_execz .LBB55_31
; %bb.28:
	v_add_u32_e32 v7, -1, v252
	v_add_u32_e32 v8, 0x380, v38
	v_add_u32_e32 v9, 16, v38
	v_mov_b64_e32 v[2:3], 0
	s_mov_b64 s[4:5], 0
	v_mov_b64_e32 v[4:5], 0
.LBB55_29:                              ; =>This Inner Loop Header: Depth=1
	scratch_load_dwordx4 v[10:13], v9, off
	ds_read_b128 v[14:17], v8
	v_add_u32_e32 v7, 1, v7
	v_cmp_lt_u32_e32 vcc, 2, v7
	v_add_u32_e32 v8, 16, v8
	v_add_u32_e32 v9, 16, v9
	s_or_b64 s[4:5], vcc, s[4:5]
	s_waitcnt vmcnt(0) lgkmcnt(0)
	v_mul_f64 v[18:19], v[16:17], v[12:13]
	v_mul_f64 v[12:13], v[14:15], v[12:13]
	v_fma_f64 v[14:15], v[14:15], v[10:11], -v[18:19]
	v_fmac_f64_e32 v[12:13], v[16:17], v[10:11]
	v_add_f64 v[4:5], v[4:5], v[14:15]
	v_add_f64 v[2:3], v[2:3], v[12:13]
	s_andn2_b64 exec, exec, s[4:5]
	s_cbranch_execnz .LBB55_29
; %bb.30:
	s_or_b64 exec, exec, s[4:5]
	v_mov_b32_e32 v0, 0
	ds_read_b128 v[8:11], v0 offset:64
	s_waitcnt lgkmcnt(0)
	v_mul_f64 v[14:15], v[2:3], v[10:11]
	v_mul_f64 v[12:13], v[4:5], v[10:11]
	v_fma_f64 v[10:11], v[4:5], v[8:9], -v[14:15]
	v_fmac_f64_e32 v[12:13], v[2:3], v[8:9]
	scratch_store_dwordx4 off, v[10:13], off offset:80
.LBB55_31:
	s_or_b64 exec, exec, s[0:1]
	; wave barrier
	scratch_load_dwordx4 v[2:5], off, s40
	v_cmp_gt_u32_e32 vcc, 5, v252
	;; [unrolled: 45-line block ×19, first 2 shown]
	s_waitcnt vmcnt(0)
	ds_write_b128 v1, v[2:5]
	s_waitcnt lgkmcnt(0)
	; wave barrier
	s_and_saveexec_b64 s[0:1], vcc
	s_cbranch_execz .LBB55_103
; %bb.100:
	v_add_u32_e32 v7, -1, v252
	v_add_u32_e32 v8, 0x380, v38
	v_add_u32_e32 v9, 16, v38
	v_mov_b64_e32 v[2:3], 0
	s_mov_b64 s[4:5], 0
	v_mov_b64_e32 v[4:5], 0
.LBB55_101:                             ; =>This Inner Loop Header: Depth=1
	scratch_load_dwordx4 v[10:13], v9, off
	ds_read_b128 v[14:17], v8
	v_add_u32_e32 v7, 1, v7
	v_cmp_lt_u32_e32 vcc, 20, v7
	v_add_u32_e32 v8, 16, v8
	v_add_u32_e32 v9, 16, v9
	s_or_b64 s[4:5], vcc, s[4:5]
	s_waitcnt vmcnt(0) lgkmcnt(0)
	v_mul_f64 v[18:19], v[16:17], v[12:13]
	v_mul_f64 v[12:13], v[14:15], v[12:13]
	v_fma_f64 v[14:15], v[14:15], v[10:11], -v[18:19]
	v_fmac_f64_e32 v[12:13], v[16:17], v[10:11]
	v_add_f64 v[4:5], v[4:5], v[14:15]
	v_add_f64 v[2:3], v[2:3], v[12:13]
	s_andn2_b64 exec, exec, s[4:5]
	s_cbranch_execnz .LBB55_101
; %bb.102:
	s_or_b64 exec, exec, s[4:5]
	v_mov_b32_e32 v0, 0
	ds_read_b128 v[8:11], v0 offset:352
	s_waitcnt lgkmcnt(0)
	v_mul_f64 v[14:15], v[2:3], v[10:11]
	v_mul_f64 v[12:13], v[4:5], v[10:11]
	v_fma_f64 v[10:11], v[4:5], v[8:9], -v[14:15]
	v_fmac_f64_e32 v[12:13], v[2:3], v[8:9]
	scratch_store_dwordx4 off, v[10:13], off offset:368
.LBB55_103:
	s_or_b64 exec, exec, s[0:1]
	; wave barrier
	scratch_load_dwordx4 v[2:5], off, s58
	v_cmp_gt_u32_e32 vcc, 23, v252
	s_waitcnt vmcnt(0)
	ds_write_b128 v1, v[2:5]
	s_waitcnt lgkmcnt(0)
	; wave barrier
	s_and_saveexec_b64 s[0:1], vcc
	s_cbranch_execz .LBB55_107
; %bb.104:
	v_add_u32_e32 v7, -1, v252
	v_add_u32_e32 v8, 0x380, v38
	v_add_u32_e32 v9, 16, v38
	v_mov_b64_e32 v[2:3], 0
	s_mov_b64 s[4:5], 0
	v_mov_b64_e32 v[4:5], 0
.LBB55_105:                             ; =>This Inner Loop Header: Depth=1
	scratch_load_dwordx4 v[10:13], v9, off
	ds_read_b128 v[14:17], v8
	v_add_u32_e32 v7, 1, v7
	v_cmp_lt_u32_e32 vcc, 21, v7
	v_add_u32_e32 v8, 16, v8
	v_add_u32_e32 v9, 16, v9
	s_or_b64 s[4:5], vcc, s[4:5]
	s_waitcnt vmcnt(0) lgkmcnt(0)
	v_mul_f64 v[18:19], v[16:17], v[12:13]
	v_mul_f64 v[12:13], v[14:15], v[12:13]
	v_fma_f64 v[14:15], v[14:15], v[10:11], -v[18:19]
	v_fmac_f64_e32 v[12:13], v[16:17], v[10:11]
	v_add_f64 v[4:5], v[4:5], v[14:15]
	v_add_f64 v[2:3], v[2:3], v[12:13]
	s_andn2_b64 exec, exec, s[4:5]
	s_cbranch_execnz .LBB55_105
; %bb.106:
	s_or_b64 exec, exec, s[4:5]
	v_mov_b32_e32 v0, 0
	ds_read_b128 v[8:11], v0 offset:368
	s_waitcnt lgkmcnt(0)
	v_mul_f64 v[14:15], v[2:3], v[10:11]
	v_mul_f64 v[12:13], v[4:5], v[10:11]
	v_fma_f64 v[10:11], v[4:5], v[8:9], -v[14:15]
	v_fmac_f64_e32 v[12:13], v[2:3], v[8:9]
	scratch_store_dwordx4 off, v[10:13], off offset:384
.LBB55_107:
	s_or_b64 exec, exec, s[0:1]
	; wave barrier
	scratch_load_dwordx4 v[2:5], off, s59
	v_cmp_gt_u32_e32 vcc, 24, v252
	;; [unrolled: 45-line block ×32, first 2 shown]
	s_waitcnt vmcnt(0)
	ds_write_b128 v1, v[2:5]
	s_waitcnt lgkmcnt(0)
	; wave barrier
	s_and_saveexec_b64 s[0:1], vcc
	s_cbranch_execz .LBB55_231
; %bb.228:
	v_add_u32_e32 v7, -1, v252
	v_add_u32_e32 v8, 0x380, v38
	v_add_u32_e32 v9, 16, v38
	v_mov_b64_e32 v[2:3], 0
	s_mov_b64 s[4:5], 0
	v_mov_b64_e32 v[4:5], 0
.LBB55_229:                             ; =>This Inner Loop Header: Depth=1
	scratch_load_dwordx4 v[10:13], v9, off
	ds_read_b128 v[14:17], v8
	v_add_u32_e32 v7, 1, v7
	v_cmp_lt_u32_e32 vcc, 52, v7
	v_add_u32_e32 v8, 16, v8
	v_add_u32_e32 v9, 16, v9
	s_or_b64 s[4:5], vcc, s[4:5]
	s_waitcnt vmcnt(0) lgkmcnt(0)
	v_mul_f64 v[18:19], v[16:17], v[12:13]
	v_mul_f64 v[12:13], v[14:15], v[12:13]
	v_fma_f64 v[14:15], v[14:15], v[10:11], -v[18:19]
	v_fmac_f64_e32 v[12:13], v[16:17], v[10:11]
	v_add_f64 v[4:5], v[4:5], v[14:15]
	v_add_f64 v[2:3], v[2:3], v[12:13]
	s_andn2_b64 exec, exec, s[4:5]
	s_cbranch_execnz .LBB55_229
; %bb.230:
	s_or_b64 exec, exec, s[4:5]
	v_mov_b32_e32 v0, 0
	ds_read_b128 v[8:11], v0 offset:864
	s_waitcnt lgkmcnt(0)
	v_mul_f64 v[14:15], v[2:3], v[10:11]
	v_mul_f64 v[12:13], v[4:5], v[10:11]
	v_fma_f64 v[10:11], v[4:5], v[8:9], -v[14:15]
	v_fmac_f64_e32 v[12:13], v[2:3], v[8:9]
	scratch_store_dwordx4 off, v[10:13], off offset:880
.LBB55_231:
	s_or_b64 exec, exec, s[0:1]
	; wave barrier
	scratch_load_dwordx4 v[2:5], off, s68
	v_cmp_ne_u32_e32 vcc, 55, v252
	s_waitcnt vmcnt(0)
	ds_write_b128 v1, v[2:5]
	s_waitcnt lgkmcnt(0)
	; wave barrier
	s_and_saveexec_b64 s[0:1], vcc
	s_cbranch_execz .LBB55_235
; %bb.232:
	v_add_u32_e32 v1, 0x380, v38
	v_add_u32_e32 v7, 16, v38
	v_mov_b64_e32 v[2:3], 0
	s_mov_b64 s[4:5], 0
	v_mov_b64_e32 v[4:5], 0
.LBB55_233:                             ; =>This Inner Loop Header: Depth=1
	scratch_load_dwordx4 v[8:11], v7, off
	ds_read_b128 v[12:15], v1
	v_add_u32_e32 v6, 1, v6
	v_cmp_lt_u32_e32 vcc, 53, v6
	v_add_u32_e32 v1, 16, v1
	v_add_u32_e32 v7, 16, v7
	s_or_b64 s[4:5], vcc, s[4:5]
	s_waitcnt vmcnt(0) lgkmcnt(0)
	v_mul_f64 v[16:17], v[14:15], v[10:11]
	v_mul_f64 v[10:11], v[12:13], v[10:11]
	v_fma_f64 v[12:13], v[12:13], v[8:9], -v[16:17]
	v_fmac_f64_e32 v[10:11], v[14:15], v[8:9]
	v_add_f64 v[4:5], v[4:5], v[12:13]
	v_add_f64 v[2:3], v[2:3], v[10:11]
	s_andn2_b64 exec, exec, s[4:5]
	s_cbranch_execnz .LBB55_233
; %bb.234:
	s_or_b64 exec, exec, s[4:5]
	v_mov_b32_e32 v0, 0
	ds_read_b128 v[6:9], v0 offset:880
	s_waitcnt lgkmcnt(0)
	v_mul_f64 v[12:13], v[2:3], v[8:9]
	v_mul_f64 v[10:11], v[4:5], v[8:9]
	v_fma_f64 v[8:9], v[4:5], v[6:7], -v[12:13]
	v_fmac_f64_e32 v[10:11], v[2:3], v[6:7]
	scratch_store_dwordx4 off, v[8:11], off offset:896
.LBB55_235:
	s_or_b64 exec, exec, s[0:1]
	s_mov_b64 s[4:5], -1
	; wave barrier
.LBB55_236:
	s_and_b64 vcc, exec, s[4:5]
	s_cbranch_vccz .LBB55_238
; %bb.237:
	s_lshl_b64 s[0:1], s[2:3], 2
	s_add_u32 s0, s6, s0
	s_addc_u32 s1, s7, s1
	v_mov_b32_e32 v0, 0
	global_load_dword v0, v0, s[0:1]
	s_waitcnt vmcnt(0)
	v_cmp_ne_u32_e32 vcc, 0, v0
	s_cbranch_vccz .LBB55_239
.LBB55_238:
	s_endpgm
.LBB55_239:
	v_mov_b32_e32 v0, 0x380
	v_lshl_add_u32 v0, v252, 4, v0
	v_accvgpr_write_b32 a113, v0
	v_cmp_eq_u32_e32 vcc, 55, v252
	s_and_saveexec_b64 s[0:1], vcc
	s_cbranch_execz .LBB55_241
; %bb.240:
	scratch_load_dwordx4 v[2:5], off, s38
	v_mov_b32_e32 v6, 0
	v_mov_b32_e32 v7, v6
	;; [unrolled: 1-line block ×4, first 2 shown]
	v_accvgpr_read_b32 v0, a113
	scratch_store_dwordx4 off, v[6:9], off offset:880
	s_waitcnt vmcnt(1)
	ds_write_b128 v0, v[2:5]
.LBB55_241:
	s_or_b64 exec, exec, s[0:1]
	s_waitcnt lgkmcnt(0)
	; wave barrier
	scratch_load_dwordx4 v[4:7], off, off offset:896
	scratch_load_dwordx4 v[8:11], off, off offset:880
	v_mov_b32_e32 v2, 0
	ds_read_b128 v[12:15], v2 offset:1776
	v_cmp_lt_u32_e32 vcc, 53, v252
	s_waitcnt vmcnt(1) lgkmcnt(0)
	v_mul_f64 v[16:17], v[12:13], v[6:7]
	v_mul_f64 v[6:7], v[14:15], v[6:7]
	v_fmac_f64_e32 v[16:17], v[14:15], v[4:5]
	v_fma_f64 v[4:5], v[12:13], v[4:5], -v[6:7]
	v_add_f64 v[6:7], v[16:17], 0
	v_add_f64 v[4:5], v[4:5], 0
	s_waitcnt vmcnt(0)
	v_add_f64 v[4:5], v[8:9], -v[4:5]
	v_add_f64 v[6:7], v[10:11], -v[6:7]
	scratch_store_dwordx4 off, v[4:7], off offset:880
	s_and_saveexec_b64 s[0:1], vcc
	s_cbranch_execz .LBB55_243
; %bb.242:
	scratch_load_dwordx4 v[6:9], off, s37
	v_mov_b32_e32 v3, v2
	v_mov_b32_e32 v4, v2
	;; [unrolled: 1-line block ×3, first 2 shown]
	v_accvgpr_read_b32 v0, a113
	scratch_store_dwordx4 off, v[2:5], off offset:864
	s_waitcnt vmcnt(1)
	ds_write_b128 v0, v[6:9]
.LBB55_243:
	s_or_b64 exec, exec, s[0:1]
	s_waitcnt lgkmcnt(0)
	; wave barrier
	scratch_load_dwordx4 v[4:7], off, off offset:880
	scratch_load_dwordx4 v[8:11], off, off offset:896
	;; [unrolled: 1-line block ×3, first 2 shown]
	ds_read_b128 v[16:19], v2 offset:1760
	ds_read_b128 v[20:23], v2 offset:1776
	v_cmp_lt_u32_e32 vcc, 52, v252
	s_waitcnt vmcnt(2) lgkmcnt(1)
	v_mul_f64 v[2:3], v[16:17], v[6:7]
	v_mul_f64 v[6:7], v[18:19], v[6:7]
	s_waitcnt vmcnt(1) lgkmcnt(0)
	v_mul_f64 v[24:25], v[20:21], v[10:11]
	v_mul_f64 v[10:11], v[22:23], v[10:11]
	v_fmac_f64_e32 v[2:3], v[18:19], v[4:5]
	v_fma_f64 v[4:5], v[16:17], v[4:5], -v[6:7]
	v_fmac_f64_e32 v[24:25], v[22:23], v[8:9]
	v_fma_f64 v[6:7], v[20:21], v[8:9], -v[10:11]
	v_add_f64 v[2:3], v[2:3], 0
	v_add_f64 v[4:5], v[4:5], 0
	;; [unrolled: 1-line block ×4, first 2 shown]
	s_waitcnt vmcnt(0)
	v_add_f64 v[2:3], v[12:13], -v[2:3]
	v_add_f64 v[4:5], v[14:15], -v[8:9]
	scratch_store_dwordx4 off, v[2:5], off offset:864
	s_and_saveexec_b64 s[0:1], vcc
	s_cbranch_execz .LBB55_245
; %bb.244:
	scratch_load_dwordx4 v[2:5], off, s36
	v_mov_b32_e32 v6, 0
	v_mov_b32_e32 v7, v6
	;; [unrolled: 1-line block ×4, first 2 shown]
	v_accvgpr_read_b32 v0, a113
	scratch_store_dwordx4 off, v[6:9], off offset:848
	s_waitcnt vmcnt(1)
	ds_write_b128 v0, v[2:5]
.LBB55_245:
	s_or_b64 exec, exec, s[0:1]
	s_waitcnt lgkmcnt(0)
	; wave barrier
	scratch_load_dwordx4 v[4:7], off, off offset:864
	scratch_load_dwordx4 v[8:11], off, off offset:880
	;; [unrolled: 1-line block ×4, first 2 shown]
	v_mov_b32_e32 v2, 0
	ds_read_b128 v[20:23], v2 offset:1744
	ds_read_b128 v[24:27], v2 offset:1760
	;; [unrolled: 1-line block ×3, first 2 shown]
	v_cmp_lt_u32_e32 vcc, 51, v252
	s_waitcnt vmcnt(3) lgkmcnt(2)
	v_mul_f64 v[32:33], v[20:21], v[6:7]
	v_mul_f64 v[6:7], v[22:23], v[6:7]
	s_waitcnt vmcnt(2) lgkmcnt(1)
	v_mul_f64 v[34:35], v[24:25], v[10:11]
	v_mul_f64 v[10:11], v[26:27], v[10:11]
	v_fmac_f64_e32 v[32:33], v[22:23], v[4:5]
	v_fma_f64 v[4:5], v[20:21], v[4:5], -v[6:7]
	s_waitcnt vmcnt(1) lgkmcnt(0)
	v_mul_f64 v[36:37], v[28:29], v[14:15]
	v_mul_f64 v[14:15], v[30:31], v[14:15]
	v_fmac_f64_e32 v[34:35], v[26:27], v[8:9]
	v_fma_f64 v[6:7], v[24:25], v[8:9], -v[10:11]
	v_add_f64 v[10:11], v[32:33], 0
	v_add_f64 v[4:5], v[4:5], 0
	v_fmac_f64_e32 v[36:37], v[30:31], v[12:13]
	v_fma_f64 v[8:9], v[28:29], v[12:13], -v[14:15]
	v_add_f64 v[10:11], v[10:11], v[34:35]
	v_add_f64 v[4:5], v[4:5], v[6:7]
	v_add_f64 v[6:7], v[10:11], v[36:37]
	v_add_f64 v[4:5], v[4:5], v[8:9]
	s_waitcnt vmcnt(0)
	v_add_f64 v[4:5], v[16:17], -v[4:5]
	v_add_f64 v[6:7], v[18:19], -v[6:7]
	scratch_store_dwordx4 off, v[4:7], off offset:848
	s_and_saveexec_b64 s[0:1], vcc
	s_cbranch_execz .LBB55_247
; %bb.246:
	scratch_load_dwordx4 v[6:9], off, s35
	v_mov_b32_e32 v3, v2
	v_mov_b32_e32 v4, v2
	;; [unrolled: 1-line block ×3, first 2 shown]
	v_accvgpr_read_b32 v0, a113
	scratch_store_dwordx4 off, v[2:5], off offset:832
	s_waitcnt vmcnt(1)
	ds_write_b128 v0, v[6:9]
.LBB55_247:
	s_or_b64 exec, exec, s[0:1]
	s_waitcnt lgkmcnt(0)
	; wave barrier
	scratch_load_dwordx4 v[4:7], off, off offset:848
	scratch_load_dwordx4 v[8:11], off, off offset:864
	;; [unrolled: 1-line block ×5, first 2 shown]
	ds_read_b128 v[24:27], v2 offset:1728
	ds_read_b128 v[28:31], v2 offset:1744
	ds_read_b128 v[32:35], v2 offset:1760
	ds_read_b128 v[36:39], v2 offset:1776
	v_cmp_lt_u32_e32 vcc, 50, v252
	s_waitcnt vmcnt(4) lgkmcnt(3)
	v_mul_f64 v[2:3], v[24:25], v[6:7]
	v_mul_f64 v[6:7], v[26:27], v[6:7]
	s_waitcnt vmcnt(3) lgkmcnt(2)
	v_mul_f64 v[40:41], v[28:29], v[10:11]
	v_mul_f64 v[10:11], v[30:31], v[10:11]
	v_fmac_f64_e32 v[2:3], v[26:27], v[4:5]
	v_fma_f64 v[4:5], v[24:25], v[4:5], -v[6:7]
	s_waitcnt vmcnt(2) lgkmcnt(1)
	v_mul_f64 v[42:43], v[32:33], v[14:15]
	v_mul_f64 v[14:15], v[34:35], v[14:15]
	v_fmac_f64_e32 v[40:41], v[30:31], v[8:9]
	v_fma_f64 v[6:7], v[28:29], v[8:9], -v[10:11]
	v_add_f64 v[2:3], v[2:3], 0
	v_add_f64 v[4:5], v[4:5], 0
	s_waitcnt vmcnt(1) lgkmcnt(0)
	v_mul_f64 v[44:45], v[36:37], v[18:19]
	v_mul_f64 v[18:19], v[38:39], v[18:19]
	v_fmac_f64_e32 v[42:43], v[34:35], v[12:13]
	v_fma_f64 v[8:9], v[32:33], v[12:13], -v[14:15]
	v_add_f64 v[2:3], v[2:3], v[40:41]
	v_add_f64 v[4:5], v[4:5], v[6:7]
	v_fmac_f64_e32 v[44:45], v[38:39], v[16:17]
	v_fma_f64 v[10:11], v[36:37], v[16:17], -v[18:19]
	v_add_f64 v[2:3], v[2:3], v[42:43]
	v_add_f64 v[4:5], v[4:5], v[8:9]
	;; [unrolled: 1-line block ×4, first 2 shown]
	s_waitcnt vmcnt(0)
	v_add_f64 v[2:3], v[20:21], -v[2:3]
	v_add_f64 v[4:5], v[22:23], -v[6:7]
	scratch_store_dwordx4 off, v[2:5], off offset:832
	s_and_saveexec_b64 s[0:1], vcc
	s_cbranch_execz .LBB55_249
; %bb.248:
	scratch_load_dwordx4 v[2:5], off, s34
	v_mov_b32_e32 v6, 0
	v_mov_b32_e32 v7, v6
	;; [unrolled: 1-line block ×4, first 2 shown]
	v_accvgpr_read_b32 v0, a113
	scratch_store_dwordx4 off, v[6:9], off offset:816
	s_waitcnt vmcnt(1)
	ds_write_b128 v0, v[2:5]
.LBB55_249:
	s_or_b64 exec, exec, s[0:1]
	v_mov_b32_e32 v2, 0
	s_waitcnt lgkmcnt(0)
	; wave barrier
	ds_read_b128 v[4:7], v2 offset:1712
	ds_read_b128 v[8:11], v2 offset:1728
	;; [unrolled: 1-line block ×4, first 2 shown]
	scratch_load_dwordx4 v[20:23], off, off offset:832
	scratch_load_dwordx4 v[40:43], off, off offset:896
	v_cmp_lt_u32_e32 vcc, 49, v252
	s_waitcnt vmcnt(1) lgkmcnt(3)
	v_mul_f64 v[24:25], v[4:5], v[22:23]
	v_fmac_f64_e32 v[24:25], v[6:7], v[20:21]
	v_add_f64 v[28:29], v[24:25], 0
	scratch_load_dwordx4 v[24:27], off, off offset:848
	v_mul_f64 v[6:7], v[6:7], v[22:23]
	v_fma_f64 v[4:5], v[4:5], v[20:21], -v[6:7]
	v_add_f64 v[4:5], v[4:5], 0
	s_waitcnt vmcnt(0) lgkmcnt(2)
	v_mul_f64 v[30:31], v[8:9], v[26:27]
	v_fmac_f64_e32 v[30:31], v[10:11], v[24:25]
	v_add_f64 v[32:33], v[28:29], v[30:31]
	scratch_load_dwordx4 v[28:31], off, off offset:864
	v_mul_f64 v[6:7], v[10:11], v[26:27]
	v_fma_f64 v[6:7], v[8:9], v[24:25], -v[6:7]
	v_add_f64 v[4:5], v[4:5], v[6:7]
	;; [unrolled: 8-line block ×3, first 2 shown]
	s_waitcnt vmcnt(0) lgkmcnt(0)
	v_mul_f64 v[38:39], v[16:17], v[34:35]
	v_fmac_f64_e32 v[38:39], v[18:19], v[32:33]
	v_add_f64 v[44:45], v[36:37], v[38:39]
	ds_read_b128 v[36:39], v2 offset:1776
	v_mul_f64 v[6:7], v[18:19], v[34:35]
	v_fma_f64 v[6:7], v[16:17], v[32:33], -v[6:7]
	v_add_f64 v[4:5], v[4:5], v[6:7]
	s_waitcnt lgkmcnt(0)
	v_mul_f64 v[6:7], v[38:39], v[42:43]
	v_fma_f64 v[6:7], v[36:37], v[40:41], -v[6:7]
	v_add_f64 v[8:9], v[4:5], v[6:7]
	scratch_load_dwordx4 v[4:7], off, off offset:816
	v_mul_f64 v[46:47], v[36:37], v[42:43]
	v_fmac_f64_e32 v[46:47], v[38:39], v[40:41]
	v_add_f64 v[44:45], v[44:45], v[46:47]
	s_waitcnt vmcnt(0)
	v_add_f64 v[4:5], v[4:5], -v[8:9]
	v_add_f64 v[6:7], v[6:7], -v[44:45]
	scratch_store_dwordx4 off, v[4:7], off offset:816
	s_and_saveexec_b64 s[0:1], vcc
	s_cbranch_execz .LBB55_251
; %bb.250:
	scratch_load_dwordx4 v[6:9], off, s31
	v_mov_b32_e32 v3, v2
	v_mov_b32_e32 v4, v2
	;; [unrolled: 1-line block ×3, first 2 shown]
	v_accvgpr_read_b32 v0, a113
	scratch_store_dwordx4 off, v[2:5], off offset:800
	s_waitcnt vmcnt(1)
	ds_write_b128 v0, v[6:9]
.LBB55_251:
	s_or_b64 exec, exec, s[0:1]
	s_waitcnt lgkmcnt(0)
	; wave barrier
	ds_read_b128 v[4:7], v2 offset:1696
	ds_read_b128 v[8:11], v2 offset:1712
	ds_read_b128 v[12:15], v2 offset:1728
	ds_read_b128 v[16:19], v2 offset:1744
	scratch_load_dwordx4 v[20:23], off, off offset:816
	scratch_load_dwordx4 v[40:43], off, off offset:880
	v_cmp_lt_u32_e32 vcc, 48, v252
	scratch_load_dwordx4 v[48:51], off, off offset:896
	s_waitcnt vmcnt(2) lgkmcnt(3)
	v_mul_f64 v[24:25], v[4:5], v[22:23]
	v_fmac_f64_e32 v[24:25], v[6:7], v[20:21]
	v_add_f64 v[28:29], v[24:25], 0
	scratch_load_dwordx4 v[24:27], off, off offset:832
	s_waitcnt vmcnt(0) lgkmcnt(2)
	v_mul_f64 v[30:31], v[8:9], v[26:27]
	v_fmac_f64_e32 v[30:31], v[10:11], v[24:25]
	v_add_f64 v[32:33], v[28:29], v[30:31]
	;; [unrolled: 5-line block ×4, first 2 shown]
	ds_read_b128 v[36:39], v2 offset:1760
	s_waitcnt lgkmcnt(0)
	v_mul_f64 v[46:47], v[36:37], v[42:43]
	v_fmac_f64_e32 v[46:47], v[38:39], v[40:41]
	v_add_f64 v[52:53], v[44:45], v[46:47]
	ds_read_b128 v[44:47], v2 offset:1776
	s_waitcnt lgkmcnt(0)
	v_mul_f64 v[2:3], v[44:45], v[50:51]
	v_fmac_f64_e32 v[2:3], v[46:47], v[48:49]
	v_add_f64 v[52:53], v[52:53], v[2:3]
	v_mul_f64 v[2:3], v[6:7], v[22:23]
	v_fma_f64 v[2:3], v[4:5], v[20:21], -v[2:3]
	v_mul_f64 v[4:5], v[10:11], v[26:27]
	v_add_f64 v[2:3], v[2:3], 0
	v_fma_f64 v[4:5], v[8:9], v[24:25], -v[4:5]
	v_add_f64 v[2:3], v[2:3], v[4:5]
	v_mul_f64 v[4:5], v[14:15], v[30:31]
	v_fma_f64 v[4:5], v[12:13], v[28:29], -v[4:5]
	v_add_f64 v[2:3], v[2:3], v[4:5]
	v_mul_f64 v[4:5], v[18:19], v[34:35]
	;; [unrolled: 3-line block ×4, first 2 shown]
	v_fma_f64 v[4:5], v[44:45], v[48:49], -v[4:5]
	v_add_f64 v[6:7], v[2:3], v[4:5]
	scratch_load_dwordx4 v[2:5], off, off offset:800
	s_waitcnt vmcnt(0)
	v_add_f64 v[2:3], v[2:3], -v[6:7]
	v_add_f64 v[4:5], v[4:5], -v[52:53]
	scratch_store_dwordx4 off, v[2:5], off offset:800
	s_and_saveexec_b64 s[0:1], vcc
	s_cbranch_execz .LBB55_253
; %bb.252:
	scratch_load_dwordx4 v[2:5], off, s33
	v_mov_b32_e32 v6, 0
	v_mov_b32_e32 v7, v6
	;; [unrolled: 1-line block ×4, first 2 shown]
	v_accvgpr_read_b32 v0, a113
	scratch_store_dwordx4 off, v[6:9], off offset:784
	s_waitcnt vmcnt(1)
	ds_write_b128 v0, v[2:5]
.LBB55_253:
	s_or_b64 exec, exec, s[0:1]
	s_waitcnt lgkmcnt(0)
	; wave barrier
	scratch_load_dwordx4 v[4:7], off, off offset:800
	scratch_load_dwordx4 v[8:11], off, off offset:816
	scratch_load_dwordx4 v[12:15], off, off offset:832
	scratch_load_dwordx4 v[16:19], off, off offset:848
	scratch_load_dwordx4 v[20:23], off, off offset:864
	scratch_load_dwordx4 v[24:27], off, off offset:880
	scratch_load_dwordx4 v[28:31], off, off offset:896
	scratch_load_dwordx4 v[32:35], off, off offset:784
	v_mov_b32_e32 v2, 0
	ds_read_b128 v[36:39], v2 offset:1680
	ds_read_b128 v[40:43], v2 offset:1696
	;; [unrolled: 1-line block ×7, first 2 shown]
	v_cmp_lt_u32_e32 vcc, 47, v252
	s_waitcnt vmcnt(7) lgkmcnt(6)
	v_mul_f64 v[64:65], v[36:37], v[6:7]
	v_mul_f64 v[6:7], v[38:39], v[6:7]
	s_waitcnt vmcnt(6) lgkmcnt(5)
	v_mul_f64 v[66:67], v[40:41], v[10:11]
	s_waitcnt vmcnt(4) lgkmcnt(3)
	v_mul_f64 v[70:71], v[48:49], v[18:19]
	v_mul_f64 v[10:11], v[42:43], v[10:11]
	;; [unrolled: 1-line block ×3, first 2 shown]
	v_fmac_f64_e32 v[64:65], v[38:39], v[4:5]
	v_fma_f64 v[4:5], v[36:37], v[4:5], -v[6:7]
	v_mul_f64 v[68:69], v[44:45], v[14:15]
	v_mul_f64 v[14:15], v[46:47], v[14:15]
	v_fmac_f64_e32 v[66:67], v[42:43], v[8:9]
	v_fma_f64 v[6:7], v[40:41], v[8:9], -v[10:11]
	v_fma_f64 v[10:11], v[48:49], v[16:17], -v[18:19]
	v_add_f64 v[18:19], v[64:65], 0
	v_add_f64 v[4:5], v[4:5], 0
	v_fmac_f64_e32 v[68:69], v[46:47], v[12:13]
	v_fma_f64 v[8:9], v[44:45], v[12:13], -v[14:15]
	v_add_f64 v[18:19], v[18:19], v[66:67]
	v_add_f64 v[4:5], v[4:5], v[6:7]
	s_waitcnt vmcnt(3) lgkmcnt(2)
	v_mul_f64 v[72:73], v[52:53], v[22:23]
	v_mul_f64 v[22:23], v[54:55], v[22:23]
	v_fmac_f64_e32 v[70:71], v[50:51], v[16:17]
	v_add_f64 v[6:7], v[18:19], v[68:69]
	v_add_f64 v[4:5], v[4:5], v[8:9]
	s_waitcnt vmcnt(2) lgkmcnt(1)
	v_mul_f64 v[74:75], v[56:57], v[26:27]
	v_mul_f64 v[26:27], v[58:59], v[26:27]
	v_fmac_f64_e32 v[72:73], v[54:55], v[20:21]
	v_fma_f64 v[12:13], v[52:53], v[20:21], -v[22:23]
	v_add_f64 v[6:7], v[6:7], v[70:71]
	v_add_f64 v[4:5], v[4:5], v[10:11]
	s_waitcnt vmcnt(1) lgkmcnt(0)
	v_mul_f64 v[76:77], v[60:61], v[30:31]
	v_mul_f64 v[30:31], v[62:63], v[30:31]
	v_fmac_f64_e32 v[74:75], v[58:59], v[24:25]
	v_fma_f64 v[14:15], v[56:57], v[24:25], -v[26:27]
	v_add_f64 v[6:7], v[6:7], v[72:73]
	v_add_f64 v[4:5], v[4:5], v[12:13]
	v_fmac_f64_e32 v[76:77], v[62:63], v[28:29]
	v_fma_f64 v[16:17], v[60:61], v[28:29], -v[30:31]
	v_add_f64 v[6:7], v[6:7], v[74:75]
	v_add_f64 v[4:5], v[4:5], v[14:15]
	;; [unrolled: 1-line block ×4, first 2 shown]
	s_waitcnt vmcnt(0)
	v_add_f64 v[4:5], v[32:33], -v[4:5]
	v_add_f64 v[6:7], v[34:35], -v[6:7]
	scratch_store_dwordx4 off, v[4:7], off offset:784
	s_and_saveexec_b64 s[0:1], vcc
	s_cbranch_execz .LBB55_255
; %bb.254:
	scratch_load_dwordx4 v[6:9], off, s30
	v_mov_b32_e32 v3, v2
	v_mov_b32_e32 v4, v2
	;; [unrolled: 1-line block ×3, first 2 shown]
	v_accvgpr_read_b32 v0, a113
	scratch_store_dwordx4 off, v[2:5], off offset:768
	s_waitcnt vmcnt(1)
	ds_write_b128 v0, v[6:9]
.LBB55_255:
	s_or_b64 exec, exec, s[0:1]
	s_waitcnt lgkmcnt(0)
	; wave barrier
	scratch_load_dwordx4 v[4:7], off, off offset:784
	scratch_load_dwordx4 v[8:11], off, off offset:800
	;; [unrolled: 1-line block ×9, first 2 shown]
	ds_read_b128 v[40:43], v2 offset:1664
	ds_read_b128 v[44:47], v2 offset:1680
	;; [unrolled: 1-line block ×8, first 2 shown]
	v_cmp_lt_u32_e32 vcc, 46, v252
	s_waitcnt vmcnt(8) lgkmcnt(7)
	v_mul_f64 v[2:3], v[40:41], v[6:7]
	v_mul_f64 v[6:7], v[42:43], v[6:7]
	s_waitcnt vmcnt(7) lgkmcnt(6)
	v_mul_f64 v[72:73], v[44:45], v[10:11]
	v_mul_f64 v[10:11], v[46:47], v[10:11]
	v_fmac_f64_e32 v[2:3], v[42:43], v[4:5]
	v_fma_f64 v[4:5], v[40:41], v[4:5], -v[6:7]
	s_waitcnt vmcnt(6) lgkmcnt(5)
	v_mul_f64 v[74:75], v[48:49], v[14:15]
	v_mul_f64 v[14:15], v[50:51], v[14:15]
	v_fmac_f64_e32 v[72:73], v[46:47], v[8:9]
	v_fma_f64 v[6:7], v[44:45], v[8:9], -v[10:11]
	v_add_f64 v[2:3], v[2:3], 0
	v_add_f64 v[4:5], v[4:5], 0
	s_waitcnt vmcnt(5) lgkmcnt(4)
	v_mul_f64 v[76:77], v[52:53], v[18:19]
	v_mul_f64 v[18:19], v[54:55], v[18:19]
	v_fmac_f64_e32 v[74:75], v[50:51], v[12:13]
	v_fma_f64 v[8:9], v[48:49], v[12:13], -v[14:15]
	v_add_f64 v[2:3], v[2:3], v[72:73]
	v_add_f64 v[4:5], v[4:5], v[6:7]
	;; [unrolled: 7-line block ×6, first 2 shown]
	v_fmac_f64_e32 v[84:85], v[70:71], v[32:33]
	v_fma_f64 v[18:19], v[68:69], v[32:33], -v[34:35]
	v_add_f64 v[2:3], v[2:3], v[82:83]
	v_add_f64 v[4:5], v[4:5], v[16:17]
	;; [unrolled: 1-line block ×4, first 2 shown]
	s_waitcnt vmcnt(0)
	v_add_f64 v[2:3], v[36:37], -v[2:3]
	v_add_f64 v[4:5], v[38:39], -v[6:7]
	scratch_store_dwordx4 off, v[2:5], off offset:768
	s_and_saveexec_b64 s[0:1], vcc
	s_cbranch_execz .LBB55_257
; %bb.256:
	scratch_load_dwordx4 v[2:5], off, s29
	v_mov_b32_e32 v6, 0
	v_mov_b32_e32 v7, v6
	;; [unrolled: 1-line block ×4, first 2 shown]
	v_accvgpr_read_b32 v0, a113
	scratch_store_dwordx4 off, v[6:9], off offset:752
	s_waitcnt vmcnt(1)
	ds_write_b128 v0, v[2:5]
.LBB55_257:
	s_or_b64 exec, exec, s[0:1]
	s_waitcnt lgkmcnt(0)
	; wave barrier
	scratch_load_dwordx4 v[4:7], off, off offset:768
	scratch_load_dwordx4 v[8:11], off, off offset:784
	;; [unrolled: 1-line block ×10, first 2 shown]
	v_mov_b32_e32 v2, 0
	ds_read_b128 v[44:47], v2 offset:1648
	ds_read_b128 v[48:51], v2 offset:1664
	;; [unrolled: 1-line block ×9, first 2 shown]
	v_cmp_lt_u32_e32 vcc, 45, v252
	s_waitcnt vmcnt(9) lgkmcnt(8)
	v_mul_f64 v[80:81], v[44:45], v[6:7]
	v_mul_f64 v[6:7], v[46:47], v[6:7]
	s_waitcnt vmcnt(8) lgkmcnt(7)
	v_mul_f64 v[82:83], v[48:49], v[10:11]
	s_waitcnt vmcnt(7) lgkmcnt(6)
	;; [unrolled: 2-line block ×3, first 2 shown]
	v_mul_f64 v[88:89], v[60:61], v[22:23]
	v_mul_f64 v[10:11], v[50:51], v[10:11]
	;; [unrolled: 1-line block ×4, first 2 shown]
	v_fmac_f64_e32 v[80:81], v[46:47], v[4:5]
	v_fma_f64 v[4:5], v[44:45], v[4:5], -v[6:7]
	v_fmac_f64_e32 v[82:83], v[50:51], v[8:9]
	v_fmac_f64_e32 v[84:85], v[54:55], v[12:13]
	v_fma_f64 v[6:7], v[48:49], v[8:9], -v[10:11]
	v_fma_f64 v[8:9], v[52:53], v[12:13], -v[14:15]
	;; [unrolled: 1-line block ×3, first 2 shown]
	v_add_f64 v[22:23], v[80:81], 0
	v_add_f64 v[4:5], v[4:5], 0
	v_mul_f64 v[86:87], v[56:57], v[18:19]
	v_mul_f64 v[18:19], v[58:59], v[18:19]
	v_add_f64 v[22:23], v[22:23], v[82:83]
	v_add_f64 v[4:5], v[4:5], v[6:7]
	v_fmac_f64_e32 v[86:87], v[58:59], v[16:17]
	v_fma_f64 v[10:11], v[56:57], v[16:17], -v[18:19]
	v_add_f64 v[6:7], v[22:23], v[84:85]
	v_add_f64 v[4:5], v[4:5], v[8:9]
	s_waitcnt vmcnt(4) lgkmcnt(3)
	v_mul_f64 v[90:91], v[64:65], v[26:27]
	v_mul_f64 v[26:27], v[66:67], v[26:27]
	v_fmac_f64_e32 v[88:89], v[62:63], v[20:21]
	v_add_f64 v[6:7], v[6:7], v[86:87]
	v_add_f64 v[4:5], v[4:5], v[10:11]
	s_waitcnt vmcnt(3) lgkmcnt(2)
	v_mul_f64 v[92:93], v[68:69], v[30:31]
	v_mul_f64 v[30:31], v[70:71], v[30:31]
	v_fmac_f64_e32 v[90:91], v[66:67], v[24:25]
	v_fma_f64 v[14:15], v[64:65], v[24:25], -v[26:27]
	v_add_f64 v[6:7], v[6:7], v[88:89]
	v_add_f64 v[4:5], v[4:5], v[12:13]
	s_waitcnt vmcnt(2) lgkmcnt(1)
	v_mul_f64 v[94:95], v[72:73], v[34:35]
	v_mul_f64 v[34:35], v[74:75], v[34:35]
	v_fmac_f64_e32 v[92:93], v[70:71], v[28:29]
	v_fma_f64 v[16:17], v[68:69], v[28:29], -v[30:31]
	;; [unrolled: 7-line block ×3, first 2 shown]
	v_add_f64 v[6:7], v[6:7], v[92:93]
	v_add_f64 v[4:5], v[4:5], v[16:17]
	v_fmac_f64_e32 v[96:97], v[78:79], v[36:37]
	v_fma_f64 v[20:21], v[76:77], v[36:37], -v[38:39]
	v_add_f64 v[6:7], v[6:7], v[94:95]
	v_add_f64 v[4:5], v[4:5], v[18:19]
	;; [unrolled: 1-line block ×4, first 2 shown]
	s_waitcnt vmcnt(0)
	v_add_f64 v[4:5], v[40:41], -v[4:5]
	v_add_f64 v[6:7], v[42:43], -v[6:7]
	scratch_store_dwordx4 off, v[4:7], off offset:752
	s_and_saveexec_b64 s[0:1], vcc
	s_cbranch_execz .LBB55_259
; %bb.258:
	scratch_load_dwordx4 v[6:9], off, s28
	v_mov_b32_e32 v3, v2
	v_mov_b32_e32 v4, v2
	;; [unrolled: 1-line block ×3, first 2 shown]
	v_accvgpr_read_b32 v0, a113
	scratch_store_dwordx4 off, v[2:5], off offset:736
	s_waitcnt vmcnt(1)
	ds_write_b128 v0, v[6:9]
.LBB55_259:
	s_or_b64 exec, exec, s[0:1]
	s_waitcnt lgkmcnt(0)
	; wave barrier
	scratch_load_dwordx4 v[4:7], off, off offset:752
	scratch_load_dwordx4 v[8:11], off, off offset:768
	;; [unrolled: 1-line block ×11, first 2 shown]
	ds_read_b128 v[48:51], v2 offset:1632
	ds_read_b128 v[52:55], v2 offset:1648
	;; [unrolled: 1-line block ×10, first 2 shown]
	v_cmp_lt_u32_e32 vcc, 44, v252
	s_waitcnt vmcnt(10) lgkmcnt(9)
	v_mul_f64 v[2:3], v[48:49], v[6:7]
	v_mul_f64 v[6:7], v[50:51], v[6:7]
	s_waitcnt vmcnt(9) lgkmcnt(8)
	v_mul_f64 v[88:89], v[52:53], v[10:11]
	v_mul_f64 v[10:11], v[54:55], v[10:11]
	v_fmac_f64_e32 v[2:3], v[50:51], v[4:5]
	v_fma_f64 v[4:5], v[48:49], v[4:5], -v[6:7]
	s_waitcnt vmcnt(8) lgkmcnt(7)
	v_mul_f64 v[90:91], v[56:57], v[14:15]
	v_mul_f64 v[14:15], v[58:59], v[14:15]
	v_fmac_f64_e32 v[88:89], v[54:55], v[8:9]
	v_fma_f64 v[6:7], v[52:53], v[8:9], -v[10:11]
	v_add_f64 v[2:3], v[2:3], 0
	v_add_f64 v[4:5], v[4:5], 0
	s_waitcnt vmcnt(7) lgkmcnt(6)
	v_mul_f64 v[92:93], v[60:61], v[18:19]
	v_mul_f64 v[18:19], v[62:63], v[18:19]
	v_fmac_f64_e32 v[90:91], v[58:59], v[12:13]
	v_fma_f64 v[8:9], v[56:57], v[12:13], -v[14:15]
	v_add_f64 v[2:3], v[2:3], v[88:89]
	v_add_f64 v[4:5], v[4:5], v[6:7]
	;; [unrolled: 7-line block ×8, first 2 shown]
	v_fmac_f64_e32 v[104:105], v[86:87], v[40:41]
	v_fma_f64 v[22:23], v[84:85], v[40:41], -v[42:43]
	v_add_f64 v[2:3], v[2:3], v[102:103]
	v_add_f64 v[4:5], v[4:5], v[20:21]
	;; [unrolled: 1-line block ×4, first 2 shown]
	s_waitcnt vmcnt(0)
	v_add_f64 v[2:3], v[44:45], -v[2:3]
	v_add_f64 v[4:5], v[46:47], -v[6:7]
	scratch_store_dwordx4 off, v[2:5], off offset:736
	s_and_saveexec_b64 s[0:1], vcc
	s_cbranch_execz .LBB55_261
; %bb.260:
	scratch_load_dwordx4 v[2:5], off, s27
	v_mov_b32_e32 v6, 0
	v_mov_b32_e32 v7, v6
	v_mov_b32_e32 v8, v6
	v_mov_b32_e32 v9, v6
	v_accvgpr_read_b32 v0, a113
	scratch_store_dwordx4 off, v[6:9], off offset:720
	s_waitcnt vmcnt(1)
	ds_write_b128 v0, v[2:5]
.LBB55_261:
	s_or_b64 exec, exec, s[0:1]
	s_waitcnt lgkmcnt(0)
	; wave barrier
	scratch_load_dwordx4 v[4:7], off, off offset:736
	scratch_load_dwordx4 v[8:11], off, off offset:752
	scratch_load_dwordx4 v[12:15], off, off offset:768
	scratch_load_dwordx4 v[16:19], off, off offset:784
	scratch_load_dwordx4 v[20:23], off, off offset:800
	scratch_load_dwordx4 v[24:27], off, off offset:816
	scratch_load_dwordx4 v[28:31], off, off offset:832
	scratch_load_dwordx4 v[32:35], off, off offset:848
	scratch_load_dwordx4 v[36:39], off, off offset:864
	scratch_load_dwordx4 v[40:43], off, off offset:880
	scratch_load_dwordx4 v[44:47], off, off offset:896
	scratch_load_dwordx4 v[48:51], off, off offset:720
	v_mov_b32_e32 v2, 0
	ds_read_b128 v[52:55], v2 offset:1616
	ds_read_b128 v[56:59], v2 offset:1632
	;; [unrolled: 1-line block ×11, first 2 shown]
	v_cmp_lt_u32_e32 vcc, 43, v252
	s_waitcnt vmcnt(11) lgkmcnt(10)
	v_mul_f64 v[96:97], v[52:53], v[6:7]
	v_mul_f64 v[6:7], v[54:55], v[6:7]
	s_waitcnt vmcnt(10) lgkmcnt(9)
	v_mul_f64 v[98:99], v[56:57], v[10:11]
	s_waitcnt vmcnt(9) lgkmcnt(8)
	v_mul_f64 v[100:101], v[60:61], v[14:15]
	v_mul_f64 v[10:11], v[58:59], v[10:11]
	s_waitcnt vmcnt(6) lgkmcnt(5)
	v_mul_f64 v[106:107], v[72:73], v[26:27]
	v_mul_f64 v[14:15], v[62:63], v[14:15]
	;; [unrolled: 1-line block ×3, first 2 shown]
	v_fmac_f64_e32 v[96:97], v[54:55], v[4:5]
	v_fma_f64 v[4:5], v[52:53], v[4:5], -v[6:7]
	v_fmac_f64_e32 v[98:99], v[58:59], v[8:9]
	v_fma_f64 v[6:7], v[56:57], v[8:9], -v[10:11]
	v_fma_f64 v[8:9], v[60:61], v[12:13], -v[14:15]
	;; [unrolled: 1-line block ×3, first 2 shown]
	v_add_f64 v[26:27], v[96:97], 0
	v_add_f64 v[4:5], v[4:5], 0
	v_mul_f64 v[102:103], v[64:65], v[18:19]
	v_mul_f64 v[18:19], v[66:67], v[18:19]
	v_fmac_f64_e32 v[100:101], v[62:63], v[12:13]
	v_add_f64 v[26:27], v[26:27], v[98:99]
	v_add_f64 v[4:5], v[4:5], v[6:7]
	v_mul_f64 v[104:105], v[68:69], v[22:23]
	v_mul_f64 v[22:23], v[70:71], v[22:23]
	v_fmac_f64_e32 v[102:103], v[66:67], v[16:17]
	v_fma_f64 v[10:11], v[64:65], v[16:17], -v[18:19]
	v_add_f64 v[6:7], v[26:27], v[100:101]
	v_add_f64 v[4:5], v[4:5], v[8:9]
	v_fmac_f64_e32 v[104:105], v[70:71], v[20:21]
	v_fma_f64 v[12:13], v[68:69], v[20:21], -v[22:23]
	v_add_f64 v[6:7], v[6:7], v[102:103]
	v_add_f64 v[4:5], v[4:5], v[10:11]
	s_waitcnt vmcnt(5) lgkmcnt(4)
	v_mul_f64 v[108:109], v[76:77], v[30:31]
	v_mul_f64 v[30:31], v[78:79], v[30:31]
	v_fmac_f64_e32 v[106:107], v[74:75], v[24:25]
	v_add_f64 v[6:7], v[6:7], v[104:105]
	v_add_f64 v[4:5], v[4:5], v[12:13]
	s_waitcnt vmcnt(4) lgkmcnt(3)
	v_mul_f64 v[110:111], v[80:81], v[34:35]
	v_mul_f64 v[34:35], v[82:83], v[34:35]
	v_fmac_f64_e32 v[108:109], v[78:79], v[28:29]
	v_fma_f64 v[16:17], v[76:77], v[28:29], -v[30:31]
	v_add_f64 v[6:7], v[6:7], v[106:107]
	v_add_f64 v[4:5], v[4:5], v[14:15]
	s_waitcnt vmcnt(3) lgkmcnt(2)
	v_mul_f64 v[112:113], v[84:85], v[38:39]
	v_mul_f64 v[38:39], v[86:87], v[38:39]
	v_fmac_f64_e32 v[110:111], v[82:83], v[32:33]
	v_fma_f64 v[18:19], v[80:81], v[32:33], -v[34:35]
	;; [unrolled: 7-line block ×4, first 2 shown]
	v_add_f64 v[6:7], v[6:7], v[112:113]
	v_add_f64 v[4:5], v[4:5], v[20:21]
	v_fmac_f64_e32 v[116:117], v[94:95], v[44:45]
	v_fma_f64 v[24:25], v[92:93], v[44:45], -v[46:47]
	v_add_f64 v[6:7], v[6:7], v[114:115]
	v_add_f64 v[4:5], v[4:5], v[22:23]
	v_add_f64 v[6:7], v[6:7], v[116:117]
	v_add_f64 v[4:5], v[4:5], v[24:25]
	s_waitcnt vmcnt(0)
	v_add_f64 v[4:5], v[48:49], -v[4:5]
	v_add_f64 v[6:7], v[50:51], -v[6:7]
	scratch_store_dwordx4 off, v[4:7], off offset:720
	s_and_saveexec_b64 s[0:1], vcc
	s_cbranch_execz .LBB55_263
; %bb.262:
	scratch_load_dwordx4 v[6:9], off, s25
	v_mov_b32_e32 v3, v2
	v_mov_b32_e32 v4, v2
	;; [unrolled: 1-line block ×3, first 2 shown]
	v_accvgpr_read_b32 v0, a113
	scratch_store_dwordx4 off, v[2:5], off offset:704
	s_waitcnt vmcnt(1)
	ds_write_b128 v0, v[6:9]
.LBB55_263:
	s_or_b64 exec, exec, s[0:1]
	s_waitcnt lgkmcnt(0)
	; wave barrier
	scratch_load_dwordx4 v[4:7], off, off offset:720
	scratch_load_dwordx4 v[8:11], off, off offset:736
	;; [unrolled: 1-line block ×12, first 2 shown]
	ds_read_b128 v[52:55], v2 offset:1600
	ds_read_b128 v[56:59], v2 offset:1616
	;; [unrolled: 1-line block ×4, first 2 shown]
	scratch_load_dwordx4 v[68:71], off, off offset:704
	ds_read_b128 v[72:75], v2 offset:1664
	ds_read_b128 v[76:79], v2 offset:1680
	;; [unrolled: 1-line block ×8, first 2 shown]
	v_cmp_lt_u32_e32 vcc, 42, v252
	s_waitcnt vmcnt(12) lgkmcnt(11)
	v_mul_f64 v[2:3], v[52:53], v[6:7]
	s_waitcnt vmcnt(11) lgkmcnt(10)
	v_mul_f64 v[104:105], v[56:57], v[10:11]
	v_fmac_f64_e32 v[2:3], v[54:55], v[4:5]
	s_waitcnt vmcnt(10) lgkmcnt(9)
	v_mul_f64 v[106:107], v[60:61], v[14:15]
	v_mul_f64 v[6:7], v[54:55], v[6:7]
	v_fmac_f64_e32 v[104:105], v[58:59], v[8:9]
	v_add_f64 v[2:3], v[2:3], 0
	s_waitcnt vmcnt(9) lgkmcnt(8)
	v_mul_f64 v[108:109], v[64:65], v[18:19]
	v_mul_f64 v[10:11], v[58:59], v[10:11]
	v_fmac_f64_e32 v[106:107], v[62:63], v[12:13]
	v_fma_f64 v[4:5], v[52:53], v[4:5], -v[6:7]
	v_add_f64 v[2:3], v[2:3], v[104:105]
	s_waitcnt vmcnt(8) lgkmcnt(7)
	v_mul_f64 v[110:111], v[72:73], v[22:23]
	v_mul_f64 v[14:15], v[62:63], v[14:15]
	v_fmac_f64_e32 v[108:109], v[66:67], v[16:17]
	v_fma_f64 v[6:7], v[56:57], v[8:9], -v[10:11]
	v_add_f64 v[4:5], v[4:5], 0
	v_add_f64 v[2:3], v[2:3], v[106:107]
	s_waitcnt vmcnt(7) lgkmcnt(6)
	v_mul_f64 v[112:113], v[76:77], v[26:27]
	v_mul_f64 v[18:19], v[66:67], v[18:19]
	v_fmac_f64_e32 v[110:111], v[74:75], v[20:21]
	v_fma_f64 v[8:9], v[60:61], v[12:13], -v[14:15]
	v_add_f64 v[4:5], v[4:5], v[6:7]
	;; [unrolled: 7-line block ×8, first 2 shown]
	v_add_f64 v[2:3], v[2:3], v[120:121]
	v_mul_f64 v[46:47], v[98:99], v[46:47]
	v_fmac_f64_e32 v[124:125], v[102:103], v[48:49]
	v_fma_f64 v[22:23], v[92:93], v[40:41], -v[42:43]
	v_add_f64 v[4:5], v[4:5], v[20:21]
	v_add_f64 v[2:3], v[2:3], v[122:123]
	;; [unrolled: 1-line block ×4, first 2 shown]
	v_fma_f64 v[2:3], v[96:97], v[44:45], -v[46:47]
	v_add_f64 v[2:3], v[4:5], v[2:3]
	v_mul_f64 v[4:5], v[102:103], v[50:51]
	v_fma_f64 v[4:5], v[100:101], v[48:49], -v[4:5]
	v_add_f64 v[2:3], v[2:3], v[4:5]
	s_waitcnt vmcnt(0)
	v_add_f64 v[2:3], v[68:69], -v[2:3]
	v_add_f64 v[4:5], v[70:71], -v[6:7]
	scratch_store_dwordx4 off, v[2:5], off offset:704
	s_and_saveexec_b64 s[0:1], vcc
	s_cbranch_execz .LBB55_265
; %bb.264:
	scratch_load_dwordx4 v[2:5], off, s26
	v_mov_b32_e32 v6, 0
	v_mov_b32_e32 v7, v6
	;; [unrolled: 1-line block ×4, first 2 shown]
	v_accvgpr_read_b32 v0, a113
	scratch_store_dwordx4 off, v[6:9], off offset:688
	s_waitcnt vmcnt(1)
	ds_write_b128 v0, v[2:5]
.LBB55_265:
	s_or_b64 exec, exec, s[0:1]
	s_waitcnt lgkmcnt(0)
	; wave barrier
	scratch_load_dwordx4 v[4:7], off, off offset:704
	scratch_load_dwordx4 v[8:11], off, off offset:720
	;; [unrolled: 1-line block ×14, first 2 shown]
	v_mov_b32_e32 v2, 0
	ds_read_b128 v[60:63], v2 offset:1584
	ds_read_b128 v[64:67], v2 offset:1600
	ds_read_b128 v[68:71], v2 offset:1616
	ds_read_b128 v[72:75], v2 offset:1632
	ds_read_b128 v[76:79], v2 offset:1648
	ds_read_b128 v[80:83], v2 offset:1664
	ds_read_b128 v[84:87], v2 offset:1680
	ds_read_b128 v[88:91], v2 offset:1696
	ds_read_b128 v[92:95], v2 offset:1712
	ds_read_b128 v[96:99], v2 offset:1728
	ds_read_b128 v[100:103], v2 offset:1744
	ds_read_b128 v[104:107], v2 offset:1760
	ds_read_b128 v[108:111], v2 offset:1776
	v_cmp_lt_u32_e32 vcc, 41, v252
	s_waitcnt vmcnt(13) lgkmcnt(12)
	v_mul_f64 v[112:113], v[60:61], v[6:7]
	v_mul_f64 v[6:7], v[62:63], v[6:7]
	s_waitcnt vmcnt(12) lgkmcnt(11)
	v_mul_f64 v[114:115], v[64:65], v[10:11]
	v_mul_f64 v[10:11], v[66:67], v[10:11]
	v_fmac_f64_e32 v[112:113], v[62:63], v[4:5]
	v_fma_f64 v[4:5], v[60:61], v[4:5], -v[6:7]
	s_waitcnt vmcnt(11) lgkmcnt(10)
	v_mul_f64 v[116:117], v[68:69], v[14:15]
	v_mul_f64 v[14:15], v[70:71], v[14:15]
	v_fma_f64 v[6:7], v[64:65], v[8:9], -v[10:11]
	v_add_f64 v[4:5], v[4:5], 0
	s_waitcnt vmcnt(10) lgkmcnt(9)
	v_mul_f64 v[118:119], v[72:73], v[18:19]
	v_mul_f64 v[18:19], v[74:75], v[18:19]
	v_fmac_f64_e32 v[114:115], v[66:67], v[8:9]
	v_fma_f64 v[8:9], v[68:69], v[12:13], -v[14:15]
	v_add_f64 v[4:5], v[4:5], v[6:7]
	s_waitcnt vmcnt(9) lgkmcnt(8)
	v_mul_f64 v[120:121], v[76:77], v[22:23]
	v_mul_f64 v[22:23], v[78:79], v[22:23]
	v_fma_f64 v[10:11], v[72:73], v[16:17], -v[18:19]
	v_add_f64 v[4:5], v[4:5], v[8:9]
	s_waitcnt vmcnt(8) lgkmcnt(7)
	v_mul_f64 v[122:123], v[80:81], v[26:27]
	v_mul_f64 v[26:27], v[82:83], v[26:27]
	v_fmac_f64_e32 v[116:117], v[70:71], v[12:13]
	v_fma_f64 v[12:13], v[76:77], v[20:21], -v[22:23]
	v_add_f64 v[22:23], v[112:113], 0
	v_add_f64 v[4:5], v[4:5], v[10:11]
	s_waitcnt vmcnt(7) lgkmcnt(6)
	v_mul_f64 v[124:125], v[84:85], v[30:31]
	v_mul_f64 v[30:31], v[86:87], v[30:31]
	v_fma_f64 v[14:15], v[80:81], v[24:25], -v[26:27]
	v_add_f64 v[22:23], v[22:23], v[114:115]
	v_add_f64 v[4:5], v[4:5], v[12:13]
	s_waitcnt vmcnt(6) lgkmcnt(5)
	v_mul_f64 v[126:127], v[88:89], v[34:35]
	v_mul_f64 v[34:35], v[90:91], v[34:35]
	v_fmac_f64_e32 v[118:119], v[74:75], v[16:17]
	v_fma_f64 v[16:17], v[84:85], v[28:29], -v[30:31]
	v_add_f64 v[6:7], v[22:23], v[116:117]
	v_add_f64 v[4:5], v[4:5], v[14:15]
	s_waitcnt vmcnt(5) lgkmcnt(4)
	v_mul_f64 v[128:129], v[92:93], v[38:39]
	v_mul_f64 v[38:39], v[94:95], v[38:39]
	v_fmac_f64_e32 v[120:121], v[78:79], v[20:21]
	v_fma_f64 v[18:19], v[88:89], v[32:33], -v[34:35]
	v_add_f64 v[6:7], v[6:7], v[118:119]
	v_add_f64 v[4:5], v[4:5], v[16:17]
	v_fmac_f64_e32 v[122:123], v[82:83], v[24:25]
	v_fma_f64 v[20:21], v[92:93], v[36:37], -v[38:39]
	v_add_f64 v[6:7], v[6:7], v[120:121]
	v_add_f64 v[4:5], v[4:5], v[18:19]
	s_waitcnt vmcnt(4) lgkmcnt(3)
	v_mul_f64 v[8:9], v[98:99], v[42:43]
	v_fmac_f64_e32 v[124:125], v[86:87], v[28:29]
	v_add_f64 v[6:7], v[6:7], v[122:123]
	v_add_f64 v[4:5], v[4:5], v[20:21]
	v_fma_f64 v[8:9], v[96:97], v[40:41], -v[8:9]
	v_fmac_f64_e32 v[126:127], v[90:91], v[32:33]
	v_add_f64 v[6:7], v[6:7], v[124:125]
	v_add_f64 v[4:5], v[4:5], v[8:9]
	s_waitcnt vmcnt(3) lgkmcnt(2)
	v_mul_f64 v[8:9], v[102:103], v[46:47]
	v_mul_f64 v[130:131], v[96:97], v[42:43]
	v_fmac_f64_e32 v[128:129], v[94:95], v[36:37]
	v_add_f64 v[6:7], v[6:7], v[126:127]
	v_fma_f64 v[8:9], v[100:101], v[44:45], -v[8:9]
	v_mul_f64 v[132:133], v[100:101], v[46:47]
	v_fmac_f64_e32 v[130:131], v[98:99], v[40:41]
	v_add_f64 v[6:7], v[6:7], v[128:129]
	v_add_f64 v[4:5], v[4:5], v[8:9]
	s_waitcnt vmcnt(2) lgkmcnt(1)
	v_mul_f64 v[8:9], v[106:107], v[50:51]
	v_mul_f64 v[134:135], v[104:105], v[50:51]
	v_fmac_f64_e32 v[132:133], v[102:103], v[44:45]
	v_add_f64 v[6:7], v[6:7], v[130:131]
	v_fma_f64 v[8:9], v[104:105], v[48:49], -v[8:9]
	s_waitcnt vmcnt(1) lgkmcnt(0)
	v_mul_f64 v[136:137], v[108:109], v[54:55]
	v_fmac_f64_e32 v[134:135], v[106:107], v[48:49]
	v_add_f64 v[6:7], v[6:7], v[132:133]
	v_add_f64 v[4:5], v[4:5], v[8:9]
	v_mul_f64 v[8:9], v[110:111], v[54:55]
	v_fmac_f64_e32 v[136:137], v[110:111], v[52:53]
	v_add_f64 v[6:7], v[6:7], v[134:135]
	v_fma_f64 v[8:9], v[108:109], v[52:53], -v[8:9]
	v_add_f64 v[6:7], v[6:7], v[136:137]
	v_add_f64 v[4:5], v[4:5], v[8:9]
	s_waitcnt vmcnt(0)
	v_add_f64 v[4:5], v[56:57], -v[4:5]
	v_add_f64 v[6:7], v[58:59], -v[6:7]
	scratch_store_dwordx4 off, v[4:7], off offset:688
	s_and_saveexec_b64 s[0:1], vcc
	s_cbranch_execz .LBB55_267
; %bb.266:
	scratch_load_dwordx4 v[6:9], off, s24
	v_mov_b32_e32 v3, v2
	v_mov_b32_e32 v4, v2
	;; [unrolled: 1-line block ×3, first 2 shown]
	v_accvgpr_read_b32 v0, a113
	scratch_store_dwordx4 off, v[2:5], off offset:672
	s_waitcnt vmcnt(1)
	ds_write_b128 v0, v[6:9]
.LBB55_267:
	s_or_b64 exec, exec, s[0:1]
	s_waitcnt lgkmcnt(0)
	; wave barrier
	ds_read_b128 v[16:19], v2 offset:1568
	ds_read_b128 v[12:15], v2 offset:1584
	;; [unrolled: 1-line block ×4, first 2 shown]
	scratch_load_dwordx4 v[20:23], off, off offset:688
	scratch_load_dwordx4 v[42:45], off, off offset:752
	;; [unrolled: 1-line block ×8, first 2 shown]
	v_cmp_lt_u32_e32 vcc, 40, v252
	scratch_load_dwordx4 v[50:53], off, off offset:768
	scratch_load_dwordx4 v[58:61], off, off offset:784
	;; [unrolled: 1-line block ×3, first 2 shown]
	s_waitcnt vmcnt(10) lgkmcnt(3)
	v_mul_f64 v[24:25], v[16:17], v[22:23]
	v_fmac_f64_e32 v[24:25], v[18:19], v[20:21]
	v_add_f64 v[28:29], v[24:25], 0
	scratch_load_dwordx4 v[24:27], off, off offset:704
	s_waitcnt vmcnt(0) lgkmcnt(2)
	v_mul_f64 v[30:31], v[12:13], v[26:27]
	v_fmac_f64_e32 v[30:31], v[14:15], v[24:25]
	v_add_f64 v[32:33], v[28:29], v[30:31]
	scratch_load_dwordx4 v[28:31], off, off offset:720
	v_mul_f64 v[14:15], v[14:15], v[26:27]
	v_fma_f64 v[12:13], v[12:13], v[24:25], -v[14:15]
	s_waitcnt vmcnt(0) lgkmcnt(1)
	v_mul_f64 v[34:35], v[8:9], v[30:31]
	v_fmac_f64_e32 v[34:35], v[10:11], v[28:29]
	v_add_f64 v[36:37], v[32:33], v[34:35]
	scratch_load_dwordx4 v[32:35], off, off offset:736
	v_mul_f64 v[10:11], v[10:11], v[30:31]
	v_fma_f64 v[8:9], v[8:9], v[28:29], -v[10:11]
	s_waitcnt vmcnt(0) lgkmcnt(0)
	v_mul_f64 v[38:39], v[4:5], v[34:35]
	v_fmac_f64_e32 v[38:39], v[6:7], v[32:33]
	v_add_f64 v[40:41], v[36:37], v[38:39]
	ds_read_b128 v[36:39], v2 offset:1632
	v_mul_f64 v[6:7], v[6:7], v[34:35]
	v_fma_f64 v[4:5], v[4:5], v[32:33], -v[6:7]
	s_waitcnt lgkmcnt(0)
	v_mul_f64 v[46:47], v[36:37], v[44:45]
	v_fmac_f64_e32 v[46:47], v[38:39], v[42:43]
	v_add_f64 v[40:41], v[40:41], v[46:47]
	ds_read_b128 v[46:49], v2 offset:1648
	s_waitcnt lgkmcnt(0)
	v_mul_f64 v[54:55], v[46:47], v[52:53]
	v_fmac_f64_e32 v[54:55], v[48:49], v[50:51]
	v_add_f64 v[40:41], v[40:41], v[54:55]
	ds_read_b128 v[54:57], v2 offset:1664
	;; [unrolled: 5-line block ×9, first 2 shown]
	s_waitcnt lgkmcnt(0)
	v_mul_f64 v[2:3], v[110:111], v[116:117]
	v_fmac_f64_e32 v[2:3], v[112:113], v[114:115]
	v_add_f64 v[40:41], v[40:41], v[2:3]
	v_mul_f64 v[2:3], v[18:19], v[22:23]
	v_fma_f64 v[2:3], v[16:17], v[20:21], -v[2:3]
	v_add_f64 v[2:3], v[2:3], 0
	v_add_f64 v[2:3], v[2:3], v[12:13]
	;; [unrolled: 1-line block ×4, first 2 shown]
	v_mul_f64 v[4:5], v[38:39], v[44:45]
	v_fma_f64 v[4:5], v[36:37], v[42:43], -v[4:5]
	v_add_f64 v[2:3], v[2:3], v[4:5]
	v_mul_f64 v[4:5], v[48:49], v[52:53]
	v_fma_f64 v[4:5], v[46:47], v[50:51], -v[4:5]
	v_add_f64 v[2:3], v[2:3], v[4:5]
	;; [unrolled: 3-line block ×10, first 2 shown]
	scratch_load_dwordx4 v[2:5], off, off offset:672
	s_waitcnt vmcnt(0)
	v_add_f64 v[2:3], v[2:3], -v[6:7]
	v_add_f64 v[4:5], v[4:5], -v[40:41]
	scratch_store_dwordx4 off, v[2:5], off offset:672
	s_and_saveexec_b64 s[0:1], vcc
	s_cbranch_execz .LBB55_269
; %bb.268:
	scratch_load_dwordx4 v[2:5], off, s23
	v_mov_b32_e32 v6, 0
	v_mov_b32_e32 v7, v6
	;; [unrolled: 1-line block ×4, first 2 shown]
	v_accvgpr_read_b32 v0, a113
	scratch_store_dwordx4 off, v[6:9], off offset:656
	s_waitcnt vmcnt(1)
	ds_write_b128 v0, v[2:5]
.LBB55_269:
	s_or_b64 exec, exec, s[0:1]
	v_mov_b32_e32 v2, 0
	s_waitcnt lgkmcnt(0)
	; wave barrier
	ds_read_b128 v[16:19], v2 offset:1552
	ds_read_b128 v[12:15], v2 offset:1568
	;; [unrolled: 1-line block ×4, first 2 shown]
	scratch_load_dwordx4 v[20:23], off, off offset:672
	scratch_load_dwordx4 v[40:43], off, off offset:736
	;; [unrolled: 1-line block ×9, first 2 shown]
	v_cmp_lt_u32_e32 vcc, 39, v252
	scratch_load_dwordx4 v[50:53], off, off offset:752
	scratch_load_dwordx4 v[58:61], off, off offset:768
	;; [unrolled: 1-line block ×3, first 2 shown]
	s_waitcnt vmcnt(11) lgkmcnt(3)
	v_mul_f64 v[24:25], v[16:17], v[22:23]
	v_fmac_f64_e32 v[24:25], v[18:19], v[20:21]
	v_add_f64 v[28:29], v[24:25], 0
	scratch_load_dwordx4 v[24:27], off, off offset:688
	v_mul_f64 v[18:19], v[18:19], v[22:23]
	v_fma_f64 v[16:17], v[16:17], v[20:21], -v[18:19]
	v_add_f64 v[16:17], v[16:17], 0
	s_waitcnt vmcnt(0) lgkmcnt(2)
	v_mul_f64 v[30:31], v[12:13], v[26:27]
	v_fmac_f64_e32 v[30:31], v[14:15], v[24:25]
	v_add_f64 v[32:33], v[28:29], v[30:31]
	scratch_load_dwordx4 v[28:31], off, off offset:704
	v_mul_f64 v[14:15], v[14:15], v[26:27]
	v_fma_f64 v[12:13], v[12:13], v[24:25], -v[14:15]
	v_add_f64 v[12:13], v[16:17], v[12:13]
	;; [unrolled: 8-line block ×3, first 2 shown]
	s_waitcnt vmcnt(0) lgkmcnt(0)
	v_mul_f64 v[38:39], v[4:5], v[34:35]
	v_fmac_f64_e32 v[38:39], v[6:7], v[32:33]
	v_add_f64 v[44:45], v[36:37], v[38:39]
	ds_read_b128 v[36:39], v2 offset:1616
	v_mul_f64 v[6:7], v[6:7], v[34:35]
	v_fma_f64 v[4:5], v[4:5], v[32:33], -v[6:7]
	v_add_f64 v[4:5], v[8:9], v[4:5]
	s_waitcnt lgkmcnt(0)
	v_mul_f64 v[46:47], v[36:37], v[42:43]
	v_fmac_f64_e32 v[46:47], v[38:39], v[40:41]
	v_add_f64 v[48:49], v[44:45], v[46:47]
	ds_read_b128 v[44:47], v2 offset:1632
	v_mul_f64 v[6:7], v[38:39], v[42:43]
	v_fma_f64 v[6:7], v[36:37], v[40:41], -v[6:7]
	v_add_f64 v[4:5], v[4:5], v[6:7]
	s_waitcnt lgkmcnt(0)
	;; [unrolled: 8-line block ×11, first 2 shown]
	v_mul_f64 v[6:7], v[120:121], v[124:125]
	v_fma_f64 v[6:7], v[118:119], v[122:123], -v[6:7]
	v_add_f64 v[8:9], v[4:5], v[6:7]
	scratch_load_dwordx4 v[4:7], off, off offset:656
	v_mul_f64 v[126:127], v[118:119], v[124:125]
	v_fmac_f64_e32 v[126:127], v[120:121], v[122:123]
	v_add_f64 v[48:49], v[48:49], v[126:127]
	s_waitcnt vmcnt(0)
	v_add_f64 v[4:5], v[4:5], -v[8:9]
	v_add_f64 v[6:7], v[6:7], -v[48:49]
	scratch_store_dwordx4 off, v[4:7], off offset:656
	s_and_saveexec_b64 s[0:1], vcc
	s_cbranch_execz .LBB55_271
; %bb.270:
	scratch_load_dwordx4 v[6:9], off, s22
	v_mov_b32_e32 v3, v2
	v_mov_b32_e32 v4, v2
	;; [unrolled: 1-line block ×3, first 2 shown]
	v_accvgpr_read_b32 v0, a113
	scratch_store_dwordx4 off, v[2:5], off offset:640
	s_waitcnt vmcnt(1)
	ds_write_b128 v0, v[6:9]
.LBB55_271:
	s_or_b64 exec, exec, s[0:1]
	s_waitcnt lgkmcnt(0)
	; wave barrier
	ds_read_b128 v[16:19], v2 offset:1536
	ds_read_b128 v[12:15], v2 offset:1552
	;; [unrolled: 1-line block ×4, first 2 shown]
	scratch_load_dwordx4 v[20:23], off, off offset:656
	scratch_load_dwordx4 v[40:43], off, off offset:720
	;; [unrolled: 1-line block ×10, first 2 shown]
	v_cmp_lt_u32_e32 vcc, 38, v252
	scratch_load_dwordx4 v[48:51], off, off offset:736
	scratch_load_dwordx4 v[56:59], off, off offset:752
	;; [unrolled: 1-line block ×3, first 2 shown]
	s_waitcnt vmcnt(12) lgkmcnt(3)
	v_mul_f64 v[24:25], v[16:17], v[22:23]
	v_fmac_f64_e32 v[24:25], v[18:19], v[20:21]
	v_add_f64 v[28:29], v[24:25], 0
	scratch_load_dwordx4 v[24:27], off, off offset:672
	s_waitcnt vmcnt(0) lgkmcnt(2)
	v_mul_f64 v[30:31], v[12:13], v[26:27]
	v_fmac_f64_e32 v[30:31], v[14:15], v[24:25]
	v_add_f64 v[32:33], v[28:29], v[30:31]
	scratch_load_dwordx4 v[28:31], off, off offset:688
	v_mul_f64 v[14:15], v[14:15], v[26:27]
	v_fma_f64 v[12:13], v[12:13], v[24:25], -v[14:15]
	s_waitcnt vmcnt(0) lgkmcnt(1)
	v_mul_f64 v[34:35], v[8:9], v[30:31]
	v_fmac_f64_e32 v[34:35], v[10:11], v[28:29]
	v_add_f64 v[36:37], v[32:33], v[34:35]
	scratch_load_dwordx4 v[32:35], off, off offset:704
	v_mul_f64 v[10:11], v[10:11], v[30:31]
	v_fma_f64 v[8:9], v[8:9], v[28:29], -v[10:11]
	s_waitcnt vmcnt(0) lgkmcnt(0)
	v_mul_f64 v[38:39], v[4:5], v[34:35]
	v_fmac_f64_e32 v[38:39], v[6:7], v[32:33]
	v_add_f64 v[44:45], v[36:37], v[38:39]
	ds_read_b128 v[36:39], v2 offset:1600
	v_mul_f64 v[6:7], v[6:7], v[34:35]
	v_fma_f64 v[4:5], v[4:5], v[32:33], -v[6:7]
	s_waitcnt lgkmcnt(0)
	v_mul_f64 v[46:47], v[36:37], v[42:43]
	v_fmac_f64_e32 v[46:47], v[38:39], v[40:41]
	v_add_f64 v[52:53], v[44:45], v[46:47]
	ds_read_b128 v[44:47], v2 offset:1616
	s_waitcnt lgkmcnt(0)
	v_mul_f64 v[54:55], v[44:45], v[50:51]
	v_fmac_f64_e32 v[54:55], v[46:47], v[48:49]
	v_add_f64 v[60:61], v[52:53], v[54:55]
	ds_read_b128 v[52:55], v2 offset:1632
	;; [unrolled: 5-line block ×11, first 2 shown]
	s_waitcnt lgkmcnt(0)
	v_mul_f64 v[2:3], v[126:127], v[132:133]
	v_fmac_f64_e32 v[2:3], v[128:129], v[130:131]
	v_add_f64 v[64:65], v[64:65], v[2:3]
	v_mul_f64 v[2:3], v[18:19], v[22:23]
	v_fma_f64 v[2:3], v[16:17], v[20:21], -v[2:3]
	v_add_f64 v[2:3], v[2:3], 0
	v_add_f64 v[2:3], v[2:3], v[12:13]
	v_add_f64 v[2:3], v[2:3], v[8:9]
	v_add_f64 v[2:3], v[2:3], v[4:5]
	v_mul_f64 v[4:5], v[38:39], v[42:43]
	v_fma_f64 v[4:5], v[36:37], v[40:41], -v[4:5]
	v_add_f64 v[2:3], v[2:3], v[4:5]
	v_mul_f64 v[4:5], v[46:47], v[50:51]
	v_fma_f64 v[4:5], v[44:45], v[48:49], -v[4:5]
	v_add_f64 v[2:3], v[2:3], v[4:5]
	;; [unrolled: 3-line block ×12, first 2 shown]
	scratch_load_dwordx4 v[2:5], off, off offset:640
	s_waitcnt vmcnt(0)
	v_add_f64 v[2:3], v[2:3], -v[6:7]
	v_add_f64 v[4:5], v[4:5], -v[64:65]
	scratch_store_dwordx4 off, v[2:5], off offset:640
	s_and_saveexec_b64 s[0:1], vcc
	s_cbranch_execz .LBB55_273
; %bb.272:
	scratch_load_dwordx4 v[2:5], off, s21
	v_mov_b32_e32 v6, 0
	v_mov_b32_e32 v7, v6
	;; [unrolled: 1-line block ×4, first 2 shown]
	v_accvgpr_read_b32 v0, a113
	scratch_store_dwordx4 off, v[6:9], off offset:624
	s_waitcnt vmcnt(1)
	ds_write_b128 v0, v[2:5]
.LBB55_273:
	s_or_b64 exec, exec, s[0:1]
	v_mov_b32_e32 v2, 0
	s_waitcnt lgkmcnt(0)
	; wave barrier
	ds_read_b128 v[16:19], v2 offset:1520
	ds_read_b128 v[12:15], v2 offset:1536
	;; [unrolled: 1-line block ×4, first 2 shown]
	scratch_load_dwordx4 v[20:23], off, off offset:640
	scratch_load_dwordx4 v[40:43], off, off offset:704
	scratch_load_dwordx4 v[74:77], off, off offset:768
	scratch_load_dwordx4 v[82:85], off, off offset:784
	scratch_load_dwordx4 v[90:93], off, off offset:800
	scratch_load_dwordx4 v[98:101], off, off offset:816
	scratch_load_dwordx4 v[106:109], off, off offset:832
	scratch_load_dwordx4 v[114:117], off, off offset:848
	scratch_load_dwordx4 v[122:125], off, off offset:864
	scratch_load_dwordx4 v[130:133], off, off offset:880
	scratch_load_dwordx4 v[138:141], off, off offset:896
	v_cmp_lt_u32_e32 vcc, 37, v252
	scratch_load_dwordx4 v[48:51], off, off offset:720
	scratch_load_dwordx4 v[56:59], off, off offset:736
	;; [unrolled: 1-line block ×3, first 2 shown]
	s_waitcnt vmcnt(13) lgkmcnt(3)
	v_mul_f64 v[24:25], v[16:17], v[22:23]
	v_fmac_f64_e32 v[24:25], v[18:19], v[20:21]
	v_add_f64 v[28:29], v[24:25], 0
	scratch_load_dwordx4 v[24:27], off, off offset:656
	v_mul_f64 v[18:19], v[18:19], v[22:23]
	v_fma_f64 v[16:17], v[16:17], v[20:21], -v[18:19]
	v_add_f64 v[16:17], v[16:17], 0
	s_waitcnt vmcnt(0) lgkmcnt(2)
	v_mul_f64 v[30:31], v[12:13], v[26:27]
	v_fmac_f64_e32 v[30:31], v[14:15], v[24:25]
	v_add_f64 v[32:33], v[28:29], v[30:31]
	scratch_load_dwordx4 v[28:31], off, off offset:672
	v_mul_f64 v[14:15], v[14:15], v[26:27]
	v_fma_f64 v[12:13], v[12:13], v[24:25], -v[14:15]
	v_add_f64 v[12:13], v[16:17], v[12:13]
	;; [unrolled: 8-line block ×3, first 2 shown]
	s_waitcnt vmcnt(0) lgkmcnt(0)
	v_mul_f64 v[38:39], v[4:5], v[34:35]
	v_fmac_f64_e32 v[38:39], v[6:7], v[32:33]
	v_add_f64 v[44:45], v[36:37], v[38:39]
	ds_read_b128 v[36:39], v2 offset:1584
	v_mul_f64 v[6:7], v[6:7], v[34:35]
	v_fma_f64 v[4:5], v[4:5], v[32:33], -v[6:7]
	v_add_f64 v[4:5], v[8:9], v[4:5]
	s_waitcnt lgkmcnt(0)
	v_mul_f64 v[46:47], v[36:37], v[42:43]
	v_fmac_f64_e32 v[46:47], v[38:39], v[40:41]
	v_add_f64 v[52:53], v[44:45], v[46:47]
	ds_read_b128 v[44:47], v2 offset:1600
	v_mul_f64 v[6:7], v[38:39], v[42:43]
	v_fma_f64 v[6:7], v[36:37], v[40:41], -v[6:7]
	v_add_f64 v[4:5], v[4:5], v[6:7]
	s_waitcnt lgkmcnt(0)
	;; [unrolled: 8-line block ×13, first 2 shown]
	v_mul_f64 v[6:7], v[136:137], v[140:141]
	v_fma_f64 v[6:7], v[134:135], v[138:139], -v[6:7]
	v_add_f64 v[8:9], v[4:5], v[6:7]
	scratch_load_dwordx4 v[4:7], off, off offset:624
	v_mul_f64 v[142:143], v[134:135], v[140:141]
	v_fmac_f64_e32 v[142:143], v[136:137], v[138:139]
	v_add_f64 v[72:73], v[72:73], v[142:143]
	s_waitcnt vmcnt(0)
	v_add_f64 v[4:5], v[4:5], -v[8:9]
	v_add_f64 v[6:7], v[6:7], -v[72:73]
	scratch_store_dwordx4 off, v[4:7], off offset:624
	s_and_saveexec_b64 s[0:1], vcc
	s_cbranch_execz .LBB55_275
; %bb.274:
	scratch_load_dwordx4 v[6:9], off, s15
	v_mov_b32_e32 v3, v2
	v_mov_b32_e32 v4, v2
	;; [unrolled: 1-line block ×3, first 2 shown]
	v_accvgpr_read_b32 v0, a113
	scratch_store_dwordx4 off, v[2:5], off offset:608
	s_waitcnt vmcnt(1)
	ds_write_b128 v0, v[6:9]
.LBB55_275:
	s_or_b64 exec, exec, s[0:1]
	s_waitcnt lgkmcnt(0)
	; wave barrier
	ds_read_b128 v[16:19], v2 offset:1504
	ds_read_b128 v[12:15], v2 offset:1520
	;; [unrolled: 1-line block ×4, first 2 shown]
	scratch_load_dwordx4 v[20:23], off, off offset:624
	scratch_load_dwordx4 v[40:43], off, off offset:688
	;; [unrolled: 1-line block ×12, first 2 shown]
	v_cmp_lt_u32_e32 vcc, 36, v252
	scratch_load_dwordx4 v[48:51], off, off offset:704
	scratch_load_dwordx4 v[56:59], off, off offset:720
	;; [unrolled: 1-line block ×3, first 2 shown]
	s_waitcnt vmcnt(14) lgkmcnt(3)
	v_mul_f64 v[24:25], v[16:17], v[22:23]
	v_fmac_f64_e32 v[24:25], v[18:19], v[20:21]
	v_add_f64 v[28:29], v[24:25], 0
	scratch_load_dwordx4 v[24:27], off, off offset:640
	s_waitcnt vmcnt(0) lgkmcnt(2)
	v_mul_f64 v[30:31], v[12:13], v[26:27]
	v_fmac_f64_e32 v[30:31], v[14:15], v[24:25]
	v_add_f64 v[32:33], v[28:29], v[30:31]
	scratch_load_dwordx4 v[28:31], off, off offset:656
	v_mul_f64 v[14:15], v[14:15], v[26:27]
	v_fma_f64 v[12:13], v[12:13], v[24:25], -v[14:15]
	s_waitcnt vmcnt(0) lgkmcnt(1)
	v_mul_f64 v[34:35], v[8:9], v[30:31]
	v_fmac_f64_e32 v[34:35], v[10:11], v[28:29]
	v_add_f64 v[36:37], v[32:33], v[34:35]
	scratch_load_dwordx4 v[32:35], off, off offset:672
	v_mul_f64 v[10:11], v[10:11], v[30:31]
	v_fma_f64 v[8:9], v[8:9], v[28:29], -v[10:11]
	s_waitcnt vmcnt(0) lgkmcnt(0)
	v_mul_f64 v[38:39], v[4:5], v[34:35]
	v_fmac_f64_e32 v[38:39], v[6:7], v[32:33]
	v_add_f64 v[44:45], v[36:37], v[38:39]
	ds_read_b128 v[36:39], v2 offset:1568
	v_mul_f64 v[6:7], v[6:7], v[34:35]
	v_fma_f64 v[4:5], v[4:5], v[32:33], -v[6:7]
	s_waitcnt lgkmcnt(0)
	v_mul_f64 v[46:47], v[36:37], v[42:43]
	v_fmac_f64_e32 v[46:47], v[38:39], v[40:41]
	v_add_f64 v[52:53], v[44:45], v[46:47]
	ds_read_b128 v[44:47], v2 offset:1584
	s_waitcnt lgkmcnt(0)
	v_mul_f64 v[54:55], v[44:45], v[50:51]
	v_fmac_f64_e32 v[54:55], v[46:47], v[48:49]
	v_add_f64 v[60:61], v[52:53], v[54:55]
	ds_read_b128 v[52:55], v2 offset:1600
	;; [unrolled: 5-line block ×13, first 2 shown]
	s_waitcnt lgkmcnt(0)
	v_mul_f64 v[2:3], v[142:143], v[148:149]
	v_fmac_f64_e32 v[2:3], v[144:145], v[146:147]
	v_add_f64 v[80:81], v[80:81], v[2:3]
	v_mul_f64 v[2:3], v[18:19], v[22:23]
	v_fma_f64 v[2:3], v[16:17], v[20:21], -v[2:3]
	v_add_f64 v[2:3], v[2:3], 0
	v_add_f64 v[2:3], v[2:3], v[12:13]
	;; [unrolled: 1-line block ×4, first 2 shown]
	v_mul_f64 v[4:5], v[38:39], v[42:43]
	v_fma_f64 v[4:5], v[36:37], v[40:41], -v[4:5]
	v_add_f64 v[2:3], v[2:3], v[4:5]
	v_mul_f64 v[4:5], v[46:47], v[50:51]
	v_fma_f64 v[4:5], v[44:45], v[48:49], -v[4:5]
	v_add_f64 v[2:3], v[2:3], v[4:5]
	v_mul_f64 v[4:5], v[54:55], v[58:59]
	v_fma_f64 v[4:5], v[52:53], v[56:57], -v[4:5]
	v_add_f64 v[2:3], v[2:3], v[4:5]
	v_mul_f64 v[4:5], v[62:63], v[66:67]
	v_fma_f64 v[4:5], v[60:61], v[64:65], -v[4:5]
	v_add_f64 v[2:3], v[2:3], v[4:5]
	v_mul_f64 v[4:5], v[70:71], v[74:75]
	v_fma_f64 v[4:5], v[68:69], v[72:73], -v[4:5]
	v_add_f64 v[2:3], v[2:3], v[4:5]
	v_mul_f64 v[4:5], v[78:79], v[84:85]
	v_fma_f64 v[4:5], v[76:77], v[82:83], -v[4:5]
	v_add_f64 v[2:3], v[2:3], v[4:5]
	v_mul_f64 v[4:5], v[88:89], v[92:93]
	v_fma_f64 v[4:5], v[86:87], v[90:91], -v[4:5]
	v_add_f64 v[2:3], v[2:3], v[4:5]
	v_mul_f64 v[4:5], v[96:97], v[100:101]
	v_fma_f64 v[4:5], v[94:95], v[98:99], -v[4:5]
	v_add_f64 v[2:3], v[2:3], v[4:5]
	v_mul_f64 v[4:5], v[104:105], v[108:109]
	v_fma_f64 v[4:5], v[102:103], v[106:107], -v[4:5]
	v_add_f64 v[2:3], v[2:3], v[4:5]
	v_mul_f64 v[4:5], v[112:113], v[116:117]
	v_fma_f64 v[4:5], v[110:111], v[114:115], -v[4:5]
	v_add_f64 v[2:3], v[2:3], v[4:5]
	v_mul_f64 v[4:5], v[120:121], v[124:125]
	v_fma_f64 v[4:5], v[118:119], v[122:123], -v[4:5]
	v_add_f64 v[2:3], v[2:3], v[4:5]
	v_mul_f64 v[4:5], v[128:129], v[132:133]
	v_fma_f64 v[4:5], v[126:127], v[130:131], -v[4:5]
	v_add_f64 v[2:3], v[2:3], v[4:5]
	v_mul_f64 v[4:5], v[136:137], v[140:141]
	v_fma_f64 v[4:5], v[134:135], v[138:139], -v[4:5]
	v_add_f64 v[2:3], v[2:3], v[4:5]
	v_mul_f64 v[4:5], v[144:145], v[148:149]
	v_fma_f64 v[4:5], v[142:143], v[146:147], -v[4:5]
	v_add_f64 v[6:7], v[2:3], v[4:5]
	scratch_load_dwordx4 v[2:5], off, off offset:608
	s_waitcnt vmcnt(0)
	v_add_f64 v[2:3], v[2:3], -v[6:7]
	v_add_f64 v[4:5], v[4:5], -v[80:81]
	scratch_store_dwordx4 off, v[2:5], off offset:608
	s_and_saveexec_b64 s[0:1], vcc
	s_cbranch_execz .LBB55_277
; %bb.276:
	scratch_load_dwordx4 v[2:5], off, s20
	v_mov_b32_e32 v6, 0
	v_mov_b32_e32 v7, v6
	;; [unrolled: 1-line block ×4, first 2 shown]
	v_accvgpr_read_b32 v0, a113
	scratch_store_dwordx4 off, v[6:9], off offset:592
	s_waitcnt vmcnt(1)
	ds_write_b128 v0, v[2:5]
.LBB55_277:
	s_or_b64 exec, exec, s[0:1]
	v_mov_b32_e32 v2, 0
	s_waitcnt lgkmcnt(0)
	; wave barrier
	ds_read_b128 v[16:19], v2 offset:1488
	ds_read_b128 v[12:15], v2 offset:1504
	;; [unrolled: 1-line block ×4, first 2 shown]
	scratch_load_dwordx4 v[20:23], off, off offset:608
	scratch_load_dwordx4 v[40:43], off, off offset:672
	;; [unrolled: 1-line block ×13, first 2 shown]
	v_cmp_lt_u32_e32 vcc, 35, v252
	scratch_load_dwordx4 v[48:51], off, off offset:688
	scratch_load_dwordx4 v[56:59], off, off offset:704
	scratch_load_dwordx4 v[64:67], off, off offset:720
	s_waitcnt vmcnt(15) lgkmcnt(3)
	v_mul_f64 v[24:25], v[16:17], v[22:23]
	v_fmac_f64_e32 v[24:25], v[18:19], v[20:21]
	v_add_f64 v[28:29], v[24:25], 0
	scratch_load_dwordx4 v[24:27], off, off offset:624
	v_mul_f64 v[18:19], v[18:19], v[22:23]
	v_fma_f64 v[16:17], v[16:17], v[20:21], -v[18:19]
	v_add_f64 v[16:17], v[16:17], 0
	s_waitcnt vmcnt(0) lgkmcnt(2)
	v_mul_f64 v[30:31], v[12:13], v[26:27]
	v_fmac_f64_e32 v[30:31], v[14:15], v[24:25]
	v_add_f64 v[32:33], v[28:29], v[30:31]
	scratch_load_dwordx4 v[28:31], off, off offset:640
	v_mul_f64 v[14:15], v[14:15], v[26:27]
	v_fma_f64 v[12:13], v[12:13], v[24:25], -v[14:15]
	v_add_f64 v[12:13], v[16:17], v[12:13]
	;; [unrolled: 8-line block ×3, first 2 shown]
	s_waitcnt vmcnt(0) lgkmcnt(0)
	v_mul_f64 v[38:39], v[4:5], v[34:35]
	v_fmac_f64_e32 v[38:39], v[6:7], v[32:33]
	v_add_f64 v[44:45], v[36:37], v[38:39]
	ds_read_b128 v[36:39], v2 offset:1552
	v_mul_f64 v[6:7], v[6:7], v[34:35]
	v_fma_f64 v[4:5], v[4:5], v[32:33], -v[6:7]
	v_add_f64 v[4:5], v[8:9], v[4:5]
	s_waitcnt lgkmcnt(0)
	v_mul_f64 v[46:47], v[36:37], v[42:43]
	v_fmac_f64_e32 v[46:47], v[38:39], v[40:41]
	v_add_f64 v[52:53], v[44:45], v[46:47]
	ds_read_b128 v[44:47], v2 offset:1568
	v_mul_f64 v[6:7], v[38:39], v[42:43]
	v_fma_f64 v[6:7], v[36:37], v[40:41], -v[6:7]
	v_add_f64 v[4:5], v[4:5], v[6:7]
	s_waitcnt lgkmcnt(0)
	;; [unrolled: 8-line block ×15, first 2 shown]
	v_mul_f64 v[6:7], v[152:153], v[156:157]
	v_fma_f64 v[6:7], v[150:151], v[154:155], -v[6:7]
	v_add_f64 v[8:9], v[4:5], v[6:7]
	scratch_load_dwordx4 v[4:7], off, off offset:592
	v_mul_f64 v[158:159], v[150:151], v[156:157]
	v_fmac_f64_e32 v[158:159], v[152:153], v[154:155]
	v_add_f64 v[88:89], v[88:89], v[158:159]
	s_waitcnt vmcnt(0)
	v_add_f64 v[4:5], v[4:5], -v[8:9]
	v_add_f64 v[6:7], v[6:7], -v[88:89]
	scratch_store_dwordx4 off, v[4:7], off offset:592
	s_and_saveexec_b64 s[0:1], vcc
	s_cbranch_execz .LBB55_279
; %bb.278:
	scratch_load_dwordx4 v[6:9], off, s14
	v_mov_b32_e32 v3, v2
	v_mov_b32_e32 v4, v2
	;; [unrolled: 1-line block ×3, first 2 shown]
	v_accvgpr_read_b32 v0, a113
	scratch_store_dwordx4 off, v[2:5], off offset:576
	s_waitcnt vmcnt(1)
	ds_write_b128 v0, v[6:9]
.LBB55_279:
	s_or_b64 exec, exec, s[0:1]
	s_waitcnt lgkmcnt(0)
	; wave barrier
	ds_read_b128 v[16:19], v2 offset:1472
	ds_read_b128 v[12:15], v2 offset:1488
	ds_read_b128 v[8:11], v2 offset:1504
	ds_read_b128 v[4:7], v2 offset:1520
	scratch_load_dwordx4 v[20:23], off, off offset:592
	scratch_load_dwordx4 v[40:43], off, off offset:656
	;; [unrolled: 1-line block ×14, first 2 shown]
	v_cmp_lt_u32_e32 vcc, 34, v252
	scratch_load_dwordx4 v[48:51], off, off offset:672
	scratch_load_dwordx4 v[56:59], off, off offset:688
	;; [unrolled: 1-line block ×3, first 2 shown]
	s_waitcnt vmcnt(16) lgkmcnt(3)
	v_mul_f64 v[24:25], v[16:17], v[22:23]
	v_fmac_f64_e32 v[24:25], v[18:19], v[20:21]
	v_add_f64 v[28:29], v[24:25], 0
	scratch_load_dwordx4 v[24:27], off, off offset:608
	s_waitcnt vmcnt(0) lgkmcnt(2)
	v_mul_f64 v[30:31], v[12:13], v[26:27]
	v_fmac_f64_e32 v[30:31], v[14:15], v[24:25]
	v_add_f64 v[32:33], v[28:29], v[30:31]
	scratch_load_dwordx4 v[28:31], off, off offset:624
	v_mul_f64 v[14:15], v[14:15], v[26:27]
	v_fma_f64 v[12:13], v[12:13], v[24:25], -v[14:15]
	s_waitcnt vmcnt(0) lgkmcnt(1)
	v_mul_f64 v[34:35], v[8:9], v[30:31]
	v_fmac_f64_e32 v[34:35], v[10:11], v[28:29]
	v_add_f64 v[36:37], v[32:33], v[34:35]
	scratch_load_dwordx4 v[32:35], off, off offset:640
	v_mul_f64 v[10:11], v[10:11], v[30:31]
	v_fma_f64 v[8:9], v[8:9], v[28:29], -v[10:11]
	s_waitcnt vmcnt(0) lgkmcnt(0)
	v_mul_f64 v[38:39], v[4:5], v[34:35]
	v_fmac_f64_e32 v[38:39], v[6:7], v[32:33]
	v_add_f64 v[44:45], v[36:37], v[38:39]
	ds_read_b128 v[36:39], v2 offset:1536
	v_mul_f64 v[6:7], v[6:7], v[34:35]
	v_fma_f64 v[4:5], v[4:5], v[32:33], -v[6:7]
	s_waitcnt lgkmcnt(0)
	v_mul_f64 v[46:47], v[36:37], v[42:43]
	v_fmac_f64_e32 v[46:47], v[38:39], v[40:41]
	v_add_f64 v[52:53], v[44:45], v[46:47]
	ds_read_b128 v[44:47], v2 offset:1552
	s_waitcnt lgkmcnt(0)
	v_mul_f64 v[54:55], v[44:45], v[50:51]
	v_fmac_f64_e32 v[54:55], v[46:47], v[48:49]
	v_add_f64 v[60:61], v[52:53], v[54:55]
	ds_read_b128 v[52:55], v2 offset:1568
	;; [unrolled: 5-line block ×15, first 2 shown]
	s_waitcnt lgkmcnt(0)
	v_mul_f64 v[2:3], v[158:159], v[164:165]
	v_fmac_f64_e32 v[2:3], v[160:161], v[162:163]
	v_add_f64 v[96:97], v[96:97], v[2:3]
	v_mul_f64 v[2:3], v[18:19], v[22:23]
	v_fma_f64 v[2:3], v[16:17], v[20:21], -v[2:3]
	v_add_f64 v[2:3], v[2:3], 0
	v_add_f64 v[2:3], v[2:3], v[12:13]
	;; [unrolled: 1-line block ×4, first 2 shown]
	v_mul_f64 v[4:5], v[38:39], v[42:43]
	v_fma_f64 v[4:5], v[36:37], v[40:41], -v[4:5]
	v_add_f64 v[2:3], v[2:3], v[4:5]
	v_mul_f64 v[4:5], v[46:47], v[50:51]
	v_fma_f64 v[4:5], v[44:45], v[48:49], -v[4:5]
	v_add_f64 v[2:3], v[2:3], v[4:5]
	;; [unrolled: 3-line block ×16, first 2 shown]
	scratch_load_dwordx4 v[2:5], off, off offset:576
	s_waitcnt vmcnt(0)
	v_add_f64 v[2:3], v[2:3], -v[6:7]
	v_add_f64 v[4:5], v[4:5], -v[96:97]
	scratch_store_dwordx4 off, v[2:5], off offset:576
	s_and_saveexec_b64 s[0:1], vcc
	s_cbranch_execz .LBB55_281
; %bb.280:
	scratch_load_dwordx4 v[2:5], off, s13
	v_mov_b32_e32 v6, 0
	v_mov_b32_e32 v7, v6
	;; [unrolled: 1-line block ×4, first 2 shown]
	v_accvgpr_read_b32 v0, a113
	scratch_store_dwordx4 off, v[6:9], off offset:560
	s_waitcnt vmcnt(1)
	ds_write_b128 v0, v[2:5]
.LBB55_281:
	s_or_b64 exec, exec, s[0:1]
	v_mov_b32_e32 v2, 0
	s_waitcnt lgkmcnt(0)
	; wave barrier
	ds_read_b128 v[16:19], v2 offset:1456
	ds_read_b128 v[12:15], v2 offset:1472
	;; [unrolled: 1-line block ×4, first 2 shown]
	scratch_load_dwordx4 v[20:23], off, off offset:576
	scratch_load_dwordx4 v[40:43], off, off offset:640
	;; [unrolled: 1-line block ×15, first 2 shown]
	v_cmp_lt_u32_e32 vcc, 33, v252
	scratch_load_dwordx4 v[48:51], off, off offset:656
	scratch_load_dwordx4 v[56:59], off, off offset:672
	;; [unrolled: 1-line block ×3, first 2 shown]
	s_waitcnt vmcnt(17) lgkmcnt(3)
	v_mul_f64 v[24:25], v[16:17], v[22:23]
	v_fmac_f64_e32 v[24:25], v[18:19], v[20:21]
	v_add_f64 v[28:29], v[24:25], 0
	scratch_load_dwordx4 v[24:27], off, off offset:592
	v_mul_f64 v[18:19], v[18:19], v[22:23]
	v_fma_f64 v[16:17], v[16:17], v[20:21], -v[18:19]
	v_add_f64 v[16:17], v[16:17], 0
	s_waitcnt vmcnt(0) lgkmcnt(2)
	v_mul_f64 v[30:31], v[12:13], v[26:27]
	v_fmac_f64_e32 v[30:31], v[14:15], v[24:25]
	v_add_f64 v[32:33], v[28:29], v[30:31]
	scratch_load_dwordx4 v[28:31], off, off offset:608
	v_mul_f64 v[14:15], v[14:15], v[26:27]
	v_fma_f64 v[12:13], v[12:13], v[24:25], -v[14:15]
	v_add_f64 v[12:13], v[16:17], v[12:13]
	;; [unrolled: 8-line block ×3, first 2 shown]
	s_waitcnt vmcnt(0) lgkmcnt(0)
	v_mul_f64 v[38:39], v[4:5], v[34:35]
	v_fmac_f64_e32 v[38:39], v[6:7], v[32:33]
	v_add_f64 v[44:45], v[36:37], v[38:39]
	ds_read_b128 v[36:39], v2 offset:1520
	v_mul_f64 v[6:7], v[6:7], v[34:35]
	v_fma_f64 v[4:5], v[4:5], v[32:33], -v[6:7]
	v_add_f64 v[4:5], v[8:9], v[4:5]
	s_waitcnt lgkmcnt(0)
	v_mul_f64 v[46:47], v[36:37], v[42:43]
	v_fmac_f64_e32 v[46:47], v[38:39], v[40:41]
	v_add_f64 v[52:53], v[44:45], v[46:47]
	ds_read_b128 v[44:47], v2 offset:1536
	v_mul_f64 v[6:7], v[38:39], v[42:43]
	v_fma_f64 v[6:7], v[36:37], v[40:41], -v[6:7]
	v_add_f64 v[4:5], v[4:5], v[6:7]
	s_waitcnt lgkmcnt(0)
	;; [unrolled: 8-line block ×17, first 2 shown]
	v_mul_f64 v[6:7], v[168:169], v[172:173]
	v_fma_f64 v[6:7], v[166:167], v[170:171], -v[6:7]
	v_add_f64 v[8:9], v[4:5], v[6:7]
	scratch_load_dwordx4 v[4:7], off, off offset:560
	v_mul_f64 v[174:175], v[166:167], v[172:173]
	v_fmac_f64_e32 v[174:175], v[168:169], v[170:171]
	v_add_f64 v[104:105], v[104:105], v[174:175]
	s_waitcnt vmcnt(0)
	v_add_f64 v[4:5], v[4:5], -v[8:9]
	v_add_f64 v[6:7], v[6:7], -v[104:105]
	scratch_store_dwordx4 off, v[4:7], off offset:560
	s_and_saveexec_b64 s[0:1], vcc
	s_cbranch_execz .LBB55_283
; %bb.282:
	scratch_load_dwordx4 v[6:9], off, s12
	v_mov_b32_e32 v3, v2
	v_mov_b32_e32 v4, v2
	;; [unrolled: 1-line block ×3, first 2 shown]
	v_accvgpr_read_b32 v0, a113
	scratch_store_dwordx4 off, v[2:5], off offset:544
	s_waitcnt vmcnt(1)
	ds_write_b128 v0, v[6:9]
.LBB55_283:
	s_or_b64 exec, exec, s[0:1]
	s_waitcnt lgkmcnt(0)
	; wave barrier
	ds_read_b128 v[16:19], v2 offset:1440
	ds_read_b128 v[12:15], v2 offset:1456
	;; [unrolled: 1-line block ×4, first 2 shown]
	scratch_load_dwordx4 v[20:23], off, off offset:560
	scratch_load_dwordx4 v[40:43], off, off offset:624
	;; [unrolled: 1-line block ×16, first 2 shown]
	v_cmp_lt_u32_e32 vcc, 32, v252
	scratch_load_dwordx4 v[48:51], off, off offset:640
	scratch_load_dwordx4 v[56:59], off, off offset:656
	;; [unrolled: 1-line block ×3, first 2 shown]
	s_waitcnt vmcnt(18) lgkmcnt(3)
	v_mul_f64 v[24:25], v[16:17], v[22:23]
	v_fmac_f64_e32 v[24:25], v[18:19], v[20:21]
	v_add_f64 v[28:29], v[24:25], 0
	scratch_load_dwordx4 v[24:27], off, off offset:576
	s_waitcnt vmcnt(0) lgkmcnt(2)
	v_mul_f64 v[30:31], v[12:13], v[26:27]
	v_fmac_f64_e32 v[30:31], v[14:15], v[24:25]
	v_add_f64 v[32:33], v[28:29], v[30:31]
	scratch_load_dwordx4 v[28:31], off, off offset:592
	v_mul_f64 v[14:15], v[14:15], v[26:27]
	v_fma_f64 v[12:13], v[12:13], v[24:25], -v[14:15]
	s_waitcnt vmcnt(0) lgkmcnt(1)
	v_mul_f64 v[34:35], v[8:9], v[30:31]
	v_fmac_f64_e32 v[34:35], v[10:11], v[28:29]
	v_add_f64 v[36:37], v[32:33], v[34:35]
	scratch_load_dwordx4 v[32:35], off, off offset:608
	v_mul_f64 v[10:11], v[10:11], v[30:31]
	v_fma_f64 v[8:9], v[8:9], v[28:29], -v[10:11]
	s_waitcnt vmcnt(0) lgkmcnt(0)
	v_mul_f64 v[38:39], v[4:5], v[34:35]
	v_fmac_f64_e32 v[38:39], v[6:7], v[32:33]
	v_add_f64 v[44:45], v[36:37], v[38:39]
	ds_read_b128 v[36:39], v2 offset:1504
	v_mul_f64 v[6:7], v[6:7], v[34:35]
	v_fma_f64 v[4:5], v[4:5], v[32:33], -v[6:7]
	s_waitcnt lgkmcnt(0)
	v_mul_f64 v[46:47], v[36:37], v[42:43]
	v_fmac_f64_e32 v[46:47], v[38:39], v[40:41]
	v_add_f64 v[52:53], v[44:45], v[46:47]
	ds_read_b128 v[44:47], v2 offset:1520
	s_waitcnt lgkmcnt(0)
	v_mul_f64 v[54:55], v[44:45], v[50:51]
	v_fmac_f64_e32 v[54:55], v[46:47], v[48:49]
	v_add_f64 v[60:61], v[52:53], v[54:55]
	ds_read_b128 v[52:55], v2 offset:1536
	;; [unrolled: 5-line block ×17, first 2 shown]
	s_waitcnt lgkmcnt(0)
	v_mul_f64 v[2:3], v[174:175], v[180:181]
	v_fmac_f64_e32 v[2:3], v[176:177], v[178:179]
	v_add_f64 v[120:121], v[120:121], v[2:3]
	v_mul_f64 v[2:3], v[18:19], v[22:23]
	v_fma_f64 v[2:3], v[16:17], v[20:21], -v[2:3]
	v_add_f64 v[2:3], v[2:3], 0
	v_add_f64 v[2:3], v[2:3], v[12:13]
	;; [unrolled: 1-line block ×4, first 2 shown]
	v_mul_f64 v[4:5], v[38:39], v[42:43]
	v_fma_f64 v[4:5], v[36:37], v[40:41], -v[4:5]
	v_add_f64 v[2:3], v[2:3], v[4:5]
	v_mul_f64 v[4:5], v[46:47], v[50:51]
	v_fma_f64 v[4:5], v[44:45], v[48:49], -v[4:5]
	v_add_f64 v[2:3], v[2:3], v[4:5]
	;; [unrolled: 3-line block ×18, first 2 shown]
	scratch_load_dwordx4 v[2:5], off, off offset:544
	s_waitcnt vmcnt(0)
	v_add_f64 v[2:3], v[2:3], -v[6:7]
	v_add_f64 v[4:5], v[4:5], -v[120:121]
	scratch_store_dwordx4 off, v[2:5], off offset:544
	s_and_saveexec_b64 s[0:1], vcc
	s_cbranch_execz .LBB55_285
; %bb.284:
	scratch_load_dwordx4 v[2:5], off, s67
	v_mov_b32_e32 v6, 0
	v_mov_b32_e32 v7, v6
	;; [unrolled: 1-line block ×4, first 2 shown]
	v_accvgpr_read_b32 v0, a113
	scratch_store_dwordx4 off, v[6:9], off offset:528
	s_waitcnt vmcnt(1)
	ds_write_b128 v0, v[2:5]
.LBB55_285:
	s_or_b64 exec, exec, s[0:1]
	v_mov_b32_e32 v2, 0
	s_waitcnt lgkmcnt(0)
	; wave barrier
	ds_read_b128 v[16:19], v2 offset:1424
	ds_read_b128 v[12:15], v2 offset:1440
	;; [unrolled: 1-line block ×4, first 2 shown]
	scratch_load_dwordx4 v[20:23], off, off offset:544
	scratch_load_dwordx4 v[40:43], off, off offset:608
	;; [unrolled: 1-line block ×17, first 2 shown]
	v_cmp_lt_u32_e32 vcc, 31, v252
	scratch_load_dwordx4 v[48:51], off, off offset:624
	scratch_load_dwordx4 v[56:59], off, off offset:640
	;; [unrolled: 1-line block ×3, first 2 shown]
	s_waitcnt vmcnt(19) lgkmcnt(3)
	v_mul_f64 v[24:25], v[16:17], v[22:23]
	v_fmac_f64_e32 v[24:25], v[18:19], v[20:21]
	v_add_f64 v[28:29], v[24:25], 0
	scratch_load_dwordx4 v[24:27], off, off offset:560
	v_mul_f64 v[18:19], v[18:19], v[22:23]
	v_fma_f64 v[16:17], v[16:17], v[20:21], -v[18:19]
	v_add_f64 v[16:17], v[16:17], 0
	s_waitcnt vmcnt(0) lgkmcnt(2)
	v_mul_f64 v[30:31], v[12:13], v[26:27]
	v_fmac_f64_e32 v[30:31], v[14:15], v[24:25]
	v_add_f64 v[32:33], v[28:29], v[30:31]
	scratch_load_dwordx4 v[28:31], off, off offset:576
	v_mul_f64 v[14:15], v[14:15], v[26:27]
	v_fma_f64 v[12:13], v[12:13], v[24:25], -v[14:15]
	v_add_f64 v[12:13], v[16:17], v[12:13]
	;; [unrolled: 8-line block ×3, first 2 shown]
	s_waitcnt vmcnt(0) lgkmcnt(0)
	v_mul_f64 v[38:39], v[4:5], v[34:35]
	v_fmac_f64_e32 v[38:39], v[6:7], v[32:33]
	v_add_f64 v[44:45], v[36:37], v[38:39]
	ds_read_b128 v[36:39], v2 offset:1488
	v_mul_f64 v[6:7], v[6:7], v[34:35]
	v_fma_f64 v[4:5], v[4:5], v[32:33], -v[6:7]
	v_add_f64 v[4:5], v[8:9], v[4:5]
	s_waitcnt lgkmcnt(0)
	v_mul_f64 v[46:47], v[36:37], v[42:43]
	v_fmac_f64_e32 v[46:47], v[38:39], v[40:41]
	v_add_f64 v[52:53], v[44:45], v[46:47]
	ds_read_b128 v[44:47], v2 offset:1504
	v_mul_f64 v[6:7], v[38:39], v[42:43]
	v_fma_f64 v[6:7], v[36:37], v[40:41], -v[6:7]
	v_add_f64 v[4:5], v[4:5], v[6:7]
	s_waitcnt lgkmcnt(0)
	;; [unrolled: 8-line block ×19, first 2 shown]
	v_mul_f64 v[6:7], v[184:185], v[188:189]
	v_fma_f64 v[6:7], v[182:183], v[186:187], -v[6:7]
	v_add_f64 v[8:9], v[4:5], v[6:7]
	scratch_load_dwordx4 v[4:7], off, off offset:528
	v_mul_f64 v[190:191], v[182:183], v[188:189]
	v_fmac_f64_e32 v[190:191], v[184:185], v[186:187]
	v_add_f64 v[128:129], v[128:129], v[190:191]
	s_waitcnt vmcnt(0)
	v_add_f64 v[4:5], v[4:5], -v[8:9]
	v_add_f64 v[6:7], v[6:7], -v[128:129]
	scratch_store_dwordx4 off, v[4:7], off offset:528
	s_and_saveexec_b64 s[0:1], vcc
	s_cbranch_execz .LBB55_287
; %bb.286:
	scratch_load_dwordx4 v[6:9], off, s66
	v_mov_b32_e32 v3, v2
	v_mov_b32_e32 v4, v2
	v_mov_b32_e32 v5, v2
	v_accvgpr_read_b32 v0, a113
	scratch_store_dwordx4 off, v[2:5], off offset:512
	s_waitcnt vmcnt(1)
	ds_write_b128 v0, v[6:9]
.LBB55_287:
	s_or_b64 exec, exec, s[0:1]
	s_waitcnt lgkmcnt(0)
	; wave barrier
	ds_read_b128 v[16:19], v2 offset:1408
	ds_read_b128 v[12:15], v2 offset:1424
	;; [unrolled: 1-line block ×4, first 2 shown]
	scratch_load_dwordx4 v[20:23], off, off offset:528
	scratch_load_dwordx4 v[40:43], off, off offset:592
	;; [unrolled: 1-line block ×18, first 2 shown]
	v_cmp_lt_u32_e32 vcc, 30, v252
	scratch_load_dwordx4 v[48:51], off, off offset:608
	scratch_load_dwordx4 v[56:59], off, off offset:624
	;; [unrolled: 1-line block ×3, first 2 shown]
	s_waitcnt vmcnt(20) lgkmcnt(3)
	v_mul_f64 v[24:25], v[16:17], v[22:23]
	v_fmac_f64_e32 v[24:25], v[18:19], v[20:21]
	v_add_f64 v[28:29], v[24:25], 0
	scratch_load_dwordx4 v[24:27], off, off offset:544
	s_waitcnt vmcnt(0) lgkmcnt(2)
	v_mul_f64 v[30:31], v[12:13], v[26:27]
	v_fmac_f64_e32 v[30:31], v[14:15], v[24:25]
	v_add_f64 v[32:33], v[28:29], v[30:31]
	scratch_load_dwordx4 v[28:31], off, off offset:560
	v_mul_f64 v[14:15], v[14:15], v[26:27]
	v_fma_f64 v[12:13], v[12:13], v[24:25], -v[14:15]
	s_waitcnt vmcnt(0) lgkmcnt(1)
	v_mul_f64 v[34:35], v[8:9], v[30:31]
	v_fmac_f64_e32 v[34:35], v[10:11], v[28:29]
	v_add_f64 v[36:37], v[32:33], v[34:35]
	scratch_load_dwordx4 v[32:35], off, off offset:576
	v_mul_f64 v[10:11], v[10:11], v[30:31]
	v_fma_f64 v[8:9], v[8:9], v[28:29], -v[10:11]
	s_waitcnt vmcnt(0) lgkmcnt(0)
	v_mul_f64 v[38:39], v[4:5], v[34:35]
	v_fmac_f64_e32 v[38:39], v[6:7], v[32:33]
	v_add_f64 v[44:45], v[36:37], v[38:39]
	ds_read_b128 v[36:39], v2 offset:1472
	v_mul_f64 v[6:7], v[6:7], v[34:35]
	v_fma_f64 v[4:5], v[4:5], v[32:33], -v[6:7]
	s_waitcnt lgkmcnt(0)
	v_mul_f64 v[46:47], v[36:37], v[42:43]
	v_fmac_f64_e32 v[46:47], v[38:39], v[40:41]
	v_add_f64 v[52:53], v[44:45], v[46:47]
	ds_read_b128 v[44:47], v2 offset:1488
	s_waitcnt lgkmcnt(0)
	v_mul_f64 v[54:55], v[44:45], v[50:51]
	v_fmac_f64_e32 v[54:55], v[46:47], v[48:49]
	v_add_f64 v[60:61], v[52:53], v[54:55]
	ds_read_b128 v[52:55], v2 offset:1504
	;; [unrolled: 5-line block ×19, first 2 shown]
	s_waitcnt lgkmcnt(0)
	v_mul_f64 v[2:3], v[190:191], v[196:197]
	v_fmac_f64_e32 v[2:3], v[192:193], v[194:195]
	v_add_f64 v[148:149], v[148:149], v[2:3]
	v_mul_f64 v[2:3], v[18:19], v[22:23]
	v_fma_f64 v[2:3], v[16:17], v[20:21], -v[2:3]
	v_add_f64 v[2:3], v[2:3], 0
	v_add_f64 v[2:3], v[2:3], v[12:13]
	v_add_f64 v[2:3], v[2:3], v[8:9]
	v_add_f64 v[2:3], v[2:3], v[4:5]
	v_mul_f64 v[4:5], v[38:39], v[42:43]
	v_fma_f64 v[4:5], v[36:37], v[40:41], -v[4:5]
	v_add_f64 v[2:3], v[2:3], v[4:5]
	v_mul_f64 v[4:5], v[46:47], v[50:51]
	v_fma_f64 v[4:5], v[44:45], v[48:49], -v[4:5]
	v_add_f64 v[2:3], v[2:3], v[4:5]
	;; [unrolled: 3-line block ×20, first 2 shown]
	scratch_load_dwordx4 v[2:5], off, off offset:512
	s_waitcnt vmcnt(0)
	v_add_f64 v[2:3], v[2:3], -v[6:7]
	v_add_f64 v[4:5], v[4:5], -v[148:149]
	scratch_store_dwordx4 off, v[2:5], off offset:512
	s_and_saveexec_b64 s[0:1], vcc
	s_cbranch_execz .LBB55_289
; %bb.288:
	scratch_load_dwordx4 v[2:5], off, s65
	v_mov_b32_e32 v6, 0
	v_mov_b32_e32 v7, v6
	;; [unrolled: 1-line block ×4, first 2 shown]
	v_accvgpr_read_b32 v0, a113
	scratch_store_dwordx4 off, v[6:9], off offset:496
	s_waitcnt vmcnt(1)
	ds_write_b128 v0, v[2:5]
.LBB55_289:
	s_or_b64 exec, exec, s[0:1]
	v_mov_b32_e32 v2, 0
	s_waitcnt lgkmcnt(0)
	; wave barrier
	ds_read_b128 v[16:19], v2 offset:1392
	ds_read_b128 v[12:15], v2 offset:1408
	;; [unrolled: 1-line block ×4, first 2 shown]
	scratch_load_dwordx4 v[20:23], off, off offset:512
	scratch_load_dwordx4 v[40:43], off, off offset:576
	;; [unrolled: 1-line block ×19, first 2 shown]
	v_cmp_lt_u32_e32 vcc, 29, v252
	scratch_load_dwordx4 v[48:51], off, off offset:592
	scratch_load_dwordx4 v[56:59], off, off offset:608
	;; [unrolled: 1-line block ×3, first 2 shown]
	s_waitcnt vmcnt(21) lgkmcnt(3)
	v_mul_f64 v[24:25], v[16:17], v[22:23]
	v_fmac_f64_e32 v[24:25], v[18:19], v[20:21]
	v_add_f64 v[28:29], v[24:25], 0
	scratch_load_dwordx4 v[24:27], off, off offset:528
	v_mul_f64 v[18:19], v[18:19], v[22:23]
	v_fma_f64 v[16:17], v[16:17], v[20:21], -v[18:19]
	v_add_f64 v[16:17], v[16:17], 0
	s_waitcnt vmcnt(0) lgkmcnt(2)
	v_mul_f64 v[30:31], v[12:13], v[26:27]
	v_fmac_f64_e32 v[30:31], v[14:15], v[24:25]
	v_add_f64 v[32:33], v[28:29], v[30:31]
	scratch_load_dwordx4 v[28:31], off, off offset:544
	v_mul_f64 v[14:15], v[14:15], v[26:27]
	v_fma_f64 v[12:13], v[12:13], v[24:25], -v[14:15]
	v_add_f64 v[12:13], v[16:17], v[12:13]
	;; [unrolled: 8-line block ×3, first 2 shown]
	s_waitcnt vmcnt(0) lgkmcnt(0)
	v_mul_f64 v[38:39], v[4:5], v[34:35]
	v_fmac_f64_e32 v[38:39], v[6:7], v[32:33]
	v_add_f64 v[44:45], v[36:37], v[38:39]
	ds_read_b128 v[36:39], v2 offset:1456
	v_mul_f64 v[6:7], v[6:7], v[34:35]
	v_fma_f64 v[4:5], v[4:5], v[32:33], -v[6:7]
	v_add_f64 v[4:5], v[8:9], v[4:5]
	s_waitcnt lgkmcnt(0)
	v_mul_f64 v[46:47], v[36:37], v[42:43]
	v_fmac_f64_e32 v[46:47], v[38:39], v[40:41]
	v_add_f64 v[52:53], v[44:45], v[46:47]
	ds_read_b128 v[44:47], v2 offset:1472
	v_mul_f64 v[6:7], v[38:39], v[42:43]
	v_fma_f64 v[6:7], v[36:37], v[40:41], -v[6:7]
	v_add_f64 v[4:5], v[4:5], v[6:7]
	s_waitcnt lgkmcnt(0)
	v_mul_f64 v[54:55], v[44:45], v[50:51]
	v_fmac_f64_e32 v[54:55], v[46:47], v[48:49]
	v_add_f64 v[60:61], v[52:53], v[54:55]
	ds_read_b128 v[52:55], v2 offset:1488
	v_mul_f64 v[6:7], v[46:47], v[50:51]
	v_fma_f64 v[6:7], v[44:45], v[48:49], -v[6:7]
	v_add_f64 v[4:5], v[4:5], v[6:7]
	s_waitcnt lgkmcnt(0)
	v_mul_f64 v[62:63], v[52:53], v[58:59]
	v_fmac_f64_e32 v[62:63], v[54:55], v[56:57]
	v_add_f64 v[68:69], v[60:61], v[62:63]
	ds_read_b128 v[60:63], v2 offset:1504
	v_mul_f64 v[6:7], v[54:55], v[58:59]
	v_fma_f64 v[6:7], v[52:53], v[56:57], -v[6:7]
	v_add_f64 v[4:5], v[4:5], v[6:7]
	s_waitcnt lgkmcnt(0)
	v_mul_f64 v[70:71], v[60:61], v[66:67]
	v_fmac_f64_e32 v[70:71], v[62:63], v[64:65]
	v_add_f64 v[76:77], v[68:69], v[70:71]
	ds_read_b128 v[68:71], v2 offset:1520
	v_mul_f64 v[6:7], v[62:63], v[66:67]
	v_fma_f64 v[6:7], v[60:61], v[64:65], -v[6:7]
	v_add_f64 v[4:5], v[4:5], v[6:7]
	s_waitcnt lgkmcnt(0)
	v_mul_f64 v[78:79], v[68:69], v[74:75]
	v_fmac_f64_e32 v[78:79], v[70:71], v[72:73]
	v_add_f64 v[84:85], v[76:77], v[78:79]
	ds_read_b128 v[76:79], v2 offset:1536
	v_mul_f64 v[6:7], v[70:71], v[74:75]
	v_fma_f64 v[6:7], v[68:69], v[72:73], -v[6:7]
	v_add_f64 v[4:5], v[4:5], v[6:7]
	s_waitcnt lgkmcnt(0)
	v_mul_f64 v[86:87], v[76:77], v[82:83]
	v_fmac_f64_e32 v[86:87], v[78:79], v[80:81]
	v_add_f64 v[92:93], v[84:85], v[86:87]
	ds_read_b128 v[84:87], v2 offset:1552
	v_mul_f64 v[6:7], v[78:79], v[82:83]
	v_fma_f64 v[6:7], v[76:77], v[80:81], -v[6:7]
	v_add_f64 v[4:5], v[4:5], v[6:7]
	s_waitcnt lgkmcnt(0)
	v_mul_f64 v[94:95], v[84:85], v[90:91]
	v_fmac_f64_e32 v[94:95], v[86:87], v[88:89]
	v_add_f64 v[100:101], v[92:93], v[94:95]
	ds_read_b128 v[92:95], v2 offset:1568
	v_mul_f64 v[6:7], v[86:87], v[90:91]
	v_fma_f64 v[6:7], v[84:85], v[88:89], -v[6:7]
	v_add_f64 v[4:5], v[4:5], v[6:7]
	s_waitcnt lgkmcnt(0)
	v_mul_f64 v[102:103], v[92:93], v[98:99]
	v_fmac_f64_e32 v[102:103], v[94:95], v[96:97]
	v_add_f64 v[108:109], v[100:101], v[102:103]
	ds_read_b128 v[100:103], v2 offset:1584
	v_mul_f64 v[6:7], v[94:95], v[98:99]
	v_fma_f64 v[6:7], v[92:93], v[96:97], -v[6:7]
	v_add_f64 v[4:5], v[4:5], v[6:7]
	s_waitcnt lgkmcnt(0)
	v_mul_f64 v[110:111], v[100:101], v[106:107]
	v_fmac_f64_e32 v[110:111], v[102:103], v[104:105]
	v_add_f64 v[116:117], v[108:109], v[110:111]
	ds_read_b128 v[108:111], v2 offset:1600
	v_mul_f64 v[6:7], v[102:103], v[106:107]
	v_fma_f64 v[6:7], v[100:101], v[104:105], -v[6:7]
	v_add_f64 v[4:5], v[4:5], v[6:7]
	s_waitcnt lgkmcnt(0)
	v_mul_f64 v[118:119], v[108:109], v[114:115]
	v_fmac_f64_e32 v[118:119], v[110:111], v[112:113]
	v_add_f64 v[124:125], v[116:117], v[118:119]
	ds_read_b128 v[116:119], v2 offset:1616
	v_mul_f64 v[6:7], v[110:111], v[114:115]
	v_fma_f64 v[6:7], v[108:109], v[112:113], -v[6:7]
	v_add_f64 v[4:5], v[4:5], v[6:7]
	s_waitcnt lgkmcnt(0)
	v_mul_f64 v[126:127], v[116:117], v[122:123]
	v_fmac_f64_e32 v[126:127], v[118:119], v[120:121]
	v_add_f64 v[132:133], v[124:125], v[126:127]
	ds_read_b128 v[124:127], v2 offset:1632
	v_mul_f64 v[6:7], v[118:119], v[122:123]
	v_fma_f64 v[6:7], v[116:117], v[120:121], -v[6:7]
	v_add_f64 v[4:5], v[4:5], v[6:7]
	s_waitcnt lgkmcnt(0)
	v_mul_f64 v[134:135], v[124:125], v[130:131]
	v_fmac_f64_e32 v[134:135], v[126:127], v[128:129]
	v_add_f64 v[140:141], v[132:133], v[134:135]
	ds_read_b128 v[132:135], v2 offset:1648
	v_mul_f64 v[6:7], v[126:127], v[130:131]
	v_fma_f64 v[6:7], v[124:125], v[128:129], -v[6:7]
	v_add_f64 v[4:5], v[4:5], v[6:7]
	s_waitcnt lgkmcnt(0)
	v_mul_f64 v[142:143], v[132:133], v[138:139]
	v_fmac_f64_e32 v[142:143], v[134:135], v[136:137]
	v_add_f64 v[144:145], v[140:141], v[142:143]
	ds_read_b128 v[140:143], v2 offset:1664
	v_mul_f64 v[6:7], v[134:135], v[138:139]
	v_fma_f64 v[6:7], v[132:133], v[136:137], -v[6:7]
	v_add_f64 v[4:5], v[4:5], v[6:7]
	s_waitcnt lgkmcnt(0)
	v_mul_f64 v[150:151], v[140:141], v[148:149]
	v_fmac_f64_e32 v[150:151], v[142:143], v[146:147]
	v_add_f64 v[144:145], v[144:145], v[150:151]
	ds_read_b128 v[150:153], v2 offset:1680
	v_mul_f64 v[6:7], v[142:143], v[148:149]
	v_fma_f64 v[6:7], v[140:141], v[146:147], -v[6:7]
	v_add_f64 v[4:5], v[4:5], v[6:7]
	s_waitcnt lgkmcnt(0)
	v_mul_f64 v[158:159], v[150:151], v[156:157]
	v_fmac_f64_e32 v[158:159], v[152:153], v[154:155]
	v_add_f64 v[144:145], v[144:145], v[158:159]
	ds_read_b128 v[158:161], v2 offset:1696
	v_mul_f64 v[6:7], v[152:153], v[156:157]
	v_fma_f64 v[6:7], v[150:151], v[154:155], -v[6:7]
	v_add_f64 v[4:5], v[4:5], v[6:7]
	s_waitcnt lgkmcnt(0)
	v_mul_f64 v[166:167], v[158:159], v[164:165]
	v_fmac_f64_e32 v[166:167], v[160:161], v[162:163]
	v_add_f64 v[144:145], v[144:145], v[166:167]
	ds_read_b128 v[166:169], v2 offset:1712
	v_mul_f64 v[6:7], v[160:161], v[164:165]
	v_fma_f64 v[6:7], v[158:159], v[162:163], -v[6:7]
	v_add_f64 v[4:5], v[4:5], v[6:7]
	s_waitcnt lgkmcnt(0)
	v_mul_f64 v[174:175], v[166:167], v[172:173]
	v_fmac_f64_e32 v[174:175], v[168:169], v[170:171]
	v_add_f64 v[144:145], v[144:145], v[174:175]
	ds_read_b128 v[174:177], v2 offset:1728
	v_mul_f64 v[6:7], v[168:169], v[172:173]
	v_fma_f64 v[6:7], v[166:167], v[170:171], -v[6:7]
	v_add_f64 v[4:5], v[4:5], v[6:7]
	s_waitcnt lgkmcnt(0)
	v_mul_f64 v[182:183], v[174:175], v[180:181]
	v_fmac_f64_e32 v[182:183], v[176:177], v[178:179]
	v_add_f64 v[144:145], v[144:145], v[182:183]
	ds_read_b128 v[182:185], v2 offset:1744
	v_mul_f64 v[6:7], v[176:177], v[180:181]
	v_fma_f64 v[6:7], v[174:175], v[178:179], -v[6:7]
	v_add_f64 v[4:5], v[4:5], v[6:7]
	s_waitcnt lgkmcnt(0)
	v_mul_f64 v[190:191], v[182:183], v[188:189]
	v_fmac_f64_e32 v[190:191], v[184:185], v[186:187]
	v_add_f64 v[144:145], v[144:145], v[190:191]
	ds_read_b128 v[190:193], v2 offset:1760
	v_mul_f64 v[6:7], v[184:185], v[188:189]
	v_fma_f64 v[6:7], v[182:183], v[186:187], -v[6:7]
	v_add_f64 v[4:5], v[4:5], v[6:7]
	s_waitcnt lgkmcnt(0)
	v_mul_f64 v[198:199], v[190:191], v[196:197]
	v_fmac_f64_e32 v[198:199], v[192:193], v[194:195]
	v_add_f64 v[144:145], v[144:145], v[198:199]
	ds_read_b128 v[198:201], v2 offset:1776
	v_mul_f64 v[6:7], v[192:193], v[196:197]
	v_fma_f64 v[6:7], v[190:191], v[194:195], -v[6:7]
	v_add_f64 v[4:5], v[4:5], v[6:7]
	s_waitcnt lgkmcnt(0)
	v_mul_f64 v[6:7], v[200:201], v[204:205]
	v_fma_f64 v[6:7], v[198:199], v[202:203], -v[6:7]
	v_add_f64 v[8:9], v[4:5], v[6:7]
	scratch_load_dwordx4 v[4:7], off, off offset:496
	v_mul_f64 v[206:207], v[198:199], v[204:205]
	v_fmac_f64_e32 v[206:207], v[200:201], v[202:203]
	v_add_f64 v[144:145], v[144:145], v[206:207]
	s_waitcnt vmcnt(0)
	v_add_f64 v[4:5], v[4:5], -v[8:9]
	v_add_f64 v[6:7], v[6:7], -v[144:145]
	scratch_store_dwordx4 off, v[4:7], off offset:496
	s_and_saveexec_b64 s[0:1], vcc
	s_cbranch_execz .LBB55_291
; %bb.290:
	scratch_load_dwordx4 v[6:9], off, s64
	v_mov_b32_e32 v3, v2
	v_mov_b32_e32 v4, v2
	;; [unrolled: 1-line block ×3, first 2 shown]
	v_accvgpr_read_b32 v0, a113
	scratch_store_dwordx4 off, v[2:5], off offset:480
	s_waitcnt vmcnt(1)
	ds_write_b128 v0, v[6:9]
.LBB55_291:
	s_or_b64 exec, exec, s[0:1]
	s_waitcnt lgkmcnt(0)
	; wave barrier
	ds_read_b128 v[16:19], v2 offset:1376
	ds_read_b128 v[12:15], v2 offset:1392
	;; [unrolled: 1-line block ×4, first 2 shown]
	scratch_load_dwordx4 v[20:23], off, off offset:496
	scratch_load_dwordx4 v[40:43], off, off offset:560
	;; [unrolled: 1-line block ×20, first 2 shown]
	v_cmp_lt_u32_e32 vcc, 28, v252
	scratch_load_dwordx4 v[48:51], off, off offset:576
	scratch_load_dwordx4 v[56:59], off, off offset:592
	;; [unrolled: 1-line block ×3, first 2 shown]
	s_waitcnt vmcnt(22) lgkmcnt(3)
	v_mul_f64 v[24:25], v[16:17], v[22:23]
	v_fmac_f64_e32 v[24:25], v[18:19], v[20:21]
	v_add_f64 v[28:29], v[24:25], 0
	scratch_load_dwordx4 v[24:27], off, off offset:512
	s_waitcnt vmcnt(0) lgkmcnt(2)
	v_mul_f64 v[30:31], v[12:13], v[26:27]
	v_fmac_f64_e32 v[30:31], v[14:15], v[24:25]
	v_add_f64 v[32:33], v[28:29], v[30:31]
	scratch_load_dwordx4 v[28:31], off, off offset:528
	v_mul_f64 v[14:15], v[14:15], v[26:27]
	v_fma_f64 v[12:13], v[12:13], v[24:25], -v[14:15]
	s_waitcnt vmcnt(0) lgkmcnt(1)
	v_mul_f64 v[34:35], v[8:9], v[30:31]
	v_fmac_f64_e32 v[34:35], v[10:11], v[28:29]
	v_add_f64 v[36:37], v[32:33], v[34:35]
	scratch_load_dwordx4 v[32:35], off, off offset:544
	v_mul_f64 v[10:11], v[10:11], v[30:31]
	v_fma_f64 v[8:9], v[8:9], v[28:29], -v[10:11]
	s_waitcnt vmcnt(0) lgkmcnt(0)
	v_mul_f64 v[38:39], v[4:5], v[34:35]
	v_fmac_f64_e32 v[38:39], v[6:7], v[32:33]
	v_add_f64 v[44:45], v[36:37], v[38:39]
	ds_read_b128 v[36:39], v2 offset:1440
	v_mul_f64 v[6:7], v[6:7], v[34:35]
	v_fma_f64 v[4:5], v[4:5], v[32:33], -v[6:7]
	s_waitcnt lgkmcnt(0)
	v_mul_f64 v[46:47], v[36:37], v[42:43]
	v_fmac_f64_e32 v[46:47], v[38:39], v[40:41]
	v_add_f64 v[52:53], v[44:45], v[46:47]
	ds_read_b128 v[44:47], v2 offset:1456
	s_waitcnt lgkmcnt(0)
	v_mul_f64 v[54:55], v[44:45], v[50:51]
	v_fmac_f64_e32 v[54:55], v[46:47], v[48:49]
	v_add_f64 v[60:61], v[52:53], v[54:55]
	ds_read_b128 v[52:55], v2 offset:1472
	;; [unrolled: 5-line block ×21, first 2 shown]
	s_waitcnt lgkmcnt(0)
	v_mul_f64 v[2:3], v[206:207], v[212:213]
	v_fmac_f64_e32 v[2:3], v[208:209], v[210:211]
	v_add_f64 v[168:169], v[168:169], v[2:3]
	v_mul_f64 v[2:3], v[18:19], v[22:23]
	v_fma_f64 v[2:3], v[16:17], v[20:21], -v[2:3]
	v_add_f64 v[2:3], v[2:3], 0
	v_add_f64 v[2:3], v[2:3], v[12:13]
	;; [unrolled: 1-line block ×4, first 2 shown]
	v_mul_f64 v[4:5], v[38:39], v[42:43]
	v_fma_f64 v[4:5], v[36:37], v[40:41], -v[4:5]
	v_add_f64 v[2:3], v[2:3], v[4:5]
	v_mul_f64 v[4:5], v[46:47], v[50:51]
	v_fma_f64 v[4:5], v[44:45], v[48:49], -v[4:5]
	v_add_f64 v[2:3], v[2:3], v[4:5]
	;; [unrolled: 3-line block ×22, first 2 shown]
	scratch_load_dwordx4 v[2:5], off, off offset:480
	s_waitcnt vmcnt(0)
	v_add_f64 v[2:3], v[2:3], -v[6:7]
	v_add_f64 v[4:5], v[4:5], -v[168:169]
	scratch_store_dwordx4 off, v[2:5], off offset:480
	s_and_saveexec_b64 s[0:1], vcc
	s_cbranch_execz .LBB55_293
; %bb.292:
	scratch_load_dwordx4 v[2:5], off, s63
	v_mov_b32_e32 v6, 0
	v_mov_b32_e32 v7, v6
	;; [unrolled: 1-line block ×4, first 2 shown]
	v_accvgpr_read_b32 v0, a113
	scratch_store_dwordx4 off, v[6:9], off offset:464
	s_waitcnt vmcnt(1)
	ds_write_b128 v0, v[2:5]
.LBB55_293:
	s_or_b64 exec, exec, s[0:1]
	v_mov_b32_e32 v2, 0
	s_waitcnt lgkmcnt(0)
	; wave barrier
	ds_read_b128 v[16:19], v2 offset:1360
	ds_read_b128 v[12:15], v2 offset:1376
	;; [unrolled: 1-line block ×4, first 2 shown]
	scratch_load_dwordx4 v[20:23], off, off offset:480
	scratch_load_dwordx4 v[40:43], off, off offset:544
	;; [unrolled: 1-line block ×21, first 2 shown]
	v_cmp_lt_u32_e32 vcc, 27, v252
	scratch_load_dwordx4 v[48:51], off, off offset:560
	scratch_load_dwordx4 v[56:59], off, off offset:576
	;; [unrolled: 1-line block ×3, first 2 shown]
	s_waitcnt vmcnt(23) lgkmcnt(3)
	v_mul_f64 v[24:25], v[16:17], v[22:23]
	v_fmac_f64_e32 v[24:25], v[18:19], v[20:21]
	v_add_f64 v[28:29], v[24:25], 0
	scratch_load_dwordx4 v[24:27], off, off offset:496
	v_mul_f64 v[18:19], v[18:19], v[22:23]
	v_fma_f64 v[16:17], v[16:17], v[20:21], -v[18:19]
	v_add_f64 v[16:17], v[16:17], 0
	s_waitcnt vmcnt(0) lgkmcnt(2)
	v_mul_f64 v[30:31], v[12:13], v[26:27]
	v_fmac_f64_e32 v[30:31], v[14:15], v[24:25]
	v_add_f64 v[32:33], v[28:29], v[30:31]
	scratch_load_dwordx4 v[28:31], off, off offset:512
	v_mul_f64 v[14:15], v[14:15], v[26:27]
	v_fma_f64 v[12:13], v[12:13], v[24:25], -v[14:15]
	v_add_f64 v[12:13], v[16:17], v[12:13]
	s_waitcnt vmcnt(0) lgkmcnt(1)
	v_mul_f64 v[34:35], v[8:9], v[30:31]
	v_fmac_f64_e32 v[34:35], v[10:11], v[28:29]
	v_add_f64 v[36:37], v[32:33], v[34:35]
	scratch_load_dwordx4 v[32:35], off, off offset:528
	v_mul_f64 v[10:11], v[10:11], v[30:31]
	v_fma_f64 v[8:9], v[8:9], v[28:29], -v[10:11]
	v_add_f64 v[8:9], v[12:13], v[8:9]
	s_waitcnt vmcnt(0) lgkmcnt(0)
	v_mul_f64 v[38:39], v[4:5], v[34:35]
	v_fmac_f64_e32 v[38:39], v[6:7], v[32:33]
	v_add_f64 v[44:45], v[36:37], v[38:39]
	ds_read_b128 v[36:39], v2 offset:1424
	v_mul_f64 v[6:7], v[6:7], v[34:35]
	v_fma_f64 v[4:5], v[4:5], v[32:33], -v[6:7]
	v_add_f64 v[4:5], v[8:9], v[4:5]
	s_waitcnt lgkmcnt(0)
	v_mul_f64 v[46:47], v[36:37], v[42:43]
	v_fmac_f64_e32 v[46:47], v[38:39], v[40:41]
	v_add_f64 v[52:53], v[44:45], v[46:47]
	ds_read_b128 v[44:47], v2 offset:1440
	v_mul_f64 v[6:7], v[38:39], v[42:43]
	v_fma_f64 v[6:7], v[36:37], v[40:41], -v[6:7]
	v_add_f64 v[4:5], v[4:5], v[6:7]
	s_waitcnt lgkmcnt(0)
	;; [unrolled: 8-line block ×23, first 2 shown]
	v_mul_f64 v[6:7], v[216:217], v[220:221]
	v_fma_f64 v[6:7], v[214:215], v[218:219], -v[6:7]
	v_add_f64 v[8:9], v[4:5], v[6:7]
	scratch_load_dwordx4 v[4:7], off, off offset:464
	v_mul_f64 v[222:223], v[214:215], v[220:221]
	v_fmac_f64_e32 v[222:223], v[216:217], v[218:219]
	v_add_f64 v[160:161], v[160:161], v[222:223]
	s_waitcnt vmcnt(0)
	v_add_f64 v[4:5], v[4:5], -v[8:9]
	v_add_f64 v[6:7], v[6:7], -v[160:161]
	scratch_store_dwordx4 off, v[4:7], off offset:464
	s_and_saveexec_b64 s[0:1], vcc
	s_cbranch_execz .LBB55_295
; %bb.294:
	scratch_load_dwordx4 v[6:9], off, s62
	v_mov_b32_e32 v3, v2
	v_mov_b32_e32 v4, v2
	;; [unrolled: 1-line block ×3, first 2 shown]
	v_accvgpr_read_b32 v0, a113
	scratch_store_dwordx4 off, v[2:5], off offset:448
	s_waitcnt vmcnt(1)
	ds_write_b128 v0, v[6:9]
.LBB55_295:
	s_or_b64 exec, exec, s[0:1]
	s_waitcnt lgkmcnt(0)
	; wave barrier
	ds_read_b128 v[16:19], v2 offset:1344
	ds_read_b128 v[12:15], v2 offset:1360
	;; [unrolled: 1-line block ×4, first 2 shown]
	scratch_load_dwordx4 v[20:23], off, off offset:464
	scratch_load_dwordx4 v[40:43], off, off offset:528
	;; [unrolled: 1-line block ×22, first 2 shown]
	v_cmp_lt_u32_e32 vcc, 26, v252
	scratch_load_dwordx4 v[48:51], off, off offset:544
	scratch_load_dwordx4 v[56:59], off, off offset:560
	;; [unrolled: 1-line block ×3, first 2 shown]
	s_waitcnt vmcnt(24) lgkmcnt(3)
	v_mul_f64 v[24:25], v[16:17], v[22:23]
	v_fmac_f64_e32 v[24:25], v[18:19], v[20:21]
	v_add_f64 v[28:29], v[24:25], 0
	scratch_load_dwordx4 v[24:27], off, off offset:480
	s_waitcnt vmcnt(0) lgkmcnt(2)
	v_mul_f64 v[30:31], v[12:13], v[26:27]
	v_fmac_f64_e32 v[30:31], v[14:15], v[24:25]
	v_add_f64 v[32:33], v[28:29], v[30:31]
	scratch_load_dwordx4 v[28:31], off, off offset:496
	v_mul_f64 v[14:15], v[14:15], v[26:27]
	v_fma_f64 v[12:13], v[12:13], v[24:25], -v[14:15]
	s_waitcnt vmcnt(0) lgkmcnt(1)
	v_mul_f64 v[34:35], v[8:9], v[30:31]
	v_fmac_f64_e32 v[34:35], v[10:11], v[28:29]
	v_add_f64 v[36:37], v[32:33], v[34:35]
	scratch_load_dwordx4 v[32:35], off, off offset:512
	v_mul_f64 v[10:11], v[10:11], v[30:31]
	v_fma_f64 v[8:9], v[8:9], v[28:29], -v[10:11]
	s_waitcnt vmcnt(0) lgkmcnt(0)
	v_mul_f64 v[38:39], v[4:5], v[34:35]
	v_fmac_f64_e32 v[38:39], v[6:7], v[32:33]
	v_add_f64 v[44:45], v[36:37], v[38:39]
	ds_read_b128 v[36:39], v2 offset:1408
	v_mul_f64 v[6:7], v[6:7], v[34:35]
	v_fma_f64 v[4:5], v[4:5], v[32:33], -v[6:7]
	s_waitcnt lgkmcnt(0)
	v_mul_f64 v[46:47], v[36:37], v[42:43]
	v_fmac_f64_e32 v[46:47], v[38:39], v[40:41]
	v_add_f64 v[52:53], v[44:45], v[46:47]
	ds_read_b128 v[44:47], v2 offset:1424
	s_waitcnt lgkmcnt(0)
	v_mul_f64 v[54:55], v[44:45], v[50:51]
	v_fmac_f64_e32 v[54:55], v[46:47], v[48:49]
	v_add_f64 v[60:61], v[52:53], v[54:55]
	ds_read_b128 v[52:55], v2 offset:1440
	;; [unrolled: 5-line block ×23, first 2 shown]
	s_waitcnt lgkmcnt(0)
	v_mul_f64 v[2:3], v[222:223], v[228:229]
	v_fmac_f64_e32 v[2:3], v[224:225], v[226:227]
	v_add_f64 v[176:177], v[176:177], v[2:3]
	v_mul_f64 v[2:3], v[18:19], v[22:23]
	v_fma_f64 v[2:3], v[16:17], v[20:21], -v[2:3]
	v_add_f64 v[2:3], v[2:3], 0
	v_add_f64 v[2:3], v[2:3], v[12:13]
	;; [unrolled: 1-line block ×4, first 2 shown]
	v_mul_f64 v[4:5], v[38:39], v[42:43]
	v_fma_f64 v[4:5], v[36:37], v[40:41], -v[4:5]
	v_add_f64 v[2:3], v[2:3], v[4:5]
	v_mul_f64 v[4:5], v[46:47], v[50:51]
	v_fma_f64 v[4:5], v[44:45], v[48:49], -v[4:5]
	v_add_f64 v[2:3], v[2:3], v[4:5]
	;; [unrolled: 3-line block ×24, first 2 shown]
	scratch_load_dwordx4 v[2:5], off, off offset:448
	s_waitcnt vmcnt(0)
	v_add_f64 v[2:3], v[2:3], -v[6:7]
	v_add_f64 v[4:5], v[4:5], -v[176:177]
	scratch_store_dwordx4 off, v[2:5], off offset:448
	s_and_saveexec_b64 s[0:1], vcc
	s_cbranch_execz .LBB55_297
; %bb.296:
	scratch_load_dwordx4 v[2:5], off, s61
	v_mov_b32_e32 v6, 0
	v_mov_b32_e32 v7, v6
	;; [unrolled: 1-line block ×4, first 2 shown]
	v_accvgpr_read_b32 v0, a113
	scratch_store_dwordx4 off, v[6:9], off offset:432
	s_waitcnt vmcnt(1)
	ds_write_b128 v0, v[2:5]
.LBB55_297:
	s_or_b64 exec, exec, s[0:1]
	v_mov_b32_e32 v2, 0
	s_waitcnt lgkmcnt(0)
	; wave barrier
	ds_read_b128 v[16:19], v2 offset:1328
	ds_read_b128 v[12:15], v2 offset:1344
	ds_read_b128 v[8:11], v2 offset:1360
	ds_read_b128 v[4:7], v2 offset:1376
	scratch_load_dwordx4 v[20:23], off, off offset:448
	scratch_load_dwordx4 v[40:43], off, off offset:512
	;; [unrolled: 1-line block ×23, first 2 shown]
	v_cmp_lt_u32_e32 vcc, 25, v252
	scratch_load_dwordx4 v[48:51], off, off offset:528
	scratch_load_dwordx4 v[56:59], off, off offset:544
	;; [unrolled: 1-line block ×3, first 2 shown]
	s_waitcnt vmcnt(25) lgkmcnt(3)
	v_mul_f64 v[24:25], v[16:17], v[22:23]
	v_fmac_f64_e32 v[24:25], v[18:19], v[20:21]
	v_add_f64 v[28:29], v[24:25], 0
	scratch_load_dwordx4 v[24:27], off, off offset:464
	v_mul_f64 v[18:19], v[18:19], v[22:23]
	v_fma_f64 v[16:17], v[16:17], v[20:21], -v[18:19]
	v_add_f64 v[16:17], v[16:17], 0
	s_waitcnt vmcnt(0) lgkmcnt(2)
	v_mul_f64 v[30:31], v[12:13], v[26:27]
	v_fmac_f64_e32 v[30:31], v[14:15], v[24:25]
	v_add_f64 v[32:33], v[28:29], v[30:31]
	scratch_load_dwordx4 v[28:31], off, off offset:480
	v_mul_f64 v[14:15], v[14:15], v[26:27]
	v_fma_f64 v[12:13], v[12:13], v[24:25], -v[14:15]
	v_add_f64 v[12:13], v[16:17], v[12:13]
	;; [unrolled: 8-line block ×3, first 2 shown]
	s_waitcnt vmcnt(0) lgkmcnt(0)
	v_mul_f64 v[38:39], v[4:5], v[34:35]
	v_fmac_f64_e32 v[38:39], v[6:7], v[32:33]
	v_add_f64 v[44:45], v[36:37], v[38:39]
	ds_read_b128 v[36:39], v2 offset:1392
	v_mul_f64 v[6:7], v[6:7], v[34:35]
	v_fma_f64 v[4:5], v[4:5], v[32:33], -v[6:7]
	v_add_f64 v[4:5], v[8:9], v[4:5]
	s_waitcnt lgkmcnt(0)
	v_mul_f64 v[46:47], v[36:37], v[42:43]
	v_fmac_f64_e32 v[46:47], v[38:39], v[40:41]
	v_add_f64 v[52:53], v[44:45], v[46:47]
	ds_read_b128 v[44:47], v2 offset:1408
	v_mul_f64 v[6:7], v[38:39], v[42:43]
	v_fma_f64 v[6:7], v[36:37], v[40:41], -v[6:7]
	v_add_f64 v[4:5], v[4:5], v[6:7]
	s_waitcnt lgkmcnt(0)
	;; [unrolled: 8-line block ×25, first 2 shown]
	v_mul_f64 v[6:7], v[232:233], v[236:237]
	v_fma_f64 v[6:7], v[230:231], v[234:235], -v[6:7]
	v_add_f64 v[8:9], v[4:5], v[6:7]
	scratch_load_dwordx4 v[4:7], off, off offset:432
	v_mul_f64 v[238:239], v[230:231], v[236:237]
	v_fmac_f64_e32 v[238:239], v[232:233], v[234:235]
	v_add_f64 v[176:177], v[176:177], v[238:239]
	s_waitcnt vmcnt(0)
	v_add_f64 v[4:5], v[4:5], -v[8:9]
	v_add_f64 v[6:7], v[6:7], -v[176:177]
	scratch_store_dwordx4 off, v[4:7], off offset:432
	s_and_saveexec_b64 s[0:1], vcc
	s_cbranch_execz .LBB55_299
; %bb.298:
	scratch_load_dwordx4 v[6:9], off, s60
	v_mov_b32_e32 v3, v2
	v_mov_b32_e32 v4, v2
	;; [unrolled: 1-line block ×3, first 2 shown]
	v_accvgpr_read_b32 v0, a113
	scratch_store_dwordx4 off, v[2:5], off offset:416
	s_waitcnt vmcnt(1)
	ds_write_b128 v0, v[6:9]
.LBB55_299:
	s_or_b64 exec, exec, s[0:1]
	s_waitcnt lgkmcnt(0)
	; wave barrier
	ds_read_b128 v[16:19], v2 offset:1312
	ds_read_b128 v[12:15], v2 offset:1328
	;; [unrolled: 1-line block ×4, first 2 shown]
	scratch_load_dwordx4 v[20:23], off, off offset:432
	scratch_load_dwordx4 v[40:43], off, off offset:496
	scratch_load_dwordx4 v[72:75], off, off offset:560
	scratch_load_dwordx4 v[80:83], off, off offset:576
	scratch_load_dwordx4 v[88:91], off, off offset:592
	scratch_load_dwordx4 v[96:99], off, off offset:608
	scratch_load_dwordx4 v[104:107], off, off offset:624
	scratch_load_dwordx4 v[112:115], off, off offset:640
	scratch_load_dwordx4 v[120:123], off, off offset:656
	scratch_load_dwordx4 v[128:131], off, off offset:672
	scratch_load_dwordx4 v[136:139], off, off offset:688
	scratch_load_dwordx4 v[144:147], off, off offset:704
	scratch_load_dwordx4 v[152:155], off, off offset:720
	scratch_load_dwordx4 v[160:163], off, off offset:736
	scratch_load_dwordx4 v[168:171], off, off offset:752
	scratch_load_dwordx4 v[176:179], off, off offset:768
	scratch_load_dwordx4 v[186:189], off, off offset:784
	scratch_load_dwordx4 v[194:197], off, off offset:800
	scratch_load_dwordx4 v[202:205], off, off offset:816
	scratch_load_dwordx4 v[210:213], off, off offset:832
	scratch_load_dwordx4 v[218:221], off, off offset:848
	scratch_load_dwordx4 v[226:229], off, off offset:864
	scratch_load_dwordx4 v[234:237], off, off offset:880
	scratch_load_dwordx4 v[242:245], off, off offset:896
	v_cmp_lt_u32_e32 vcc, 24, v252
	scratch_load_dwordx4 v[48:51], off, off offset:512
	scratch_load_dwordx4 v[56:59], off, off offset:528
	scratch_load_dwordx4 v[64:67], off, off offset:544
	s_waitcnt vmcnt(26) lgkmcnt(3)
	v_mul_f64 v[24:25], v[16:17], v[22:23]
	v_fmac_f64_e32 v[24:25], v[18:19], v[20:21]
	v_add_f64 v[28:29], v[24:25], 0
	scratch_load_dwordx4 v[24:27], off, off offset:448
	s_waitcnt vmcnt(0) lgkmcnt(2)
	v_mul_f64 v[30:31], v[12:13], v[26:27]
	v_fmac_f64_e32 v[30:31], v[14:15], v[24:25]
	v_add_f64 v[32:33], v[28:29], v[30:31]
	scratch_load_dwordx4 v[28:31], off, off offset:464
	v_mul_f64 v[14:15], v[14:15], v[26:27]
	v_fma_f64 v[12:13], v[12:13], v[24:25], -v[14:15]
	s_waitcnt vmcnt(0) lgkmcnt(1)
	v_mul_f64 v[34:35], v[8:9], v[30:31]
	v_fmac_f64_e32 v[34:35], v[10:11], v[28:29]
	v_add_f64 v[36:37], v[32:33], v[34:35]
	scratch_load_dwordx4 v[32:35], off, off offset:480
	v_mul_f64 v[10:11], v[10:11], v[30:31]
	v_fma_f64 v[8:9], v[8:9], v[28:29], -v[10:11]
	s_waitcnt vmcnt(0) lgkmcnt(0)
	v_mul_f64 v[38:39], v[4:5], v[34:35]
	v_fmac_f64_e32 v[38:39], v[6:7], v[32:33]
	v_add_f64 v[44:45], v[36:37], v[38:39]
	ds_read_b128 v[36:39], v2 offset:1376
	v_mul_f64 v[6:7], v[6:7], v[34:35]
	v_fma_f64 v[4:5], v[4:5], v[32:33], -v[6:7]
	s_waitcnt lgkmcnt(0)
	v_mul_f64 v[46:47], v[36:37], v[42:43]
	v_fmac_f64_e32 v[46:47], v[38:39], v[40:41]
	v_add_f64 v[52:53], v[44:45], v[46:47]
	ds_read_b128 v[44:47], v2 offset:1392
	s_waitcnt lgkmcnt(0)
	v_mul_f64 v[54:55], v[44:45], v[50:51]
	v_fmac_f64_e32 v[54:55], v[46:47], v[48:49]
	v_add_f64 v[60:61], v[52:53], v[54:55]
	ds_read_b128 v[52:55], v2 offset:1408
	;; [unrolled: 5-line block ×25, first 2 shown]
	s_waitcnt lgkmcnt(0)
	v_mul_f64 v[2:3], v[238:239], v[244:245]
	v_fmac_f64_e32 v[2:3], v[240:241], v[242:243]
	v_add_f64 v[184:185], v[184:185], v[2:3]
	v_mul_f64 v[2:3], v[18:19], v[22:23]
	v_fma_f64 v[2:3], v[16:17], v[20:21], -v[2:3]
	v_add_f64 v[2:3], v[2:3], 0
	v_add_f64 v[2:3], v[2:3], v[12:13]
	;; [unrolled: 1-line block ×4, first 2 shown]
	v_mul_f64 v[4:5], v[38:39], v[42:43]
	v_fma_f64 v[4:5], v[36:37], v[40:41], -v[4:5]
	v_add_f64 v[2:3], v[2:3], v[4:5]
	v_mul_f64 v[4:5], v[46:47], v[50:51]
	v_fma_f64 v[4:5], v[44:45], v[48:49], -v[4:5]
	v_add_f64 v[2:3], v[2:3], v[4:5]
	;; [unrolled: 3-line block ×26, first 2 shown]
	scratch_load_dwordx4 v[2:5], off, off offset:416
	s_waitcnt vmcnt(0)
	v_add_f64 v[2:3], v[2:3], -v[6:7]
	v_add_f64 v[4:5], v[4:5], -v[184:185]
	scratch_store_dwordx4 off, v[2:5], off offset:416
	s_and_saveexec_b64 s[0:1], vcc
	s_cbranch_execz .LBB55_301
; %bb.300:
	scratch_load_dwordx4 v[2:5], off, s59
	v_mov_b32_e32 v6, 0
	v_mov_b32_e32 v7, v6
	;; [unrolled: 1-line block ×4, first 2 shown]
	v_accvgpr_read_b32 v0, a113
	scratch_store_dwordx4 off, v[6:9], off offset:400
	s_waitcnt vmcnt(1)
	ds_write_b128 v0, v[2:5]
.LBB55_301:
	s_or_b64 exec, exec, s[0:1]
	s_waitcnt lgkmcnt(0)
	; wave barrier
	scratch_load_dwordx4 v[16:19], off, off offset:416
	scratch_load_dwordx4 v[12:15], off, off offset:432
	;; [unrolled: 1-line block ×32, first 2 shown]
	v_mov_b32_e32 v2, 0
	ds_read_b128 v[132:135], v2 offset:1296
	ds_read_b128 v[136:139], v2 offset:1312
	;; [unrolled: 1-line block ×17, first 2 shown]
	v_cmp_lt_u32_e32 vcc, 23, v252
	s_waitcnt vmcnt(31) lgkmcnt(14)
	v_mul_f64 v[200:201], v[132:133], v[18:19]
	s_waitcnt vmcnt(30)
	v_mul_f64 v[202:203], v[136:137], v[14:15]
	v_fmac_f64_e32 v[200:201], v[134:135], v[16:17]
	s_waitcnt vmcnt(29)
	v_mul_f64 v[204:205], v[140:141], v[10:11]
	v_fmac_f64_e32 v[202:203], v[138:139], v[12:13]
	v_add_f64 v[200:201], v[200:201], 0
	s_waitcnt vmcnt(28) lgkmcnt(13)
	v_mul_f64 v[206:207], v[144:145], v[6:7]
	v_fmac_f64_e32 v[204:205], v[142:143], v[8:9]
	v_add_f64 v[200:201], v[200:201], v[202:203]
	s_waitcnt vmcnt(27) lgkmcnt(12)
	;; [unrolled: 4-line block ×12, first 2 shown]
	v_mul_f64 v[228:229], v[188:189], v[62:63]
	v_fmac_f64_e32 v[226:227], v[186:187], v[56:57]
	v_add_f64 v[200:201], v[200:201], v[224:225]
	v_fmac_f64_e32 v[228:229], v[190:191], v[60:61]
	v_add_f64 v[200:201], v[200:201], v[226:227]
	s_waitcnt vmcnt(16) lgkmcnt(1)
	v_mul_f64 v[202:203], v[192:193], v[66:67]
	v_add_f64 v[200:201], v[200:201], v[228:229]
	v_fmac_f64_e32 v[202:203], v[194:195], v[64:65]
	s_waitcnt vmcnt(15) lgkmcnt(0)
	v_mul_f64 v[206:207], v[196:197], v[70:71]
	v_add_f64 v[204:205], v[200:201], v[202:203]
	ds_read_b128 v[200:203], v2 offset:1568
	v_fmac_f64_e32 v[206:207], v[198:199], v[68:69]
	v_add_f64 v[208:209], v[204:205], v[206:207]
	ds_read_b128 v[204:207], v2 offset:1584
	v_mul_f64 v[18:19], v[134:135], v[18:19]
	s_waitcnt vmcnt(14) lgkmcnt(1)
	v_mul_f64 v[210:211], v[200:201], v[74:75]
	v_fmac_f64_e32 v[210:211], v[202:203], v[72:73]
	v_add_f64 v[212:213], v[208:209], v[210:211]
	s_waitcnt vmcnt(13) lgkmcnt(0)
	v_mul_f64 v[214:215], v[204:205], v[78:79]
	ds_read_b128 v[208:211], v2 offset:1600
	v_fmac_f64_e32 v[214:215], v[206:207], v[76:77]
	v_add_f64 v[216:217], v[212:213], v[214:215]
	ds_read_b128 v[212:215], v2 offset:1616
	v_fma_f64 v[242:243], v[132:133], v[16:17], -v[18:19]
	s_waitcnt vmcnt(12) lgkmcnt(1)
	v_mul_f64 v[218:219], v[208:209], v[82:83]
	v_fmac_f64_e32 v[218:219], v[210:211], v[80:81]
	v_add_f64 v[220:221], v[216:217], v[218:219]
	s_waitcnt vmcnt(11) lgkmcnt(0)
	v_mul_f64 v[222:223], v[212:213], v[86:87]
	ds_read_b128 v[216:219], v2 offset:1632
	v_fmac_f64_e32 v[222:223], v[214:215], v[84:85]
	v_add_f64 v[224:225], v[220:221], v[222:223]
	ds_read_b128 v[220:223], v2 offset:1648
	ds_read_b128 v[16:19], v2 offset:1728
	s_waitcnt vmcnt(10) lgkmcnt(2)
	v_mul_f64 v[226:227], v[216:217], v[90:91]
	v_fmac_f64_e32 v[226:227], v[218:219], v[88:89]
	v_add_f64 v[228:229], v[224:225], v[226:227]
	s_waitcnt vmcnt(9) lgkmcnt(1)
	v_mul_f64 v[230:231], v[220:221], v[94:95]
	ds_read_b128 v[224:227], v2 offset:1664
	v_fmac_f64_e32 v[230:231], v[222:223], v[92:93]
	v_add_f64 v[232:233], v[228:229], v[230:231]
	ds_read_b128 v[228:231], v2 offset:1680
	v_mul_f64 v[14:15], v[138:139], v[14:15]
	s_waitcnt vmcnt(8) lgkmcnt(1)
	v_mul_f64 v[234:235], v[224:225], v[98:99]
	v_fmac_f64_e32 v[234:235], v[226:227], v[96:97]
	v_add_f64 v[236:237], v[232:233], v[234:235]
	s_waitcnt vmcnt(7) lgkmcnt(0)
	v_mul_f64 v[238:239], v[228:229], v[102:103]
	ds_read_b128 v[232:235], v2 offset:1696
	v_fmac_f64_e32 v[238:239], v[230:231], v[100:101]
	v_add_f64 v[240:241], v[236:237], v[238:239]
	ds_read_b128 v[236:239], v2 offset:1712
	v_fma_f64 v[136:137], v[136:137], v[12:13], -v[14:15]
	s_waitcnt vmcnt(6) lgkmcnt(1)
	v_mul_f64 v[132:133], v[232:233], v[106:107]
	v_fmac_f64_e32 v[132:133], v[234:235], v[104:105]
	v_add_f64 v[132:133], v[240:241], v[132:133]
	s_waitcnt vmcnt(5) lgkmcnt(0)
	v_mul_f64 v[134:135], v[236:237], v[110:111]
	v_fmac_f64_e32 v[134:135], v[238:239], v[108:109]
	v_add_f64 v[132:133], v[132:133], v[134:135]
	ds_read_b128 v[12:15], v2 offset:1744
	s_waitcnt vmcnt(4)
	v_mul_f64 v[134:135], v[16:17], v[114:115]
	v_fmac_f64_e32 v[134:135], v[18:19], v[112:113]
	v_add_f64 v[138:139], v[132:133], v[134:135]
	ds_read_b128 v[132:135], v2 offset:1760
	v_mul_f64 v[10:11], v[142:143], v[10:11]
	v_fma_f64 v[140:141], v[140:141], v[8:9], -v[10:11]
	ds_read_b128 v[8:11], v2 offset:1776
	s_waitcnt vmcnt(3) lgkmcnt(2)
	v_mul_f64 v[142:143], v[12:13], v[118:119]
	v_fmac_f64_e32 v[142:143], v[14:15], v[116:117]
	v_add_f64 v[138:139], v[138:139], v[142:143]
	s_waitcnt vmcnt(2) lgkmcnt(1)
	v_mul_f64 v[142:143], v[132:133], v[122:123]
	v_fmac_f64_e32 v[142:143], v[134:135], v[120:121]
	v_add_f64 v[138:139], v[138:139], v[142:143]
	;; [unrolled: 4-line block ×3, first 2 shown]
	v_add_f64 v[142:143], v[242:243], 0
	v_add_f64 v[136:137], v[142:143], v[136:137]
	v_mul_f64 v[6:7], v[146:147], v[6:7]
	v_add_f64 v[136:137], v[136:137], v[140:141]
	v_fma_f64 v[4:5], v[144:145], v[4:5], -v[6:7]
	v_mul_f64 v[6:7], v[150:151], v[22:23]
	v_add_f64 v[4:5], v[136:137], v[4:5]
	v_fma_f64 v[6:7], v[148:149], v[20:21], -v[6:7]
	v_add_f64 v[4:5], v[4:5], v[6:7]
	v_mul_f64 v[6:7], v[154:155], v[26:27]
	v_fma_f64 v[6:7], v[152:153], v[24:25], -v[6:7]
	v_add_f64 v[4:5], v[4:5], v[6:7]
	v_mul_f64 v[6:7], v[158:159], v[30:31]
	;; [unrolled: 3-line block ×26, first 2 shown]
	v_fma_f64 v[6:7], v[8:9], v[124:125], -v[6:7]
	v_add_f64 v[4:5], v[4:5], v[6:7]
	s_waitcnt vmcnt(0)
	v_add_f64 v[4:5], v[128:129], -v[4:5]
	v_add_f64 v[6:7], v[130:131], -v[138:139]
	scratch_store_dwordx4 off, v[4:7], off offset:400
	s_and_saveexec_b64 s[0:1], vcc
	s_cbranch_execz .LBB55_303
; %bb.302:
	scratch_load_dwordx4 v[6:9], off, s58
	v_mov_b32_e32 v3, v2
	v_mov_b32_e32 v4, v2
	;; [unrolled: 1-line block ×3, first 2 shown]
	v_accvgpr_read_b32 v0, a113
	scratch_store_dwordx4 off, v[2:5], off offset:384
	s_waitcnt vmcnt(1)
	ds_write_b128 v0, v[6:9]
.LBB55_303:
	s_or_b64 exec, exec, s[0:1]
	s_waitcnt lgkmcnt(0)
	; wave barrier
	scratch_load_dwordx4 v[140:143], off, off offset:400
	scratch_load_dwordx4 v[148:151], off, off offset:416
	;; [unrolled: 1-line block ×16, first 2 shown]
	ds_read_b128 v[188:191], v2 offset:1280
	ds_read_b128 v[184:187], v2 offset:1296
	scratch_load_dwordx4 v[56:59], off, off offset:656
	ds_read_b128 v[192:195], v2 offset:1312
	ds_read_b128 v[68:71], v2 offset:1328
	scratch_load_dwordx4 v[60:63], off, off offset:672
	ds_read_b128 v[88:91], v2 offset:1344
	ds_read_b128 v[84:87], v2 offset:1360
	;; [unrolled: 1-line block ×4, first 2 shown]
	scratch_load_dwordx4 v[64:67], off, off offset:688
	ds_read_b128 v[100:103], v2 offset:1408
	ds_read_b128 v[96:99], v2 offset:1424
	scratch_load_dwordx4 v[72:75], off, off offset:704
	ds_read_b128 v[116:119], v2 offset:1440
	ds_read_b128 v[112:115], v2 offset:1456
	;; [unrolled: 1-line block ×4, first 2 shown]
	scratch_load_dwordx4 v[92:95], off, off offset:720
	ds_read_b128 v[132:135], v2 offset:1504
	ds_read_b128 v[128:131], v2 offset:1520
	;; [unrolled: 1-line block ×3, first 2 shown]
	scratch_load_dwordx4 v[120:123], off, off offset:736
	scratch_load_dwordx4 v[136:139], off, off offset:752
	;; [unrolled: 1-line block ×11, first 2 shown]
	v_cmp_lt_u32_e32 vcc, 22, v252
	s_waitcnt vmcnt(31) lgkmcnt(14)
	v_mul_f64 v[200:201], v[188:189], v[142:143]
	s_waitcnt vmcnt(30)
	v_mul_f64 v[202:203], v[184:185], v[150:151]
	v_fmac_f64_e32 v[200:201], v[190:191], v[140:141]
	s_waitcnt vmcnt(29)
	v_mul_f64 v[204:205], v[192:193], v[154:155]
	v_fmac_f64_e32 v[202:203], v[186:187], v[148:149]
	v_add_f64 v[200:201], v[200:201], 0
	s_waitcnt vmcnt(28) lgkmcnt(13)
	v_mul_f64 v[206:207], v[68:69], v[6:7]
	v_fmac_f64_e32 v[204:205], v[194:195], v[152:153]
	v_add_f64 v[200:201], v[200:201], v[202:203]
	s_waitcnt vmcnt(27) lgkmcnt(12)
	;; [unrolled: 4-line block ×13, first 2 shown]
	v_mul_f64 v[230:231], v[128:129], v[54:55]
	v_fmac_f64_e32 v[228:229], v[134:135], v[48:49]
	v_add_f64 v[200:201], v[200:201], v[226:227]
	v_add_f64 v[200:201], v[200:201], v[228:229]
	v_fmac_f64_e32 v[230:231], v[130:131], v[52:53]
	v_add_f64 v[204:205], v[200:201], v[230:231]
	ds_read_b128 v[200:203], v2 offset:1552
	s_waitcnt vmcnt(15) lgkmcnt(1)
	v_mul_f64 v[206:207], v[124:125], v[58:59]
	v_fmac_f64_e32 v[206:207], v[126:127], v[56:57]
	v_add_f64 v[208:209], v[204:205], v[206:207]
	ds_read_b128 v[204:207], v2 offset:1568
	s_waitcnt vmcnt(14) lgkmcnt(1)
	v_mul_f64 v[210:211], v[200:201], v[62:63]
	;; [unrolled: 5-line block ×10, first 2 shown]
	v_fmac_f64_e32 v[242:243], v[234:235], v[160:161]
	v_mul_f64 v[142:143], v[190:191], v[142:143]
	v_add_f64 v[242:243], v[240:241], v[242:243]
	v_fma_f64 v[240:241], v[188:189], v[140:141], -v[142:143]
	ds_read_b128 v[140:143], v2 offset:1712
	s_waitcnt vmcnt(5) lgkmcnt(1)
	v_mul_f64 v[188:189], v[236:237], v[166:167]
	v_fmac_f64_e32 v[188:189], v[238:239], v[164:165]
	v_mul_f64 v[150:151], v[186:187], v[150:151]
	v_add_f64 v[188:189], v[242:243], v[188:189]
	v_fma_f64 v[242:243], v[184:185], v[148:149], -v[150:151]
	ds_read_b128 v[148:151], v2 offset:1728
	s_waitcnt vmcnt(4) lgkmcnt(1)
	v_mul_f64 v[184:185], v[140:141], v[170:171]
	v_fmac_f64_e32 v[184:185], v[142:143], v[168:169]
	v_add_f64 v[188:189], v[188:189], v[184:185]
	ds_read_b128 v[184:187], v2 offset:1744
	v_mul_f64 v[154:155], v[194:195], v[154:155]
	s_waitcnt vmcnt(3) lgkmcnt(1)
	v_mul_f64 v[190:191], v[148:149], v[174:175]
	v_fma_f64 v[246:247], v[192:193], v[152:153], -v[154:155]
	ds_read_b128 v[152:155], v2 offset:1760
	v_fmac_f64_e32 v[190:191], v[150:151], v[172:173]
	v_add_f64 v[244:245], v[188:189], v[190:191]
	ds_read_b128 v[188:191], v2 offset:1776
	s_waitcnt vmcnt(2) lgkmcnt(2)
	v_mul_f64 v[192:193], v[184:185], v[178:179]
	v_fmac_f64_e32 v[192:193], v[186:187], v[176:177]
	v_add_f64 v[2:3], v[244:245], v[192:193]
	s_waitcnt vmcnt(1) lgkmcnt(1)
	v_mul_f64 v[192:193], v[152:153], v[182:183]
	v_fmac_f64_e32 v[192:193], v[154:155], v[180:181]
	v_add_f64 v[2:3], v[2:3], v[192:193]
	;; [unrolled: 4-line block ×3, first 2 shown]
	scratch_load_dwordx4 v[192:195], off, off offset:384
	v_add_f64 v[240:241], v[240:241], 0
	v_add_f64 v[240:241], v[240:241], v[242:243]
	v_mul_f64 v[6:7], v[70:71], v[6:7]
	v_add_f64 v[240:241], v[240:241], v[246:247]
	v_fma_f64 v[4:5], v[68:69], v[4:5], -v[6:7]
	v_mul_f64 v[6:7], v[90:91], v[10:11]
	v_add_f64 v[4:5], v[240:241], v[4:5]
	v_fma_f64 v[6:7], v[88:89], v[8:9], -v[6:7]
	v_add_f64 v[4:5], v[4:5], v[6:7]
	v_mul_f64 v[6:7], v[86:87], v[14:15]
	v_fma_f64 v[6:7], v[84:85], v[12:13], -v[6:7]
	v_add_f64 v[4:5], v[4:5], v[6:7]
	v_mul_f64 v[6:7], v[82:83], v[18:19]
	;; [unrolled: 3-line block ×27, first 2 shown]
	v_fma_f64 v[6:7], v[188:189], v[196:197], -v[6:7]
	v_add_f64 v[4:5], v[4:5], v[6:7]
	s_waitcnt vmcnt(0)
	v_add_f64 v[4:5], v[192:193], -v[4:5]
	v_add_f64 v[6:7], v[194:195], -v[2:3]
	scratch_store_dwordx4 off, v[4:7], off offset:384
	s_and_saveexec_b64 s[0:1], vcc
	s_cbranch_execz .LBB55_305
; %bb.304:
	scratch_load_dwordx4 v[2:5], off, s57
	v_mov_b32_e32 v6, 0
	v_mov_b32_e32 v7, v6
	;; [unrolled: 1-line block ×4, first 2 shown]
	v_accvgpr_read_b32 v0, a113
	scratch_store_dwordx4 off, v[6:9], off offset:368
	s_waitcnt vmcnt(1)
	ds_write_b128 v0, v[2:5]
.LBB55_305:
	s_or_b64 exec, exec, s[0:1]
	s_waitcnt lgkmcnt(0)
	; wave barrier
	scratch_load_dwordx4 v[108:111], off, off offset:384
	scratch_load_dwordx4 v[116:119], off, off offset:400
	;; [unrolled: 1-line block ×33, first 2 shown]
	v_mov_b32_e32 v2, 0
	ds_read_b128 v[220:223], v2 offset:1264
	ds_read_b128 v[224:227], v2 offset:1280
	;; [unrolled: 1-line block ×16, first 2 shown]
	v_cmp_lt_u32_e32 vcc, 21, v252
	s_waitcnt vmcnt(32) lgkmcnt(14)
	v_mul_f64 v[180:181], v[220:221], v[110:111]
	s_waitcnt vmcnt(31)
	v_mul_f64 v[182:183], v[224:225], v[118:119]
	v_fmac_f64_e32 v[180:181], v[222:223], v[108:109]
	s_waitcnt vmcnt(30) lgkmcnt(13)
	v_mul_f64 v[184:185], v[234:235], v[122:123]
	v_fmac_f64_e32 v[182:183], v[226:227], v[116:117]
	v_add_f64 v[180:181], v[180:181], 0
	s_waitcnt vmcnt(29) lgkmcnt(12)
	v_mul_f64 v[186:187], v[238:239], v[126:127]
	v_fmac_f64_e32 v[184:185], v[236:237], v[120:121]
	v_add_f64 v[180:181], v[180:181], v[182:183]
	;; [unrolled: 4-line block ×13, first 2 shown]
	v_fmac_f64_e32 v[208:209], v[142:143], v[40:41]
	v_add_f64 v[180:181], v[180:181], v[206:207]
	v_add_f64 v[184:185], v[180:181], v[208:209]
	ds_read_b128 v[180:183], v2 offset:1520
	s_waitcnt vmcnt(17) lgkmcnt(1)
	v_mul_f64 v[186:187], v[136:137], v[46:47]
	v_fmac_f64_e32 v[186:187], v[138:139], v[44:45]
	v_add_f64 v[188:189], v[184:185], v[186:187]
	ds_read_b128 v[184:187], v2 offset:1536
	s_waitcnt vmcnt(16) lgkmcnt(1)
	v_mul_f64 v[190:191], v[180:181], v[50:51]
	v_fmac_f64_e32 v[190:191], v[182:183], v[48:49]
	v_add_f64 v[192:193], v[188:189], v[190:191]
	ds_read_b128 v[188:191], v2 offset:1552
	s_waitcnt vmcnt(15) lgkmcnt(1)
	v_mul_f64 v[194:195], v[184:185], v[54:55]
	v_fmac_f64_e32 v[194:195], v[186:187], v[52:53]
	v_add_f64 v[196:197], v[192:193], v[194:195]
	ds_read_b128 v[192:195], v2 offset:1568
	s_waitcnt vmcnt(14) lgkmcnt(1)
	v_mul_f64 v[198:199], v[188:189], v[58:59]
	v_fmac_f64_e32 v[198:199], v[190:191], v[56:57]
	v_add_f64 v[200:201], v[196:197], v[198:199]
	ds_read_b128 v[196:199], v2 offset:1584
	s_waitcnt vmcnt(13) lgkmcnt(1)
	v_mul_f64 v[202:203], v[192:193], v[62:63]
	v_fmac_f64_e32 v[202:203], v[194:195], v[60:61]
	v_add_f64 v[204:205], v[200:201], v[202:203]
	ds_read_b128 v[200:203], v2 offset:1600
	s_waitcnt vmcnt(12) lgkmcnt(1)
	v_mul_f64 v[206:207], v[196:197], v[66:67]
	v_fmac_f64_e32 v[206:207], v[198:199], v[64:65]
	v_add_f64 v[208:209], v[204:205], v[206:207]
	ds_read_b128 v[204:207], v2 offset:1616
	s_waitcnt vmcnt(11) lgkmcnt(1)
	v_mul_f64 v[210:211], v[200:201], v[70:71]
	v_fmac_f64_e32 v[210:211], v[202:203], v[68:69]
	v_add_f64 v[212:213], v[208:209], v[210:211]
	ds_read_b128 v[208:211], v2 offset:1632
	s_waitcnt vmcnt(10) lgkmcnt(1)
	v_mul_f64 v[214:215], v[204:205], v[74:75]
	v_fmac_f64_e32 v[214:215], v[206:207], v[72:73]
	v_add_f64 v[216:217], v[212:213], v[214:215]
	ds_read_b128 v[212:215], v2 offset:1648
	s_waitcnt vmcnt(9) lgkmcnt(1)
	v_mul_f64 v[218:219], v[208:209], v[78:79]
	v_fmac_f64_e32 v[218:219], v[210:211], v[76:77]
	v_add_f64 v[228:229], v[216:217], v[218:219]
	ds_read_b128 v[216:219], v2 offset:1664
	s_waitcnt vmcnt(8) lgkmcnt(1)
	v_mul_f64 v[230:231], v[212:213], v[82:83]
	v_fmac_f64_e32 v[230:231], v[214:215], v[80:81]
	v_mul_f64 v[110:111], v[222:223], v[110:111]
	v_add_f64 v[228:229], v[228:229], v[230:231]
	v_fma_f64 v[230:231], v[220:221], v[108:109], -v[110:111]
	ds_read_b128 v[108:111], v2 offset:1680
	s_waitcnt vmcnt(7) lgkmcnt(1)
	v_mul_f64 v[220:221], v[216:217], v[86:87]
	v_mul_f64 v[118:119], v[226:227], v[118:119]
	v_fmac_f64_e32 v[220:221], v[218:219], v[84:85]
	v_fma_f64 v[232:233], v[224:225], v[116:117], -v[118:119]
	ds_read_b128 v[116:119], v2 offset:1696
	s_waitcnt vmcnt(6) lgkmcnt(1)
	v_mul_f64 v[222:223], v[108:109], v[90:91]
	v_add_f64 v[220:221], v[228:229], v[220:221]
	v_fmac_f64_e32 v[222:223], v[110:111], v[88:89]
	v_add_f64 v[224:225], v[220:221], v[222:223]
	ds_read_b128 v[220:223], v2 offset:1712
	v_mul_f64 v[122:123], v[236:237], v[122:123]
	v_fma_f64 v[234:235], v[234:235], v[120:121], -v[122:123]
	ds_read_b128 v[120:123], v2 offset:1728
	s_waitcnt vmcnt(5) lgkmcnt(2)
	v_mul_f64 v[226:227], v[116:117], v[94:95]
	v_fmac_f64_e32 v[226:227], v[118:119], v[92:93]
	v_mul_f64 v[126:127], v[240:241], v[126:127]
	v_add_f64 v[224:225], v[224:225], v[226:227]
	s_waitcnt vmcnt(4) lgkmcnt(1)
	v_mul_f64 v[226:227], v[220:221], v[98:99]
	v_fma_f64 v[236:237], v[238:239], v[124:125], -v[126:127]
	ds_read_b128 v[124:127], v2 offset:1744
	v_fmac_f64_e32 v[226:227], v[222:223], v[96:97]
	v_add_f64 v[228:229], v[224:225], v[226:227]
	s_waitcnt vmcnt(3) lgkmcnt(1)
	v_mul_f64 v[238:239], v[120:121], v[102:103]
	ds_read_b128 v[224:227], v2 offset:1760
	v_fmac_f64_e32 v[238:239], v[122:123], v[100:101]
	v_mul_f64 v[130:131], v[244:245], v[130:131]
	v_add_f64 v[228:229], v[228:229], v[238:239]
	v_fma_f64 v[238:239], v[242:243], v[128:129], -v[130:131]
	ds_read_b128 v[128:131], v2 offset:1776
	s_waitcnt vmcnt(2) lgkmcnt(2)
	v_mul_f64 v[240:241], v[124:125], v[106:107]
	v_fmac_f64_e32 v[240:241], v[126:127], v[104:105]
	v_add_f64 v[228:229], v[228:229], v[240:241]
	s_waitcnt vmcnt(1) lgkmcnt(1)
	v_mul_f64 v[240:241], v[224:225], v[114:115]
	v_fmac_f64_e32 v[240:241], v[226:227], v[112:113]
	v_add_f64 v[228:229], v[228:229], v[240:241]
	;; [unrolled: 4-line block ×3, first 2 shown]
	scratch_load_dwordx4 v[240:243], off, off offset:368
	v_add_f64 v[230:231], v[230:231], 0
	v_add_f64 v[230:231], v[230:231], v[232:233]
	;; [unrolled: 1-line block ×4, first 2 shown]
	v_mul_f64 v[6:7], v[178:179], v[6:7]
	v_add_f64 v[230:231], v[230:231], v[238:239]
	v_fma_f64 v[4:5], v[176:177], v[4:5], -v[6:7]
	v_mul_f64 v[6:7], v[174:175], v[10:11]
	v_add_f64 v[4:5], v[230:231], v[4:5]
	v_fma_f64 v[6:7], v[172:173], v[8:9], -v[6:7]
	v_add_f64 v[4:5], v[4:5], v[6:7]
	v_mul_f64 v[6:7], v[170:171], v[14:15]
	v_fma_f64 v[6:7], v[168:169], v[12:13], -v[6:7]
	v_add_f64 v[4:5], v[4:5], v[6:7]
	v_mul_f64 v[6:7], v[166:167], v[18:19]
	;; [unrolled: 3-line block ×26, first 2 shown]
	v_fma_f64 v[6:7], v[128:129], v[132:133], -v[6:7]
	v_add_f64 v[4:5], v[4:5], v[6:7]
	s_waitcnt vmcnt(0)
	v_add_f64 v[4:5], v[240:241], -v[4:5]
	v_add_f64 v[6:7], v[242:243], -v[228:229]
	scratch_store_dwordx4 off, v[4:7], off offset:368
	s_and_saveexec_b64 s[0:1], vcc
	s_cbranch_execz .LBB55_307
; %bb.306:
	scratch_load_dwordx4 v[6:9], off, s56
	v_mov_b32_e32 v3, v2
	v_mov_b32_e32 v4, v2
	v_mov_b32_e32 v5, v2
	v_accvgpr_read_b32 v0, a113
	scratch_store_dwordx4 off, v[2:5], off offset:352
	s_waitcnt vmcnt(1)
	ds_write_b128 v0, v[6:9]
.LBB55_307:
	s_or_b64 exec, exec, s[0:1]
	s_waitcnt lgkmcnt(0)
	; wave barrier
	scratch_load_dwordx4 v[144:147], off, off offset:368
	scratch_load_dwordx4 v[152:155], off, off offset:384
	;; [unrolled: 1-line block ×16, first 2 shown]
	ds_read_b128 v[196:199], v2 offset:1248
	ds_read_b128 v[188:191], v2 offset:1264
	ds_read_b128 v[180:183], v2 offset:1280
	scratch_load_dwordx4 v[48:51], off, off offset:624
	ds_read_b128 v[192:195], v2 offset:1296
	ds_read_b128 v[184:187], v2 offset:1312
	ds_read_b128 v[64:67], v2 offset:1328
	scratch_load_dwordx4 v[52:55], off, off offset:640
	;; [unrolled: 4-line block ×5, first 2 shown]
	ds_read_b128 v[116:119], v2 offset:1488
	ds_read_b128 v[112:115], v2 offset:1504
	scratch_load_dwordx4 v[108:111], off, off offset:704
	scratch_load_dwordx4 v[120:123], off, off offset:720
	;; [unrolled: 1-line block ×12, first 2 shown]
	v_cmp_lt_u32_e32 vcc, 20, v252
	s_waitcnt vmcnt(32) lgkmcnt(14)
	v_mul_f64 v[204:205], v[196:197], v[146:147]
	s_waitcnt vmcnt(31)
	v_mul_f64 v[206:207], v[188:189], v[154:155]
	v_fmac_f64_e32 v[204:205], v[198:199], v[144:145]
	s_waitcnt vmcnt(30)
	v_mul_f64 v[208:209], v[180:181], v[158:159]
	v_fmac_f64_e32 v[206:207], v[190:191], v[152:153]
	v_add_f64 v[204:205], v[204:205], 0
	s_waitcnt vmcnt(29) lgkmcnt(13)
	v_mul_f64 v[210:211], v[192:193], v[162:163]
	v_fmac_f64_e32 v[208:209], v[182:183], v[156:157]
	v_add_f64 v[204:205], v[204:205], v[206:207]
	s_waitcnt vmcnt(28) lgkmcnt(12)
	;; [unrolled: 4-line block ×12, first 2 shown]
	v_mul_f64 v[232:233], v[96:97], v[42:43]
	v_fmac_f64_e32 v[230:231], v[102:103], v[36:37]
	v_add_f64 v[204:205], v[204:205], v[228:229]
	v_fmac_f64_e32 v[232:233], v[98:99], v[40:41]
	v_add_f64 v[204:205], v[204:205], v[230:231]
	s_waitcnt vmcnt(17) lgkmcnt(1)
	v_mul_f64 v[206:207], v[116:117], v[46:47]
	v_add_f64 v[204:205], v[204:205], v[232:233]
	v_fmac_f64_e32 v[206:207], v[118:119], v[44:45]
	s_waitcnt vmcnt(16) lgkmcnt(0)
	v_mul_f64 v[210:211], v[112:113], v[50:51]
	v_add_f64 v[208:209], v[204:205], v[206:207]
	ds_read_b128 v[204:207], v2 offset:1520
	v_fmac_f64_e32 v[210:211], v[114:115], v[48:49]
	v_add_f64 v[212:213], v[208:209], v[210:211]
	ds_read_b128 v[208:211], v2 offset:1536
	v_mul_f64 v[146:147], v[198:199], v[146:147]
	s_waitcnt vmcnt(15) lgkmcnt(1)
	v_mul_f64 v[214:215], v[204:205], v[54:55]
	v_fmac_f64_e32 v[214:215], v[206:207], v[52:53]
	v_add_f64 v[216:217], v[212:213], v[214:215]
	s_waitcnt vmcnt(14) lgkmcnt(0)
	v_mul_f64 v[218:219], v[208:209], v[58:59]
	ds_read_b128 v[212:215], v2 offset:1552
	v_fmac_f64_e32 v[218:219], v[210:211], v[56:57]
	v_add_f64 v[220:221], v[216:217], v[218:219]
	ds_read_b128 v[216:219], v2 offset:1568
	v_mul_f64 v[154:155], v[190:191], v[154:155]
	s_waitcnt vmcnt(13) lgkmcnt(1)
	v_mul_f64 v[222:223], v[212:213], v[62:63]
	v_fmac_f64_e32 v[222:223], v[214:215], v[60:61]
	v_add_f64 v[224:225], v[220:221], v[222:223]
	s_waitcnt vmcnt(12) lgkmcnt(0)
	v_mul_f64 v[226:227], v[216:217], v[94:95]
	ds_read_b128 v[220:223], v2 offset:1584
	v_fmac_f64_e32 v[226:227], v[218:219], v[92:93]
	v_add_f64 v[228:229], v[224:225], v[226:227]
	ds_read_b128 v[224:227], v2 offset:1600
	v_fma_f64 v[244:245], v[188:189], v[152:153], -v[154:155]
	s_waitcnt vmcnt(11) lgkmcnt(1)
	v_mul_f64 v[230:231], v[220:221], v[110:111]
	v_fmac_f64_e32 v[230:231], v[222:223], v[108:109]
	v_add_f64 v[232:233], v[228:229], v[230:231]
	s_waitcnt vmcnt(10) lgkmcnt(0)
	v_mul_f64 v[234:235], v[224:225], v[122:123]
	ds_read_b128 v[228:231], v2 offset:1616
	v_fmac_f64_e32 v[234:235], v[226:227], v[120:121]
	v_add_f64 v[236:237], v[232:233], v[234:235]
	ds_read_b128 v[232:235], v2 offset:1632
	ds_read_b128 v[152:155], v2 offset:1680
	s_waitcnt vmcnt(9) lgkmcnt(2)
	v_mul_f64 v[238:239], v[228:229], v[126:127]
	v_fmac_f64_e32 v[238:239], v[230:231], v[124:125]
	v_add_f64 v[240:241], v[236:237], v[238:239]
	s_waitcnt vmcnt(8) lgkmcnt(1)
	v_mul_f64 v[242:243], v[232:233], v[130:131]
	ds_read_b128 v[236:239], v2 offset:1648
	v_fmac_f64_e32 v[242:243], v[234:235], v[128:129]
	v_add_f64 v[240:241], v[240:241], v[242:243]
	v_fma_f64 v[242:243], v[196:197], v[144:145], -v[146:147]
	ds_read_b128 v[144:147], v2 offset:1664
	s_waitcnt vmcnt(7) lgkmcnt(1)
	v_mul_f64 v[196:197], v[236:237], v[134:135]
	v_fmac_f64_e32 v[196:197], v[238:239], v[132:133]
	v_add_f64 v[188:189], v[240:241], v[196:197]
	v_mul_f64 v[158:159], v[182:183], v[158:159]
	s_waitcnt vmcnt(6) lgkmcnt(0)
	v_mul_f64 v[190:191], v[144:145], v[138:139]
	v_fmac_f64_e32 v[190:191], v[146:147], v[136:137]
	v_add_f64 v[196:197], v[188:189], v[190:191]
	ds_read_b128 v[188:191], v2 offset:1696
	v_fma_f64 v[240:241], v[180:181], v[156:157], -v[158:159]
	ds_read_b128 v[156:159], v2 offset:1712
	s_waitcnt vmcnt(5)
	v_mul_f64 v[198:199], v[152:153], v[142:143]
	v_fmac_f64_e32 v[198:199], v[154:155], v[140:141]
	s_waitcnt vmcnt(4) lgkmcnt(1)
	v_mul_f64 v[180:181], v[188:189], v[150:151]
	v_add_f64 v[196:197], v[196:197], v[198:199]
	v_fmac_f64_e32 v[180:181], v[190:191], v[148:149]
	v_mul_f64 v[162:163], v[194:195], v[162:163]
	v_add_f64 v[198:199], v[196:197], v[180:181]
	v_fma_f64 v[196:197], v[192:193], v[160:161], -v[162:163]
	ds_read_b128 v[160:163], v2 offset:1728
	s_waitcnt vmcnt(3) lgkmcnt(1)
	v_mul_f64 v[192:193], v[156:157], v[166:167]
	ds_read_b128 v[180:183], v2 offset:1744
	v_fmac_f64_e32 v[192:193], v[158:159], v[164:165]
	v_mul_f64 v[170:171], v[186:187], v[170:171]
	v_add_f64 v[192:193], v[198:199], v[192:193]
	v_fma_f64 v[198:199], v[184:185], v[168:169], -v[170:171]
	ds_read_b128 v[168:171], v2 offset:1760
	s_waitcnt vmcnt(2) lgkmcnt(2)
	v_mul_f64 v[184:185], v[160:161], v[174:175]
	v_fmac_f64_e32 v[184:185], v[162:163], v[172:173]
	s_waitcnt vmcnt(1) lgkmcnt(1)
	v_mul_f64 v[186:187], v[180:181], v[178:179]
	v_add_f64 v[184:185], v[192:193], v[184:185]
	v_fmac_f64_e32 v[186:187], v[182:183], v[176:177]
	v_add_f64 v[184:185], v[184:185], v[186:187]
	s_waitcnt vmcnt(0) lgkmcnt(0)
	v_mul_f64 v[186:187], v[168:169], v[202:203]
	v_fmac_f64_e32 v[186:187], v[170:171], v[200:201]
	v_add_f64 v[246:247], v[184:185], v[186:187]
	scratch_load_dwordx4 v[184:187], off, off offset:896
	v_add_f64 v[242:243], v[242:243], 0
	v_add_f64 v[242:243], v[242:243], v[244:245]
	;; [unrolled: 1-line block ×3, first 2 shown]
	scratch_load_dwordx4 v[242:245], off, off offset:352
	v_add_f64 v[196:197], v[240:241], v[196:197]
	v_mul_f64 v[6:7], v[66:67], v[6:7]
	v_add_f64 v[196:197], v[196:197], v[198:199]
	v_fma_f64 v[4:5], v[64:65], v[4:5], -v[6:7]
	v_mul_f64 v[6:7], v[78:79], v[10:11]
	v_add_f64 v[4:5], v[196:197], v[4:5]
	v_fma_f64 v[6:7], v[76:77], v[8:9], -v[6:7]
	v_add_f64 v[4:5], v[4:5], v[6:7]
	v_mul_f64 v[6:7], v[74:75], v[14:15]
	v_fma_f64 v[6:7], v[72:73], v[12:13], -v[6:7]
	v_add_f64 v[4:5], v[4:5], v[6:7]
	v_mul_f64 v[6:7], v[70:71], v[18:19]
	;; [unrolled: 3-line block ×24, first 2 shown]
	ds_read_b128 v[192:195], v2 offset:1776
	v_fma_f64 v[6:7], v[160:161], v[172:173], -v[6:7]
	v_add_f64 v[4:5], v[4:5], v[6:7]
	v_mul_f64 v[6:7], v[182:183], v[178:179]
	v_fma_f64 v[6:7], v[180:181], v[176:177], -v[6:7]
	v_add_f64 v[4:5], v[4:5], v[6:7]
	v_mul_f64 v[6:7], v[170:171], v[202:203]
	v_fma_f64 v[6:7], v[168:169], v[200:201], -v[6:7]
	s_waitcnt vmcnt(1) lgkmcnt(0)
	v_mul_f64 v[2:3], v[192:193], v[186:187]
	v_add_f64 v[4:5], v[4:5], v[6:7]
	v_mul_f64 v[6:7], v[194:195], v[186:187]
	v_fmac_f64_e32 v[2:3], v[194:195], v[184:185]
	v_fma_f64 v[6:7], v[192:193], v[184:185], -v[6:7]
	v_add_f64 v[2:3], v[246:247], v[2:3]
	v_add_f64 v[4:5], v[4:5], v[6:7]
	s_waitcnt vmcnt(0)
	v_add_f64 v[4:5], v[242:243], -v[4:5]
	v_add_f64 v[6:7], v[244:245], -v[2:3]
	scratch_store_dwordx4 off, v[4:7], off offset:352
	s_and_saveexec_b64 s[0:1], vcc
	s_cbranch_execz .LBB55_309
; %bb.308:
	scratch_load_dwordx4 v[2:5], off, s55
	v_mov_b32_e32 v6, 0
	v_mov_b32_e32 v7, v6
	;; [unrolled: 1-line block ×4, first 2 shown]
	v_accvgpr_read_b32 v0, a113
	scratch_store_dwordx4 off, v[6:9], off offset:336
	s_waitcnt vmcnt(1)
	ds_write_b128 v0, v[2:5]
.LBB55_309:
	s_or_b64 exec, exec, s[0:1]
	s_waitcnt lgkmcnt(0)
	; wave barrier
	scratch_load_dwordx4 v[184:187], off, off offset:352
	scratch_load_dwordx4 v[188:191], off, off offset:368
	;; [unrolled: 1-line block ×32, first 2 shown]
	v_mov_b32_e32 v2, 0
	ds_read_b128 v[192:195], v2 offset:1232
	ds_read_b128 v[204:207], v2 offset:1248
	;; [unrolled: 1-line block ×16, first 2 shown]
	v_cmp_lt_u32_e32 vcc, 19, v252
	s_waitcnt vmcnt(31) lgkmcnt(14)
	v_mul_f64 v[104:105], v[192:193], v[186:187]
	s_waitcnt vmcnt(30)
	v_mul_f64 v[106:107], v[204:205], v[190:191]
	v_fmac_f64_e32 v[104:105], v[194:195], v[184:185]
	s_waitcnt vmcnt(29) lgkmcnt(13)
	v_mul_f64 v[112:113], v[216:217], v[198:199]
	v_fmac_f64_e32 v[106:107], v[206:207], v[188:189]
	v_add_f64 v[104:105], v[104:105], 0
	s_waitcnt vmcnt(28) lgkmcnt(12)
	v_mul_f64 v[114:115], v[224:225], v[202:203]
	v_fmac_f64_e32 v[112:113], v[218:219], v[196:197]
	v_add_f64 v[104:105], v[104:105], v[106:107]
	;; [unrolled: 4-line block ×10, first 2 shown]
	ds_read_b128 v[152:155], v2 offset:1488
	ds_read_b128 v[156:159], v2 offset:1504
	s_waitcnt vmcnt(19) lgkmcnt(5)
	v_mul_f64 v[164:165], v[124:125], v[26:27]
	v_fmac_f64_e32 v[162:163], v[134:135], v[20:21]
	v_add_f64 v[104:105], v[104:105], v[160:161]
	s_waitcnt vmcnt(18) lgkmcnt(4)
	v_mul_f64 v[166:167], v[120:121], v[30:31]
	v_fmac_f64_e32 v[164:165], v[126:127], v[24:25]
	v_add_f64 v[104:105], v[104:105], v[162:163]
	;; [unrolled: 4-line block ×4, first 2 shown]
	v_add_f64 v[112:113], v[104:105], v[168:169]
	v_fmac_f64_e32 v[170:171], v[110:111], v[36:37]
	scratch_load_dwordx4 v[104:107], off, off offset:864
	s_waitcnt vmcnt(16) lgkmcnt(1)
	v_mul_f64 v[114:115], v[152:153], v[42:43]
	v_add_f64 v[112:113], v[112:113], v[170:171]
	v_fmac_f64_e32 v[114:115], v[154:155], v[40:41]
	v_add_f64 v[128:129], v[112:113], v[114:115]
	scratch_load_dwordx4 v[112:115], off, off offset:880
	s_waitcnt vmcnt(16) lgkmcnt(0)
	v_mul_f64 v[130:131], v[156:157], v[46:47]
	v_fmac_f64_e32 v[130:131], v[158:159], v[44:45]
	v_add_f64 v[168:169], v[128:129], v[130:131]
	scratch_load_dwordx4 v[128:131], off, off offset:896
	ds_read_b128 v[160:163], v2 offset:1520
	ds_read_b128 v[164:167], v2 offset:1536
	v_mul_f64 v[186:187], v[194:195], v[186:187]
	v_fma_f64 v[246:247], v[192:193], v[184:185], -v[186:187]
	ds_read_b128 v[184:187], v2 offset:1616
	s_waitcnt vmcnt(16) lgkmcnt(2)
	v_mul_f64 v[170:171], v[160:161], v[50:51]
	v_fmac_f64_e32 v[170:171], v[162:163], v[48:49]
	s_waitcnt vmcnt(15) lgkmcnt(1)
	v_mul_f64 v[174:175], v[164:165], v[54:55]
	v_add_f64 v[172:173], v[168:169], v[170:171]
	ds_read_b128 v[168:171], v2 offset:1552
	v_fmac_f64_e32 v[174:175], v[166:167], v[52:53]
	v_add_f64 v[176:177], v[172:173], v[174:175]
	ds_read_b128 v[172:175], v2 offset:1568
	v_mul_f64 v[190:191], v[206:207], v[190:191]
	s_waitcnt vmcnt(14) lgkmcnt(1)
	v_mul_f64 v[178:179], v[168:169], v[58:59]
	v_fmac_f64_e32 v[178:179], v[170:171], v[56:57]
	v_add_f64 v[180:181], v[176:177], v[178:179]
	s_waitcnt vmcnt(13) lgkmcnt(0)
	v_mul_f64 v[182:183], v[172:173], v[62:63]
	ds_read_b128 v[176:179], v2 offset:1584
	v_fmac_f64_e32 v[182:183], v[174:175], v[60:61]
	v_add_f64 v[232:233], v[180:181], v[182:183]
	ds_read_b128 v[180:183], v2 offset:1600
	v_fma_f64 v[248:249], v[204:205], v[188:189], -v[190:191]
	s_waitcnt vmcnt(12) lgkmcnt(1)
	v_mul_f64 v[234:235], v[176:177], v[66:67]
	v_fmac_f64_e32 v[234:235], v[178:179], v[64:65]
	v_add_f64 v[232:233], v[232:233], v[234:235]
	s_waitcnt vmcnt(11) lgkmcnt(0)
	v_mul_f64 v[192:193], v[180:181], v[70:71]
	v_fmac_f64_e32 v[192:193], v[182:183], v[68:69]
	ds_read_b128 v[188:191], v2 offset:1632
	s_waitcnt vmcnt(10)
	v_mul_f64 v[194:195], v[184:185], v[74:75]
	v_add_f64 v[192:193], v[232:233], v[192:193]
	v_fmac_f64_e32 v[194:195], v[186:187], v[72:73]
	v_add_f64 v[204:205], v[192:193], v[194:195]
	ds_read_b128 v[192:195], v2 offset:1648
	v_mul_f64 v[198:199], v[218:219], v[198:199]
	v_fma_f64 v[250:251], v[216:217], v[196:197], -v[198:199]
	ds_read_b128 v[196:199], v2 offset:1664
	s_waitcnt vmcnt(9) lgkmcnt(2)
	v_mul_f64 v[206:207], v[188:189], v[78:79]
	v_fmac_f64_e32 v[206:207], v[190:191], v[76:77]
	v_add_f64 v[204:205], v[204:205], v[206:207]
	s_waitcnt vmcnt(8) lgkmcnt(1)
	v_mul_f64 v[206:207], v[192:193], v[82:83]
	v_fmac_f64_e32 v[206:207], v[194:195], v[80:81]
	v_mul_f64 v[202:203], v[226:227], v[202:203]
	v_add_f64 v[204:205], v[204:205], v[206:207]
	v_fma_f64 v[234:235], v[224:225], v[200:201], -v[202:203]
	ds_read_b128 v[200:203], v2 offset:1680
	s_waitcnt vmcnt(7) lgkmcnt(1)
	v_mul_f64 v[206:207], v[196:197], v[86:87]
	v_fmac_f64_e32 v[206:207], v[198:199], v[84:85]
	v_add_f64 v[216:217], v[204:205], v[206:207]
	ds_read_b128 v[204:207], v2 offset:1696
	v_mul_f64 v[210:211], v[230:231], v[210:211]
	v_fma_f64 v[236:237], v[228:229], v[208:209], -v[210:211]
	ds_read_b128 v[208:211], v2 offset:1712
	s_waitcnt vmcnt(6) lgkmcnt(2)
	v_mul_f64 v[218:219], v[200:201], v[90:91]
	v_fmac_f64_e32 v[218:219], v[202:203], v[88:89]
	v_add_f64 v[216:217], v[216:217], v[218:219]
	s_waitcnt vmcnt(5) lgkmcnt(1)
	v_mul_f64 v[218:219], v[204:205], v[94:95]
	v_fmac_f64_e32 v[218:219], v[206:207], v[92:93]
	v_mul_f64 v[214:215], v[240:241], v[214:215]
	v_fma_f64 v[238:239], v[238:239], v[212:213], -v[214:215]
	ds_read_b128 v[212:215], v2 offset:1728
	v_add_f64 v[216:217], v[216:217], v[218:219]
	s_waitcnt vmcnt(4) lgkmcnt(1)
	v_mul_f64 v[218:219], v[208:209], v[102:103]
	v_fmac_f64_e32 v[218:219], v[210:211], v[100:101]
	v_add_f64 v[224:225], v[216:217], v[218:219]
	ds_read_b128 v[216:219], v2 offset:1744
	v_mul_f64 v[222:223], v[244:245], v[222:223]
	v_fma_f64 v[240:241], v[242:243], v[220:221], -v[222:223]
	ds_read_b128 v[220:223], v2 offset:1760
	s_waitcnt vmcnt(3) lgkmcnt(2)
	v_mul_f64 v[226:227], v[212:213], v[98:99]
	v_fmac_f64_e32 v[226:227], v[214:215], v[96:97]
	v_add_f64 v[224:225], v[224:225], v[226:227]
	s_waitcnt vmcnt(2) lgkmcnt(1)
	v_mul_f64 v[226:227], v[216:217], v[106:107]
	v_fmac_f64_e32 v[226:227], v[218:219], v[104:105]
	v_add_f64 v[224:225], v[224:225], v[226:227]
	s_waitcnt vmcnt(1) lgkmcnt(0)
	v_mul_f64 v[226:227], v[220:221], v[114:115]
	v_fmac_f64_e32 v[226:227], v[222:223], v[112:113]
	v_add_f64 v[228:229], v[224:225], v[226:227]
	ds_read_b128 v[224:227], v2 offset:1776
	v_mul_f64 v[6:7], v[150:151], v[6:7]
	v_fma_f64 v[4:5], v[148:149], v[4:5], -v[6:7]
	v_mul_f64 v[6:7], v[146:147], v[10:11]
	v_fma_f64 v[6:7], v[144:145], v[8:9], -v[6:7]
	s_waitcnt vmcnt(0) lgkmcnt(0)
	v_mul_f64 v[230:231], v[224:225], v[130:131]
	v_fmac_f64_e32 v[230:231], v[226:227], v[128:129]
	v_add_f64 v[232:233], v[228:229], v[230:231]
	v_add_f64 v[228:229], v[246:247], 0
	;; [unrolled: 1-line block ×4, first 2 shown]
	scratch_load_dwordx4 v[228:231], off, off offset:336
	v_add_f64 v[234:235], v[242:243], v[234:235]
	v_add_f64 v[234:235], v[234:235], v[236:237]
	;; [unrolled: 1-line block ×6, first 2 shown]
	v_mul_f64 v[6:7], v[142:143], v[14:15]
	v_fma_f64 v[6:7], v[140:141], v[12:13], -v[6:7]
	v_add_f64 v[4:5], v[4:5], v[6:7]
	v_mul_f64 v[6:7], v[138:139], v[18:19]
	v_fma_f64 v[6:7], v[136:137], v[16:17], -v[6:7]
	v_add_f64 v[4:5], v[4:5], v[6:7]
	;; [unrolled: 3-line block ×26, first 2 shown]
	s_waitcnt vmcnt(0)
	v_add_f64 v[4:5], v[228:229], -v[4:5]
	v_add_f64 v[6:7], v[230:231], -v[232:233]
	scratch_store_dwordx4 off, v[4:7], off offset:336
	s_and_saveexec_b64 s[0:1], vcc
	s_cbranch_execz .LBB55_311
; %bb.310:
	scratch_load_dwordx4 v[6:9], off, s54
	v_mov_b32_e32 v3, v2
	v_mov_b32_e32 v4, v2
	v_mov_b32_e32 v5, v2
	v_accvgpr_read_b32 v0, a113
	scratch_store_dwordx4 off, v[2:5], off offset:320
	s_waitcnt vmcnt(1)
	ds_write_b128 v0, v[6:9]
.LBB55_311:
	s_or_b64 exec, exec, s[0:1]
	s_waitcnt lgkmcnt(0)
	; wave barrier
	scratch_load_dwordx4 v[140:143], off, off offset:336
	scratch_load_dwordx4 v[144:147], off, off offset:352
	;; [unrolled: 1-line block ×16, first 2 shown]
	ds_read_b128 v[208:211], v2 offset:1216
	ds_read_b128 v[200:203], v2 offset:1232
	;; [unrolled: 1-line block ×3, first 2 shown]
	scratch_load_dwordx4 v[40:43], off, off offset:592
	ds_read_b128 v[204:207], v2 offset:1264
	ds_read_b128 v[192:195], v2 offset:1280
	ds_read_b128 v[184:187], v2 offset:1296
	scratch_load_dwordx4 v[44:47], off, off offset:608
	ds_read_b128 v[196:199], v2 offset:1312
	ds_read_b128 v[64:67], v2 offset:1328
	ds_read_b128 v[60:63], v2 offset:1344
	ds_read_b128 v[52:55], v2 offset:1360
	scratch_load_dwordx4 v[48:51], off, off offset:624
	ds_read_b128 v[72:75], v2 offset:1376
	ds_read_b128 v[68:71], v2 offset:1392
	scratch_load_dwordx4 v[56:59], off, off offset:640
	ds_read_b128 v[92:95], v2 offset:1408
	ds_read_b128 v[88:91], v2 offset:1424
	;; [unrolled: 1-line block ×4, first 2 shown]
	scratch_load_dwordx4 v[76:79], off, off offset:656
	scratch_load_dwordx4 v[96:99], off, off offset:672
	;; [unrolled: 1-line block ×12, first 2 shown]
	ds_read_b128 v[168:171], v2 offset:1472
	v_accvgpr_write_b32 a112, v252
	v_cmp_lt_u32_e32 vcc, 18, v252
	s_waitcnt vmcnt(31) lgkmcnt(14)
	v_mul_f64 v[172:173], v[208:209], v[142:143]
	s_waitcnt vmcnt(30)
	v_mul_f64 v[174:175], v[200:201], v[146:147]
	v_fmac_f64_e32 v[172:173], v[210:211], v[140:141]
	s_waitcnt vmcnt(29)
	v_mul_f64 v[176:177], v[188:189], v[150:151]
	v_fmac_f64_e32 v[174:175], v[202:203], v[144:145]
	v_add_f64 v[172:173], v[172:173], 0
	s_waitcnt vmcnt(28) lgkmcnt(13)
	v_mul_f64 v[178:179], v[204:205], v[154:155]
	v_fmac_f64_e32 v[176:177], v[190:191], v[148:149]
	v_add_f64 v[172:173], v[172:173], v[174:175]
	s_waitcnt vmcnt(27) lgkmcnt(12)
	;; [unrolled: 4-line block ×10, first 2 shown]
	v_mul_f64 v[224:225], v[92:93], v[26:27]
	v_fmac_f64_e32 v[222:223], v[70:71], v[20:21]
	v_add_f64 v[172:173], v[172:173], v[220:221]
	ds_read_b128 v[212:215], v2 offset:1488
	s_waitcnt vmcnt(18) lgkmcnt(4)
	v_mul_f64 v[226:227], v[88:89], v[30:31]
	v_fmac_f64_e32 v[224:225], v[94:95], v[24:25]
	v_add_f64 v[172:173], v[172:173], v[222:223]
	ds_read_b128 v[216:219], v2 offset:1504
	ds_read_b128 v[220:223], v2 offset:1520
	s_waitcnt vmcnt(17) lgkmcnt(5)
	v_mul_f64 v[228:229], v[84:85], v[34:35]
	v_fmac_f64_e32 v[226:227], v[90:91], v[28:29]
	v_add_f64 v[172:173], v[172:173], v[224:225]
	s_waitcnt vmcnt(16) lgkmcnt(4)
	v_mul_f64 v[230:231], v[80:81], v[38:39]
	v_fmac_f64_e32 v[228:229], v[86:87], v[32:33]
	v_add_f64 v[172:173], v[172:173], v[226:227]
	v_add_f64 v[176:177], v[172:173], v[228:229]
	v_fmac_f64_e32 v[230:231], v[82:83], v[36:37]
	s_waitcnt vmcnt(15) lgkmcnt(3)
	v_mul_f64 v[178:179], v[168:169], v[42:43]
	v_add_f64 v[176:177], v[176:177], v[230:231]
	v_fmac_f64_e32 v[178:179], v[170:171], v[40:41]
	s_waitcnt vmcnt(14) lgkmcnt(2)
	v_mul_f64 v[182:183], v[212:213], v[46:47]
	;; [unrolled: 4-line block ×3, first 2 shown]
	v_add_f64 v[224:225], v[180:181], v[182:183]
	v_fmac_f64_e32 v[226:227], v[218:219], v[48:49]
	v_add_f64 v[228:229], v[224:225], v[226:227]
	ds_read_b128 v[224:227], v2 offset:1536
	s_waitcnt vmcnt(12) lgkmcnt(1)
	v_mul_f64 v[230:231], v[220:221], v[58:59]
	v_fmac_f64_e32 v[230:231], v[222:223], v[56:57]
	v_add_f64 v[232:233], v[228:229], v[230:231]
	ds_read_b128 v[228:231], v2 offset:1552
	s_waitcnt vmcnt(11) lgkmcnt(1)
	v_mul_f64 v[234:235], v[224:225], v[78:79]
	;; [unrolled: 5-line block ×4, first 2 shown]
	v_fmac_f64_e32 v[242:243], v[234:235], v[100:101]
	v_mul_f64 v[142:143], v[210:211], v[142:143]
	v_add_f64 v[240:241], v[240:241], v[242:243]
	v_fma_f64 v[242:243], v[208:209], v[140:141], -v[142:143]
	ds_read_b128 v[140:143], v2 offset:1600
	s_waitcnt vmcnt(8) lgkmcnt(1)
	v_mul_f64 v[208:209], v[236:237], v[106:107]
	v_fmac_f64_e32 v[208:209], v[238:239], v[104:105]
	v_mul_f64 v[146:147], v[202:203], v[146:147]
	v_add_f64 v[208:209], v[240:241], v[208:209]
	v_fma_f64 v[240:241], v[200:201], v[144:145], -v[146:147]
	ds_read_b128 v[144:147], v2 offset:1616
	s_waitcnt vmcnt(7) lgkmcnt(1)
	v_mul_f64 v[200:201], v[140:141], v[110:111]
	scratch_load_dwordx4 v[172:175], off, off offset:848
	v_fmac_f64_e32 v[200:201], v[142:143], v[108:109]
	v_add_f64 v[208:209], v[208:209], v[200:201]
	ds_read_b128 v[200:203], v2 offset:1632
	v_mul_f64 v[150:151], v[190:191], v[150:151]
	scratch_load_dwordx4 v[176:179], off, off offset:864
	scratch_load_dwordx4 v[180:183], off, off offset:880
	v_fma_f64 v[244:245], v[188:189], v[148:149], -v[150:151]
	ds_read_b128 v[148:151], v2 offset:1648
	s_waitcnt vmcnt(9) lgkmcnt(2)
	v_mul_f64 v[210:211], v[144:145], v[114:115]
	v_fmac_f64_e32 v[210:211], v[146:147], v[112:113]
	s_waitcnt vmcnt(8) lgkmcnt(1)
	v_mul_f64 v[188:189], v[200:201], v[118:119]
	v_add_f64 v[208:209], v[208:209], v[210:211]
	v_fmac_f64_e32 v[188:189], v[202:203], v[116:117]
	v_mul_f64 v[154:155], v[206:207], v[154:155]
	s_waitcnt vmcnt(7) lgkmcnt(0)
	v_mul_f64 v[190:191], v[148:149], v[122:123]
	v_add_f64 v[188:189], v[208:209], v[188:189]
	v_fma_f64 v[246:247], v[204:205], v[152:153], -v[154:155]
	ds_read_b128 v[152:155], v2 offset:1664
	v_fmac_f64_e32 v[190:191], v[150:151], v[120:121]
	v_add_f64 v[204:205], v[188:189], v[190:191]
	ds_read_b128 v[188:191], v2 offset:1680
	v_mul_f64 v[158:159], v[194:195], v[158:159]
	s_waitcnt vmcnt(6) lgkmcnt(1)
	v_mul_f64 v[206:207], v[152:153], v[126:127]
	v_fmac_f64_e32 v[206:207], v[154:155], v[124:125]
	v_fma_f64 v[248:249], v[192:193], v[156:157], -v[158:159]
	s_waitcnt vmcnt(5) lgkmcnt(0)
	v_mul_f64 v[192:193], v[188:189], v[130:131]
	v_add_f64 v[204:205], v[204:205], v[206:207]
	v_fmac_f64_e32 v[192:193], v[190:191], v[128:129]
	v_mul_f64 v[162:163], v[186:187], v[162:163]
	v_fma_f64 v[208:209], v[184:185], v[160:161], -v[162:163]
	v_add_f64 v[184:185], v[204:205], v[192:193]
	scratch_load_dwordx4 v[204:207], off, off offset:896
	v_add_f64 v[242:243], v[242:243], 0
	v_add_f64 v[240:241], v[242:243], v[240:241]
	;; [unrolled: 1-line block ×3, first 2 shown]
	scratch_load_dwordx4 v[242:245], off, off offset:320
	v_add_f64 v[240:241], v[240:241], v[246:247]
	v_mul_f64 v[166:167], v[198:199], v[166:167]
	v_add_f64 v[240:241], v[240:241], v[248:249]
	v_fma_f64 v[210:211], v[196:197], v[164:165], -v[166:167]
	v_add_f64 v[208:209], v[240:241], v[208:209]
	v_mul_f64 v[6:7], v[66:67], v[6:7]
	v_add_f64 v[208:209], v[208:209], v[210:211]
	v_fma_f64 v[4:5], v[64:65], v[4:5], -v[6:7]
	v_mul_f64 v[6:7], v[62:63], v[10:11]
	v_add_f64 v[4:5], v[208:209], v[4:5]
	v_fma_f64 v[6:7], v[60:61], v[8:9], -v[6:7]
	v_add_f64 v[4:5], v[4:5], v[6:7]
	v_mul_f64 v[6:7], v[54:55], v[14:15]
	v_fma_f64 v[6:7], v[52:53], v[12:13], -v[6:7]
	v_add_f64 v[4:5], v[4:5], v[6:7]
	v_mul_f64 v[6:7], v[74:75], v[18:19]
	;; [unrolled: 3-line block ×12, first 2 shown]
	v_fma_f64 v[6:7], v[224:225], v[76:77], -v[6:7]
	ds_read_b128 v[156:159], v2 offset:1696
	ds_read_b128 v[160:163], v2 offset:1712
	v_add_f64 v[4:5], v[4:5], v[6:7]
	v_mul_f64 v[6:7], v[230:231], v[98:99]
	v_fma_f64 v[6:7], v[228:229], v[96:97], -v[6:7]
	v_add_f64 v[4:5], v[4:5], v[6:7]
	v_mul_f64 v[6:7], v[234:235], v[102:103]
	v_fma_f64 v[6:7], v[232:233], v[100:101], -v[6:7]
	v_add_f64 v[4:5], v[4:5], v[6:7]
	v_mul_f64 v[6:7], v[238:239], v[106:107]
	s_waitcnt vmcnt(6) lgkmcnt(1)
	v_mul_f64 v[186:187], v[156:157], v[138:139]
	v_fma_f64 v[6:7], v[236:237], v[104:105], -v[6:7]
	v_fmac_f64_e32 v[186:187], v[158:159], v[136:137]
	v_add_f64 v[4:5], v[4:5], v[6:7]
	v_mul_f64 v[6:7], v[142:143], v[110:111]
	v_add_f64 v[192:193], v[184:185], v[186:187]
	ds_read_b128 v[184:187], v2 offset:1728
	ds_read_b128 v[164:167], v2 offset:1744
	v_fma_f64 v[6:7], v[140:141], v[108:109], -v[6:7]
	v_add_f64 v[4:5], v[4:5], v[6:7]
	v_mul_f64 v[6:7], v[146:147], v[114:115]
	v_fma_f64 v[6:7], v[144:145], v[112:113], -v[6:7]
	s_waitcnt vmcnt(5) lgkmcnt(2)
	v_mul_f64 v[194:195], v[160:161], v[134:135]
	v_add_f64 v[4:5], v[4:5], v[6:7]
	v_mul_f64 v[6:7], v[202:203], v[118:119]
	v_fmac_f64_e32 v[194:195], v[162:163], v[132:133]
	v_fma_f64 v[6:7], v[200:201], v[116:117], -v[6:7]
	v_add_f64 v[192:193], v[192:193], v[194:195]
	s_waitcnt vmcnt(4) lgkmcnt(1)
	v_mul_f64 v[194:195], v[184:185], v[174:175]
	v_add_f64 v[4:5], v[4:5], v[6:7]
	v_mul_f64 v[6:7], v[150:151], v[122:123]
	v_fmac_f64_e32 v[194:195], v[186:187], v[172:173]
	v_fma_f64 v[6:7], v[148:149], v[120:121], -v[6:7]
	v_add_f64 v[192:193], v[192:193], v[194:195]
	;; [unrolled: 7-line block ×3, first 2 shown]
	ds_read_b128 v[192:195], v2 offset:1760
	v_add_f64 v[4:5], v[4:5], v[6:7]
	v_mul_f64 v[6:7], v[190:191], v[130:131]
	v_fma_f64 v[6:7], v[188:189], v[128:129], -v[6:7]
	v_add_f64 v[4:5], v[4:5], v[6:7]
	v_mul_f64 v[6:7], v[158:159], v[138:139]
	v_fma_f64 v[6:7], v[156:157], v[136:137], -v[6:7]
	v_add_f64 v[4:5], v[4:5], v[6:7]
	v_mul_f64 v[6:7], v[162:163], v[134:135]
	s_waitcnt vmcnt(2) lgkmcnt(0)
	v_mul_f64 v[198:199], v[192:193], v[182:183]
	v_fma_f64 v[6:7], v[160:161], v[132:133], -v[6:7]
	v_fmac_f64_e32 v[198:199], v[194:195], v[180:181]
	v_add_f64 v[4:5], v[4:5], v[6:7]
	v_mul_f64 v[6:7], v[186:187], v[174:175]
	v_add_f64 v[250:251], v[196:197], v[198:199]
	ds_read_b128 v[196:199], v2 offset:1776
	v_fma_f64 v[6:7], v[184:185], v[172:173], -v[6:7]
	v_add_f64 v[4:5], v[4:5], v[6:7]
	v_mul_f64 v[6:7], v[166:167], v[178:179]
	v_fma_f64 v[6:7], v[164:165], v[176:177], -v[6:7]
	v_add_f64 v[4:5], v[4:5], v[6:7]
	v_mul_f64 v[6:7], v[194:195], v[182:183]
	v_fma_f64 v[6:7], v[192:193], v[180:181], -v[6:7]
	s_waitcnt vmcnt(1) lgkmcnt(0)
	v_mul_f64 v[2:3], v[196:197], v[206:207]
	v_add_f64 v[4:5], v[4:5], v[6:7]
	v_mul_f64 v[6:7], v[198:199], v[206:207]
	v_fmac_f64_e32 v[2:3], v[198:199], v[204:205]
	v_fma_f64 v[6:7], v[196:197], v[204:205], -v[6:7]
	v_add_f64 v[2:3], v[250:251], v[2:3]
	v_add_f64 v[4:5], v[4:5], v[6:7]
	s_waitcnt vmcnt(0)
	v_add_f64 v[4:5], v[242:243], -v[4:5]
	v_add_f64 v[6:7], v[244:245], -v[2:3]
	scratch_store_dwordx4 off, v[4:7], off offset:320
	s_and_saveexec_b64 s[0:1], vcc
	s_cbranch_execz .LBB55_313
; %bb.312:
	scratch_load_dwordx4 v[2:5], off, s53
	v_mov_b32_e32 v6, 0
	v_mov_b32_e32 v7, v6
	;; [unrolled: 1-line block ×4, first 2 shown]
	v_accvgpr_read_b32 v0, a113
	scratch_store_dwordx4 off, v[6:9], off offset:304
	s_waitcnt vmcnt(1)
	ds_write_b128 v0, v[2:5]
.LBB55_313:
	s_or_b64 exec, exec, s[0:1]
	s_waitcnt lgkmcnt(0)
	; wave barrier
	scratch_load_dwordx4 v[168:171], off, off offset:320
	scratch_load_dwordx4 v[172:175], off, off offset:336
	scratch_load_dwordx4 v[180:183], off, off offset:352
	scratch_load_dwordx4 v[184:187], off, off offset:368
	scratch_load_dwordx4 v[192:195], off, off offset:384
	scratch_load_dwordx4 v[196:199], off, off offset:400
	scratch_load_dwordx4 v[204:207], off, off offset:416
	scratch_load_dwordx4 v[208:211], off, off offset:432
	scratch_load_dwordx4 v[216:219], off, off offset:448
	scratch_load_dwordx4 v[4:7], off, off offset:464
	scratch_load_dwordx4 v[8:11], off, off offset:480
	scratch_load_dwordx4 v[12:15], off, off offset:496
	scratch_load_dwordx4 v[16:19], off, off offset:512
	scratch_load_dwordx4 v[20:23], off, off offset:528
	scratch_load_dwordx4 v[24:27], off, off offset:544
	scratch_load_dwordx4 v[28:31], off, off offset:560
	scratch_load_dwordx4 v[32:35], off, off offset:576
	scratch_load_dwordx4 v[36:39], off, off offset:592
	scratch_load_dwordx4 v[40:43], off, off offset:608
	scratch_load_dwordx4 v[44:47], off, off offset:624
	scratch_load_dwordx4 v[48:51], off, off offset:640
	scratch_load_dwordx4 v[52:55], off, off offset:656
	scratch_load_dwordx4 v[56:59], off, off offset:672
	scratch_load_dwordx4 v[60:63], off, off offset:688
	scratch_load_dwordx4 v[64:67], off, off offset:704
	scratch_load_dwordx4 v[68:71], off, off offset:720
	scratch_load_dwordx4 v[72:75], off, off offset:736
	scratch_load_dwordx4 v[76:79], off, off offset:752
	scratch_load_dwordx4 v[80:83], off, off offset:768
	scratch_load_dwordx4 v[84:87], off, off offset:784
	scratch_load_dwordx4 v[92:95], off, off offset:800
	scratch_load_dwordx4 v[88:91], off, off offset:816
	v_mov_b32_e32 v2, 0
	ds_read_b128 v[176:179], v2 offset:1200
	ds_read_b128 v[188:191], v2 offset:1216
	;; [unrolled: 1-line block ×17, first 2 shown]
	v_accvgpr_read_b32 v0, a112
	v_cmp_lt_u32_e32 vcc, 17, v0
	s_waitcnt vmcnt(31) lgkmcnt(14)
	v_mul_f64 v[104:105], v[176:177], v[170:171]
	s_waitcnt vmcnt(30)
	v_mul_f64 v[106:107], v[188:189], v[174:175]
	v_fmac_f64_e32 v[104:105], v[178:179], v[168:169]
	s_waitcnt vmcnt(29)
	v_mul_f64 v[108:109], v[200:201], v[182:183]
	v_fmac_f64_e32 v[106:107], v[190:191], v[172:173]
	v_add_f64 v[104:105], v[104:105], 0
	s_waitcnt vmcnt(28) lgkmcnt(13)
	v_mul_f64 v[110:111], v[212:213], v[186:187]
	v_fmac_f64_e32 v[108:109], v[202:203], v[180:181]
	v_add_f64 v[104:105], v[104:105], v[106:107]
	s_waitcnt vmcnt(27) lgkmcnt(12)
	;; [unrolled: 4-line block ×12, first 2 shown]
	v_mul_f64 v[156:157], v[112:113], v[26:27]
	v_fmac_f64_e32 v[154:155], v[118:119], v[20:21]
	v_add_f64 v[104:105], v[104:105], v[152:153]
	v_fmac_f64_e32 v[156:157], v[114:115], v[24:25]
	v_add_f64 v[104:105], v[104:105], v[154:155]
	s_waitcnt vmcnt(16) lgkmcnt(1)
	v_mul_f64 v[106:107], v[100:101], v[30:31]
	v_add_f64 v[104:105], v[104:105], v[156:157]
	v_fmac_f64_e32 v[106:107], v[102:103], v[28:29]
	v_add_f64 v[108:109], v[104:105], v[106:107]
	ds_read_b128 v[144:147], v2 offset:1472
	ds_read_b128 v[148:151], v2 offset:1488
	scratch_load_dwordx4 v[104:107], off, off offset:832
	s_waitcnt vmcnt(16) lgkmcnt(2)
	v_mul_f64 v[110:111], v[96:97], v[34:35]
	v_fmac_f64_e32 v[110:111], v[98:99], v[32:33]
	v_add_f64 v[120:121], v[108:109], v[110:111]
	scratch_load_dwordx4 v[108:111], off, off offset:848
	s_waitcnt vmcnt(16) lgkmcnt(1)
	v_mul_f64 v[122:123], v[144:145], v[38:39]
	v_fmac_f64_e32 v[122:123], v[146:147], v[36:37]
	v_add_f64 v[132:133], v[120:121], v[122:123]
	s_waitcnt vmcnt(15) lgkmcnt(0)
	v_mul_f64 v[134:135], v[148:149], v[42:43]
	scratch_load_dwordx4 v[120:123], off, off offset:864
	v_fmac_f64_e32 v[134:135], v[150:151], v[40:41]
	v_add_f64 v[160:161], v[132:133], v[134:135]
	scratch_load_dwordx4 v[132:135], off, off offset:880
	ds_read_b128 v[152:155], v2 offset:1504
	ds_read_b128 v[156:159], v2 offset:1520
	v_mul_f64 v[170:171], v[178:179], v[170:171]
	v_fma_f64 v[246:247], v[176:177], v[168:169], -v[170:171]
	ds_read_b128 v[168:171], v2 offset:1568
	s_waitcnt vmcnt(16) lgkmcnt(2)
	v_mul_f64 v[162:163], v[152:153], v[46:47]
	v_fmac_f64_e32 v[162:163], v[154:155], v[44:45]
	s_waitcnt vmcnt(15) lgkmcnt(1)
	v_mul_f64 v[166:167], v[156:157], v[50:51]
	v_add_f64 v[164:165], v[160:161], v[162:163]
	ds_read_b128 v[160:163], v2 offset:1536
	v_fmac_f64_e32 v[166:167], v[158:159], v[48:49]
	v_add_f64 v[232:233], v[164:165], v[166:167]
	ds_read_b128 v[164:167], v2 offset:1552
	v_mul_f64 v[174:175], v[190:191], v[174:175]
	s_waitcnt vmcnt(14) lgkmcnt(1)
	v_mul_f64 v[234:235], v[160:161], v[54:55]
	v_fmac_f64_e32 v[234:235], v[162:163], v[52:53]
	v_add_f64 v[232:233], v[232:233], v[234:235]
	s_waitcnt vmcnt(13) lgkmcnt(0)
	v_mul_f64 v[176:177], v[164:165], v[58:59]
	v_fmac_f64_e32 v[176:177], v[166:167], v[56:57]
	v_fma_f64 v[248:249], v[188:189], v[172:173], -v[174:175]
	ds_read_b128 v[172:175], v2 offset:1584
	s_waitcnt vmcnt(12)
	v_mul_f64 v[178:179], v[168:169], v[62:63]
	v_add_f64 v[176:177], v[232:233], v[176:177]
	v_fmac_f64_e32 v[178:179], v[170:171], v[60:61]
	v_add_f64 v[188:189], v[176:177], v[178:179]
	ds_read_b128 v[176:179], v2 offset:1600
	v_mul_f64 v[182:183], v[202:203], v[182:183]
	v_fma_f64 v[250:251], v[200:201], v[180:181], -v[182:183]
	ds_read_b128 v[180:183], v2 offset:1616
	s_waitcnt vmcnt(11) lgkmcnt(2)
	v_mul_f64 v[190:191], v[172:173], v[66:67]
	v_fmac_f64_e32 v[190:191], v[174:175], v[64:65]
	v_add_f64 v[188:189], v[188:189], v[190:191]
	s_waitcnt vmcnt(10) lgkmcnt(1)
	v_mul_f64 v[190:191], v[176:177], v[70:71]
	v_fmac_f64_e32 v[190:191], v[178:179], v[68:69]
	v_mul_f64 v[186:187], v[214:215], v[186:187]
	v_fma_f64 v[252:253], v[212:213], v[184:185], -v[186:187]
	ds_read_b128 v[184:187], v2 offset:1632
	v_add_f64 v[188:189], v[188:189], v[190:191]
	s_waitcnt vmcnt(9) lgkmcnt(1)
	v_mul_f64 v[190:191], v[180:181], v[74:75]
	v_fmac_f64_e32 v[190:191], v[182:183], v[72:73]
	v_add_f64 v[200:201], v[188:189], v[190:191]
	ds_read_b128 v[188:191], v2 offset:1648
	v_mul_f64 v[194:195], v[222:223], v[194:195]
	v_fma_f64 v[254:255], v[220:221], v[192:193], -v[194:195]
	ds_read_b128 v[192:195], v2 offset:1664
	s_waitcnt vmcnt(8) lgkmcnt(2)
	v_mul_f64 v[202:203], v[184:185], v[78:79]
	v_fmac_f64_e32 v[202:203], v[186:187], v[76:77]
	v_add_f64 v[200:201], v[200:201], v[202:203]
	s_waitcnt vmcnt(7) lgkmcnt(1)
	v_mul_f64 v[202:203], v[188:189], v[82:83]
	v_fmac_f64_e32 v[202:203], v[190:191], v[80:81]
	v_mul_f64 v[198:199], v[226:227], v[198:199]
	v_add_f64 v[200:201], v[200:201], v[202:203]
	v_fma_f64 v[234:235], v[224:225], v[196:197], -v[198:199]
	ds_read_b128 v[196:199], v2 offset:1680
	s_waitcnt vmcnt(6) lgkmcnt(1)
	v_mul_f64 v[202:203], v[192:193], v[86:87]
	v_fmac_f64_e32 v[202:203], v[194:195], v[84:85]
	v_add_f64 v[212:213], v[200:201], v[202:203]
	ds_read_b128 v[200:203], v2 offset:1696
	v_mul_f64 v[206:207], v[230:231], v[206:207]
	v_fma_f64 v[236:237], v[228:229], v[204:205], -v[206:207]
	ds_read_b128 v[204:207], v2 offset:1712
	s_waitcnt vmcnt(5) lgkmcnt(2)
	v_mul_f64 v[214:215], v[196:197], v[94:95]
	v_fmac_f64_e32 v[214:215], v[198:199], v[92:93]
	v_add_f64 v[212:213], v[212:213], v[214:215]
	s_waitcnt vmcnt(4) lgkmcnt(1)
	v_mul_f64 v[214:215], v[200:201], v[90:91]
	v_fmac_f64_e32 v[214:215], v[202:203], v[88:89]
	v_mul_f64 v[210:211], v[240:241], v[210:211]
	v_fma_f64 v[238:239], v[238:239], v[208:209], -v[210:211]
	ds_read_b128 v[208:211], v2 offset:1728
	v_add_f64 v[212:213], v[212:213], v[214:215]
	s_waitcnt vmcnt(3) lgkmcnt(1)
	v_mul_f64 v[214:215], v[204:205], v[106:107]
	v_fmac_f64_e32 v[214:215], v[206:207], v[104:105]
	v_add_f64 v[220:221], v[212:213], v[214:215]
	ds_read_b128 v[212:215], v2 offset:1744
	v_mul_f64 v[218:219], v[244:245], v[218:219]
	v_fma_f64 v[240:241], v[242:243], v[216:217], -v[218:219]
	ds_read_b128 v[216:219], v2 offset:1760
	ds_read_b128 v[224:227], v2 offset:1776
	s_waitcnt vmcnt(2) lgkmcnt(3)
	v_mul_f64 v[222:223], v[208:209], v[110:111]
	v_fmac_f64_e32 v[222:223], v[210:211], v[108:109]
	v_add_f64 v[220:221], v[220:221], v[222:223]
	s_waitcnt vmcnt(1) lgkmcnt(2)
	v_mul_f64 v[222:223], v[212:213], v[122:123]
	v_fmac_f64_e32 v[222:223], v[214:215], v[120:121]
	v_add_f64 v[220:221], v[220:221], v[222:223]
	;; [unrolled: 4-line block ×3, first 2 shown]
	scratch_load_dwordx4 v[220:223], off, off offset:896
	v_mul_f64 v[6:7], v[142:143], v[6:7]
	v_fma_f64 v[4:5], v[140:141], v[4:5], -v[6:7]
	v_mul_f64 v[6:7], v[138:139], v[10:11]
	v_fma_f64 v[6:7], v[136:137], v[8:9], -v[6:7]
	s_waitcnt vmcnt(0) lgkmcnt(0)
	v_mul_f64 v[230:231], v[224:225], v[222:223]
	v_fmac_f64_e32 v[230:231], v[226:227], v[220:221]
	v_add_f64 v[232:233], v[228:229], v[230:231]
	v_add_f64 v[228:229], v[246:247], 0
	;; [unrolled: 1-line block ×6, first 2 shown]
	scratch_load_dwordx4 v[228:231], off, off offset:304
	v_add_f64 v[234:235], v[242:243], v[234:235]
	v_add_f64 v[234:235], v[234:235], v[236:237]
	;; [unrolled: 1-line block ×6, first 2 shown]
	v_mul_f64 v[6:7], v[130:131], v[14:15]
	v_fma_f64 v[6:7], v[128:129], v[12:13], -v[6:7]
	v_add_f64 v[4:5], v[4:5], v[6:7]
	v_mul_f64 v[6:7], v[126:127], v[18:19]
	v_fma_f64 v[6:7], v[124:125], v[16:17], -v[6:7]
	v_add_f64 v[4:5], v[4:5], v[6:7]
	;; [unrolled: 3-line block ×26, first 2 shown]
	s_waitcnt vmcnt(0)
	v_add_f64 v[4:5], v[228:229], -v[4:5]
	v_add_f64 v[6:7], v[230:231], -v[232:233]
	scratch_store_dwordx4 off, v[4:7], off offset:304
	s_and_saveexec_b64 s[0:1], vcc
	s_cbranch_execz .LBB55_315
; %bb.314:
	scratch_load_dwordx4 v[6:9], off, s52
	v_mov_b32_e32 v3, v2
	v_mov_b32_e32 v4, v2
	;; [unrolled: 1-line block ×3, first 2 shown]
	v_accvgpr_read_b32 v0, a113
	scratch_store_dwordx4 off, v[2:5], off offset:288
	s_waitcnt vmcnt(1)
	ds_write_b128 v0, v[6:9]
.LBB55_315:
	s_or_b64 exec, exec, s[0:1]
	s_waitcnt lgkmcnt(0)
	; wave barrier
	scratch_load_dwordx4 v[168:171], off, off offset:304
	scratch_load_dwordx4 v[172:175], off, off offset:320
	;; [unrolled: 1-line block ×16, first 2 shown]
	ds_read_b128 v[232:235], v2 offset:1184
	ds_read_b128 v[176:179], v2 offset:1200
	scratch_load_dwordx4 v[32:35], off, off offset:560
	ds_read_b128 v[236:239], v2 offset:1216
	ds_read_b128 v[188:191], v2 offset:1232
	;; [unrolled: 1-line block ×5, first 2 shown]
	scratch_load_dwordx4 v[36:39], off, off offset:576
	ds_read_b128 v[224:227], v2 offset:1296
	ds_read_b128 v[220:223], v2 offset:1312
	;; [unrolled: 1-line block ×3, first 2 shown]
	scratch_load_dwordx4 v[40:43], off, off offset:592
	ds_read_b128 v[64:67], v2 offset:1344
	ds_read_b128 v[60:63], v2 offset:1360
	;; [unrolled: 1-line block ×4, first 2 shown]
	scratch_load_dwordx4 v[48:51], off, off offset:608
	ds_read_b128 v[80:83], v2 offset:1408
	ds_read_b128 v[72:75], v2 offset:1424
	;; [unrolled: 1-line block ×3, first 2 shown]
	scratch_load_dwordx4 v[76:79], off, off offset:624
	scratch_load_dwordx4 v[84:87], off, off offset:640
	;; [unrolled: 1-line block ×12, first 2 shown]
	v_accvgpr_read_b32 v0, a112
	v_cmp_lt_u32_e32 vcc, 16, v0
	s_waitcnt vmcnt(31) lgkmcnt(14)
	v_mul_f64 v[128:129], v[232:233], v[170:171]
	s_waitcnt vmcnt(30)
	v_mul_f64 v[130:131], v[176:177], v[174:175]
	v_fmac_f64_e32 v[128:129], v[234:235], v[168:169]
	s_waitcnt vmcnt(29)
	v_mul_f64 v[132:133], v[236:237], v[182:183]
	v_fmac_f64_e32 v[130:131], v[178:179], v[172:173]
	v_add_f64 v[128:129], v[128:129], 0
	s_waitcnt vmcnt(28) lgkmcnt(13)
	v_mul_f64 v[134:135], v[188:189], v[186:187]
	v_fmac_f64_e32 v[132:133], v[238:239], v[180:181]
	v_add_f64 v[128:129], v[128:129], v[130:131]
	s_waitcnt vmcnt(27) lgkmcnt(12)
	;; [unrolled: 4-line block ×13, first 2 shown]
	v_mul_f64 v[158:159], v[72:73], v[30:31]
	v_fmac_f64_e32 v[156:157], v[82:83], v[24:25]
	v_add_f64 v[128:129], v[128:129], v[154:155]
	v_add_f64 v[128:129], v[128:129], v[156:157]
	v_fmac_f64_e32 v[158:159], v[74:75], v[28:29]
	v_add_f64 v[132:133], v[128:129], v[158:159]
	ds_read_b128 v[144:147], v2 offset:1456
	ds_read_b128 v[148:151], v2 offset:1472
	scratch_load_dwordx4 v[128:131], off, off offset:816
	s_waitcnt vmcnt(16) lgkmcnt(2)
	v_mul_f64 v[134:135], v[68:69], v[34:35]
	v_fmac_f64_e32 v[134:135], v[70:71], v[32:33]
	s_waitcnt vmcnt(15) lgkmcnt(1)
	v_mul_f64 v[138:139], v[144:145], v[38:39]
	v_add_f64 v[136:137], v[132:133], v[134:135]
	scratch_load_dwordx4 v[132:135], off, off offset:832
	v_fmac_f64_e32 v[138:139], v[146:147], v[36:37]
	v_add_f64 v[140:141], v[136:137], v[138:139]
	s_waitcnt vmcnt(15) lgkmcnt(0)
	v_mul_f64 v[142:143], v[148:149], v[42:43]
	scratch_load_dwordx4 v[136:139], off, off offset:848
	v_fmac_f64_e32 v[142:143], v[150:151], v[40:41]
	v_add_f64 v[160:161], v[140:141], v[142:143]
	scratch_load_dwordx4 v[140:143], off, off offset:864
	ds_read_b128 v[152:155], v2 offset:1488
	ds_read_b128 v[156:159], v2 offset:1504
	v_mul_f64 v[170:171], v[234:235], v[170:171]
	v_fma_f64 v[244:245], v[232:233], v[168:169], -v[170:171]
	ds_read_b128 v[168:171], v2 offset:1552
	s_waitcnt vmcnt(16) lgkmcnt(2)
	v_mul_f64 v[162:163], v[152:153], v[50:51]
	v_fmac_f64_e32 v[162:163], v[154:155], v[48:49]
	s_waitcnt vmcnt(15) lgkmcnt(1)
	v_mul_f64 v[166:167], v[156:157], v[78:79]
	v_add_f64 v[164:165], v[160:161], v[162:163]
	ds_read_b128 v[160:163], v2 offset:1520
	v_fmac_f64_e32 v[166:167], v[158:159], v[76:77]
	v_add_f64 v[240:241], v[164:165], v[166:167]
	ds_read_b128 v[164:167], v2 offset:1536
	v_mul_f64 v[174:175], v[178:179], v[174:175]
	s_waitcnt vmcnt(14) lgkmcnt(1)
	v_mul_f64 v[242:243], v[160:161], v[86:87]
	v_fmac_f64_e32 v[242:243], v[162:163], v[84:85]
	v_add_f64 v[240:241], v[240:241], v[242:243]
	s_waitcnt vmcnt(13) lgkmcnt(0)
	v_mul_f64 v[232:233], v[164:165], v[90:91]
	v_fmac_f64_e32 v[232:233], v[166:167], v[88:89]
	v_fma_f64 v[246:247], v[176:177], v[172:173], -v[174:175]
	ds_read_b128 v[172:175], v2 offset:1568
	s_waitcnt vmcnt(12)
	v_mul_f64 v[176:177], v[168:169], v[94:95]
	v_add_f64 v[232:233], v[240:241], v[232:233]
	v_fmac_f64_e32 v[176:177], v[170:171], v[92:93]
	v_add_f64 v[232:233], v[232:233], v[176:177]
	ds_read_b128 v[176:179], v2 offset:1584
	v_mul_f64 v[182:183], v[238:239], v[182:183]
	v_fma_f64 v[236:237], v[236:237], v[180:181], -v[182:183]
	ds_read_b128 v[180:183], v2 offset:1600
	s_waitcnt vmcnt(11) lgkmcnt(2)
	v_mul_f64 v[234:235], v[172:173], v[98:99]
	v_fmac_f64_e32 v[234:235], v[174:175], v[96:97]
	v_add_f64 v[232:233], v[232:233], v[234:235]
	s_waitcnt vmcnt(10) lgkmcnt(1)
	v_mul_f64 v[234:235], v[176:177], v[102:103]
	v_fmac_f64_e32 v[234:235], v[178:179], v[100:101]
	v_mul_f64 v[186:187], v[190:191], v[186:187]
	s_waitcnt vmcnt(9) lgkmcnt(0)
	v_mul_f64 v[190:191], v[180:181], v[106:107]
	v_fma_f64 v[238:239], v[188:189], v[184:185], -v[186:187]
	ds_read_b128 v[184:187], v2 offset:1616
	v_add_f64 v[188:189], v[232:233], v[234:235]
	v_fmac_f64_e32 v[190:191], v[182:183], v[104:105]
	v_add_f64 v[232:233], v[188:189], v[190:191]
	ds_read_b128 v[188:191], v2 offset:1632
	v_mul_f64 v[194:195], v[230:231], v[194:195]
	v_fma_f64 v[248:249], v[228:229], v[192:193], -v[194:195]
	ds_read_b128 v[192:195], v2 offset:1648
	s_waitcnt vmcnt(8) lgkmcnt(2)
	v_mul_f64 v[234:235], v[184:185], v[110:111]
	v_fmac_f64_e32 v[234:235], v[186:187], v[108:109]
	s_waitcnt vmcnt(7) lgkmcnt(1)
	v_mul_f64 v[228:229], v[188:189], v[114:115]
	v_mul_f64 v[198:199], v[202:203], v[198:199]
	v_add_f64 v[232:233], v[232:233], v[234:235]
	v_fmac_f64_e32 v[228:229], v[190:191], v[112:113]
	v_fma_f64 v[250:251], v[200:201], v[196:197], -v[198:199]
	ds_read_b128 v[196:199], v2 offset:1664
	s_waitcnt vmcnt(6) lgkmcnt(1)
	v_mul_f64 v[200:201], v[192:193], v[118:119]
	v_add_f64 v[228:229], v[232:233], v[228:229]
	v_fmac_f64_e32 v[200:201], v[194:195], v[116:117]
	v_add_f64 v[228:229], v[228:229], v[200:201]
	ds_read_b128 v[200:203], v2 offset:1680
	v_mul_f64 v[206:207], v[214:215], v[206:207]
	v_add_f64 v[244:245], v[244:245], 0
	v_fma_f64 v[252:253], v[212:213], v[204:205], -v[206:207]
	ds_read_b128 v[204:207], v2 offset:1696
	v_add_f64 v[244:245], v[244:245], v[246:247]
	v_add_f64 v[236:237], v[244:245], v[236:237]
	;; [unrolled: 1-line block ×3, first 2 shown]
	s_waitcnt vmcnt(5) lgkmcnt(2)
	v_mul_f64 v[230:231], v[196:197], v[126:127]
	v_add_f64 v[236:237], v[236:237], v[248:249]
	v_fmac_f64_e32 v[230:231], v[198:199], v[124:125]
	s_waitcnt vmcnt(4) lgkmcnt(1)
	v_mul_f64 v[212:213], v[200:201], v[122:123]
	v_add_f64 v[236:237], v[236:237], v[250:251]
	v_add_f64 v[228:229], v[228:229], v[230:231]
	v_fmac_f64_e32 v[212:213], v[202:203], v[120:121]
	v_mul_f64 v[210:211], v[226:227], v[210:211]
	v_add_f64 v[244:245], v[236:237], v[252:253]
	scratch_load_dwordx4 v[236:239], off, off offset:288
	s_waitcnt vmcnt(4) lgkmcnt(0)
	v_mul_f64 v[214:215], v[204:205], v[130:131]
	v_fma_f64 v[240:241], v[224:225], v[208:209], -v[210:211]
	ds_read_b128 v[208:211], v2 offset:1712
	v_add_f64 v[212:213], v[228:229], v[212:213]
	v_fmac_f64_e32 v[214:215], v[206:207], v[128:129]
	v_add_f64 v[224:225], v[212:213], v[214:215]
	ds_read_b128 v[212:215], v2 offset:1728
	v_mul_f64 v[218:219], v[222:223], v[218:219]
	v_fma_f64 v[242:243], v[220:221], v[216:217], -v[218:219]
	ds_read_b128 v[216:219], v2 offset:1744
	s_waitcnt vmcnt(3) lgkmcnt(2)
	v_mul_f64 v[220:221], v[208:209], v[134:135]
	v_fmac_f64_e32 v[220:221], v[210:211], v[132:133]
	s_waitcnt vmcnt(2) lgkmcnt(1)
	v_mul_f64 v[222:223], v[212:213], v[138:139]
	v_add_f64 v[220:221], v[224:225], v[220:221]
	v_fmac_f64_e32 v[222:223], v[214:215], v[136:137]
	v_add_f64 v[220:221], v[220:221], v[222:223]
	ds_read_b128 v[224:227], v2 offset:1760
	scratch_load_dwordx4 v[232:235], off, off offset:896
	s_waitcnt vmcnt(2) lgkmcnt(1)
	v_mul_f64 v[222:223], v[216:217], v[142:143]
	v_fmac_f64_e32 v[222:223], v[218:219], v[140:141]
	v_add_f64 v[228:229], v[220:221], v[222:223]
	scratch_load_dwordx4 v[220:223], off, off offset:880
	v_add_f64 v[240:241], v[244:245], v[240:241]
	v_mul_f64 v[6:7], v[46:47], v[6:7]
	v_add_f64 v[240:241], v[240:241], v[242:243]
	v_fma_f64 v[4:5], v[44:45], v[4:5], -v[6:7]
	v_mul_f64 v[6:7], v[66:67], v[10:11]
	v_add_f64 v[4:5], v[240:241], v[4:5]
	v_fma_f64 v[6:7], v[64:65], v[8:9], -v[6:7]
	v_add_f64 v[4:5], v[4:5], v[6:7]
	v_mul_f64 v[6:7], v[62:63], v[14:15]
	v_fma_f64 v[6:7], v[60:61], v[12:13], -v[6:7]
	v_add_f64 v[4:5], v[4:5], v[6:7]
	v_mul_f64 v[6:7], v[58:59], v[18:19]
	;; [unrolled: 3-line block ×24, first 2 shown]
	v_fma_f64 v[6:7], v[212:213], v[136:137], -v[6:7]
	s_waitcnt vmcnt(0) lgkmcnt(0)
	v_mul_f64 v[230:231], v[224:225], v[222:223]
	v_fmac_f64_e32 v[230:231], v[226:227], v[220:221]
	v_add_f64 v[254:255], v[228:229], v[230:231]
	ds_read_b128 v[228:231], v2 offset:1776
	v_add_f64 v[4:5], v[4:5], v[6:7]
	v_mul_f64 v[6:7], v[218:219], v[142:143]
	v_fma_f64 v[6:7], v[216:217], v[140:141], -v[6:7]
	v_add_f64 v[4:5], v[4:5], v[6:7]
	v_mul_f64 v[6:7], v[226:227], v[222:223]
	v_fma_f64 v[6:7], v[224:225], v[220:221], -v[6:7]
	s_waitcnt lgkmcnt(0)
	v_mul_f64 v[2:3], v[228:229], v[234:235]
	v_add_f64 v[4:5], v[4:5], v[6:7]
	v_mul_f64 v[6:7], v[230:231], v[234:235]
	v_fmac_f64_e32 v[2:3], v[230:231], v[232:233]
	v_fma_f64 v[6:7], v[228:229], v[232:233], -v[6:7]
	v_add_f64 v[2:3], v[254:255], v[2:3]
	v_add_f64 v[4:5], v[4:5], v[6:7]
	v_add_f64 v[4:5], v[236:237], -v[4:5]
	v_add_f64 v[6:7], v[238:239], -v[2:3]
	scratch_store_dwordx4 off, v[4:7], off offset:288
	s_and_saveexec_b64 s[0:1], vcc
	s_cbranch_execz .LBB55_317
; %bb.316:
	scratch_load_dwordx4 v[2:5], off, s51
	v_mov_b32_e32 v6, 0
	v_mov_b32_e32 v7, v6
	;; [unrolled: 1-line block ×4, first 2 shown]
	v_accvgpr_read_b32 v0, a113
	scratch_store_dwordx4 off, v[6:9], off offset:272
	s_waitcnt vmcnt(1)
	ds_write_b128 v0, v[2:5]
.LBB55_317:
	s_or_b64 exec, exec, s[0:1]
	s_waitcnt lgkmcnt(0)
	; wave barrier
	scratch_load_dwordx4 v[80:83], off, off offset:288
	scratch_load_dwordx4 v[84:87], off, off offset:304
	;; [unrolled: 1-line block ×31, first 2 shown]
	v_mov_b32_e32 v2, 0
	ds_read_b128 v[196:199], v2 offset:1168
	ds_read_b128 v[200:203], v2 offset:1184
	ds_read_b128 v[204:207], v2 offset:1200
	ds_read_b128 v[208:211], v2 offset:1216
	ds_read_b128 v[212:215], v2 offset:1232
	ds_read_b128 v[216:219], v2 offset:1248
	ds_read_b128 v[220:223], v2 offset:1264
	ds_read_b128 v[224:227], v2 offset:1280
	ds_read_b128 v[228:231], v2 offset:1296
	ds_read_b128 v[238:241], v2 offset:1312
	ds_read_b128 v[242:245], v2 offset:1328
	ds_read_b128 v[156:159], v2 offset:1344
	ds_read_b128 v[148:151], v2 offset:1360
	ds_read_b128 v[144:147], v2 offset:1376
	ds_read_b128 v[136:139], v2 offset:1392
	ds_read_b128 v[132:135], v2 offset:1408
	ds_read_b128 v[128:131], v2 offset:1424
	ds_read_b128 v[184:187], v2 offset:1472
	ds_read_b128 v[188:191], v2 offset:1488
	ds_read_b128 v[192:195], v2 offset:1504
	s_waitcnt vmcnt(30) lgkmcnt(14)
	v_mul_f64 v[140:141], v[196:197], v[82:83]
	s_waitcnt vmcnt(29)
	v_mul_f64 v[142:143], v[200:201], v[86:87]
	v_fmac_f64_e32 v[140:141], v[198:199], v[80:81]
	s_waitcnt vmcnt(28)
	v_mul_f64 v[152:153], v[204:205], v[90:91]
	v_fmac_f64_e32 v[142:143], v[202:203], v[84:85]
	v_add_f64 v[140:141], v[140:141], 0
	s_waitcnt vmcnt(27)
	v_mul_f64 v[154:155], v[208:209], v[94:95]
	v_fmac_f64_e32 v[152:153], v[206:207], v[88:89]
	v_add_f64 v[140:141], v[140:141], v[142:143]
	;; [unrolled: 4-line block ×4, first 2 shown]
	s_waitcnt vmcnt(24) lgkmcnt(13)
	v_mul_f64 v[164:165], v[220:221], v[106:107]
	v_fmac_f64_e32 v[162:163], v[218:219], v[100:101]
	v_add_f64 v[140:141], v[140:141], v[160:161]
	s_waitcnt vmcnt(23) lgkmcnt(12)
	v_mul_f64 v[166:167], v[224:225], v[110:111]
	v_fmac_f64_e32 v[164:165], v[222:223], v[104:105]
	v_add_f64 v[140:141], v[140:141], v[162:163]
	;; [unrolled: 4-line block ×8, first 2 shown]
	v_fmac_f64_e32 v[178:179], v[146:147], v[12:13]
	v_add_f64 v[140:141], v[140:141], v[176:177]
	v_add_f64 v[140:141], v[140:141], v[178:179]
	ds_read_b128 v[176:179], v2 offset:1440
	s_waitcnt vmcnt(16) lgkmcnt(6)
	v_mul_f64 v[180:181], v[136:137], v[18:19]
	s_waitcnt vmcnt(15) lgkmcnt(5)
	v_mul_f64 v[182:183], v[132:133], v[22:23]
	v_fmac_f64_e32 v[180:181], v[138:139], v[16:17]
	v_add_f64 v[152:153], v[140:141], v[180:181]
	v_fmac_f64_e32 v[182:183], v[134:135], v[20:21]
	scratch_load_dwordx4 v[140:143], off, off offset:784
	s_waitcnt vmcnt(15) lgkmcnt(4)
	v_mul_f64 v[154:155], v[128:129], v[26:27]
	v_add_f64 v[152:153], v[152:153], v[182:183]
	v_fmac_f64_e32 v[154:155], v[130:131], v[24:25]
	v_add_f64 v[160:161], v[152:153], v[154:155]
	ds_read_b128 v[180:183], v2 offset:1456
	s_waitcnt vmcnt(14) lgkmcnt(1)
	v_mul_f64 v[162:163], v[176:177], v[30:31]
	scratch_load_dwordx4 v[152:155], off, off offset:800
	v_fmac_f64_e32 v[162:163], v[178:179], v[28:29]
	v_add_f64 v[164:165], v[160:161], v[162:163]
	scratch_load_dwordx4 v[160:163], off, off offset:816
	s_waitcnt vmcnt(15) lgkmcnt(0)
	v_mul_f64 v[166:167], v[180:181], v[34:35]
	v_fmac_f64_e32 v[166:167], v[182:183], v[32:33]
	v_add_f64 v[168:169], v[164:165], v[166:167]
	s_waitcnt vmcnt(14)
	v_mul_f64 v[170:171], v[184:185], v[38:39]
	scratch_load_dwordx4 v[164:167], off, off offset:832
	v_fmac_f64_e32 v[170:171], v[186:187], v[36:37]
	v_add_f64 v[168:169], v[168:169], v[170:171]
	s_waitcnt vmcnt(14)
	v_mul_f64 v[170:171], v[188:189], v[42:43]
	scratch_load_dwordx4 v[172:175], off, off offset:848
	v_fmac_f64_e32 v[170:171], v[190:191], v[40:41]
	v_add_f64 v[232:233], v[168:169], v[170:171]
	scratch_load_dwordx4 v[168:171], off, off offset:864
	v_mul_f64 v[82:83], v[198:199], v[82:83]
	v_fma_f64 v[246:247], v[196:197], v[80:81], -v[82:83]
	ds_read_b128 v[196:199], v2 offset:1520
	s_waitcnt vmcnt(15)
	v_mul_f64 v[80:81], v[192:193], v[46:47]
	v_fmac_f64_e32 v[80:81], v[194:195], v[44:45]
	v_add_f64 v[232:233], v[232:233], v[80:81]
	v_mul_f64 v[80:81], v[202:203], v[86:87]
	v_fma_f64 v[248:249], v[200:201], v[84:85], -v[80:81]
	scratch_load_dwordx4 v[80:83], off, off offset:880
	ds_read_b128 v[84:87], v2 offset:1536
	v_mul_f64 v[90:91], v[206:207], v[90:91]
	v_fma_f64 v[250:251], v[204:205], v[88:89], -v[90:91]
	ds_read_b128 v[88:91], v2 offset:1552
	s_waitcnt vmcnt(15) lgkmcnt(2)
	v_mul_f64 v[200:201], v[196:197], v[50:51]
	v_fmac_f64_e32 v[200:201], v[198:199], v[48:49]
	s_waitcnt vmcnt(14) lgkmcnt(1)
	v_mul_f64 v[202:203], v[84:85], v[54:55]
	v_add_f64 v[200:201], v[232:233], v[200:201]
	v_fmac_f64_e32 v[202:203], v[86:87], v[52:53]
	v_mul_f64 v[94:95], v[210:211], v[94:95]
	v_fma_f64 v[252:253], v[208:209], v[92:93], -v[94:95]
	ds_read_b128 v[92:95], v2 offset:1568
	v_add_f64 v[200:201], v[200:201], v[202:203]
	s_waitcnt vmcnt(13) lgkmcnt(1)
	v_mul_f64 v[202:203], v[88:89], v[58:59]
	v_fmac_f64_e32 v[202:203], v[90:91], v[56:57]
	v_add_f64 v[204:205], v[200:201], v[202:203]
	ds_read_b128 v[200:203], v2 offset:1584
	v_mul_f64 v[98:99], v[214:215], v[98:99]
	v_fma_f64 v[254:255], v[212:213], v[96:97], -v[98:99]
	ds_read_b128 v[96:99], v2 offset:1600
	s_waitcnt vmcnt(12) lgkmcnt(2)
	v_mul_f64 v[206:207], v[92:93], v[62:63]
	v_fmac_f64_e32 v[206:207], v[94:95], v[60:61]
	v_add_f64 v[204:205], v[204:205], v[206:207]
	s_waitcnt vmcnt(11) lgkmcnt(1)
	v_mul_f64 v[206:207], v[200:201], v[66:67]
	v_fmac_f64_e32 v[206:207], v[202:203], v[64:65]
	v_mul_f64 v[102:103], v[218:219], v[102:103]
	v_add_f64 v[204:205], v[204:205], v[206:207]
	v_fma_f64 v[232:233], v[216:217], v[100:101], -v[102:103]
	ds_read_b128 v[100:103], v2 offset:1616
	s_waitcnt vmcnt(10) lgkmcnt(1)
	v_mul_f64 v[206:207], v[96:97], v[70:71]
	v_fmac_f64_e32 v[206:207], v[98:99], v[68:69]
	v_add_f64 v[208:209], v[204:205], v[206:207]
	ds_read_b128 v[204:207], v2 offset:1632
	v_mul_f64 v[106:107], v[222:223], v[106:107]
	v_fma_f64 v[0:1], v[220:221], v[104:105], -v[106:107]
	ds_read_b128 v[104:107], v2 offset:1648
	s_waitcnt vmcnt(9) lgkmcnt(2)
	v_mul_f64 v[210:211], v[100:101], v[74:75]
	v_fmac_f64_e32 v[210:211], v[102:103], v[72:73]
	v_add_f64 v[208:209], v[208:209], v[210:211]
	s_waitcnt vmcnt(8) lgkmcnt(1)
	v_mul_f64 v[210:211], v[204:205], v[78:79]
	v_fmac_f64_e32 v[210:211], v[206:207], v[76:77]
	v_mul_f64 v[110:111], v[226:227], v[110:111]
	v_fma_f64 v[234:235], v[224:225], v[108:109], -v[110:111]
	ds_read_b128 v[108:111], v2 offset:1664
	v_add_f64 v[208:209], v[208:209], v[210:211]
	s_waitcnt vmcnt(7) lgkmcnt(1)
	v_mul_f64 v[210:211], v[104:105], v[126:127]
	v_fmac_f64_e32 v[210:211], v[106:107], v[124:125]
	v_add_f64 v[212:213], v[208:209], v[210:211]
	ds_read_b128 v[208:211], v2 offset:1680
	v_mul_f64 v[114:115], v[230:231], v[114:115]
	v_fma_f64 v[236:237], v[228:229], v[112:113], -v[114:115]
	ds_read_b128 v[112:115], v2 offset:1696
	s_waitcnt vmcnt(6) lgkmcnt(2)
	v_mul_f64 v[214:215], v[108:109], v[142:143]
	v_fmac_f64_e32 v[214:215], v[110:111], v[140:141]
	v_add_f64 v[212:213], v[212:213], v[214:215]
	s_waitcnt vmcnt(5) lgkmcnt(1)
	v_mul_f64 v[214:215], v[208:209], v[154:155]
	v_fmac_f64_e32 v[214:215], v[210:211], v[152:153]
	v_mul_f64 v[118:119], v[240:241], v[118:119]
	v_add_f64 v[212:213], v[212:213], v[214:215]
	v_fma_f64 v[238:239], v[238:239], v[116:117], -v[118:119]
	ds_read_b128 v[116:119], v2 offset:1712
	s_waitcnt vmcnt(4) lgkmcnt(1)
	v_mul_f64 v[214:215], v[112:113], v[162:163]
	v_fmac_f64_e32 v[214:215], v[114:115], v[160:161]
	v_add_f64 v[216:217], v[212:213], v[214:215]
	ds_read_b128 v[212:215], v2 offset:1728
	v_mul_f64 v[122:123], v[244:245], v[122:123]
	v_fma_f64 v[240:241], v[242:243], v[120:121], -v[122:123]
	ds_read_b128 v[120:123], v2 offset:1744
	s_waitcnt vmcnt(3) lgkmcnt(2)
	v_mul_f64 v[218:219], v[116:117], v[166:167]
	v_fmac_f64_e32 v[218:219], v[118:119], v[164:165]
	v_add_f64 v[216:217], v[216:217], v[218:219]
	s_waitcnt vmcnt(2) lgkmcnt(1)
	v_mul_f64 v[218:219], v[212:213], v[174:175]
	v_fmac_f64_e32 v[218:219], v[214:215], v[172:173]
	v_add_f64 v[216:217], v[216:217], v[218:219]
	;; [unrolled: 4-line block ×3, first 2 shown]
	ds_read_b128 v[216:219], v2 offset:1760
	ds_read_b128 v[224:227], v2 offset:1776
	v_mul_f64 v[6:7], v[158:159], v[6:7]
	v_fma_f64 v[4:5], v[156:157], v[4:5], -v[6:7]
	s_waitcnt vmcnt(0) lgkmcnt(1)
	v_mul_f64 v[222:223], v[216:217], v[82:83]
	v_fmac_f64_e32 v[222:223], v[218:219], v[80:81]
	v_add_f64 v[228:229], v[220:221], v[222:223]
	scratch_load_dwordx4 v[220:223], off, off offset:896
	s_waitcnt vmcnt(0) lgkmcnt(0)
	v_mul_f64 v[230:231], v[224:225], v[222:223]
	v_fmac_f64_e32 v[230:231], v[226:227], v[220:221]
	v_add_f64 v[244:245], v[228:229], v[230:231]
	v_add_f64 v[228:229], v[246:247], 0
	;; [unrolled: 1-line block ×8, first 2 shown]
	scratch_load_dwordx4 v[228:231], off, off offset:272
	v_add_f64 v[0:1], v[242:243], v[234:235]
	v_add_f64 v[0:1], v[0:1], v[236:237]
	;; [unrolled: 1-line block ×5, first 2 shown]
	v_mul_f64 v[4:5], v[150:151], v[10:11]
	v_fma_f64 v[4:5], v[148:149], v[8:9], -v[4:5]
	v_add_f64 v[0:1], v[0:1], v[4:5]
	v_mul_f64 v[4:5], v[146:147], v[14:15]
	v_fma_f64 v[4:5], v[144:145], v[12:13], -v[4:5]
	v_add_f64 v[0:1], v[0:1], v[4:5]
	;; [unrolled: 3-line block ×27, first 2 shown]
	s_waitcnt vmcnt(0)
	v_add_f64 v[4:5], v[228:229], -v[0:1]
	v_accvgpr_read_b32 v0, a112
	v_add_f64 v[6:7], v[230:231], -v[244:245]
	v_cmp_lt_u32_e32 vcc, 15, v0
	scratch_store_dwordx4 off, v[4:7], off offset:272
	s_and_saveexec_b64 s[0:1], vcc
	s_cbranch_execz .LBB55_319
; %bb.318:
	scratch_load_dwordx4 v[6:9], off, s50
	v_mov_b32_e32 v3, v2
	v_mov_b32_e32 v4, v2
	;; [unrolled: 1-line block ×3, first 2 shown]
	v_accvgpr_read_b32 v0, a113
	scratch_store_dwordx4 off, v[2:5], off offset:256
	s_waitcnt vmcnt(1)
	ds_write_b128 v0, v[6:9]
.LBB55_319:
	s_or_b64 exec, exec, s[0:1]
	s_waitcnt lgkmcnt(0)
	; wave barrier
	scratch_load_dwordx4 v[132:135], off, off offset:272
	scratch_load_dwordx4 v[160:163], off, off offset:288
	;; [unrolled: 1-line block ×16, first 2 shown]
	ds_read_b128 v[156:159], v2 offset:1152
	ds_read_b128 v[172:175], v2 offset:1168
	scratch_load_dwordx4 v[24:27], off, off offset:528
	ds_read_b128 v[232:235], v2 offset:1184
	ds_read_b128 v[228:231], v2 offset:1200
	scratch_load_dwordx4 v[28:31], off, off offset:544
	ds_read_b128 v[236:239], v2 offset:1216
	ds_read_b128 v[184:187], v2 offset:1232
	;; [unrolled: 1-line block ×5, first 2 shown]
	scratch_load_dwordx4 v[32:35], off, off offset:560
	ds_read_b128 v[220:223], v2 offset:1296
	ds_read_b128 v[216:219], v2 offset:1312
	;; [unrolled: 1-line block ×3, first 2 shown]
	scratch_load_dwordx4 v[36:39], off, off offset:576
	ds_read_b128 v[64:67], v2 offset:1344
	ds_read_b128 v[60:63], v2 offset:1360
	;; [unrolled: 1-line block ×5, first 2 shown]
	scratch_load_dwordx4 v[52:55], off, off offset:592
	scratch_load_dwordx4 v[68:71], off, off offset:608
	;; [unrolled: 1-line block ×11, first 2 shown]
	ds_read_b128 v[144:147], v2 offset:1456
	ds_read_b128 v[148:151], v2 offset:1472
	;; [unrolled: 1-line block ×3, first 2 shown]
	s_waitcnt vmcnt(30) lgkmcnt(14)
	v_mul_f64 v[0:1], v[156:157], v[134:135]
	s_waitcnt vmcnt(29)
	v_mul_f64 v[108:109], v[172:173], v[162:163]
	v_fmac_f64_e32 v[0:1], v[158:159], v[132:133]
	s_waitcnt vmcnt(28)
	v_mul_f64 v[110:111], v[232:233], v[166:167]
	v_fmac_f64_e32 v[108:109], v[174:175], v[160:161]
	v_add_f64 v[0:1], v[0:1], 0
	s_waitcnt vmcnt(27)
	v_mul_f64 v[112:113], v[228:229], v[170:171]
	v_fmac_f64_e32 v[110:111], v[234:235], v[164:165]
	v_add_f64 v[0:1], v[0:1], v[108:109]
	;; [unrolled: 4-line block ×4, first 2 shown]
	s_waitcnt vmcnt(24) lgkmcnt(13)
	v_mul_f64 v[118:119], v[224:225], v[190:191]
	v_fmac_f64_e32 v[116:117], v[186:187], v[180:181]
	v_add_f64 v[0:1], v[0:1], v[114:115]
	s_waitcnt vmcnt(23) lgkmcnt(12)
	v_mul_f64 v[120:121], v[196:197], v[194:195]
	v_fmac_f64_e32 v[118:119], v[226:227], v[188:189]
	v_add_f64 v[0:1], v[0:1], v[116:117]
	;; [unrolled: 4-line block ×9, first 2 shown]
	v_fmac_f64_e32 v[138:139], v[58:59], v[16:17]
	v_add_f64 v[0:1], v[0:1], v[136:137]
	v_add_f64 v[0:1], v[0:1], v[138:139]
	ds_read_b128 v[136:139], v2 offset:1424
	s_waitcnt vmcnt(15) lgkmcnt(5)
	v_mul_f64 v[140:141], v[48:49], v[22:23]
	v_fmac_f64_e32 v[140:141], v[50:51], v[20:21]
	s_waitcnt vmcnt(14) lgkmcnt(4)
	v_mul_f64 v[112:113], v[44:45], v[26:27]
	scratch_load_dwordx4 v[108:111], off, off offset:768
	v_add_f64 v[0:1], v[0:1], v[140:141]
	v_fmac_f64_e32 v[112:113], v[46:47], v[24:25]
	v_add_f64 v[0:1], v[0:1], v[112:113]
	scratch_load_dwordx4 v[112:115], off, off offset:784
	ds_read_b128 v[140:143], v2 offset:1440
	s_waitcnt vmcnt(15) lgkmcnt(1)
	v_mul_f64 v[116:117], v[136:137], v[30:31]
	v_fmac_f64_e32 v[116:117], v[138:139], v[28:29]
	v_add_f64 v[0:1], v[0:1], v[116:117]
	scratch_load_dwordx4 v[116:119], off, off offset:800
	s_waitcnt vmcnt(15) lgkmcnt(0)
	v_mul_f64 v[120:121], v[140:141], v[34:35]
	v_fmac_f64_e32 v[120:121], v[142:143], v[32:33]
	s_waitcnt vmcnt(14)
	v_mul_f64 v[124:125], v[144:145], v[38:39]
	v_add_f64 v[0:1], v[0:1], v[120:121]
	scratch_load_dwordx4 v[120:123], off, off offset:816
	v_fmac_f64_e32 v[124:125], v[146:147], v[36:37]
	v_add_f64 v[0:1], v[0:1], v[124:125]
	s_waitcnt vmcnt(14)
	v_mul_f64 v[124:125], v[148:149], v[54:55]
	scratch_load_dwordx4 v[128:131], off, off offset:832
	v_fmac_f64_e32 v[124:125], v[150:151], v[52:53]
	v_add_f64 v[0:1], v[0:1], v[124:125]
	scratch_load_dwordx4 v[124:127], off, off offset:848
	v_mul_f64 v[134:135], v[158:159], v[134:135]
	v_fma_f64 v[244:245], v[156:157], v[132:133], -v[134:135]
	ds_read_b128 v[156:159], v2 offset:1504
	s_waitcnt vmcnt(15)
	v_mul_f64 v[132:133], v[152:153], v[70:71]
	v_fmac_f64_e32 v[132:133], v[154:155], v[68:69]
	v_add_f64 v[0:1], v[0:1], v[132:133]
	v_mul_f64 v[132:133], v[174:175], v[162:163]
	v_fma_f64 v[246:247], v[172:173], v[160:161], -v[132:133]
	scratch_load_dwordx4 v[132:135], off, off offset:864
	ds_read_b128 v[160:163], v2 offset:1520
	v_mul_f64 v[166:167], v[234:235], v[166:167]
	v_fma_f64 v[248:249], v[232:233], v[164:165], -v[166:167]
	ds_read_b128 v[164:167], v2 offset:1536
	s_waitcnt vmcnt(15) lgkmcnt(2)
	v_mul_f64 v[172:173], v[156:157], v[74:75]
	v_fmac_f64_e32 v[172:173], v[158:159], v[72:73]
	v_add_f64 v[0:1], v[0:1], v[172:173]
	s_waitcnt vmcnt(14) lgkmcnt(1)
	v_mul_f64 v[172:173], v[160:161], v[78:79]
	v_fmac_f64_e32 v[172:173], v[162:163], v[76:77]
	v_mul_f64 v[170:171], v[230:231], v[170:171]
	v_fma_f64 v[250:251], v[228:229], v[168:169], -v[170:171]
	ds_read_b128 v[168:171], v2 offset:1552
	v_add_f64 v[0:1], v[0:1], v[172:173]
	s_waitcnt vmcnt(13) lgkmcnt(1)
	v_mul_f64 v[172:173], v[164:165], v[82:83]
	v_fmac_f64_e32 v[172:173], v[166:167], v[80:81]
	v_add_f64 v[0:1], v[0:1], v[172:173]
	ds_read_b128 v[172:175], v2 offset:1568
	v_mul_f64 v[178:179], v[238:239], v[178:179]
	v_fma_f64 v[236:237], v[236:237], v[176:177], -v[178:179]
	ds_read_b128 v[176:179], v2 offset:1584
	s_waitcnt vmcnt(12) lgkmcnt(2)
	v_mul_f64 v[228:229], v[168:169], v[86:87]
	v_fmac_f64_e32 v[228:229], v[170:171], v[84:85]
	v_add_f64 v[0:1], v[0:1], v[228:229]
	s_waitcnt vmcnt(11) lgkmcnt(1)
	v_mul_f64 v[228:229], v[172:173], v[90:91]
	v_mul_f64 v[182:183], v[186:187], v[182:183]
	v_fmac_f64_e32 v[228:229], v[174:175], v[88:89]
	v_fma_f64 v[238:239], v[184:185], v[180:181], -v[182:183]
	ds_read_b128 v[180:183], v2 offset:1600
	s_waitcnt vmcnt(10) lgkmcnt(1)
	v_mul_f64 v[184:185], v[176:177], v[94:95]
	v_add_f64 v[0:1], v[0:1], v[228:229]
	v_fmac_f64_e32 v[184:185], v[178:179], v[92:93]
	v_add_f64 v[0:1], v[0:1], v[184:185]
	ds_read_b128 v[184:187], v2 offset:1616
	v_mul_f64 v[190:191], v[226:227], v[190:191]
	v_fma_f64 v[252:253], v[224:225], v[188:189], -v[190:191]
	ds_read_b128 v[188:191], v2 offset:1632
	s_waitcnt vmcnt(9) lgkmcnt(2)
	v_mul_f64 v[228:229], v[180:181], v[98:99]
	v_fmac_f64_e32 v[228:229], v[182:183], v[96:97]
	s_waitcnt vmcnt(8) lgkmcnt(1)
	v_mul_f64 v[224:225], v[184:185], v[102:103]
	v_mul_f64 v[194:195], v[198:199], v[194:195]
	v_add_f64 v[0:1], v[0:1], v[228:229]
	v_fmac_f64_e32 v[224:225], v[186:187], v[100:101]
	v_fma_f64 v[254:255], v[196:197], v[192:193], -v[194:195]
	s_waitcnt vmcnt(7) lgkmcnt(0)
	v_mul_f64 v[196:197], v[188:189], v[106:107]
	ds_read_b128 v[192:195], v2 offset:1648
	v_add_f64 v[0:1], v[0:1], v[224:225]
	v_fmac_f64_e32 v[196:197], v[190:191], v[104:105]
	v_add_f64 v[0:1], v[0:1], v[196:197]
	ds_read_b128 v[196:199], v2 offset:1664
	v_mul_f64 v[202:203], v[210:211], v[202:203]
	v_fma_f64 v[240:241], v[208:209], v[200:201], -v[202:203]
	ds_read_b128 v[200:203], v2 offset:1680
	s_waitcnt vmcnt(6) lgkmcnt(2)
	v_mul_f64 v[224:225], v[192:193], v[110:111]
	v_fmac_f64_e32 v[224:225], v[194:195], v[108:109]
	s_waitcnt vmcnt(5) lgkmcnt(1)
	v_mul_f64 v[208:209], v[196:197], v[114:115]
	v_add_f64 v[0:1], v[0:1], v[224:225]
	v_fmac_f64_e32 v[208:209], v[198:199], v[112:113]
	v_add_f64 v[208:209], v[0:1], v[208:209]
	v_mul_f64 v[0:1], v[222:223], v[206:207]
	v_fma_f64 v[0:1], v[220:221], v[204:205], -v[0:1]
	ds_read_b128 v[204:207], v2 offset:1696
	s_waitcnt vmcnt(4) lgkmcnt(1)
	v_mul_f64 v[210:211], v[200:201], v[118:119]
	v_fmac_f64_e32 v[210:211], v[202:203], v[116:117]
	v_add_f64 v[220:221], v[208:209], v[210:211]
	ds_read_b128 v[208:211], v2 offset:1712
	v_mul_f64 v[214:215], v[218:219], v[214:215]
	v_fma_f64 v[242:243], v[216:217], v[212:213], -v[214:215]
	ds_read_b128 v[212:215], v2 offset:1728
	s_waitcnt vmcnt(3) lgkmcnt(2)
	v_mul_f64 v[216:217], v[204:205], v[122:123]
	v_fmac_f64_e32 v[216:217], v[206:207], v[120:121]
	s_waitcnt vmcnt(2) lgkmcnt(1)
	v_mul_f64 v[218:219], v[208:209], v[130:131]
	v_add_f64 v[216:217], v[220:221], v[216:217]
	v_fmac_f64_e32 v[218:219], v[210:211], v[128:129]
	v_add_f64 v[216:217], v[216:217], v[218:219]
	s_waitcnt vmcnt(1) lgkmcnt(0)
	v_mul_f64 v[218:219], v[212:213], v[126:127]
	v_fmac_f64_e32 v[218:219], v[214:215], v[124:125]
	v_add_f64 v[220:221], v[216:217], v[218:219]
	ds_read_b128 v[216:219], v2 offset:1744
	ds_read_b128 v[224:227], v2 offset:1760
	scratch_load_dwordx4 v[232:235], off, off offset:896
	v_accvgpr_write_b32 a115, v1
	v_accvgpr_write_b32 a114, v0
	s_waitcnt vmcnt(1) lgkmcnt(1)
	v_mul_f64 v[222:223], v[216:217], v[134:135]
	v_fmac_f64_e32 v[222:223], v[218:219], v[132:133]
	v_add_f64 v[228:229], v[220:221], v[222:223]
	scratch_load_dwordx4 v[220:223], off, off offset:880
	v_mul_f64 v[6:7], v[42:43], v[6:7]
	v_fma_f64 v[4:5], v[40:41], v[4:5], -v[6:7]
	s_waitcnt vmcnt(0) lgkmcnt(0)
	v_mul_f64 v[230:231], v[224:225], v[222:223]
	v_fmac_f64_e32 v[230:231], v[226:227], v[220:221]
	v_add_f64 v[0:1], v[228:229], v[230:231]
	ds_read_b128 v[228:231], v2 offset:1776
	s_waitcnt lgkmcnt(0)
	v_mul_f64 v[2:3], v[228:229], v[234:235]
	v_fmac_f64_e32 v[2:3], v[230:231], v[232:233]
	v_add_f64 v[2:3], v[0:1], v[2:3]
	v_add_f64 v[0:1], v[244:245], 0
	;; [unrolled: 1-line block ×7, first 2 shown]
	scratch_load_dwordx4 v[236:239], off, off offset:256
	v_add_f64 v[0:1], v[0:1], v[252:253]
	v_add_f64 v[0:1], v[0:1], v[254:255]
	v_add_f64 v[244:245], v[0:1], v[240:241]
	v_accvgpr_read_b32 v0, a114
	v_accvgpr_read_b32 v1, a115
	v_add_f64 v[0:1], v[244:245], v[0:1]
	v_add_f64 v[0:1], v[0:1], v[242:243]
	;; [unrolled: 1-line block ×3, first 2 shown]
	v_mul_f64 v[4:5], v[66:67], v[10:11]
	v_fma_f64 v[4:5], v[64:65], v[8:9], -v[4:5]
	v_add_f64 v[0:1], v[0:1], v[4:5]
	v_mul_f64 v[4:5], v[62:63], v[14:15]
	v_fma_f64 v[4:5], v[60:61], v[12:13], -v[4:5]
	v_add_f64 v[0:1], v[0:1], v[4:5]
	;; [unrolled: 3-line block ×28, first 2 shown]
	s_waitcnt vmcnt(0)
	v_add_f64 v[4:5], v[236:237], -v[0:1]
	v_accvgpr_read_b32 v0, a112
	v_add_f64 v[6:7], v[238:239], -v[2:3]
	v_cmp_lt_u32_e32 vcc, 14, v0
	scratch_store_dwordx4 off, v[4:7], off offset:256
	s_and_saveexec_b64 s[0:1], vcc
	s_cbranch_execz .LBB55_321
; %bb.320:
	scratch_load_dwordx4 v[2:5], off, s49
	v_mov_b32_e32 v6, 0
	v_mov_b32_e32 v7, v6
	;; [unrolled: 1-line block ×4, first 2 shown]
	v_accvgpr_read_b32 v0, a113
	scratch_store_dwordx4 off, v[6:9], off offset:240
	s_waitcnt vmcnt(1)
	ds_write_b128 v0, v[2:5]
.LBB55_321:
	s_or_b64 exec, exec, s[0:1]
	s_waitcnt lgkmcnt(0)
	; wave barrier
	scratch_load_dwordx4 v[112:115], off, off offset:256
	scratch_load_dwordx4 v[116:119], off, off offset:272
	;; [unrolled: 1-line block ×30, first 2 shown]
	v_mov_b32_e32 v2, 0
	ds_read_b128 v[144:147], v2 offset:1136
	ds_read_b128 v[156:159], v2 offset:1152
	;; [unrolled: 1-line block ×20, first 2 shown]
	s_waitcnt vmcnt(29) lgkmcnt(14)
	v_mul_f64 v[0:1], v[144:145], v[114:115]
	s_waitcnt vmcnt(28)
	v_mul_f64 v[88:89], v[156:157], v[118:119]
	v_fmac_f64_e32 v[0:1], v[146:147], v[112:113]
	s_waitcnt vmcnt(27)
	v_mul_f64 v[90:91], v[168:169], v[122:123]
	v_fmac_f64_e32 v[88:89], v[158:159], v[116:117]
	v_add_f64 v[0:1], v[0:1], 0
	s_waitcnt vmcnt(26)
	v_mul_f64 v[92:93], v[180:181], v[154:155]
	v_fmac_f64_e32 v[90:91], v[170:171], v[120:121]
	v_add_f64 v[0:1], v[0:1], v[88:89]
	;; [unrolled: 4-line block ×4, first 2 shown]
	s_waitcnt vmcnt(23) lgkmcnt(13)
	v_mul_f64 v[98:99], v[212:213], v[174:175]
	v_fmac_f64_e32 v[96:97], v[206:207], v[164:165]
	v_add_f64 v[0:1], v[0:1], v[94:95]
	s_waitcnt vmcnt(22) lgkmcnt(12)
	v_mul_f64 v[100:101], v[216:217], v[178:179]
	v_fmac_f64_e32 v[98:99], v[214:215], v[172:173]
	v_add_f64 v[0:1], v[0:1], v[96:97]
	;; [unrolled: 4-line block ×9, first 2 shown]
	v_fmac_f64_e32 v[126:127], v[82:83], v[234:235]
	v_add_f64 v[0:1], v[0:1], v[124:125]
	scratch_load_dwordx4 v[88:91], off, off offset:736
	s_waitcnt vmcnt(15) lgkmcnt(4)
	v_mul_f64 v[128:129], v[76:77], v[14:15]
	v_add_f64 v[0:1], v[0:1], v[126:127]
	ds_read_b128 v[124:127], v2 offset:1408
	v_fmac_f64_e32 v[128:129], v[78:79], v[12:13]
	v_add_f64 v[0:1], v[0:1], v[128:129]
	ds_read_b128 v[128:131], v2 offset:1424
	s_waitcnt vmcnt(14) lgkmcnt(5)
	v_mul_f64 v[92:93], v[72:73], v[18:19]
	v_fmac_f64_e32 v[92:93], v[74:75], v[16:17]
	v_add_f64 v[0:1], v[0:1], v[92:93]
	s_waitcnt vmcnt(13) lgkmcnt(1)
	v_mul_f64 v[96:97], v[124:125], v[22:23]
	scratch_load_dwordx4 v[92:95], off, off offset:752
	v_fmac_f64_e32 v[96:97], v[126:127], v[20:21]
	v_add_f64 v[0:1], v[0:1], v[96:97]
	s_waitcnt vmcnt(13) lgkmcnt(0)
	v_mul_f64 v[100:101], v[128:129], v[26:27]
	scratch_load_dwordx4 v[96:99], off, off offset:768
	v_fmac_f64_e32 v[100:101], v[130:131], v[24:25]
	v_add_f64 v[0:1], v[0:1], v[100:101]
	scratch_load_dwordx4 v[100:103], off, off offset:784
	s_waitcnt vmcnt(14)
	v_mul_f64 v[104:105], v[132:133], v[30:31]
	v_fmac_f64_e32 v[104:105], v[134:135], v[28:29]
	v_add_f64 v[0:1], v[0:1], v[104:105]
	s_waitcnt vmcnt(13)
	v_mul_f64 v[104:105], v[136:137], v[34:35]
	v_fmac_f64_e32 v[104:105], v[138:139], v[32:33]
	v_add_f64 v[0:1], v[0:1], v[104:105]
	scratch_load_dwordx4 v[104:107], off, off offset:800
	s_waitcnt vmcnt(13)
	v_mul_f64 v[108:109], v[140:141], v[38:39]
	v_fmac_f64_e32 v[108:109], v[142:143], v[36:37]
	v_add_f64 v[0:1], v[0:1], v[108:109]
	scratch_load_dwordx4 v[108:111], off, off offset:816
	v_mul_f64 v[114:115], v[146:147], v[114:115]
	v_fma_f64 v[246:247], v[144:145], v[112:113], -v[114:115]
	v_mul_f64 v[112:113], v[158:159], v[118:119]
	ds_read_b128 v[148:151], v2 offset:1488
	ds_read_b128 v[144:147], v2 offset:1504
	v_fma_f64 v[248:249], v[156:157], v[116:117], -v[112:113]
	scratch_load_dwordx4 v[116:119], off, off offset:832
	scratch_load_dwordx4 v[112:115], off, off offset:848
	v_mul_f64 v[122:123], v[170:171], v[122:123]
	v_fma_f64 v[250:251], v[168:169], v[120:121], -v[122:123]
	scratch_load_dwordx4 v[120:123], off, off offset:864
	s_waitcnt vmcnt(16) lgkmcnt(1)
	v_mul_f64 v[156:157], v[148:149], v[42:43]
	v_fmac_f64_e32 v[156:157], v[150:151], v[40:41]
	v_mul_f64 v[154:155], v[182:183], v[154:155]
	v_add_f64 v[0:1], v[0:1], v[156:157]
	v_fma_f64 v[252:253], v[180:181], v[152:153], -v[154:155]
	ds_read_b128 v[152:155], v2 offset:1520
	s_waitcnt vmcnt(15) lgkmcnt(1)
	v_mul_f64 v[156:157], v[144:145], v[46:47]
	v_fmac_f64_e32 v[156:157], v[146:147], v[44:45]
	v_add_f64 v[0:1], v[0:1], v[156:157]
	ds_read_b128 v[156:159], v2 offset:1536
	v_mul_f64 v[162:163], v[194:195], v[162:163]
	v_fma_f64 v[254:255], v[192:193], v[160:161], -v[162:163]
	ds_read_b128 v[160:163], v2 offset:1552
	s_waitcnt vmcnt(14) lgkmcnt(2)
	v_mul_f64 v[168:169], v[152:153], v[50:51]
	v_fmac_f64_e32 v[168:169], v[154:155], v[48:49]
	v_add_f64 v[0:1], v[0:1], v[168:169]
	s_waitcnt vmcnt(13) lgkmcnt(1)
	v_mul_f64 v[168:169], v[156:157], v[54:55]
	v_fmac_f64_e32 v[168:169], v[158:159], v[52:53]
	v_mul_f64 v[166:167], v[206:207], v[166:167]
	v_add_f64 v[0:1], v[0:1], v[168:169]
	v_fma_f64 v[232:233], v[204:205], v[164:165], -v[166:167]
	ds_read_b128 v[164:167], v2 offset:1568
	s_waitcnt vmcnt(12) lgkmcnt(1)
	v_mul_f64 v[168:169], v[160:161], v[58:59]
	v_fmac_f64_e32 v[168:169], v[162:163], v[56:57]
	v_add_f64 v[0:1], v[0:1], v[168:169]
	ds_read_b128 v[168:171], v2 offset:1584
	v_accvgpr_write_b32 a117, v7
	v_accvgpr_write_b32 a116, v6
	;; [unrolled: 1-line block ×4, first 2 shown]
	s_waitcnt vmcnt(11) lgkmcnt(1)
	v_mul_f64 v[6:7], v[164:165], v[62:63]
	v_mul_f64 v[174:175], v[214:215], v[174:175]
	v_fmac_f64_e32 v[6:7], v[166:167], v[60:61]
	v_fma_f64 v[8:9], v[212:213], v[172:173], -v[174:175]
	ds_read_b128 v[172:175], v2 offset:1600
	v_add_f64 v[0:1], v[0:1], v[6:7]
	s_waitcnt vmcnt(10) lgkmcnt(1)
	v_mul_f64 v[6:7], v[168:169], v[66:67]
	v_fmac_f64_e32 v[6:7], v[170:171], v[64:65]
	v_add_f64 v[0:1], v[0:1], v[6:7]
	v_mul_f64 v[6:7], v[218:219], v[178:179]
	v_fma_f64 v[4:5], v[216:217], v[176:177], -v[6:7]
	ds_read_b128 v[176:179], v2 offset:1616
	ds_read_b128 v[180:183], v2 offset:1632
	s_waitcnt vmcnt(9) lgkmcnt(2)
	v_mul_f64 v[6:7], v[172:173], v[70:71]
	v_fmac_f64_e32 v[6:7], v[174:175], v[68:69]
	v_add_f64 v[0:1], v[0:1], v[6:7]
	s_waitcnt vmcnt(8) lgkmcnt(1)
	v_mul_f64 v[6:7], v[176:177], v[90:91]
	v_fmac_f64_e32 v[6:7], v[178:179], v[88:89]
	v_add_f64 v[0:1], v[0:1], v[6:7]
	v_mul_f64 v[6:7], v[222:223], v[186:187]
	v_fma_f64 v[10:11], v[220:221], v[184:185], -v[6:7]
	ds_read_b128 v[184:187], v2 offset:1648
	v_mul_f64 v[6:7], v[226:227], v[190:191]
	v_fma_f64 v[6:7], v[224:225], v[188:189], -v[6:7]
	ds_read_b128 v[188:191], v2 offset:1664
	s_waitcnt vmcnt(7) lgkmcnt(2)
	v_mul_f64 v[192:193], v[180:181], v[94:95]
	v_fmac_f64_e32 v[192:193], v[182:183], v[92:93]
	v_add_f64 v[0:1], v[0:1], v[192:193]
	s_waitcnt vmcnt(6) lgkmcnt(1)
	v_mul_f64 v[192:193], v[184:185], v[98:99]
	v_fmac_f64_e32 v[192:193], v[186:187], v[96:97]
	v_add_f64 v[0:1], v[0:1], v[192:193]
	s_waitcnt vmcnt(5) lgkmcnt(0)
	v_mul_f64 v[204:205], v[188:189], v[102:103]
	ds_read_b128 v[192:195], v2 offset:1680
	v_fmac_f64_e32 v[204:205], v[190:191], v[100:101]
	v_add_f64 v[204:205], v[0:1], v[204:205]
	v_mul_f64 v[0:1], v[230:231], v[198:199]
	v_fma_f64 v[0:1], v[228:229], v[196:197], -v[0:1]
	ds_read_b128 v[196:199], v2 offset:1696
	v_mul_f64 v[202:203], v[240:241], v[202:203]
	s_waitcnt vmcnt(4) lgkmcnt(1)
	v_mul_f64 v[206:207], v[192:193], v[106:107]
	v_fma_f64 v[238:239], v[238:239], v[200:201], -v[202:203]
	ds_read_b128 v[200:203], v2 offset:1712
	v_fmac_f64_e32 v[206:207], v[194:195], v[104:105]
	v_add_f64 v[212:213], v[204:205], v[206:207]
	ds_read_b128 v[204:207], v2 offset:1728
	s_waitcnt vmcnt(3) lgkmcnt(2)
	v_mul_f64 v[214:215], v[196:197], v[110:111]
	v_mul_f64 v[210:211], v[244:245], v[210:211]
	v_fmac_f64_e32 v[214:215], v[198:199], v[108:109]
	v_fma_f64 v[240:241], v[242:243], v[208:209], -v[210:211]
	ds_read_b128 v[208:211], v2 offset:1744
	ds_read_b128 v[216:219], v2 offset:1760
	v_add_f64 v[212:213], v[212:213], v[214:215]
	s_waitcnt vmcnt(2) lgkmcnt(3)
	v_mul_f64 v[214:215], v[200:201], v[118:119]
	v_fmac_f64_e32 v[214:215], v[202:203], v[116:117]
	v_add_f64 v[212:213], v[212:213], v[214:215]
	s_waitcnt vmcnt(1) lgkmcnt(2)
	v_mul_f64 v[214:215], v[204:205], v[114:115]
	v_fmac_f64_e32 v[214:215], v[206:207], v[112:113]
	;; [unrolled: 4-line block ×3, first 2 shown]
	v_add_f64 v[220:221], v[212:213], v[214:215]
	scratch_load_dwordx4 v[212:215], off, off offset:880
	ds_read_b128 v[224:227], v2 offset:1776
	s_waitcnt vmcnt(0) lgkmcnt(1)
	v_mul_f64 v[222:223], v[216:217], v[214:215]
	v_fmac_f64_e32 v[222:223], v[218:219], v[212:213]
	v_add_f64 v[228:229], v[220:221], v[222:223]
	scratch_load_dwordx4 v[220:223], off, off offset:896
	s_waitcnt vmcnt(0) lgkmcnt(0)
	v_mul_f64 v[230:231], v[224:225], v[222:223]
	v_fmac_f64_e32 v[230:231], v[226:227], v[220:221]
	v_add_f64 v[244:245], v[228:229], v[230:231]
	v_add_f64 v[228:229], v[246:247], 0
	;; [unrolled: 1-line block ×8, first 2 shown]
	scratch_load_dwordx4 v[228:231], off, off offset:240
	v_add_f64 v[4:5], v[8:9], v[4:5]
	v_add_f64 v[242:243], v[4:5], v[10:11]
	;; [unrolled: 1-line block ×3, first 2 shown]
	v_accvgpr_read_b32 v6, a114
	v_add_f64 v[0:1], v[4:5], v[0:1]
	v_accvgpr_read_b32 v8, a116
	v_accvgpr_read_b32 v9, a117
	v_add_f64 v[0:1], v[0:1], v[238:239]
	v_accvgpr_read_b32 v7, a115
	v_mul_f64 v[4:5], v[86:87], v[8:9]
	v_add_f64 v[0:1], v[0:1], v[240:241]
	v_fma_f64 v[4:5], v[84:85], v[6:7], -v[4:5]
	v_add_f64 v[0:1], v[0:1], v[4:5]
	v_mul_f64 v[4:5], v[82:83], v[236:237]
	v_fma_f64 v[4:5], v[80:81], v[234:235], -v[4:5]
	v_add_f64 v[0:1], v[0:1], v[4:5]
	v_mul_f64 v[4:5], v[78:79], v[14:15]
	;; [unrolled: 3-line block ×27, first 2 shown]
	v_fma_f64 v[4:5], v[224:225], v[220:221], -v[4:5]
	v_add_f64 v[0:1], v[0:1], v[4:5]
	s_waitcnt vmcnt(0)
	v_add_f64 v[4:5], v[228:229], -v[0:1]
	v_accvgpr_read_b32 v0, a112
	v_add_f64 v[6:7], v[230:231], -v[244:245]
	v_cmp_lt_u32_e32 vcc, 13, v0
	scratch_store_dwordx4 off, v[4:7], off offset:240
	s_and_saveexec_b64 s[0:1], vcc
	s_cbranch_execz .LBB55_323
; %bb.322:
	scratch_load_dwordx4 v[6:9], off, s48
	v_mov_b32_e32 v3, v2
	v_mov_b32_e32 v4, v2
	v_mov_b32_e32 v5, v2
	v_accvgpr_read_b32 v0, a113
	scratch_store_dwordx4 off, v[2:5], off offset:224
	s_waitcnt vmcnt(1)
	ds_write_b128 v0, v[6:9]
.LBB55_323:
	s_or_b64 exec, exec, s[0:1]
	s_waitcnt lgkmcnt(0)
	; wave barrier
	scratch_load_dwordx4 v[88:91], off, off offset:240
	scratch_load_dwordx4 v[92:95], off, off offset:256
	scratch_load_dwordx4 v[96:99], off, off offset:272
	scratch_load_dwordx4 v[100:103], off, off offset:288
	scratch_load_dwordx4 v[104:107], off, off offset:304
	scratch_load_dwordx4 v[108:111], off, off offset:320
	scratch_load_dwordx4 v[112:115], off, off offset:336
	scratch_load_dwordx4 v[116:119], off, off offset:352
	scratch_load_dwordx4 v[120:123], off, off offset:368
	scratch_load_dwordx4 v[124:127], off, off offset:384
	scratch_load_dwordx4 v[128:131], off, off offset:400
	scratch_load_dwordx4 v[132:135], off, off offset:416
	scratch_load_dwordx4 v[136:139], off, off offset:432
	scratch_load_dwordx4 v[4:7], off, off offset:448
	scratch_load_dwordx4 v[8:11], off, off offset:464
	scratch_load_dwordx4 v[12:15], off, off offset:480
	scratch_load_dwordx4 v[16:19], off, off offset:496
	ds_read_b128 v[212:215], v2 offset:1120
	ds_read_b128 v[204:207], v2 offset:1136
	;; [unrolled: 1-line block ×3, first 2 shown]
	scratch_load_dwordx4 v[20:23], off, off offset:512
	ds_read_b128 v[216:219], v2 offset:1168
	ds_read_b128 v[208:211], v2 offset:1184
	;; [unrolled: 1-line block ×5, first 2 shown]
	scratch_load_dwordx4 v[24:27], off, off offset:528
	ds_read_b128 v[180:183], v2 offset:1248
	ds_read_b128 v[160:163], v2 offset:1264
	;; [unrolled: 1-line block ×3, first 2 shown]
	scratch_load_dwordx4 v[28:31], off, off offset:544
	ds_read_b128 v[172:175], v2 offset:1296
	ds_read_b128 v[148:151], v2 offset:1312
	ds_read_b128 v[44:47], v2 offset:1328
	ds_read_b128 v[40:43], v2 offset:1344
	ds_read_b128 v[32:35], v2 offset:1360
	scratch_load_dwordx4 v[36:39], off, off offset:560
	ds_read_b128 v[48:51], v2 offset:1376
	scratch_load_dwordx4 v[52:55], off, off offset:576
	scratch_load_dwordx4 v[56:59], off, off offset:592
	;; [unrolled: 1-line block ×9, first 2 shown]
	ds_read_b128 v[140:143], v2 offset:1392
	ds_read_b128 v[232:235], v2 offset:1456
	;; [unrolled: 1-line block ×3, first 2 shown]
	s_waitcnt vmcnt(29) lgkmcnt(14)
	v_mul_f64 v[0:1], v[212:213], v[90:91]
	s_waitcnt vmcnt(28)
	v_mul_f64 v[152:153], v[204:205], v[94:95]
	v_fmac_f64_e32 v[0:1], v[214:215], v[88:89]
	s_waitcnt vmcnt(27)
	v_mul_f64 v[154:155], v[196:197], v[98:99]
	v_fmac_f64_e32 v[152:153], v[206:207], v[92:93]
	v_add_f64 v[0:1], v[0:1], 0
	s_waitcnt vmcnt(26)
	v_mul_f64 v[164:165], v[216:217], v[102:103]
	v_fmac_f64_e32 v[154:155], v[198:199], v[96:97]
	v_add_f64 v[0:1], v[0:1], v[152:153]
	s_waitcnt vmcnt(25)
	v_mul_f64 v[166:167], v[208:209], v[106:107]
	v_fmac_f64_e32 v[164:165], v[218:219], v[100:101]
	v_add_f64 v[0:1], v[0:1], v[154:155]
	s_waitcnt vmcnt(24)
	v_mul_f64 v[168:169], v[200:201], v[110:111]
	v_fmac_f64_e32 v[166:167], v[210:211], v[104:105]
	v_add_f64 v[0:1], v[0:1], v[164:165]
	s_waitcnt vmcnt(23) lgkmcnt(13)
	v_mul_f64 v[170:171], v[184:185], v[114:115]
	v_fmac_f64_e32 v[168:169], v[202:203], v[108:109]
	v_add_f64 v[0:1], v[0:1], v[166:167]
	s_waitcnt vmcnt(22) lgkmcnt(12)
	v_mul_f64 v[176:177], v[156:157], v[118:119]
	v_fmac_f64_e32 v[170:171], v[186:187], v[112:113]
	v_add_f64 v[0:1], v[0:1], v[168:169]
	;; [unrolled: 4-line block ×10, first 2 shown]
	v_fmac_f64_e32 v[224:225], v[34:35], v[12:13]
	v_add_f64 v[0:1], v[0:1], v[222:223]
	ds_read_b128 v[220:223], v2 offset:1408
	v_add_f64 v[0:1], v[0:1], v[224:225]
	ds_read_b128 v[224:227], v2 offset:1424
	s_waitcnt vmcnt(13) lgkmcnt(5)
	v_mul_f64 v[164:165], v[48:49], v[18:19]
	scratch_load_dwordx4 v[152:155], off, off offset:720
	v_fmac_f64_e32 v[164:165], v[50:51], v[16:17]
	s_waitcnt vmcnt(13) lgkmcnt(4)
	v_mul_f64 v[168:169], v[140:141], v[22:23]
	v_add_f64 v[0:1], v[0:1], v[164:165]
	v_fmac_f64_e32 v[168:169], v[142:143], v[20:21]
	scratch_load_dwordx4 v[164:167], off, off offset:736
	v_add_f64 v[0:1], v[0:1], v[168:169]
	s_waitcnt vmcnt(13) lgkmcnt(1)
	v_mul_f64 v[176:177], v[220:221], v[26:27]
	scratch_load_dwordx4 v[168:171], off, off offset:752
	v_fmac_f64_e32 v[176:177], v[222:223], v[24:25]
	s_waitcnt vmcnt(13) lgkmcnt(0)
	v_mul_f64 v[188:189], v[224:225], v[30:31]
	v_add_f64 v[0:1], v[0:1], v[176:177]
	scratch_load_dwordx4 v[176:179], off, off offset:768
	v_fmac_f64_e32 v[188:189], v[226:227], v[28:29]
	v_add_f64 v[0:1], v[0:1], v[188:189]
	s_waitcnt vmcnt(13)
	v_mul_f64 v[188:189], v[228:229], v[38:39]
	v_fmac_f64_e32 v[188:189], v[230:231], v[36:37]
	v_add_f64 v[0:1], v[0:1], v[188:189]
	scratch_load_dwordx4 v[188:191], off, off offset:784
	s_waitcnt vmcnt(13)
	v_mul_f64 v[192:193], v[232:233], v[54:55]
	v_fmac_f64_e32 v[192:193], v[234:235], v[52:53]
	v_mul_f64 v[90:91], v[214:215], v[90:91]
	v_add_f64 v[0:1], v[0:1], v[192:193]
	scratch_load_dwordx4 v[192:195], off, off offset:800
	v_fma_f64 v[244:245], v[212:213], v[88:89], -v[90:91]
	v_mul_f64 v[88:89], v[206:207], v[94:95]
	ds_read_b128 v[236:239], v2 offset:1472
	ds_read_b128 v[212:215], v2 offset:1488
	v_fma_f64 v[246:247], v[204:205], v[92:93], -v[88:89]
	scratch_load_dwordx4 v[92:95], off, off offset:816
	scratch_load_dwordx4 v[88:91], off, off offset:832
	v_mul_f64 v[98:99], v[198:199], v[98:99]
	v_fma_f64 v[248:249], v[196:197], v[96:97], -v[98:99]
	scratch_load_dwordx4 v[96:99], off, off offset:848
	s_waitcnt vmcnt(16) lgkmcnt(1)
	v_mul_f64 v[204:205], v[236:237], v[58:59]
	v_mul_f64 v[102:103], v[218:219], v[102:103]
	v_fmac_f64_e32 v[204:205], v[238:239], v[56:57]
	v_fma_f64 v[216:217], v[216:217], v[100:101], -v[102:103]
	ds_read_b128 v[100:103], v2 offset:1504
	s_waitcnt vmcnt(15) lgkmcnt(1)
	v_mul_f64 v[196:197], v[212:213], v[62:63]
	v_add_f64 v[0:1], v[0:1], v[204:205]
	v_fmac_f64_e32 v[196:197], v[214:215], v[60:61]
	v_add_f64 v[0:1], v[0:1], v[196:197]
	ds_read_b128 v[196:199], v2 offset:1520
	v_mul_f64 v[106:107], v[210:211], v[106:107]
	v_fma_f64 v[218:219], v[208:209], v[104:105], -v[106:107]
	ds_read_b128 v[104:107], v2 offset:1536
	s_waitcnt vmcnt(14) lgkmcnt(2)
	v_mul_f64 v[204:205], v[100:101], v[66:67]
	v_fmac_f64_e32 v[204:205], v[102:103], v[64:65]
	v_add_f64 v[0:1], v[0:1], v[204:205]
	s_waitcnt vmcnt(13) lgkmcnt(1)
	v_mul_f64 v[204:205], v[196:197], v[70:71]
	v_mul_f64 v[110:111], v[202:203], v[110:111]
	v_fmac_f64_e32 v[204:205], v[198:199], v[68:69]
	v_fma_f64 v[250:251], v[200:201], v[108:109], -v[110:111]
	ds_read_b128 v[108:111], v2 offset:1552
	s_waitcnt vmcnt(12) lgkmcnt(1)
	v_mul_f64 v[200:201], v[104:105], v[74:75]
	v_add_f64 v[0:1], v[0:1], v[204:205]
	v_fmac_f64_e32 v[200:201], v[106:107], v[72:73]
	v_add_f64 v[0:1], v[0:1], v[200:201]
	ds_read_b128 v[200:203], v2 offset:1568
	v_mul_f64 v[114:115], v[186:187], v[114:115]
	v_fma_f64 v[252:253], v[184:185], v[112:113], -v[114:115]
	ds_read_b128 v[112:115], v2 offset:1584
	s_waitcnt vmcnt(11) lgkmcnt(2)
	v_mul_f64 v[184:185], v[108:109], v[78:79]
	v_fmac_f64_e32 v[184:185], v[110:111], v[76:77]
	v_add_f64 v[0:1], v[0:1], v[184:185]
	s_waitcnt vmcnt(10) lgkmcnt(1)
	v_mul_f64 v[184:185], v[200:201], v[82:83]
	v_mul_f64 v[118:119], v[158:159], v[118:119]
	v_fmac_f64_e32 v[184:185], v[202:203], v[80:81]
	v_fma_f64 v[254:255], v[156:157], v[116:117], -v[118:119]
	s_waitcnt vmcnt(9) lgkmcnt(0)
	v_mul_f64 v[156:157], v[112:113], v[86:87]
	v_add_f64 v[0:1], v[0:1], v[184:185]
	ds_read_b128 v[116:119], v2 offset:1600
	v_fmac_f64_e32 v[156:157], v[114:115], v[84:85]
	v_add_f64 v[0:1], v[0:1], v[156:157]
	ds_read_b128 v[156:159], v2 offset:1616
	v_mul_f64 v[122:123], v[182:183], v[122:123]
	v_fma_f64 v[240:241], v[180:181], v[120:121], -v[122:123]
	ds_read_b128 v[120:123], v2 offset:1632
	v_accvgpr_write_b32 a117, v7
	v_mul_f64 v[126:127], v[162:163], v[126:127]
	v_accvgpr_write_b32 a116, v6
	v_accvgpr_write_b32 a115, v5
	;; [unrolled: 1-line block ×3, first 2 shown]
	v_fma_f64 v[4:5], v[160:161], v[124:125], -v[126:127]
	ds_read_b128 v[124:127], v2 offset:1648
	s_waitcnt vmcnt(8) lgkmcnt(3)
	v_mul_f64 v[184:185], v[116:117], v[154:155]
	v_fmac_f64_e32 v[184:185], v[118:119], v[152:153]
	s_waitcnt vmcnt(7) lgkmcnt(2)
	v_mul_f64 v[180:181], v[156:157], v[166:167]
	v_add_f64 v[0:1], v[0:1], v[184:185]
	v_fmac_f64_e32 v[180:181], v[158:159], v[164:165]
	s_waitcnt vmcnt(6) lgkmcnt(1)
	v_mul_f64 v[6:7], v[120:121], v[170:171]
	ds_read_b128 v[160:163], v2 offset:1664
	v_add_f64 v[0:1], v[0:1], v[180:181]
	v_fmac_f64_e32 v[6:7], v[122:123], v[168:169]
	v_add_f64 v[0:1], v[0:1], v[6:7]
	s_waitcnt vmcnt(5) lgkmcnt(1)
	v_mul_f64 v[6:7], v[124:125], v[178:179]
	v_fmac_f64_e32 v[6:7], v[126:127], v[176:177]
	v_add_f64 v[0:1], v[0:1], v[6:7]
	v_mul_f64 v[6:7], v[146:147], v[130:131]
	v_fma_f64 v[6:7], v[144:145], v[128:129], -v[6:7]
	ds_read_b128 v[128:131], v2 offset:1680
	s_waitcnt vmcnt(4) lgkmcnt(1)
	v_mul_f64 v[144:145], v[160:161], v[190:191]
	v_fmac_f64_e32 v[144:145], v[162:163], v[188:189]
	v_add_f64 v[180:181], v[0:1], v[144:145]
	v_mul_f64 v[0:1], v[174:175], v[134:135]
	v_fma_f64 v[0:1], v[172:173], v[132:133], -v[0:1]
	ds_read_b128 v[132:135], v2 offset:1696
	ds_read_b128 v[144:147], v2 offset:1712
	v_mul_f64 v[138:139], v[150:151], v[138:139]
	v_fma_f64 v[242:243], v[148:149], v[136:137], -v[138:139]
	ds_read_b128 v[136:139], v2 offset:1728
	s_waitcnt vmcnt(3) lgkmcnt(3)
	v_mul_f64 v[172:173], v[128:129], v[194:195]
	v_fmac_f64_e32 v[172:173], v[130:131], v[192:193]
	s_waitcnt vmcnt(2) lgkmcnt(2)
	v_mul_f64 v[148:149], v[132:133], v[94:95]
	v_add_f64 v[172:173], v[180:181], v[172:173]
	v_fmac_f64_e32 v[148:149], v[134:135], v[92:93]
	s_waitcnt vmcnt(1) lgkmcnt(1)
	v_mul_f64 v[150:151], v[144:145], v[90:91]
	v_add_f64 v[148:149], v[172:173], v[148:149]
	v_fmac_f64_e32 v[150:151], v[146:147], v[88:89]
	v_add_f64 v[148:149], v[148:149], v[150:151]
	ds_read_b128 v[172:175], v2 offset:1744
	scratch_load_dwordx4 v[208:211], off, off offset:896
	s_waitcnt vmcnt(1) lgkmcnt(1)
	v_mul_f64 v[150:151], v[136:137], v[98:99]
	v_fmac_f64_e32 v[150:151], v[138:139], v[96:97]
	v_add_f64 v[180:181], v[148:149], v[150:151]
	scratch_load_dwordx4 v[148:151], off, off offset:864
	ds_read_b128 v[184:187], v2 offset:1760
	v_accvgpr_write_b32 a119, v1
	v_accvgpr_write_b32 a118, v0
	s_waitcnt vmcnt(0) lgkmcnt(1)
	v_mul_f64 v[182:183], v[172:173], v[150:151]
	v_fmac_f64_e32 v[182:183], v[174:175], v[148:149]
	v_add_f64 v[204:205], v[180:181], v[182:183]
	scratch_load_dwordx4 v[180:183], off, off offset:880
	s_waitcnt vmcnt(0) lgkmcnt(0)
	v_mul_f64 v[206:207], v[184:185], v[182:183]
	v_fmac_f64_e32 v[206:207], v[186:187], v[180:181]
	v_add_f64 v[0:1], v[204:205], v[206:207]
	ds_read_b128 v[204:207], v2 offset:1776
	s_waitcnt lgkmcnt(0)
	v_mul_f64 v[2:3], v[204:205], v[210:211]
	v_fmac_f64_e32 v[2:3], v[206:207], v[208:209]
	v_add_f64 v[2:3], v[0:1], v[2:3]
	v_add_f64 v[0:1], v[244:245], 0
	;; [unrolled: 1-line block ×6, first 2 shown]
	scratch_load_dwordx4 v[216:219], off, off offset:224
	v_add_f64 v[0:1], v[0:1], v[250:251]
	v_add_f64 v[0:1], v[0:1], v[252:253]
	;; [unrolled: 1-line block ×6, first 2 shown]
	v_accvgpr_read_b32 v0, a118
	v_accvgpr_read_b32 v1, a119
	v_add_f64 v[0:1], v[244:245], v[0:1]
	v_add_f64 v[0:1], v[0:1], v[242:243]
	v_accvgpr_read_b32 v243, a117
	v_accvgpr_read_b32 v242, a116
	;; [unrolled: 1-line block ×4, first 2 shown]
	v_mul_f64 v[4:5], v[46:47], v[242:243]
	v_fma_f64 v[4:5], v[44:45], v[240:241], -v[4:5]
	v_add_f64 v[0:1], v[0:1], v[4:5]
	v_mul_f64 v[4:5], v[42:43], v[10:11]
	v_fma_f64 v[4:5], v[40:41], v[8:9], -v[4:5]
	v_add_f64 v[0:1], v[0:1], v[4:5]
	v_mul_f64 v[4:5], v[34:35], v[14:15]
	v_fma_f64 v[4:5], v[32:33], v[12:13], -v[4:5]
	v_add_f64 v[0:1], v[0:1], v[4:5]
	v_mul_f64 v[4:5], v[50:51], v[18:19]
	v_fma_f64 v[4:5], v[48:49], v[16:17], -v[4:5]
	v_add_f64 v[0:1], v[0:1], v[4:5]
	v_mul_f64 v[4:5], v[142:143], v[22:23]
	v_fma_f64 v[4:5], v[140:141], v[20:21], -v[4:5]
	v_add_f64 v[0:1], v[0:1], v[4:5]
	v_mul_f64 v[4:5], v[222:223], v[26:27]
	v_fma_f64 v[4:5], v[220:221], v[24:25], -v[4:5]
	v_add_f64 v[0:1], v[0:1], v[4:5]
	v_mul_f64 v[4:5], v[226:227], v[30:31]
	v_fma_f64 v[4:5], v[224:225], v[28:29], -v[4:5]
	v_add_f64 v[0:1], v[0:1], v[4:5]
	v_mul_f64 v[4:5], v[230:231], v[38:39]
	v_fma_f64 v[4:5], v[228:229], v[36:37], -v[4:5]
	v_add_f64 v[0:1], v[0:1], v[4:5]
	v_mul_f64 v[4:5], v[234:235], v[54:55]
	v_fma_f64 v[4:5], v[232:233], v[52:53], -v[4:5]
	v_add_f64 v[0:1], v[0:1], v[4:5]
	v_mul_f64 v[4:5], v[238:239], v[58:59]
	v_fma_f64 v[4:5], v[236:237], v[56:57], -v[4:5]
	v_add_f64 v[0:1], v[0:1], v[4:5]
	v_mul_f64 v[4:5], v[214:215], v[62:63]
	v_fma_f64 v[4:5], v[212:213], v[60:61], -v[4:5]
	v_add_f64 v[0:1], v[0:1], v[4:5]
	v_mul_f64 v[4:5], v[102:103], v[66:67]
	v_fma_f64 v[4:5], v[100:101], v[64:65], -v[4:5]
	v_add_f64 v[0:1], v[0:1], v[4:5]
	v_mul_f64 v[4:5], v[198:199], v[70:71]
	v_fma_f64 v[4:5], v[196:197], v[68:69], -v[4:5]
	v_add_f64 v[0:1], v[0:1], v[4:5]
	v_mul_f64 v[4:5], v[106:107], v[74:75]
	v_fma_f64 v[4:5], v[104:105], v[72:73], -v[4:5]
	v_add_f64 v[0:1], v[0:1], v[4:5]
	v_mul_f64 v[4:5], v[110:111], v[78:79]
	v_fma_f64 v[4:5], v[108:109], v[76:77], -v[4:5]
	v_add_f64 v[0:1], v[0:1], v[4:5]
	v_mul_f64 v[4:5], v[202:203], v[82:83]
	v_fma_f64 v[4:5], v[200:201], v[80:81], -v[4:5]
	v_add_f64 v[0:1], v[0:1], v[4:5]
	v_mul_f64 v[4:5], v[114:115], v[86:87]
	v_fma_f64 v[4:5], v[112:113], v[84:85], -v[4:5]
	v_add_f64 v[0:1], v[0:1], v[4:5]
	v_mul_f64 v[4:5], v[118:119], v[154:155]
	v_fma_f64 v[4:5], v[116:117], v[152:153], -v[4:5]
	v_add_f64 v[0:1], v[0:1], v[4:5]
	v_mul_f64 v[4:5], v[158:159], v[166:167]
	v_fma_f64 v[4:5], v[156:157], v[164:165], -v[4:5]
	v_add_f64 v[0:1], v[0:1], v[4:5]
	v_mul_f64 v[4:5], v[122:123], v[170:171]
	v_fma_f64 v[4:5], v[120:121], v[168:169], -v[4:5]
	v_add_f64 v[0:1], v[0:1], v[4:5]
	v_mul_f64 v[4:5], v[126:127], v[178:179]
	v_fma_f64 v[4:5], v[124:125], v[176:177], -v[4:5]
	v_add_f64 v[0:1], v[0:1], v[4:5]
	v_mul_f64 v[4:5], v[162:163], v[190:191]
	v_fma_f64 v[4:5], v[160:161], v[188:189], -v[4:5]
	v_add_f64 v[0:1], v[0:1], v[4:5]
	v_mul_f64 v[4:5], v[130:131], v[194:195]
	v_fma_f64 v[4:5], v[128:129], v[192:193], -v[4:5]
	v_add_f64 v[0:1], v[0:1], v[4:5]
	v_mul_f64 v[4:5], v[134:135], v[94:95]
	v_fma_f64 v[4:5], v[132:133], v[92:93], -v[4:5]
	v_add_f64 v[0:1], v[0:1], v[4:5]
	v_mul_f64 v[4:5], v[146:147], v[90:91]
	v_fma_f64 v[4:5], v[144:145], v[88:89], -v[4:5]
	v_add_f64 v[0:1], v[0:1], v[4:5]
	v_mul_f64 v[4:5], v[138:139], v[98:99]
	v_fma_f64 v[4:5], v[136:137], v[96:97], -v[4:5]
	v_add_f64 v[0:1], v[0:1], v[4:5]
	v_mul_f64 v[4:5], v[174:175], v[150:151]
	v_fma_f64 v[4:5], v[172:173], v[148:149], -v[4:5]
	v_add_f64 v[0:1], v[0:1], v[4:5]
	v_mul_f64 v[4:5], v[186:187], v[182:183]
	v_fma_f64 v[4:5], v[184:185], v[180:181], -v[4:5]
	v_add_f64 v[0:1], v[0:1], v[4:5]
	v_mul_f64 v[4:5], v[206:207], v[210:211]
	v_fma_f64 v[4:5], v[204:205], v[208:209], -v[4:5]
	v_add_f64 v[0:1], v[0:1], v[4:5]
	s_waitcnt vmcnt(0)
	v_add_f64 v[4:5], v[216:217], -v[0:1]
	v_accvgpr_read_b32 v0, a112
	v_add_f64 v[6:7], v[218:219], -v[2:3]
	v_cmp_lt_u32_e32 vcc, 12, v0
	scratch_store_dwordx4 off, v[4:7], off offset:224
	s_and_saveexec_b64 s[0:1], vcc
	s_cbranch_execz .LBB55_325
; %bb.324:
	scratch_load_dwordx4 v[2:5], off, s47
	v_mov_b32_e32 v6, 0
	v_mov_b32_e32 v7, v6
	;; [unrolled: 1-line block ×4, first 2 shown]
	v_accvgpr_read_b32 v0, a113
	scratch_store_dwordx4 off, v[6:9], off offset:208
	s_waitcnt vmcnt(1)
	ds_write_b128 v0, v[2:5]
.LBB55_325:
	s_or_b64 exec, exec, s[0:1]
	s_waitcnt lgkmcnt(0)
	; wave barrier
	scratch_load_dwordx4 v[96:99], off, off offset:224
	scratch_load_dwordx4 v[100:103], off, off offset:240
	;; [unrolled: 1-line block ×30, first 2 shown]
	v_mov_b32_e32 v2, 0
	ds_read_b128 v[136:139], v2 offset:1104
	ds_read_b128 v[144:147], v2 offset:1120
	;; [unrolled: 1-line block ×20, first 2 shown]
	s_waitcnt vmcnt(29) lgkmcnt(14)
	v_mul_f64 v[0:1], v[136:137], v[98:99]
	s_waitcnt vmcnt(28)
	v_mul_f64 v[72:73], v[144:145], v[102:103]
	v_fmac_f64_e32 v[0:1], v[138:139], v[96:97]
	s_waitcnt vmcnt(27)
	v_mul_f64 v[74:75], v[148:149], v[106:107]
	v_fmac_f64_e32 v[72:73], v[146:147], v[100:101]
	v_add_f64 v[0:1], v[0:1], 0
	s_waitcnt vmcnt(26)
	v_mul_f64 v[76:77], v[164:165], v[110:111]
	v_fmac_f64_e32 v[74:75], v[150:151], v[104:105]
	v_add_f64 v[0:1], v[0:1], v[72:73]
	;; [unrolled: 4-line block ×4, first 2 shown]
	s_waitcnt vmcnt(23) lgkmcnt(13)
	v_mul_f64 v[82:83], v[200:201], v[158:159]
	v_fmac_f64_e32 v[80:81], v[190:191], v[152:153]
	v_add_f64 v[0:1], v[0:1], v[78:79]
	s_waitcnt vmcnt(22) lgkmcnt(12)
	v_mul_f64 v[84:85], v[208:209], v[162:163]
	v_fmac_f64_e32 v[82:83], v[202:203], v[156:157]
	v_add_f64 v[0:1], v[0:1], v[80:81]
	;; [unrolled: 4-line block ×9, first 2 shown]
	s_waitcnt vmcnt(14) lgkmcnt(4)
	v_mul_f64 v[120:121], v[68:69], v[6:7]
	v_fmac_f64_e32 v[118:119], v[244:245], v[204:205]
	v_accvgpr_write_b32 a117, v7
	v_add_f64 v[0:1], v[0:1], v[116:117]
	v_fmac_f64_e32 v[120:121], v[70:71], v[4:5]
	v_accvgpr_write_b32 a116, v6
	v_accvgpr_write_b32 a115, v5
	;; [unrolled: 1-line block ×3, first 2 shown]
	v_add_f64 v[0:1], v[0:1], v[118:119]
	ds_read_b128 v[116:119], v2 offset:1376
	s_waitcnt vmcnt(13)
	v_mov_b64_e32 v[4:5], v[8:9]
	v_mov_b64_e32 v[6:7], v[10:11]
	s_waitcnt lgkmcnt(4)
	v_mul_f64 v[76:77], v[64:65], v[6:7]
	scratch_load_dwordx4 v[72:75], off, off offset:704
	v_add_f64 v[0:1], v[0:1], v[120:121]
	v_fmac_f64_e32 v[76:77], v[66:67], v[4:5]
	v_add_f64 v[0:1], v[0:1], v[76:77]
	scratch_load_dwordx4 v[76:79], off, off offset:720
	ds_read_b128 v[120:123], v2 offset:1392
	s_waitcnt vmcnt(14) lgkmcnt(1)
	v_mul_f64 v[80:81], v[116:117], v[236:237]
	v_fmac_f64_e32 v[80:81], v[118:119], v[234:235]
	v_add_f64 v[0:1], v[0:1], v[80:81]
	scratch_load_dwordx4 v[80:83], off, off offset:736
	s_waitcnt vmcnt(14) lgkmcnt(0)
	v_mul_f64 v[84:85], v[120:121], v[18:19]
	v_fmac_f64_e32 v[84:85], v[122:123], v[16:17]
	s_waitcnt vmcnt(13)
	v_mul_f64 v[88:89], v[124:125], v[22:23]
	v_add_f64 v[0:1], v[0:1], v[84:85]
	v_fmac_f64_e32 v[88:89], v[126:127], v[20:21]
	scratch_load_dwordx4 v[84:87], off, off offset:752
	v_add_f64 v[0:1], v[0:1], v[88:89]
	s_waitcnt vmcnt(13)
	v_mul_f64 v[88:89], v[128:129], v[26:27]
	v_fmac_f64_e32 v[88:89], v[130:131], v[24:25]
	v_add_f64 v[0:1], v[0:1], v[88:89]
	scratch_load_dwordx4 v[88:91], off, off offset:768
	s_waitcnt vmcnt(13)
	v_mul_f64 v[92:93], v[132:133], v[30:31]
	v_fmac_f64_e32 v[92:93], v[134:135], v[28:29]
	v_add_f64 v[0:1], v[0:1], v[92:93]
	scratch_load_dwordx4 v[92:95], off, off offset:784
	v_mul_f64 v[98:99], v[138:139], v[98:99]
	v_fma_f64 v[246:247], v[136:137], v[96:97], -v[98:99]
	v_mul_f64 v[96:97], v[146:147], v[102:103]
	ds_read_b128 v[140:143], v2 offset:1456
	ds_read_b128 v[136:139], v2 offset:1472
	v_fma_f64 v[248:249], v[144:145], v[100:101], -v[96:97]
	scratch_load_dwordx4 v[100:103], off, off offset:800
	scratch_load_dwordx4 v[96:99], off, off offset:816
	s_waitcnt vmcnt(15) lgkmcnt(1)
	v_mul_f64 v[144:145], v[140:141], v[34:35]
	v_fmac_f64_e32 v[144:145], v[142:143], v[32:33]
	v_mul_f64 v[106:107], v[150:151], v[106:107]
	v_add_f64 v[0:1], v[0:1], v[144:145]
	s_waitcnt vmcnt(14) lgkmcnt(0)
	v_mul_f64 v[144:145], v[136:137], v[38:39]
	v_fma_f64 v[250:251], v[148:149], v[104:105], -v[106:107]
	v_mul_f64 v[104:105], v[166:167], v[110:111]
	v_fmac_f64_e32 v[144:145], v[138:139], v[36:37]
	v_fma_f64 v[252:253], v[164:165], v[108:109], -v[104:105]
	scratch_load_dwordx4 v[104:107], off, off offset:832
	v_add_f64 v[0:1], v[0:1], v[144:145]
	ds_read_b128 v[144:147], v2 offset:1488
	ds_read_b128 v[148:151], v2 offset:1504
	v_mul_f64 v[108:109], v[178:179], v[114:115]
	v_fma_f64 v[254:255], v[176:177], v[112:113], -v[108:109]
	scratch_load_dwordx4 v[108:111], off, off offset:848
	s_waitcnt vmcnt(15) lgkmcnt(1)
	v_mul_f64 v[112:113], v[144:145], v[42:43]
	v_fmac_f64_e32 v[112:113], v[146:147], v[40:41]
	v_add_f64 v[0:1], v[0:1], v[112:113]
	v_mul_f64 v[112:113], v[190:191], v[154:155]
	v_fma_f64 v[232:233], v[188:189], v[152:153], -v[112:113]
	scratch_load_dwordx4 v[112:115], off, off offset:864
	ds_read_b128 v[152:155], v2 offset:1520
	s_waitcnt vmcnt(15) lgkmcnt(1)
	v_mul_f64 v[164:165], v[148:149], v[46:47]
	v_mul_f64 v[158:159], v[202:203], v[158:159]
	v_fmac_f64_e32 v[164:165], v[150:151], v[44:45]
	v_fma_f64 v[12:13], v[200:201], v[156:157], -v[158:159]
	ds_read_b128 v[156:159], v2 offset:1536
	s_waitcnt vmcnt(14) lgkmcnt(1)
	v_mul_f64 v[6:7], v[152:153], v[50:51]
	v_add_f64 v[0:1], v[0:1], v[164:165]
	v_fmac_f64_e32 v[6:7], v[154:155], v[48:49]
	v_accvgpr_write_b32 a121, v11
	v_add_f64 v[0:1], v[0:1], v[6:7]
	v_mul_f64 v[6:7], v[210:211], v[162:163]
	v_accvgpr_write_b32 a120, v10
	v_accvgpr_write_b32 a119, v9
	;; [unrolled: 1-line block ×3, first 2 shown]
	v_fma_f64 v[8:9], v[208:209], v[160:161], -v[6:7]
	ds_read_b128 v[160:163], v2 offset:1552
	ds_read_b128 v[164:167], v2 offset:1568
	s_waitcnt vmcnt(13) lgkmcnt(2)
	v_mul_f64 v[6:7], v[156:157], v[54:55]
	v_fmac_f64_e32 v[6:7], v[158:159], v[52:53]
	v_add_f64 v[0:1], v[0:1], v[6:7]
	s_waitcnt vmcnt(12) lgkmcnt(1)
	v_mul_f64 v[6:7], v[160:161], v[62:63]
	v_fmac_f64_e32 v[6:7], v[162:163], v[60:61]
	v_add_f64 v[0:1], v[0:1], v[6:7]
	v_mul_f64 v[6:7], v[214:215], v[170:171]
	v_fma_f64 v[10:11], v[212:213], v[168:169], -v[6:7]
	s_waitcnt vmcnt(11) lgkmcnt(0)
	v_mul_f64 v[6:7], v[164:165], v[58:59]
	v_fmac_f64_e32 v[6:7], v[166:167], v[56:57]
	ds_read_b128 v[168:171], v2 offset:1584
	v_add_f64 v[0:1], v[0:1], v[6:7]
	v_mul_f64 v[6:7], v[218:219], v[174:175]
	v_fma_f64 v[4:5], v[216:217], v[172:173], -v[6:7]
	ds_read_b128 v[172:175], v2 offset:1600
	s_waitcnt vmcnt(10) lgkmcnt(1)
	v_mul_f64 v[6:7], v[168:169], v[74:75]
	ds_read_b128 v[176:179], v2 offset:1616
	v_fmac_f64_e32 v[6:7], v[170:171], v[72:73]
	v_add_f64 v[0:1], v[0:1], v[6:7]
	s_waitcnt vmcnt(9) lgkmcnt(1)
	v_mul_f64 v[6:7], v[172:173], v[78:79]
	v_fmac_f64_e32 v[6:7], v[174:175], v[76:77]
	v_add_f64 v[0:1], v[0:1], v[6:7]
	v_mul_f64 v[6:7], v[222:223], v[182:183]
	v_fma_f64 v[14:15], v[220:221], v[180:181], -v[6:7]
	ds_read_b128 v[180:183], v2 offset:1632
	s_waitcnt vmcnt(8) lgkmcnt(1)
	v_mul_f64 v[6:7], v[176:177], v[82:83]
	v_fmac_f64_e32 v[6:7], v[178:179], v[80:81]
	v_add_f64 v[0:1], v[0:1], v[6:7]
	v_mul_f64 v[6:7], v[226:227], v[186:187]
	v_fma_f64 v[6:7], v[224:225], v[184:185], -v[6:7]
	ds_read_b128 v[184:187], v2 offset:1648
	s_waitcnt vmcnt(7) lgkmcnt(1)
	v_mul_f64 v[188:189], v[180:181], v[86:87]
	v_fmac_f64_e32 v[188:189], v[182:183], v[84:85]
	v_add_f64 v[0:1], v[0:1], v[188:189]
	ds_read_b128 v[188:191], v2 offset:1664
	s_waitcnt vmcnt(6) lgkmcnt(1)
	v_mul_f64 v[200:201], v[184:185], v[90:91]
	v_fmac_f64_e32 v[200:201], v[186:187], v[88:89]
	v_add_f64 v[200:201], v[0:1], v[200:201]
	v_mul_f64 v[0:1], v[230:231], v[194:195]
	v_fma_f64 v[0:1], v[228:229], v[192:193], -v[0:1]
	ds_read_b128 v[192:195], v2 offset:1680
	s_waitcnt vmcnt(5) lgkmcnt(1)
	v_mul_f64 v[202:203], v[188:189], v[94:95]
	v_fmac_f64_e32 v[202:203], v[190:191], v[92:93]
	v_mul_f64 v[198:199], v[240:241], v[198:199]
	v_fma_f64 v[238:239], v[238:239], v[196:197], -v[198:199]
	ds_read_b128 v[196:199], v2 offset:1696
	v_add_f64 v[200:201], v[200:201], v[202:203]
	s_waitcnt vmcnt(4) lgkmcnt(1)
	v_mul_f64 v[202:203], v[192:193], v[102:103]
	v_fmac_f64_e32 v[202:203], v[194:195], v[100:101]
	v_add_f64 v[208:209], v[200:201], v[202:203]
	ds_read_b128 v[200:203], v2 offset:1712
	v_mul_f64 v[206:207], v[244:245], v[206:207]
	v_fma_f64 v[240:241], v[242:243], v[204:205], -v[206:207]
	ds_read_b128 v[204:207], v2 offset:1728
	s_waitcnt vmcnt(3) lgkmcnt(2)
	v_mul_f64 v[210:211], v[196:197], v[98:99]
	v_fmac_f64_e32 v[210:211], v[198:199], v[96:97]
	v_add_f64 v[208:209], v[208:209], v[210:211]
	s_waitcnt vmcnt(2) lgkmcnt(1)
	v_mul_f64 v[210:211], v[200:201], v[106:107]
	v_fmac_f64_e32 v[210:211], v[202:203], v[104:105]
	v_add_f64 v[208:209], v[208:209], v[210:211]
	;; [unrolled: 4-line block ×3, first 2 shown]
	ds_read_b128 v[208:211], v2 offset:1744
	ds_read_b128 v[216:219], v2 offset:1760
	;; [unrolled: 1-line block ×3, first 2 shown]
	s_waitcnt vmcnt(0) lgkmcnt(2)
	v_mul_f64 v[214:215], v[208:209], v[114:115]
	v_fmac_f64_e32 v[214:215], v[210:211], v[112:113]
	v_add_f64 v[220:221], v[212:213], v[214:215]
	scratch_load_dwordx4 v[212:215], off, off offset:880
	s_waitcnt vmcnt(0) lgkmcnt(1)
	v_mul_f64 v[222:223], v[216:217], v[214:215]
	v_fmac_f64_e32 v[222:223], v[218:219], v[212:213]
	v_add_f64 v[228:229], v[220:221], v[222:223]
	scratch_load_dwordx4 v[220:223], off, off offset:896
	s_waitcnt vmcnt(0) lgkmcnt(0)
	v_mul_f64 v[230:231], v[224:225], v[222:223]
	v_fmac_f64_e32 v[230:231], v[226:227], v[220:221]
	v_add_f64 v[244:245], v[228:229], v[230:231]
	v_add_f64 v[228:229], v[246:247], 0
	;; [unrolled: 1-line block ×8, first 2 shown]
	scratch_load_dwordx4 v[228:231], off, off offset:208
	v_add_f64 v[8:9], v[12:13], v[8:9]
	v_add_f64 v[8:9], v[8:9], v[10:11]
	;; [unrolled: 1-line block ×5, first 2 shown]
	v_accvgpr_read_b32 v6, a114
	v_accvgpr_read_b32 v8, a116
	;; [unrolled: 1-line block ×3, first 2 shown]
	v_add_f64 v[0:1], v[4:5], v[0:1]
	v_accvgpr_read_b32 v7, a115
	v_mul_f64 v[4:5], v[70:71], v[8:9]
	v_add_f64 v[0:1], v[0:1], v[238:239]
	v_fma_f64 v[4:5], v[68:69], v[6:7], -v[4:5]
	v_accvgpr_read_b32 v6, a118
	v_add_f64 v[0:1], v[0:1], v[240:241]
	v_accvgpr_read_b32 v8, a120
	v_accvgpr_read_b32 v9, a121
	v_add_f64 v[0:1], v[0:1], v[4:5]
	v_accvgpr_read_b32 v7, a119
	v_mul_f64 v[4:5], v[66:67], v[8:9]
	v_fma_f64 v[4:5], v[64:65], v[6:7], -v[4:5]
	v_add_f64 v[0:1], v[0:1], v[4:5]
	v_mul_f64 v[4:5], v[118:119], v[236:237]
	v_fma_f64 v[4:5], v[116:117], v[234:235], -v[4:5]
	v_add_f64 v[0:1], v[0:1], v[4:5]
	;; [unrolled: 3-line block ×27, first 2 shown]
	s_waitcnt vmcnt(0)
	v_add_f64 v[4:5], v[228:229], -v[0:1]
	v_accvgpr_read_b32 v0, a112
	v_add_f64 v[6:7], v[230:231], -v[244:245]
	v_cmp_lt_u32_e32 vcc, 11, v0
	scratch_store_dwordx4 off, v[4:7], off offset:208
	s_and_saveexec_b64 s[0:1], vcc
	s_cbranch_execz .LBB55_327
; %bb.326:
	scratch_load_dwordx4 v[6:9], off, s46
	v_mov_b32_e32 v3, v2
	v_mov_b32_e32 v4, v2
	;; [unrolled: 1-line block ×3, first 2 shown]
	v_accvgpr_read_b32 v0, a113
	scratch_store_dwordx4 off, v[2:5], off offset:192
	s_waitcnt vmcnt(1)
	ds_write_b128 v0, v[6:9]
.LBB55_327:
	s_or_b64 exec, exec, s[0:1]
	s_waitcnt lgkmcnt(0)
	; wave barrier
	scratch_load_dwordx4 v[72:75], off, off offset:208
	scratch_load_dwordx4 v[76:79], off, off offset:224
	;; [unrolled: 1-line block ×17, first 2 shown]
	ds_read_b128 v[176:179], v2 offset:1088
	ds_read_b128 v[192:195], v2 offset:1104
	;; [unrolled: 1-line block ×3, first 2 shown]
	scratch_load_dwordx4 v[20:23], off, off offset:480
	ds_read_b128 v[236:239], v2 offset:1136
	ds_read_b128 v[232:235], v2 offset:1152
	;; [unrolled: 1-line block ×5, first 2 shown]
	scratch_load_dwordx4 v[168:171], off, off offset:496
	ds_read_b128 v[224:227], v2 offset:1216
	ds_read_b128 v[212:215], v2 offset:1232
	;; [unrolled: 1-line block ×3, first 2 shown]
	scratch_load_dwordx4 v[12:15], off, off offset:512
	ds_read_b128 v[216:219], v2 offset:1264
	ds_read_b128 v[204:207], v2 offset:1280
	;; [unrolled: 1-line block ×5, first 2 shown]
	scratch_load_dwordx4 v[28:31], off, off offset:528
	ds_read_b128 v[32:35], v2 offset:1344
	scratch_load_dwordx4 v[36:39], off, off offset:544
	scratch_load_dwordx4 v[40:43], off, off offset:560
	;; [unrolled: 1-line block ×9, first 2 shown]
	ds_read_b128 v[132:135], v2 offset:1360
	s_waitcnt lgkmcnt(2)
	v_accvgpr_write_b32 a121, v19
	v_accvgpr_write_b32 a120, v18
	;; [unrolled: 1-line block ×4, first 2 shown]
	ds_read_b128 v[172:175], v2 offset:1424
	s_waitcnt vmcnt(29)
	v_mul_f64 v[0:1], v[176:177], v[74:75]
	s_waitcnt vmcnt(28)
	v_mul_f64 v[136:137], v[192:193], v[78:79]
	v_fmac_f64_e32 v[0:1], v[178:179], v[72:73]
	s_waitcnt vmcnt(27)
	v_mul_f64 v[138:139], v[188:189], v[82:83]
	v_fmac_f64_e32 v[136:137], v[194:195], v[76:77]
	v_add_f64 v[0:1], v[0:1], 0
	s_waitcnt vmcnt(26)
	v_mul_f64 v[140:141], v[236:237], v[86:87]
	v_fmac_f64_e32 v[138:139], v[190:191], v[80:81]
	v_add_f64 v[0:1], v[0:1], v[136:137]
	s_waitcnt vmcnt(25)
	v_mul_f64 v[142:143], v[232:233], v[90:91]
	v_fmac_f64_e32 v[140:141], v[238:239], v[84:85]
	v_add_f64 v[0:1], v[0:1], v[138:139]
	s_waitcnt vmcnt(24)
	v_mul_f64 v[144:145], v[228:229], v[94:95]
	v_fmac_f64_e32 v[142:143], v[234:235], v[88:89]
	v_add_f64 v[0:1], v[0:1], v[140:141]
	s_waitcnt vmcnt(23)
	v_mul_f64 v[146:147], v[220:221], v[98:99]
	v_fmac_f64_e32 v[144:145], v[230:231], v[92:93]
	v_add_f64 v[0:1], v[0:1], v[142:143]
	s_waitcnt vmcnt(22)
	v_mul_f64 v[148:149], v[208:209], v[102:103]
	v_fmac_f64_e32 v[146:147], v[222:223], v[96:97]
	v_add_f64 v[0:1], v[0:1], v[144:145]
	s_waitcnt vmcnt(21)
	v_mul_f64 v[150:151], v[224:225], v[106:107]
	v_fmac_f64_e32 v[148:149], v[210:211], v[100:101]
	v_add_f64 v[0:1], v[0:1], v[146:147]
	s_waitcnt vmcnt(20)
	v_mul_f64 v[152:153], v[212:213], v[110:111]
	v_fmac_f64_e32 v[150:151], v[226:227], v[104:105]
	v_add_f64 v[0:1], v[0:1], v[148:149]
	s_waitcnt vmcnt(19)
	v_mul_f64 v[154:155], v[200:201], v[114:115]
	v_fmac_f64_e32 v[152:153], v[214:215], v[108:109]
	v_add_f64 v[0:1], v[0:1], v[150:151]
	s_waitcnt vmcnt(18)
	v_mul_f64 v[156:157], v[216:217], v[118:119]
	v_fmac_f64_e32 v[154:155], v[202:203], v[112:113]
	v_add_f64 v[0:1], v[0:1], v[152:153]
	s_waitcnt vmcnt(17)
	v_mul_f64 v[158:159], v[204:205], v[122:123]
	v_fmac_f64_e32 v[156:157], v[218:219], v[116:117]
	v_add_f64 v[0:1], v[0:1], v[154:155]
	s_waitcnt vmcnt(16)
	v_mul_f64 v[160:161], v[196:197], v[126:127]
	v_fmac_f64_e32 v[158:159], v[206:207], v[120:121]
	v_add_f64 v[0:1], v[0:1], v[156:157]
	s_waitcnt vmcnt(15)
	v_mul_f64 v[162:163], v[184:185], v[130:131]
	v_fmac_f64_e32 v[160:161], v[198:199], v[124:125]
	v_add_f64 v[0:1], v[0:1], v[158:159]
	s_waitcnt vmcnt(14)
	v_mul_f64 v[164:165], v[16:17], v[6:7]
	v_fmac_f64_e32 v[162:163], v[186:187], v[128:129]
	v_add_f64 v[0:1], v[0:1], v[160:161]
	v_fmac_f64_e32 v[164:165], v[18:19], v[4:5]
	v_add_f64 v[0:1], v[0:1], v[162:163]
	s_waitcnt vmcnt(13) lgkmcnt(2)
	v_mul_f64 v[140:141], v[32:33], v[26:27]
	scratch_load_dwordx4 v[136:139], off, off offset:688
	v_add_f64 v[0:1], v[0:1], v[164:165]
	v_fmac_f64_e32 v[140:141], v[34:35], v[24:25]
	v_add_f64 v[0:1], v[0:1], v[140:141]
	ds_read_b128 v[160:163], v2 offset:1376
	scratch_load_dwordx4 v[140:143], off, off offset:704
	ds_read_b128 v[164:167], v2 offset:1392
	s_waitcnt vmcnt(13)
	v_mov_b64_e32 v[16:17], v[168:169]
	v_mov_b64_e32 v[18:19], v[170:171]
	ds_read_b128 v[168:171], v2 offset:1408
	s_waitcnt lgkmcnt(4)
	v_mul_f64 v[144:145], v[132:133], v[22:23]
	v_fmac_f64_e32 v[144:145], v[134:135], v[20:21]
	s_waitcnt lgkmcnt(2)
	v_mul_f64 v[148:149], v[160:161], v[18:19]
	v_add_f64 v[0:1], v[0:1], v[144:145]
	v_fmac_f64_e32 v[148:149], v[162:163], v[16:17]
	s_waitcnt vmcnt(12) lgkmcnt(1)
	v_mul_f64 v[152:153], v[164:165], v[14:15]
	scratch_load_dwordx4 v[144:147], off, off offset:720
	v_add_f64 v[0:1], v[0:1], v[148:149]
	v_fmac_f64_e32 v[152:153], v[166:167], v[12:13]
	scratch_load_dwordx4 v[148:151], off, off offset:736
	v_add_f64 v[0:1], v[0:1], v[152:153]
	s_waitcnt vmcnt(13) lgkmcnt(0)
	v_mul_f64 v[152:153], v[168:169], v[30:31]
	v_fmac_f64_e32 v[152:153], v[170:171], v[28:29]
	v_add_f64 v[0:1], v[0:1], v[152:153]
	scratch_load_dwordx4 v[152:155], off, off offset:752
	s_waitcnt vmcnt(13)
	v_mul_f64 v[156:157], v[172:173], v[38:39]
	v_fmac_f64_e32 v[156:157], v[174:175], v[36:37]
	v_mul_f64 v[74:75], v[178:179], v[74:75]
	v_add_f64 v[0:1], v[0:1], v[156:157]
	scratch_load_dwordx4 v[156:159], off, off offset:768
	v_fma_f64 v[244:245], v[176:177], v[72:73], -v[74:75]
	v_mul_f64 v[72:73], v[194:195], v[78:79]
	ds_read_b128 v[180:183], v2 offset:1440
	ds_read_b128 v[176:179], v2 offset:1456
	v_fma_f64 v[246:247], v[192:193], v[76:77], -v[72:73]
	scratch_load_dwordx4 v[76:79], off, off offset:784
	scratch_load_dwordx4 v[72:75], off, off offset:800
	v_mul_f64 v[82:83], v[190:191], v[82:83]
	v_fma_f64 v[248:249], v[188:189], v[80:81], -v[82:83]
	v_mul_f64 v[80:81], v[238:239], v[86:87]
	v_fma_f64 v[236:237], v[236:237], v[84:85], -v[80:81]
	scratch_load_dwordx4 v[80:83], off, off offset:816
	ds_read_b128 v[188:191], v2 offset:1472
	v_mul_f64 v[84:85], v[234:235], v[90:91]
	s_waitcnt vmcnt(16) lgkmcnt(2)
	v_mul_f64 v[192:193], v[180:181], v[42:43]
	v_fma_f64 v[238:239], v[232:233], v[88:89], -v[84:85]
	scratch_load_dwordx4 v[84:87], off, off offset:832
	v_fmac_f64_e32 v[192:193], v[182:183], v[40:41]
	v_add_f64 v[0:1], v[0:1], v[192:193]
	s_waitcnt vmcnt(16) lgkmcnt(1)
	v_mul_f64 v[192:193], v[176:177], v[46:47]
	v_fmac_f64_e32 v[192:193], v[178:179], v[44:45]
	v_add_f64 v[0:1], v[0:1], v[192:193]
	ds_read_b128 v[192:195], v2 offset:1488
	s_waitcnt vmcnt(15) lgkmcnt(1)
	v_mul_f64 v[88:89], v[188:189], v[50:51]
	v_fmac_f64_e32 v[88:89], v[190:191], v[48:49]
	v_add_f64 v[0:1], v[0:1], v[88:89]
	v_mul_f64 v[88:89], v[230:231], v[94:95]
	v_fma_f64 v[250:251], v[228:229], v[92:93], -v[88:89]
	scratch_load_dwordx4 v[88:91], off, off offset:848
	scratch_load_dwordx4 v[232:235], off, off offset:896
	ds_read_b128 v[92:95], v2 offset:1504
	v_mul_f64 v[98:99], v[222:223], v[98:99]
	v_fma_f64 v[252:253], v[220:221], v[96:97], -v[98:99]
	ds_read_b128 v[96:99], v2 offset:1520
	v_mul_f64 v[102:103], v[210:211], v[102:103]
	s_waitcnt vmcnt(16) lgkmcnt(2)
	v_mul_f64 v[228:229], v[192:193], v[54:55]
	v_fma_f64 v[254:255], v[208:209], v[100:101], -v[102:103]
	ds_read_b128 v[100:103], v2 offset:1536
	ds_read_b128 v[208:211], v2 offset:1552
	v_fmac_f64_e32 v[228:229], v[194:195], v[52:53]
	s_waitcnt vmcnt(15) lgkmcnt(3)
	v_mul_f64 v[220:221], v[92:93], v[58:59]
	v_add_f64 v[0:1], v[0:1], v[228:229]
	v_fmac_f64_e32 v[220:221], v[94:95], v[56:57]
	v_mul_f64 v[106:107], v[226:227], v[106:107]
	v_add_f64 v[0:1], v[0:1], v[220:221]
	s_waitcnt vmcnt(14) lgkmcnt(2)
	v_mul_f64 v[220:221], v[96:97], v[62:63]
	v_fma_f64 v[240:241], v[224:225], v[104:105], -v[106:107]
	ds_read_b128 v[104:107], v2 offset:1568
	v_fmac_f64_e32 v[220:221], v[98:99], v[60:61]
	v_mul_f64 v[110:111], v[214:215], v[110:111]
	v_add_f64 v[0:1], v[0:1], v[220:221]
	s_waitcnt vmcnt(13) lgkmcnt(2)
	v_mul_f64 v[220:221], v[100:101], v[70:71]
	v_fma_f64 v[8:9], v[212:213], v[108:109], -v[110:111]
	ds_read_b128 v[108:111], v2 offset:1584
	v_fmac_f64_e32 v[220:221], v[102:103], v[68:69]
	v_accvgpr_write_b32 a117, v7
	v_add_f64 v[0:1], v[0:1], v[220:221]
	s_waitcnt vmcnt(12) lgkmcnt(2)
	v_mul_f64 v[220:221], v[208:209], v[66:67]
	v_accvgpr_write_b32 a116, v6
	v_accvgpr_write_b32 a115, v5
	;; [unrolled: 1-line block ×3, first 2 shown]
	v_fmac_f64_e32 v[220:221], v[210:211], v[64:65]
	s_waitcnt vmcnt(11) lgkmcnt(1)
	v_mul_f64 v[6:7], v[104:105], v[138:139]
	v_add_f64 v[0:1], v[0:1], v[220:221]
	v_fmac_f64_e32 v[6:7], v[106:107], v[136:137]
	v_add_f64 v[0:1], v[0:1], v[6:7]
	s_waitcnt vmcnt(10) lgkmcnt(0)
	v_mul_f64 v[6:7], v[108:109], v[142:143]
	v_fmac_f64_e32 v[6:7], v[110:111], v[140:141]
	ds_read_b128 v[212:215], v2 offset:1600
	v_add_f64 v[0:1], v[0:1], v[6:7]
	v_mul_f64 v[6:7], v[202:203], v[114:115]
	v_fma_f64 v[6:7], v[200:201], v[112:113], -v[6:7]
	ds_read_b128 v[112:115], v2 offset:1616
	v_mul_f64 v[118:119], v[218:219], v[118:119]
	v_fma_f64 v[4:5], v[216:217], v[116:117], -v[118:119]
	ds_read_b128 v[116:119], v2 offset:1632
	s_waitcnt vmcnt(9) lgkmcnt(2)
	v_mul_f64 v[200:201], v[212:213], v[146:147]
	v_fmac_f64_e32 v[200:201], v[214:215], v[144:145]
	s_waitcnt vmcnt(8) lgkmcnt(1)
	v_mul_f64 v[10:11], v[112:113], v[150:151]
	v_add_f64 v[0:1], v[0:1], v[200:201]
	v_fmac_f64_e32 v[10:11], v[114:115], v[148:149]
	v_add_f64 v[0:1], v[0:1], v[10:11]
	ds_read_b128 v[200:203], v2 offset:1648
	s_waitcnt vmcnt(7) lgkmcnt(1)
	v_mul_f64 v[10:11], v[116:117], v[154:155]
	v_fmac_f64_e32 v[10:11], v[118:119], v[152:153]
	v_add_f64 v[10:11], v[0:1], v[10:11]
	v_mul_f64 v[0:1], v[206:207], v[122:123]
	v_fma_f64 v[0:1], v[204:205], v[120:121], -v[0:1]
	ds_read_b128 v[120:123], v2 offset:1664
	v_mul_f64 v[126:127], v[198:199], v[126:127]
	v_fma_f64 v[124:125], v[196:197], v[124:125], -v[126:127]
	s_waitcnt vmcnt(6) lgkmcnt(1)
	v_mul_f64 v[204:205], v[200:201], v[158:159]
	v_accvgpr_write_b32 a122, v124
	v_fmac_f64_e32 v[204:205], v[202:203], v[156:157]
	v_accvgpr_write_b32 a123, v125
	ds_read_b128 v[124:127], v2 offset:1680
	s_waitcnt vmcnt(5) lgkmcnt(1)
	v_mul_f64 v[196:197], v[120:121], v[78:79]
	v_add_f64 v[10:11], v[10:11], v[204:205]
	v_fmac_f64_e32 v[196:197], v[122:123], v[76:77]
	v_add_f64 v[10:11], v[10:11], v[196:197]
	ds_read_b128 v[196:199], v2 offset:1696
	v_mul_f64 v[130:131], v[186:187], v[130:131]
	v_fma_f64 v[242:243], v[184:185], v[128:129], -v[130:131]
	ds_read_b128 v[128:131], v2 offset:1712
	s_waitcnt vmcnt(4) lgkmcnt(2)
	v_mul_f64 v[184:185], v[124:125], v[74:75]
	v_fmac_f64_e32 v[184:185], v[126:127], v[72:73]
	v_add_f64 v[10:11], v[10:11], v[184:185]
	s_waitcnt vmcnt(3) lgkmcnt(1)
	v_mul_f64 v[184:185], v[196:197], v[82:83]
	v_fmac_f64_e32 v[184:185], v[198:199], v[80:81]
	v_add_f64 v[10:11], v[10:11], v[184:185]
	;; [unrolled: 4-line block ×3, first 2 shown]
	ds_read_b128 v[184:187], v2 offset:1728
	ds_read_b128 v[216:219], v2 offset:1744
	;; [unrolled: 1-line block ×3, first 2 shown]
	s_waitcnt vmcnt(1) lgkmcnt(2)
	v_mul_f64 v[204:205], v[184:185], v[90:91]
	v_fmac_f64_e32 v[204:205], v[186:187], v[88:89]
	v_add_f64 v[10:11], v[10:11], v[204:205]
	scratch_load_dwordx4 v[204:207], off, off offset:864
	s_waitcnt vmcnt(0) lgkmcnt(1)
	v_mul_f64 v[220:221], v[216:217], v[206:207]
	v_fmac_f64_e32 v[220:221], v[218:219], v[204:205]
	v_add_f64 v[10:11], v[10:11], v[220:221]
	scratch_load_dwordx4 v[220:223], off, off offset:880
	s_waitcnt vmcnt(0) lgkmcnt(0)
	v_mul_f64 v[228:229], v[224:225], v[222:223]
	v_fmac_f64_e32 v[228:229], v[226:227], v[220:221]
	v_add_f64 v[10:11], v[10:11], v[228:229]
	ds_read_b128 v[228:231], v2 offset:1776
	s_waitcnt lgkmcnt(0)
	v_mul_f64 v[2:3], v[228:229], v[234:235]
	v_fmac_f64_e32 v[2:3], v[230:231], v[232:233]
	v_add_f64 v[2:3], v[10:11], v[2:3]
	v_add_f64 v[10:11], v[244:245], 0
	;; [unrolled: 1-line block ×6, first 2 shown]
	scratch_load_dwordx4 v[236:239], off, off offset:192
	v_add_f64 v[10:11], v[10:11], v[250:251]
	v_add_f64 v[10:11], v[10:11], v[252:253]
	;; [unrolled: 1-line block ×8, first 2 shown]
	v_accvgpr_read_b32 v0, a122
	v_accvgpr_read_b32 v1, a123
	v_add_f64 v[0:1], v[244:245], v[0:1]
	v_add_f64 v[0:1], v[0:1], v[242:243]
	v_accvgpr_read_b32 v6, a114
	v_accvgpr_read_b32 v243, a121
	;; [unrolled: 1-line block ×8, first 2 shown]
	v_mul_f64 v[4:5], v[242:243], v[8:9]
	v_fma_f64 v[4:5], v[240:241], v[6:7], -v[4:5]
	v_add_f64 v[0:1], v[0:1], v[4:5]
	v_mul_f64 v[4:5], v[34:35], v[26:27]
	v_fma_f64 v[4:5], v[32:33], v[24:25], -v[4:5]
	v_add_f64 v[0:1], v[0:1], v[4:5]
	v_mul_f64 v[4:5], v[134:135], v[22:23]
	v_fma_f64 v[4:5], v[132:133], v[20:21], -v[4:5]
	v_add_f64 v[0:1], v[0:1], v[4:5]
	v_mul_f64 v[4:5], v[162:163], v[18:19]
	v_fma_f64 v[4:5], v[160:161], v[16:17], -v[4:5]
	v_add_f64 v[0:1], v[0:1], v[4:5]
	v_mul_f64 v[4:5], v[166:167], v[14:15]
	v_fma_f64 v[4:5], v[164:165], v[12:13], -v[4:5]
	v_add_f64 v[0:1], v[0:1], v[4:5]
	v_mul_f64 v[4:5], v[170:171], v[30:31]
	v_fma_f64 v[4:5], v[168:169], v[28:29], -v[4:5]
	v_add_f64 v[0:1], v[0:1], v[4:5]
	v_mul_f64 v[4:5], v[174:175], v[38:39]
	v_fma_f64 v[4:5], v[172:173], v[36:37], -v[4:5]
	v_add_f64 v[0:1], v[0:1], v[4:5]
	v_mul_f64 v[4:5], v[182:183], v[42:43]
	v_fma_f64 v[4:5], v[180:181], v[40:41], -v[4:5]
	v_add_f64 v[0:1], v[0:1], v[4:5]
	v_mul_f64 v[4:5], v[178:179], v[46:47]
	v_fma_f64 v[4:5], v[176:177], v[44:45], -v[4:5]
	v_add_f64 v[0:1], v[0:1], v[4:5]
	v_mul_f64 v[4:5], v[190:191], v[50:51]
	v_fma_f64 v[4:5], v[188:189], v[48:49], -v[4:5]
	v_add_f64 v[0:1], v[0:1], v[4:5]
	v_mul_f64 v[4:5], v[194:195], v[54:55]
	v_fma_f64 v[4:5], v[192:193], v[52:53], -v[4:5]
	v_add_f64 v[0:1], v[0:1], v[4:5]
	v_mul_f64 v[4:5], v[94:95], v[58:59]
	v_fma_f64 v[4:5], v[92:93], v[56:57], -v[4:5]
	v_add_f64 v[0:1], v[0:1], v[4:5]
	v_mul_f64 v[4:5], v[98:99], v[62:63]
	v_fma_f64 v[4:5], v[96:97], v[60:61], -v[4:5]
	v_add_f64 v[0:1], v[0:1], v[4:5]
	v_mul_f64 v[4:5], v[102:103], v[70:71]
	v_fma_f64 v[4:5], v[100:101], v[68:69], -v[4:5]
	v_add_f64 v[0:1], v[0:1], v[4:5]
	v_mul_f64 v[4:5], v[210:211], v[66:67]
	v_fma_f64 v[4:5], v[208:209], v[64:65], -v[4:5]
	v_add_f64 v[0:1], v[0:1], v[4:5]
	v_mul_f64 v[4:5], v[106:107], v[138:139]
	v_fma_f64 v[4:5], v[104:105], v[136:137], -v[4:5]
	v_add_f64 v[0:1], v[0:1], v[4:5]
	v_mul_f64 v[4:5], v[110:111], v[142:143]
	v_fma_f64 v[4:5], v[108:109], v[140:141], -v[4:5]
	v_add_f64 v[0:1], v[0:1], v[4:5]
	v_mul_f64 v[4:5], v[214:215], v[146:147]
	v_fma_f64 v[4:5], v[212:213], v[144:145], -v[4:5]
	v_add_f64 v[0:1], v[0:1], v[4:5]
	v_mul_f64 v[4:5], v[114:115], v[150:151]
	v_fma_f64 v[4:5], v[112:113], v[148:149], -v[4:5]
	v_add_f64 v[0:1], v[0:1], v[4:5]
	v_mul_f64 v[4:5], v[118:119], v[154:155]
	v_fma_f64 v[4:5], v[116:117], v[152:153], -v[4:5]
	v_add_f64 v[0:1], v[0:1], v[4:5]
	v_mul_f64 v[4:5], v[202:203], v[158:159]
	v_fma_f64 v[4:5], v[200:201], v[156:157], -v[4:5]
	v_add_f64 v[0:1], v[0:1], v[4:5]
	v_mul_f64 v[4:5], v[122:123], v[78:79]
	v_fma_f64 v[4:5], v[120:121], v[76:77], -v[4:5]
	v_add_f64 v[0:1], v[0:1], v[4:5]
	v_mul_f64 v[4:5], v[126:127], v[74:75]
	v_fma_f64 v[4:5], v[124:125], v[72:73], -v[4:5]
	v_add_f64 v[0:1], v[0:1], v[4:5]
	v_mul_f64 v[4:5], v[198:199], v[82:83]
	v_fma_f64 v[4:5], v[196:197], v[80:81], -v[4:5]
	v_add_f64 v[0:1], v[0:1], v[4:5]
	v_mul_f64 v[4:5], v[130:131], v[86:87]
	v_fma_f64 v[4:5], v[128:129], v[84:85], -v[4:5]
	v_add_f64 v[0:1], v[0:1], v[4:5]
	v_mul_f64 v[4:5], v[186:187], v[90:91]
	v_fma_f64 v[4:5], v[184:185], v[88:89], -v[4:5]
	v_add_f64 v[0:1], v[0:1], v[4:5]
	v_mul_f64 v[4:5], v[218:219], v[206:207]
	v_fma_f64 v[4:5], v[216:217], v[204:205], -v[4:5]
	v_add_f64 v[0:1], v[0:1], v[4:5]
	v_mul_f64 v[4:5], v[226:227], v[222:223]
	v_fma_f64 v[4:5], v[224:225], v[220:221], -v[4:5]
	v_add_f64 v[0:1], v[0:1], v[4:5]
	v_mul_f64 v[4:5], v[230:231], v[234:235]
	v_fma_f64 v[4:5], v[228:229], v[232:233], -v[4:5]
	v_add_f64 v[0:1], v[0:1], v[4:5]
	s_waitcnt vmcnt(0)
	v_add_f64 v[4:5], v[236:237], -v[0:1]
	v_accvgpr_read_b32 v0, a112
	v_add_f64 v[6:7], v[238:239], -v[2:3]
	v_cmp_lt_u32_e32 vcc, 10, v0
	scratch_store_dwordx4 off, v[4:7], off offset:192
	s_and_saveexec_b64 s[0:1], vcc
	s_cbranch_execz .LBB55_329
; %bb.328:
	scratch_load_dwordx4 v[2:5], off, s45
	v_mov_b32_e32 v6, 0
	v_mov_b32_e32 v7, v6
	;; [unrolled: 1-line block ×4, first 2 shown]
	v_accvgpr_read_b32 v0, a113
	scratch_store_dwordx4 off, v[6:9], off offset:176
	s_waitcnt vmcnt(1)
	ds_write_b128 v0, v[2:5]
.LBB55_329:
	s_or_b64 exec, exec, s[0:1]
	s_waitcnt lgkmcnt(0)
	; wave barrier
	scratch_load_dwordx4 v[80:83], off, off offset:192
	scratch_load_dwordx4 v[84:87], off, off offset:208
	;; [unrolled: 1-line block ×29, first 2 shown]
	v_mov_b32_e32 v2, 0
	ds_read_b128 v[132:135], v2 offset:1072
	ds_read_b128 v[136:139], v2 offset:1088
	;; [unrolled: 1-line block ×22, first 2 shown]
	s_waitcnt vmcnt(28) lgkmcnt(14)
	v_mul_f64 v[0:1], v[132:133], v[82:83]
	s_waitcnt vmcnt(27)
	v_mul_f64 v[56:57], v[136:137], v[86:87]
	v_fmac_f64_e32 v[0:1], v[134:135], v[80:81]
	s_waitcnt vmcnt(26)
	v_mul_f64 v[58:59], v[140:141], v[90:91]
	v_fmac_f64_e32 v[56:57], v[138:139], v[84:85]
	v_add_f64 v[0:1], v[0:1], 0
	s_waitcnt vmcnt(25)
	v_mul_f64 v[60:61], v[148:149], v[94:95]
	v_fmac_f64_e32 v[58:59], v[142:143], v[88:89]
	v_add_f64 v[0:1], v[0:1], v[56:57]
	;; [unrolled: 4-line block ×6, first 2 shown]
	s_waitcnt vmcnt(20) lgkmcnt(13)
	v_mul_f64 v[70:71], v[204:205], v[154:155]
	v_fmac_f64_e32 v[68:69], v[198:199], v[144:145]
	v_add_f64 v[0:1], v[0:1], v[66:67]
	s_waitcnt vmcnt(19) lgkmcnt(12)
	v_mul_f64 v[72:73], v[208:209], v[158:159]
	v_fmac_f64_e32 v[70:71], v[206:207], v[152:153]
	v_add_f64 v[0:1], v[0:1], v[68:69]
	s_waitcnt vmcnt(18) lgkmcnt(11)
	v_mul_f64 v[74:75], v[212:213], v[166:167]
	v_fmac_f64_e32 v[72:73], v[210:211], v[156:157]
	v_add_f64 v[0:1], v[0:1], v[70:71]
	s_waitcnt vmcnt(17) lgkmcnt(10)
	v_mul_f64 v[76:77], v[216:217], v[170:171]
	v_fmac_f64_e32 v[74:75], v[214:215], v[164:165]
	v_add_f64 v[0:1], v[0:1], v[72:73]
	s_waitcnt vmcnt(16) lgkmcnt(9)
	v_mul_f64 v[78:79], v[220:221], v[178:179]
	v_fmac_f64_e32 v[76:77], v[218:219], v[168:169]
	v_add_f64 v[0:1], v[0:1], v[74:75]
	s_waitcnt vmcnt(15) lgkmcnt(8)
	v_mul_f64 v[108:109], v[224:225], v[182:183]
	v_fmac_f64_e32 v[78:79], v[222:223], v[176:177]
	v_add_f64 v[0:1], v[0:1], v[76:77]
	s_waitcnt vmcnt(14) lgkmcnt(7)
	v_mul_f64 v[110:111], v[228:229], v[190:191]
	v_fmac_f64_e32 v[108:109], v[226:227], v[180:181]
	v_add_f64 v[0:1], v[0:1], v[78:79]
	s_waitcnt vmcnt(13) lgkmcnt(6)
	v_mul_f64 v[112:113], v[238:239], v[194:195]
	v_fmac_f64_e32 v[110:111], v[230:231], v[188:189]
	v_add_f64 v[0:1], v[0:1], v[108:109]
	v_fmac_f64_e32 v[112:113], v[240:241], v[192:193]
	v_add_f64 v[0:1], v[0:1], v[110:111]
	s_waitcnt vmcnt(12) lgkmcnt(5)
	v_mul_f64 v[60:61], v[242:243], v[202:203]
	scratch_load_dwordx4 v[56:59], off, off offset:656
	ds_read_b128 v[108:111], v2 offset:1360
	v_add_f64 v[0:1], v[0:1], v[112:113]
	v_fmac_f64_e32 v[60:61], v[244:245], v[200:201]
	v_add_f64 v[0:1], v[0:1], v[60:61]
	s_waitcnt vmcnt(12) lgkmcnt(5)
	v_mul_f64 v[64:65], v[52:53], v[6:7]
	scratch_load_dwordx4 v[60:63], off, off offset:672
	v_accvgpr_write_b32 a117, v7
	v_fmac_f64_e32 v[64:65], v[54:55], v[4:5]
	v_accvgpr_write_b32 a116, v6
	v_accvgpr_write_b32 a115, v5
	;; [unrolled: 1-line block ×3, first 2 shown]
	ds_read_b128 v[112:115], v2 offset:1376
	s_waitcnt vmcnt(12)
	v_mov_b64_e32 v[4:5], v[8:9]
	v_mov_b64_e32 v[6:7], v[10:11]
	s_waitcnt lgkmcnt(1)
	v_mul_f64 v[68:69], v[108:109], v[6:7]
	v_fmac_f64_e32 v[68:69], v[110:111], v[4:5]
	s_waitcnt vmcnt(11)
	v_mov_b64_e32 v[4:5], v[12:13]
	v_add_f64 v[0:1], v[0:1], v[64:65]
	v_mov_b64_e32 v[6:7], v[14:15]
	scratch_load_dwordx4 v[64:67], off, off offset:688
	v_add_f64 v[0:1], v[0:1], v[68:69]
	s_waitcnt lgkmcnt(0)
	v_mul_f64 v[68:69], v[112:113], v[6:7]
	v_fmac_f64_e32 v[68:69], v[114:115], v[4:5]
	v_add_f64 v[0:1], v[0:1], v[68:69]
	scratch_load_dwordx4 v[68:71], off, off offset:704
	s_waitcnt vmcnt(12)
	v_mul_f64 v[76:77], v[116:117], v[236:237]
	scratch_load_dwordx4 v[72:75], off, off offset:720
	v_fmac_f64_e32 v[76:77], v[118:119], v[234:235]
	v_add_f64 v[0:1], v[0:1], v[76:77]
	s_waitcnt vmcnt(12)
	v_mul_f64 v[76:77], v[120:121], v[22:23]
	v_fmac_f64_e32 v[76:77], v[122:123], v[20:21]
	v_add_f64 v[0:1], v[0:1], v[76:77]
	scratch_load_dwordx4 v[76:79], off, off offset:736
	v_mul_f64 v[82:83], v[134:135], v[82:83]
	v_fma_f64 v[246:247], v[132:133], v[80:81], -v[82:83]
	scratch_load_dwordx4 v[80:83], off, off offset:752
	v_mul_f64 v[86:87], v[138:139], v[86:87]
	v_fma_f64 v[248:249], v[136:137], v[84:85], -v[86:87]
	scratch_load_dwordx4 v[84:87], off, off offset:768
	v_mul_f64 v[90:91], v[142:143], v[90:91]
	s_waitcnt vmcnt(14)
	v_mul_f64 v[132:133], v[124:125], v[26:27]
	v_fma_f64 v[250:251], v[140:141], v[88:89], -v[90:91]
	scratch_load_dwordx4 v[88:91], off, off offset:784
	v_fmac_f64_e32 v[132:133], v[126:127], v[24:25]
	s_waitcnt vmcnt(14)
	v_mul_f64 v[136:137], v[128:129], v[30:31]
	v_mul_f64 v[94:95], v[150:151], v[94:95]
	v_add_f64 v[0:1], v[0:1], v[132:133]
	v_fmac_f64_e32 v[136:137], v[130:131], v[28:29]
	v_fma_f64 v[252:253], v[148:149], v[92:93], -v[94:95]
	v_mul_f64 v[92:93], v[162:163], v[98:99]
	ds_read_b128 v[132:135], v2 offset:1456
	v_add_f64 v[0:1], v[0:1], v[136:137]
	ds_read_b128 v[136:139], v2 offset:1472
	v_fma_f64 v[254:255], v[160:161], v[96:97], -v[92:93]
	scratch_load_dwordx4 v[96:99], off, off offset:800
	scratch_load_dwordx4 v[92:95], off, off offset:816
	v_mul_f64 v[102:103], v[174:175], v[102:103]
	v_fma_f64 v[232:233], v[172:173], v[100:101], -v[102:103]
	scratch_load_dwordx4 v[100:103], off, off offset:832
	v_mul_f64 v[106:107], v[186:187], v[106:107]
	v_fma_f64 v[16:17], v[184:185], v[104:105], -v[106:107]
	scratch_load_dwordx4 v[104:107], off, off offset:848
	s_waitcnt vmcnt(17) lgkmcnt(1)
	v_mul_f64 v[140:141], v[132:133], v[34:35]
	v_fmac_f64_e32 v[140:141], v[134:135], v[32:33]
	v_add_f64 v[0:1], v[0:1], v[140:141]
	ds_read_b128 v[140:143], v2 offset:1488
	v_accvgpr_write_b32 a125, v15
	v_mul_f64 v[6:7], v[198:199], v[146:147]
	v_accvgpr_write_b32 a124, v14
	v_accvgpr_write_b32 a123, v13
	;; [unrolled: 1-line block ×3, first 2 shown]
	v_fma_f64 v[12:13], v[196:197], v[144:145], -v[6:7]
	ds_read_b128 v[144:147], v2 offset:1504
	s_waitcnt vmcnt(16) lgkmcnt(2)
	v_mul_f64 v[148:149], v[136:137], v[38:39]
	v_fmac_f64_e32 v[148:149], v[138:139], v[36:37]
	v_add_f64 v[0:1], v[0:1], v[148:149]
	s_waitcnt vmcnt(15) lgkmcnt(1)
	v_mul_f64 v[6:7], v[140:141], v[42:43]
	ds_read_b128 v[148:151], v2 offset:1520
	v_fmac_f64_e32 v[6:7], v[142:143], v[40:41]
	v_add_f64 v[0:1], v[0:1], v[6:7]
	s_waitcnt vmcnt(14) lgkmcnt(1)
	v_mul_f64 v[6:7], v[144:145], v[46:47]
	v_fmac_f64_e32 v[6:7], v[146:147], v[44:45]
	v_accvgpr_write_b32 a121, v11
	v_add_f64 v[0:1], v[0:1], v[6:7]
	v_mul_f64 v[6:7], v[206:207], v[154:155]
	v_accvgpr_write_b32 a120, v10
	v_accvgpr_write_b32 a119, v9
	;; [unrolled: 1-line block ×3, first 2 shown]
	v_fma_f64 v[10:11], v[204:205], v[152:153], -v[6:7]
	ds_read_b128 v[152:155], v2 offset:1536
	s_waitcnt vmcnt(13) lgkmcnt(1)
	v_mul_f64 v[6:7], v[148:149], v[50:51]
	v_fmac_f64_e32 v[6:7], v[150:151], v[48:49]
	v_add_f64 v[0:1], v[0:1], v[6:7]
	v_mul_f64 v[6:7], v[210:211], v[158:159]
	v_fma_f64 v[8:9], v[208:209], v[156:157], -v[6:7]
	ds_read_b128 v[156:159], v2 offset:1552
	ds_read_b128 v[160:163], v2 offset:1568
	s_waitcnt vmcnt(12) lgkmcnt(2)
	v_mul_f64 v[6:7], v[152:153], v[58:59]
	v_fmac_f64_e32 v[6:7], v[154:155], v[56:57]
	v_add_f64 v[0:1], v[0:1], v[6:7]
	s_waitcnt vmcnt(11) lgkmcnt(1)
	v_mul_f64 v[6:7], v[156:157], v[62:63]
	v_fmac_f64_e32 v[6:7], v[158:159], v[60:61]
	v_add_f64 v[0:1], v[0:1], v[6:7]
	v_mul_f64 v[6:7], v[214:215], v[166:167]
	v_fma_f64 v[14:15], v[212:213], v[164:165], -v[6:7]
	ds_read_b128 v[164:167], v2 offset:1584
	v_mul_f64 v[170:171], v[218:219], v[170:171]
	v_fma_f64 v[4:5], v[216:217], v[168:169], -v[170:171]
	ds_read_b128 v[168:171], v2 offset:1600
	s_waitcnt vmcnt(10) lgkmcnt(2)
	v_mul_f64 v[6:7], v[160:161], v[66:67]
	v_fmac_f64_e32 v[6:7], v[162:163], v[64:65]
	v_add_f64 v[0:1], v[0:1], v[6:7]
	s_waitcnt vmcnt(9) lgkmcnt(1)
	v_mul_f64 v[6:7], v[164:165], v[70:71]
	ds_read_b128 v[172:175], v2 offset:1616
	v_fmac_f64_e32 v[6:7], v[166:167], v[68:69]
	v_add_f64 v[0:1], v[0:1], v[6:7]
	s_waitcnt vmcnt(8) lgkmcnt(1)
	v_mul_f64 v[6:7], v[168:169], v[74:75]
	v_fmac_f64_e32 v[6:7], v[170:171], v[72:73]
	v_add_f64 v[0:1], v[0:1], v[6:7]
	v_mul_f64 v[6:7], v[222:223], v[178:179]
	v_fma_f64 v[18:19], v[220:221], v[176:177], -v[6:7]
	ds_read_b128 v[176:179], v2 offset:1632
	s_waitcnt vmcnt(7) lgkmcnt(1)
	v_mul_f64 v[6:7], v[172:173], v[78:79]
	v_fmac_f64_e32 v[6:7], v[174:175], v[76:77]
	v_add_f64 v[0:1], v[0:1], v[6:7]
	v_mul_f64 v[6:7], v[226:227], v[182:183]
	v_fma_f64 v[6:7], v[224:225], v[180:181], -v[6:7]
	ds_read_b128 v[180:183], v2 offset:1648
	s_waitcnt vmcnt(6) lgkmcnt(1)
	v_mul_f64 v[184:185], v[176:177], v[82:83]
	v_fmac_f64_e32 v[184:185], v[178:179], v[80:81]
	v_add_f64 v[0:1], v[0:1], v[184:185]
	ds_read_b128 v[184:187], v2 offset:1664
	s_waitcnt vmcnt(5) lgkmcnt(1)
	v_mul_f64 v[196:197], v[180:181], v[86:87]
	v_fmac_f64_e32 v[196:197], v[182:183], v[84:85]
	v_add_f64 v[196:197], v[0:1], v[196:197]
	v_mul_f64 v[0:1], v[230:231], v[190:191]
	v_fma_f64 v[0:1], v[228:229], v[188:189], -v[0:1]
	ds_read_b128 v[188:191], v2 offset:1680
	s_waitcnt vmcnt(4) lgkmcnt(1)
	v_mul_f64 v[198:199], v[184:185], v[90:91]
	v_fmac_f64_e32 v[198:199], v[186:187], v[88:89]
	v_mul_f64 v[194:195], v[240:241], v[194:195]
	v_fma_f64 v[238:239], v[238:239], v[192:193], -v[194:195]
	ds_read_b128 v[192:195], v2 offset:1696
	v_add_f64 v[196:197], v[196:197], v[198:199]
	s_waitcnt vmcnt(3) lgkmcnt(1)
	v_mul_f64 v[198:199], v[188:189], v[98:99]
	v_fmac_f64_e32 v[198:199], v[190:191], v[96:97]
	v_add_f64 v[204:205], v[196:197], v[198:199]
	ds_read_b128 v[196:199], v2 offset:1712
	v_mul_f64 v[202:203], v[244:245], v[202:203]
	v_fma_f64 v[240:241], v[242:243], v[200:201], -v[202:203]
	ds_read_b128 v[200:203], v2 offset:1728
	s_waitcnt vmcnt(2) lgkmcnt(2)
	v_mul_f64 v[206:207], v[192:193], v[94:95]
	v_fmac_f64_e32 v[206:207], v[194:195], v[92:93]
	v_add_f64 v[204:205], v[204:205], v[206:207]
	s_waitcnt vmcnt(1) lgkmcnt(1)
	v_mul_f64 v[206:207], v[196:197], v[102:103]
	v_fmac_f64_e32 v[206:207], v[198:199], v[100:101]
	v_add_f64 v[204:205], v[204:205], v[206:207]
	;; [unrolled: 4-line block ×3, first 2 shown]
	scratch_load_dwordx4 v[204:207], off, off offset:864
	ds_read_b128 v[208:211], v2 offset:1744
	ds_read_b128 v[216:219], v2 offset:1760
	;; [unrolled: 1-line block ×3, first 2 shown]
	s_waitcnt vmcnt(0) lgkmcnt(2)
	v_mul_f64 v[214:215], v[208:209], v[206:207]
	v_fmac_f64_e32 v[214:215], v[210:211], v[204:205]
	v_add_f64 v[220:221], v[212:213], v[214:215]
	scratch_load_dwordx4 v[212:215], off, off offset:880
	s_waitcnt vmcnt(0) lgkmcnt(1)
	v_mul_f64 v[222:223], v[216:217], v[214:215]
	v_fmac_f64_e32 v[222:223], v[218:219], v[212:213]
	v_add_f64 v[228:229], v[220:221], v[222:223]
	scratch_load_dwordx4 v[220:223], off, off offset:896
	s_waitcnt vmcnt(0) lgkmcnt(0)
	v_mul_f64 v[230:231], v[224:225], v[222:223]
	v_fmac_f64_e32 v[230:231], v[226:227], v[220:221]
	v_add_f64 v[244:245], v[228:229], v[230:231]
	v_add_f64 v[228:229], v[246:247], 0
	;; [unrolled: 1-line block ×8, first 2 shown]
	scratch_load_dwordx4 v[228:231], off, off offset:176
	v_add_f64 v[12:13], v[16:17], v[12:13]
	v_add_f64 v[10:11], v[12:13], v[10:11]
	;; [unrolled: 1-line block ×7, first 2 shown]
	v_accvgpr_read_b32 v6, a114
	v_accvgpr_read_b32 v8, a116
	;; [unrolled: 1-line block ×3, first 2 shown]
	v_add_f64 v[0:1], v[4:5], v[0:1]
	v_accvgpr_read_b32 v7, a115
	v_mul_f64 v[4:5], v[54:55], v[8:9]
	v_add_f64 v[0:1], v[0:1], v[238:239]
	v_fma_f64 v[4:5], v[52:53], v[6:7], -v[4:5]
	v_accvgpr_read_b32 v6, a118
	v_add_f64 v[0:1], v[0:1], v[240:241]
	v_accvgpr_read_b32 v8, a120
	v_accvgpr_read_b32 v9, a121
	v_add_f64 v[0:1], v[0:1], v[4:5]
	v_accvgpr_read_b32 v7, a119
	v_mul_f64 v[4:5], v[110:111], v[8:9]
	v_fma_f64 v[4:5], v[108:109], v[6:7], -v[4:5]
	v_accvgpr_read_b32 v6, a122
	v_accvgpr_read_b32 v8, a124
	v_accvgpr_read_b32 v9, a125
	v_add_f64 v[0:1], v[0:1], v[4:5]
	v_accvgpr_read_b32 v7, a123
	v_mul_f64 v[4:5], v[114:115], v[8:9]
	v_fma_f64 v[4:5], v[112:113], v[6:7], -v[4:5]
	v_add_f64 v[0:1], v[0:1], v[4:5]
	v_mul_f64 v[4:5], v[118:119], v[236:237]
	v_fma_f64 v[4:5], v[116:117], v[234:235], -v[4:5]
	v_add_f64 v[0:1], v[0:1], v[4:5]
	;; [unrolled: 3-line block ×26, first 2 shown]
	s_waitcnt vmcnt(0)
	v_add_f64 v[4:5], v[228:229], -v[0:1]
	v_accvgpr_read_b32 v0, a112
	v_add_f64 v[6:7], v[230:231], -v[244:245]
	v_cmp_lt_u32_e32 vcc, 9, v0
	scratch_store_dwordx4 off, v[4:7], off offset:176
	s_and_saveexec_b64 s[0:1], vcc
	s_cbranch_execz .LBB55_331
; %bb.330:
	scratch_load_dwordx4 v[6:9], off, s44
	v_mov_b32_e32 v3, v2
	v_mov_b32_e32 v4, v2
	;; [unrolled: 1-line block ×3, first 2 shown]
	v_accvgpr_read_b32 v0, a113
	scratch_store_dwordx4 off, v[2:5], off offset:160
	s_waitcnt vmcnt(1)
	ds_write_b128 v0, v[6:9]
.LBB55_331:
	s_or_b64 exec, exec, s[0:1]
	s_waitcnt lgkmcnt(0)
	; wave barrier
	scratch_load_dwordx4 v[80:83], off, off offset:176
	scratch_load_dwordx4 v[84:87], off, off offset:192
	;; [unrolled: 1-line block ×17, first 2 shown]
	ds_read_b128 v[136:139], v2 offset:1056
	ds_read_b128 v[132:135], v2 offset:1072
	scratch_load_dwordx4 v[4:7], off, off offset:448
	ds_read_b128 v[236:239], v2 offset:1088
	ds_read_b128 v[228:231], v2 offset:1104
	;; [unrolled: 1-line block ×5, first 2 shown]
	scratch_load_dwordx4 v[8:11], off, off offset:464
	ds_read_b128 v[232:235], v2 offset:1168
	ds_read_b128 v[216:219], v2 offset:1184
	ds_read_b128 v[160:163], v2 offset:1200
	scratch_load_dwordx4 v[12:15], off, off offset:480
	ds_read_b128 v[220:223], v2 offset:1216
	ds_read_b128 v[172:175], v2 offset:1232
	;; [unrolled: 1-line block ×5, first 2 shown]
	scratch_load_dwordx4 v[16:19], off, off offset:496
	ds_read_b128 v[208:211], v2 offset:1296
	ds_read_b128 v[204:207], v2 offset:1312
	;; [unrolled: 1-line block ×3, first 2 shown]
	scratch_load_dwordx4 v[24:27], off, off offset:512
	scratch_load_dwordx4 v[28:31], off, off offset:528
	;; [unrolled: 1-line block ×8, first 2 shown]
	ds_read_b128 v[116:119], v2 offset:1376
	ds_read_b128 v[120:123], v2 offset:1392
	;; [unrolled: 1-line block ×4, first 2 shown]
	s_waitcnt vmcnt(28) lgkmcnt(14)
	v_mul_f64 v[0:1], v[136:137], v[82:83]
	s_waitcnt vmcnt(27)
	v_mul_f64 v[56:57], v[132:133], v[86:87]
	v_fmac_f64_e32 v[0:1], v[138:139], v[80:81]
	s_waitcnt vmcnt(26)
	v_mul_f64 v[58:59], v[236:237], v[90:91]
	v_fmac_f64_e32 v[56:57], v[134:135], v[84:85]
	v_add_f64 v[0:1], v[0:1], 0
	s_waitcnt vmcnt(25)
	v_mul_f64 v[60:61], v[228:229], v[94:95]
	v_fmac_f64_e32 v[58:59], v[238:239], v[88:89]
	v_add_f64 v[0:1], v[0:1], v[56:57]
	;; [unrolled: 4-line block ×6, first 2 shown]
	s_waitcnt vmcnt(20) lgkmcnt(13)
	v_mul_f64 v[70:71], v[216:217], v[154:155]
	v_fmac_f64_e32 v[68:69], v[234:235], v[144:145]
	v_add_f64 v[0:1], v[0:1], v[66:67]
	s_waitcnt vmcnt(19) lgkmcnt(12)
	v_mul_f64 v[72:73], v[160:161], v[158:159]
	v_fmac_f64_e32 v[70:71], v[218:219], v[152:153]
	v_add_f64 v[0:1], v[0:1], v[68:69]
	;; [unrolled: 4-line block ×7, first 2 shown]
	v_fmac_f64_e32 v[110:111], v[198:199], v[188:189]
	v_add_f64 v[0:1], v[0:1], v[108:109]
	s_waitcnt vmcnt(13) lgkmcnt(6)
	v_mul_f64 v[112:113], v[208:209], v[194:195]
	v_add_f64 v[0:1], v[0:1], v[110:111]
	scratch_load_dwordx4 v[56:59], off, off offset:640
	scratch_load_dwordx4 v[60:63], off, off offset:656
	ds_read_b128 v[108:111], v2 offset:1344
	s_waitcnt vmcnt(14) lgkmcnt(6)
	v_mul_f64 v[114:115], v[204:205], v[202:203]
	v_fmac_f64_e32 v[112:113], v[210:211], v[192:193]
	v_add_f64 v[0:1], v[0:1], v[112:113]
	v_fmac_f64_e32 v[114:115], v[206:207], v[200:201]
	s_waitcnt vmcnt(13) lgkmcnt(5)
	v_mul_f64 v[64:65], v[20:21], v[6:7]
	v_accvgpr_write_b32 a117, v7
	v_add_f64 v[0:1], v[0:1], v[114:115]
	v_fmac_f64_e32 v[64:65], v[22:23], v[4:5]
	v_accvgpr_write_b32 a116, v6
	v_accvgpr_write_b32 a115, v5
	;; [unrolled: 1-line block ×3, first 2 shown]
	ds_read_b128 v[112:115], v2 offset:1360
	s_waitcnt vmcnt(12)
	v_mov_b64_e32 v[4:5], v[8:9]
	v_mov_b64_e32 v[6:7], v[10:11]
	s_waitcnt lgkmcnt(1)
	v_mul_f64 v[68:69], v[108:109], v[6:7]
	v_fmac_f64_e32 v[68:69], v[110:111], v[4:5]
	s_waitcnt vmcnt(11)
	v_mov_b64_e32 v[4:5], v[12:13]
	v_add_f64 v[0:1], v[0:1], v[64:65]
	v_mov_b64_e32 v[6:7], v[14:15]
	v_add_f64 v[0:1], v[0:1], v[68:69]
	s_waitcnt lgkmcnt(0)
	v_mul_f64 v[68:69], v[112:113], v[6:7]
	scratch_load_dwordx4 v[64:67], off, off offset:672
	v_fmac_f64_e32 v[68:69], v[114:115], v[4:5]
	v_add_f64 v[0:1], v[0:1], v[68:69]
	scratch_load_dwordx4 v[68:71], off, off offset:688
	scratch_load_dwordx4 v[72:75], off, off offset:704
	s_waitcnt vmcnt(13)
	v_mul_f64 v[76:77], v[116:117], v[18:19]
	v_fmac_f64_e32 v[76:77], v[118:119], v[16:17]
	v_add_f64 v[0:1], v[0:1], v[76:77]
	s_waitcnt vmcnt(12)
	v_mul_f64 v[76:77], v[120:121], v[26:27]
	v_fmac_f64_e32 v[76:77], v[122:123], v[24:25]
	v_add_f64 v[0:1], v[0:1], v[76:77]
	scratch_load_dwordx4 v[76:79], off, off offset:720
	v_mul_f64 v[82:83], v[138:139], v[82:83]
	v_fma_f64 v[244:245], v[136:137], v[80:81], -v[82:83]
	scratch_load_dwordx4 v[80:83], off, off offset:736
	v_mul_f64 v[86:87], v[134:135], v[86:87]
	v_fma_f64 v[246:247], v[132:133], v[84:85], -v[86:87]
	scratch_load_dwordx4 v[84:87], off, off offset:752
	s_waitcnt vmcnt(14)
	v_mul_f64 v[136:137], v[124:125], v[30:31]
	v_mul_f64 v[90:91], v[238:239], v[90:91]
	v_fmac_f64_e32 v[136:137], v[126:127], v[28:29]
	v_fma_f64 v[236:237], v[236:237], v[88:89], -v[90:91]
	scratch_load_dwordx4 v[88:91], off, off offset:768
	v_add_f64 v[0:1], v[0:1], v[136:137]
	s_waitcnt vmcnt(14)
	v_mul_f64 v[136:137], v[128:129], v[34:35]
	v_mul_f64 v[94:95], v[230:231], v[94:95]
	v_fmac_f64_e32 v[136:137], v[130:131], v[32:33]
	v_fma_f64 v[238:239], v[228:229], v[92:93], -v[94:95]
	v_mul_f64 v[92:93], v[226:227], v[98:99]
	ds_read_b128 v[132:135], v2 offset:1440
	v_add_f64 v[0:1], v[0:1], v[136:137]
	ds_read_b128 v[136:139], v2 offset:1456
	v_fma_f64 v[248:249], v[224:225], v[96:97], -v[92:93]
	scratch_load_dwordx4 v[96:99], off, off offset:784
	scratch_load_dwordx4 v[92:95], off, off offset:800
	v_mul_f64 v[102:103], v[150:151], v[102:103]
	v_fma_f64 v[250:251], v[148:149], v[100:101], -v[102:103]
	scratch_load_dwordx4 v[100:103], off, off offset:816
	v_mul_f64 v[106:107], v[142:143], v[106:107]
	v_fma_f64 v[252:253], v[140:141], v[104:105], -v[106:107]
	v_mul_f64 v[104:105], v[234:235], v[146:147]
	v_fma_f64 v[254:255], v[232:233], v[144:145], -v[104:105]
	scratch_load_dwordx4 v[104:107], off, off offset:832
	ds_read_b128 v[140:143], v2 offset:1472
	ds_read_b128 v[144:147], v2 offset:1488
	s_waitcnt vmcnt(17) lgkmcnt(3)
	v_mul_f64 v[228:229], v[132:133], v[38:39]
	v_fmac_f64_e32 v[228:229], v[134:135], v[36:37]
	s_waitcnt vmcnt(16) lgkmcnt(2)
	v_mul_f64 v[224:225], v[136:137], v[42:43]
	v_add_f64 v[0:1], v[0:1], v[228:229]
	v_fmac_f64_e32 v[224:225], v[138:139], v[40:41]
	s_waitcnt vmcnt(15) lgkmcnt(1)
	v_mul_f64 v[148:149], v[140:141], v[46:47]
	v_add_f64 v[0:1], v[0:1], v[224:225]
	v_fmac_f64_e32 v[148:149], v[142:143], v[44:45]
	v_add_f64 v[0:1], v[0:1], v[148:149]
	ds_read_b128 v[148:151], v2 offset:1504
	v_mul_f64 v[154:155], v[218:219], v[154:155]
	v_fma_f64 v[240:241], v[216:217], v[152:153], -v[154:155]
	ds_read_b128 v[152:155], v2 offset:1520
	v_accvgpr_write_b32 a125, v15
	v_mul_f64 v[158:159], v[162:163], v[158:159]
	v_accvgpr_write_b32 a124, v14
	v_accvgpr_write_b32 a123, v13
	;; [unrolled: 1-line block ×3, first 2 shown]
	v_fma_f64 v[12:13], v[160:161], v[156:157], -v[158:159]
	ds_read_b128 v[156:159], v2 offset:1536
	ds_read_b128 v[160:163], v2 offset:1552
	s_waitcnt vmcnt(14) lgkmcnt(4)
	v_mul_f64 v[224:225], v[144:145], v[50:51]
	v_fmac_f64_e32 v[224:225], v[146:147], v[48:49]
	s_waitcnt vmcnt(13) lgkmcnt(3)
	v_mul_f64 v[216:217], v[148:149], v[54:55]
	v_add_f64 v[0:1], v[0:1], v[224:225]
	v_fmac_f64_e32 v[216:217], v[150:151], v[52:53]
	s_waitcnt vmcnt(12) lgkmcnt(2)
	v_mul_f64 v[6:7], v[152:153], v[58:59]
	v_add_f64 v[0:1], v[0:1], v[216:217]
	v_fmac_f64_e32 v[6:7], v[154:155], v[56:57]
	v_add_f64 v[0:1], v[0:1], v[6:7]
	s_waitcnt vmcnt(11) lgkmcnt(1)
	v_mul_f64 v[6:7], v[156:157], v[62:63]
	v_fmac_f64_e32 v[6:7], v[158:159], v[60:61]
	v_accvgpr_write_b32 a121, v11
	v_add_f64 v[0:1], v[0:1], v[6:7]
	v_mul_f64 v[6:7], v[222:223], v[166:167]
	v_accvgpr_write_b32 a120, v10
	v_accvgpr_write_b32 a119, v9
	;; [unrolled: 1-line block ×3, first 2 shown]
	v_fma_f64 v[8:9], v[220:221], v[164:165], -v[6:7]
	ds_read_b128 v[164:167], v2 offset:1568
	v_mul_f64 v[170:171], v[174:175], v[170:171]
	v_fma_f64 v[6:7], v[172:173], v[168:169], -v[170:171]
	ds_read_b128 v[168:171], v2 offset:1584
	s_waitcnt vmcnt(10) lgkmcnt(2)
	v_mul_f64 v[216:217], v[160:161], v[66:67]
	v_fmac_f64_e32 v[216:217], v[162:163], v[64:65]
	s_waitcnt vmcnt(9) lgkmcnt(1)
	v_mul_f64 v[10:11], v[164:165], v[70:71]
	v_add_f64 v[0:1], v[0:1], v[216:217]
	v_fmac_f64_e32 v[10:11], v[166:167], v[68:69]
	v_add_f64 v[0:1], v[0:1], v[10:11]
	s_waitcnt vmcnt(8) lgkmcnt(0)
	v_mul_f64 v[10:11], v[168:169], v[74:75]
	v_fmac_f64_e32 v[10:11], v[170:171], v[72:73]
	ds_read_b128 v[172:175], v2 offset:1600
	v_add_f64 v[0:1], v[0:1], v[10:11]
	v_mul_f64 v[10:11], v[214:215], v[178:179]
	v_fma_f64 v[10:11], v[212:213], v[176:177], -v[10:11]
	ds_read_b128 v[176:179], v2 offset:1616
	v_mul_f64 v[182:183], v[186:187], v[182:183]
	v_fma_f64 v[4:5], v[184:185], v[180:181], -v[182:183]
	ds_read_b128 v[180:183], v2 offset:1632
	ds_read_b128 v[184:187], v2 offset:1648
	s_waitcnt vmcnt(7) lgkmcnt(3)
	v_mul_f64 v[212:213], v[172:173], v[78:79]
	v_fmac_f64_e32 v[212:213], v[174:175], v[76:77]
	s_waitcnt vmcnt(6) lgkmcnt(2)
	v_mul_f64 v[14:15], v[176:177], v[82:83]
	v_add_f64 v[0:1], v[0:1], v[212:213]
	v_fmac_f64_e32 v[14:15], v[178:179], v[80:81]
	v_add_f64 v[0:1], v[0:1], v[14:15]
	s_waitcnt vmcnt(5) lgkmcnt(1)
	v_mul_f64 v[14:15], v[180:181], v[86:87]
	v_fmac_f64_e32 v[14:15], v[182:183], v[84:85]
	v_add_f64 v[14:15], v[0:1], v[14:15]
	v_mul_f64 v[0:1], v[198:199], v[190:191]
	v_fma_f64 v[0:1], v[196:197], v[188:189], -v[0:1]
	ds_read_b128 v[188:191], v2 offset:1664
	v_mul_f64 v[194:195], v[210:211], v[194:195]
	s_waitcnt vmcnt(4) lgkmcnt(1)
	v_mul_f64 v[196:197], v[184:185], v[90:91]
	v_fma_f64 v[192:193], v[208:209], v[192:193], -v[194:195]
	v_fmac_f64_e32 v[196:197], v[186:187], v[88:89]
	v_accvgpr_write_b32 a126, v192
	v_accvgpr_write_b32 a127, v193
	ds_read_b128 v[192:195], v2 offset:1680
	v_add_f64 v[14:15], v[14:15], v[196:197]
	s_waitcnt vmcnt(3) lgkmcnt(1)
	v_mul_f64 v[196:197], v[188:189], v[98:99]
	v_fmac_f64_e32 v[196:197], v[190:191], v[96:97]
	v_add_f64 v[14:15], v[14:15], v[196:197]
	ds_read_b128 v[196:199], v2 offset:1696
	v_mul_f64 v[202:203], v[206:207], v[202:203]
	v_fma_f64 v[242:243], v[204:205], v[200:201], -v[202:203]
	ds_read_b128 v[200:203], v2 offset:1712
	s_waitcnt vmcnt(2) lgkmcnt(2)
	v_mul_f64 v[204:205], v[192:193], v[94:95]
	v_fmac_f64_e32 v[204:205], v[194:195], v[92:93]
	v_add_f64 v[14:15], v[14:15], v[204:205]
	s_waitcnt vmcnt(1) lgkmcnt(1)
	v_mul_f64 v[204:205], v[196:197], v[102:103]
	v_fmac_f64_e32 v[204:205], v[198:199], v[100:101]
	v_add_f64 v[14:15], v[14:15], v[204:205]
	;; [unrolled: 4-line block ×3, first 2 shown]
	scratch_load_dwordx4 v[204:207], off, off offset:848
	scratch_load_dwordx4 v[232:235], off, off offset:896
	ds_read_b128 v[208:211], v2 offset:1728
	ds_read_b128 v[216:219], v2 offset:1744
	ds_read_b128 v[224:227], v2 offset:1760
	s_waitcnt vmcnt(1) lgkmcnt(2)
	v_mul_f64 v[212:213], v[208:209], v[206:207]
	v_fmac_f64_e32 v[212:213], v[210:211], v[204:205]
	v_add_f64 v[14:15], v[14:15], v[212:213]
	scratch_load_dwordx4 v[212:215], off, off offset:864
	s_waitcnt vmcnt(0) lgkmcnt(1)
	v_mul_f64 v[220:221], v[216:217], v[214:215]
	v_fmac_f64_e32 v[220:221], v[218:219], v[212:213]
	v_add_f64 v[14:15], v[14:15], v[220:221]
	scratch_load_dwordx4 v[220:223], off, off offset:880
	s_waitcnt vmcnt(0) lgkmcnt(0)
	v_mul_f64 v[228:229], v[224:225], v[222:223]
	v_fmac_f64_e32 v[228:229], v[226:227], v[220:221]
	v_add_f64 v[14:15], v[14:15], v[228:229]
	ds_read_b128 v[228:231], v2 offset:1776
	s_waitcnt lgkmcnt(0)
	v_mul_f64 v[2:3], v[228:229], v[234:235]
	v_fmac_f64_e32 v[2:3], v[230:231], v[232:233]
	v_add_f64 v[2:3], v[14:15], v[2:3]
	v_add_f64 v[14:15], v[244:245], 0
	v_add_f64 v[14:15], v[14:15], v[246:247]
	v_add_f64 v[14:15], v[14:15], v[236:237]
	v_add_f64 v[14:15], v[14:15], v[238:239]
	scratch_load_dwordx4 v[236:239], off, off offset:160
	v_add_f64 v[14:15], v[14:15], v[248:249]
	v_add_f64 v[14:15], v[14:15], v[250:251]
	;; [unrolled: 1-line block ×10, first 2 shown]
	v_accvgpr_read_b32 v6, a114
	v_add_f64 v[244:245], v[4:5], v[0:1]
	v_accvgpr_read_b32 v0, a126
	v_accvgpr_read_b32 v8, a116
	;; [unrolled: 1-line block ×5, first 2 shown]
	v_mul_f64 v[4:5], v[22:23], v[8:9]
	v_add_f64 v[0:1], v[244:245], v[0:1]
	v_fma_f64 v[4:5], v[20:21], v[6:7], -v[4:5]
	v_accvgpr_read_b32 v6, a118
	v_add_f64 v[0:1], v[0:1], v[242:243]
	v_accvgpr_read_b32 v8, a120
	v_accvgpr_read_b32 v9, a121
	v_add_f64 v[0:1], v[0:1], v[4:5]
	v_accvgpr_read_b32 v7, a119
	v_mul_f64 v[4:5], v[110:111], v[8:9]
	v_fma_f64 v[4:5], v[108:109], v[6:7], -v[4:5]
	v_accvgpr_read_b32 v6, a122
	v_accvgpr_read_b32 v8, a124
	;; [unrolled: 1-line block ×3, first 2 shown]
	v_add_f64 v[0:1], v[0:1], v[4:5]
	v_accvgpr_read_b32 v7, a123
	v_mul_f64 v[4:5], v[114:115], v[8:9]
	v_fma_f64 v[4:5], v[112:113], v[6:7], -v[4:5]
	v_add_f64 v[0:1], v[0:1], v[4:5]
	v_mul_f64 v[4:5], v[118:119], v[18:19]
	v_fma_f64 v[4:5], v[116:117], v[16:17], -v[4:5]
	v_add_f64 v[0:1], v[0:1], v[4:5]
	;; [unrolled: 3-line block ×27, first 2 shown]
	s_waitcnt vmcnt(0)
	v_add_f64 v[4:5], v[236:237], -v[0:1]
	v_accvgpr_read_b32 v0, a112
	v_add_f64 v[6:7], v[238:239], -v[2:3]
	v_cmp_lt_u32_e32 vcc, 8, v0
	scratch_store_dwordx4 off, v[4:7], off offset:160
	s_and_saveexec_b64 s[0:1], vcc
	s_cbranch_execz .LBB55_333
; %bb.332:
	scratch_load_dwordx4 v[2:5], off, s43
	v_mov_b32_e32 v6, 0
	v_mov_b32_e32 v7, v6
	;; [unrolled: 1-line block ×4, first 2 shown]
	v_accvgpr_read_b32 v0, a113
	scratch_store_dwordx4 off, v[6:9], off offset:144
	s_waitcnt vmcnt(1)
	ds_write_b128 v0, v[2:5]
.LBB55_333:
	s_or_b64 exec, exec, s[0:1]
	s_waitcnt lgkmcnt(0)
	; wave barrier
	scratch_load_dwordx4 v[68:71], off, off offset:160
	scratch_load_dwordx4 v[72:75], off, off offset:176
	;; [unrolled: 1-line block ×28, first 2 shown]
	v_mov_b32_e32 v2, 0
	ds_read_b128 v[124:127], v2 offset:1040
	ds_read_b128 v[128:131], v2 offset:1056
	;; [unrolled: 1-line block ×23, first 2 shown]
	s_waitcnt vmcnt(27) lgkmcnt(14)
	v_mul_f64 v[0:1], v[124:125], v[70:71]
	s_waitcnt vmcnt(26)
	v_mul_f64 v[40:41], v[128:129], v[74:75]
	v_fmac_f64_e32 v[0:1], v[126:127], v[68:69]
	s_waitcnt vmcnt(25)
	v_mul_f64 v[42:43], v[132:133], v[78:79]
	v_fmac_f64_e32 v[40:41], v[130:131], v[72:73]
	v_add_f64 v[0:1], v[0:1], 0
	s_waitcnt vmcnt(24)
	v_mul_f64 v[44:45], v[136:137], v[82:83]
	v_fmac_f64_e32 v[42:43], v[134:135], v[76:77]
	v_add_f64 v[0:1], v[0:1], v[40:41]
	;; [unrolled: 4-line block ×7, first 2 shown]
	s_waitcnt vmcnt(18) lgkmcnt(13)
	v_mul_f64 v[56:57], v[200:201], v[146:147]
	v_fmac_f64_e32 v[54:55], v[194:195], v[112:113]
	v_add_f64 v[0:1], v[0:1], v[52:53]
	s_waitcnt vmcnt(17) lgkmcnt(12)
	v_mul_f64 v[58:59], v[204:205], v[150:151]
	v_fmac_f64_e32 v[56:57], v[202:203], v[144:145]
	v_add_f64 v[0:1], v[0:1], v[54:55]
	;; [unrolled: 4-line block ×7, first 2 shown]
	scratch_load_dwordx4 v[40:43], off, off offset:608
	scratch_load_dwordx4 v[44:47], off, off offset:624
	s_waitcnt vmcnt(13) lgkmcnt(6)
	v_mul_f64 v[102:103], v[228:229], v[186:187]
	v_fmac_f64_e32 v[100:101], v[226:227], v[176:177]
	v_add_f64 v[0:1], v[0:1], v[66:67]
	v_add_f64 v[0:1], v[0:1], v[100:101]
	v_fmac_f64_e32 v[102:103], v[230:231], v[184:185]
	v_add_f64 v[0:1], v[0:1], v[102:103]
	ds_read_b128 v[100:103], v2 offset:1344
	s_waitcnt vmcnt(12) lgkmcnt(6)
	v_mul_f64 v[48:49], v[238:239], v[190:191]
	v_fmac_f64_e32 v[48:49], v[240:241], v[188:189]
	v_add_f64 v[0:1], v[0:1], v[48:49]
	s_waitcnt vmcnt(11) lgkmcnt(5)
	v_mul_f64 v[48:49], v[242:243], v[198:199]
	v_fmac_f64_e32 v[48:49], v[244:245], v[196:197]
	v_add_f64 v[0:1], v[0:1], v[48:49]
	scratch_load_dwordx4 v[48:51], off, off offset:640
	scratch_load_dwordx4 v[52:55], off, off offset:656
	s_waitcnt vmcnt(12) lgkmcnt(0)
	v_mul_f64 v[56:57], v[100:101], v[6:7]
	v_accvgpr_write_b32 a117, v7
	v_fmac_f64_e32 v[56:57], v[102:103], v[4:5]
	v_accvgpr_write_b32 a116, v6
	v_accvgpr_write_b32 a115, v5
	;; [unrolled: 1-line block ×3, first 2 shown]
	s_waitcnt vmcnt(11)
	v_mov_b64_e32 v[4:5], v[8:9]
	v_mov_b64_e32 v[6:7], v[10:11]
	v_add_f64 v[0:1], v[0:1], v[56:57]
	v_mul_f64 v[56:57], v[104:105], v[6:7]
	v_fmac_f64_e32 v[56:57], v[106:107], v[4:5]
	v_add_f64 v[0:1], v[0:1], v[56:57]
	scratch_load_dwordx4 v[56:59], off, off offset:672
	s_waitcnt vmcnt(11)
	v_mov_b64_e32 v[4:5], v[12:13]
	v_mov_b64_e32 v[6:7], v[14:15]
	v_mul_f64 v[60:61], v[108:109], v[6:7]
	v_fmac_f64_e32 v[60:61], v[110:111], v[4:5]
	s_waitcnt vmcnt(10)
	v_mov_b64_e32 v[4:5], v[16:17]
	v_mov_b64_e32 v[6:7], v[18:19]
	v_add_f64 v[0:1], v[0:1], v[60:61]
	scratch_load_dwordx4 v[60:63], off, off offset:688
	v_mul_f64 v[64:65], v[116:117], v[6:7]
	v_fmac_f64_e32 v[64:65], v[118:119], v[4:5]
	v_add_f64 v[0:1], v[0:1], v[64:65]
	scratch_load_dwordx4 v[64:67], off, off offset:704
	v_mul_f64 v[70:71], v[126:127], v[70:71]
	v_fma_f64 v[246:247], v[124:125], v[68:69], -v[70:71]
	s_waitcnt vmcnt(11)
	v_mul_f64 v[124:125], v[120:121], v[236:237]
	scratch_load_dwordx4 v[68:71], off, off offset:720
	v_fmac_f64_e32 v[124:125], v[122:123], v[234:235]
	v_mul_f64 v[74:75], v[130:131], v[74:75]
	v_mul_f64 v[78:79], v[134:135], v[78:79]
	v_add_f64 v[0:1], v[0:1], v[124:125]
	v_fma_f64 v[248:249], v[128:129], v[72:73], -v[74:75]
	ds_read_b128 v[124:127], v2 offset:1424
	ds_read_b128 v[128:131], v2 offset:1440
	scratch_load_dwordx4 v[72:75], off, off offset:736
	v_fma_f64 v[250:251], v[132:133], v[76:77], -v[78:79]
	v_mul_f64 v[76:77], v[138:139], v[82:83]
	v_fma_f64 v[252:253], v[136:137], v[80:81], -v[76:77]
	scratch_load_dwordx4 v[76:79], off, off offset:752
	s_waitcnt vmcnt(13) lgkmcnt(1)
	v_mul_f64 v[132:133], v[124:125], v[26:27]
	v_fmac_f64_e32 v[132:133], v[126:127], v[24:25]
	v_add_f64 v[0:1], v[0:1], v[132:133]
	s_waitcnt vmcnt(12) lgkmcnt(0)
	v_mul_f64 v[132:133], v[128:129], v[30:31]
	scratch_load_dwordx4 v[80:83], off, off offset:768
	v_fmac_f64_e32 v[132:133], v[130:131], v[28:29]
	v_mul_f64 v[86:87], v[142:143], v[86:87]
	v_add_f64 v[0:1], v[0:1], v[132:133]
	v_fma_f64 v[254:255], v[140:141], v[84:85], -v[86:87]
	ds_read_b128 v[132:135], v2 offset:1456
	v_mul_f64 v[84:85], v[158:159], v[90:91]
	v_fma_f64 v[232:233], v[156:157], v[88:89], -v[84:85]
	scratch_load_dwordx4 v[88:91], off, off offset:784
	scratch_load_dwordx4 v[84:87], off, off offset:800
	v_accvgpr_write_b32 a129, v19
	s_waitcnt vmcnt(14) lgkmcnt(0)
	v_mul_f64 v[6:7], v[132:133], v[34:35]
	v_fmac_f64_e32 v[6:7], v[134:135], v[32:33]
	v_mul_f64 v[94:95], v[170:171], v[94:95]
	v_add_f64 v[0:1], v[0:1], v[6:7]
	v_mul_f64 v[6:7], v[182:183], v[98:99]
	v_accvgpr_write_b32 a128, v18
	v_accvgpr_write_b32 a127, v17
	v_accvgpr_write_b32 a126, v16
	v_fma_f64 v[20:21], v[168:169], v[92:93], -v[94:95]
	ds_read_b128 v[136:139], v2 offset:1472
	v_fma_f64 v[16:17], v[180:181], v[96:97], -v[6:7]
	scratch_load_dwordx4 v[96:99], off, off offset:816
	scratch_load_dwordx4 v[92:95], off, off offset:832
	v_accvgpr_write_b32 a125, v15
	v_mul_f64 v[6:7], v[194:195], v[114:115]
	v_accvgpr_write_b32 a124, v14
	v_accvgpr_write_b32 a123, v13
	;; [unrolled: 1-line block ×3, first 2 shown]
	v_fma_f64 v[12:13], v[192:193], v[112:113], -v[6:7]
	scratch_load_dwordx4 v[112:115], off, off offset:848
	ds_read_b128 v[140:143], v2 offset:1488
	s_waitcnt vmcnt(16) lgkmcnt(1)
	v_mul_f64 v[6:7], v[136:137], v[38:39]
	v_fmac_f64_e32 v[6:7], v[138:139], v[36:37]
	v_accvgpr_write_b32 a121, v11
	v_add_f64 v[0:1], v[0:1], v[6:7]
	v_mul_f64 v[6:7], v[202:203], v[146:147]
	v_accvgpr_write_b32 a120, v10
	v_accvgpr_write_b32 a119, v9
	;; [unrolled: 1-line block ×3, first 2 shown]
	v_fma_f64 v[10:11], v[200:201], v[144:145], -v[6:7]
	ds_read_b128 v[144:147], v2 offset:1504
	s_waitcnt vmcnt(15) lgkmcnt(1)
	v_mul_f64 v[6:7], v[140:141], v[42:43]
	v_fmac_f64_e32 v[6:7], v[142:143], v[40:41]
	v_add_f64 v[0:1], v[0:1], v[6:7]
	v_mul_f64 v[6:7], v[206:207], v[150:151]
	v_fma_f64 v[14:15], v[204:205], v[148:149], -v[6:7]
	ds_read_b128 v[148:151], v2 offset:1520
	v_mul_f64 v[154:155], v[210:211], v[154:155]
	v_fma_f64 v[8:9], v[208:209], v[152:153], -v[154:155]
	ds_read_b128 v[152:155], v2 offset:1536
	s_waitcnt vmcnt(14) lgkmcnt(2)
	v_mul_f64 v[6:7], v[144:145], v[46:47]
	v_fmac_f64_e32 v[6:7], v[146:147], v[44:45]
	v_add_f64 v[0:1], v[0:1], v[6:7]
	s_waitcnt vmcnt(13) lgkmcnt(1)
	v_mul_f64 v[6:7], v[148:149], v[50:51]
	ds_read_b128 v[156:159], v2 offset:1552
	v_fmac_f64_e32 v[6:7], v[150:151], v[48:49]
	v_add_f64 v[0:1], v[0:1], v[6:7]
	s_waitcnt vmcnt(12) lgkmcnt(1)
	v_mul_f64 v[6:7], v[152:153], v[54:55]
	v_fmac_f64_e32 v[6:7], v[154:155], v[52:53]
	v_add_f64 v[0:1], v[0:1], v[6:7]
	v_mul_f64 v[6:7], v[214:215], v[162:163]
	v_fma_f64 v[18:19], v[212:213], v[160:161], -v[6:7]
	ds_read_b128 v[160:163], v2 offset:1568
	s_waitcnt vmcnt(11) lgkmcnt(1)
	v_mul_f64 v[6:7], v[156:157], v[58:59]
	v_fmac_f64_e32 v[6:7], v[158:159], v[56:57]
	v_add_f64 v[0:1], v[0:1], v[6:7]
	v_mul_f64 v[6:7], v[218:219], v[166:167]
	v_fma_f64 v[4:5], v[216:217], v[164:165], -v[6:7]
	ds_read_b128 v[164:167], v2 offset:1584
	ds_read_b128 v[168:171], v2 offset:1600
	s_waitcnt vmcnt(10) lgkmcnt(2)
	v_mul_f64 v[6:7], v[160:161], v[62:63]
	v_fmac_f64_e32 v[6:7], v[162:163], v[60:61]
	v_add_f64 v[0:1], v[0:1], v[6:7]
	s_waitcnt vmcnt(9) lgkmcnt(1)
	v_mul_f64 v[6:7], v[164:165], v[66:67]
	v_fmac_f64_e32 v[6:7], v[166:167], v[64:65]
	v_add_f64 v[0:1], v[0:1], v[6:7]
	v_mul_f64 v[6:7], v[222:223], v[174:175]
	v_fma_f64 v[22:23], v[220:221], v[172:173], -v[6:7]
	ds_read_b128 v[172:175], v2 offset:1616
	v_mul_f64 v[6:7], v[226:227], v[178:179]
	v_fma_f64 v[6:7], v[224:225], v[176:177], -v[6:7]
	ds_read_b128 v[176:179], v2 offset:1632
	s_waitcnt vmcnt(8) lgkmcnt(2)
	v_mul_f64 v[180:181], v[168:169], v[70:71]
	v_fmac_f64_e32 v[180:181], v[170:171], v[68:69]
	v_add_f64 v[0:1], v[0:1], v[180:181]
	s_waitcnt vmcnt(7) lgkmcnt(1)
	v_mul_f64 v[180:181], v[172:173], v[74:75]
	v_fmac_f64_e32 v[180:181], v[174:175], v[72:73]
	s_waitcnt vmcnt(6) lgkmcnt(0)
	v_mul_f64 v[192:193], v[176:177], v[78:79]
	v_add_f64 v[0:1], v[0:1], v[180:181]
	v_fmac_f64_e32 v[192:193], v[178:179], v[76:77]
	ds_read_b128 v[180:183], v2 offset:1648
	v_add_f64 v[192:193], v[0:1], v[192:193]
	v_mul_f64 v[0:1], v[230:231], v[186:187]
	v_fma_f64 v[0:1], v[228:229], v[184:185], -v[0:1]
	ds_read_b128 v[184:187], v2 offset:1664
	s_waitcnt vmcnt(5) lgkmcnt(1)
	v_mul_f64 v[194:195], v[180:181], v[82:83]
	v_fmac_f64_e32 v[194:195], v[182:183], v[80:81]
	v_mul_f64 v[190:191], v[240:241], v[190:191]
	v_add_f64 v[192:193], v[192:193], v[194:195]
	v_fma_f64 v[238:239], v[238:239], v[188:189], -v[190:191]
	ds_read_b128 v[188:191], v2 offset:1680
	s_waitcnt vmcnt(4) lgkmcnt(1)
	v_mul_f64 v[194:195], v[184:185], v[90:91]
	v_fmac_f64_e32 v[194:195], v[186:187], v[88:89]
	v_add_f64 v[200:201], v[192:193], v[194:195]
	ds_read_b128 v[192:195], v2 offset:1696
	v_mul_f64 v[198:199], v[244:245], v[198:199]
	v_fma_f64 v[240:241], v[242:243], v[196:197], -v[198:199]
	ds_read_b128 v[196:199], v2 offset:1712
	ds_read_b128 v[208:211], v2 offset:1744
	s_waitcnt vmcnt(3) lgkmcnt(3)
	v_mul_f64 v[202:203], v[188:189], v[86:87]
	v_fmac_f64_e32 v[202:203], v[190:191], v[84:85]
	v_add_f64 v[200:201], v[200:201], v[202:203]
	s_waitcnt vmcnt(2) lgkmcnt(2)
	v_mul_f64 v[202:203], v[192:193], v[98:99]
	v_fmac_f64_e32 v[202:203], v[194:195], v[96:97]
	v_add_f64 v[200:201], v[200:201], v[202:203]
	;; [unrolled: 4-line block ×3, first 2 shown]
	ds_read_b128 v[200:203], v2 offset:1728
	ds_read_b128 v[216:219], v2 offset:1760
	;; [unrolled: 1-line block ×3, first 2 shown]
	s_waitcnt vmcnt(0) lgkmcnt(2)
	v_mul_f64 v[206:207], v[200:201], v[114:115]
	v_fmac_f64_e32 v[206:207], v[202:203], v[112:113]
	v_add_f64 v[212:213], v[204:205], v[206:207]
	scratch_load_dwordx4 v[204:207], off, off offset:864
	s_waitcnt vmcnt(0)
	v_mul_f64 v[214:215], v[208:209], v[206:207]
	v_fmac_f64_e32 v[214:215], v[210:211], v[204:205]
	v_add_f64 v[220:221], v[212:213], v[214:215]
	scratch_load_dwordx4 v[212:215], off, off offset:880
	s_waitcnt vmcnt(0) lgkmcnt(1)
	v_mul_f64 v[222:223], v[216:217], v[214:215]
	v_fmac_f64_e32 v[222:223], v[218:219], v[212:213]
	v_add_f64 v[228:229], v[220:221], v[222:223]
	scratch_load_dwordx4 v[220:223], off, off offset:896
	s_waitcnt vmcnt(0) lgkmcnt(0)
	v_mul_f64 v[230:231], v[224:225], v[222:223]
	v_fmac_f64_e32 v[230:231], v[226:227], v[220:221]
	v_add_f64 v[244:245], v[228:229], v[230:231]
	v_add_f64 v[228:229], v[246:247], 0
	;; [unrolled: 1-line block ×8, first 2 shown]
	scratch_load_dwordx4 v[228:231], off, off offset:144
	v_add_f64 v[16:17], v[20:21], v[16:17]
	v_add_f64 v[12:13], v[16:17], v[12:13]
	;; [unrolled: 1-line block ×9, first 2 shown]
	v_accvgpr_read_b32 v6, a114
	v_accvgpr_read_b32 v8, a116
	;; [unrolled: 1-line block ×3, first 2 shown]
	v_add_f64 v[0:1], v[4:5], v[0:1]
	v_accvgpr_read_b32 v7, a115
	v_mul_f64 v[4:5], v[102:103], v[8:9]
	v_add_f64 v[0:1], v[0:1], v[238:239]
	v_fma_f64 v[4:5], v[100:101], v[6:7], -v[4:5]
	v_accvgpr_read_b32 v6, a118
	v_add_f64 v[0:1], v[0:1], v[240:241]
	v_accvgpr_read_b32 v8, a120
	v_accvgpr_read_b32 v9, a121
	v_add_f64 v[0:1], v[0:1], v[4:5]
	v_accvgpr_read_b32 v7, a119
	v_mul_f64 v[4:5], v[106:107], v[8:9]
	v_fma_f64 v[4:5], v[104:105], v[6:7], -v[4:5]
	v_accvgpr_read_b32 v6, a122
	v_accvgpr_read_b32 v8, a124
	;; [unrolled: 1-line block ×3, first 2 shown]
	v_add_f64 v[0:1], v[0:1], v[4:5]
	v_accvgpr_read_b32 v7, a123
	v_mul_f64 v[4:5], v[110:111], v[8:9]
	v_fma_f64 v[4:5], v[108:109], v[6:7], -v[4:5]
	v_accvgpr_read_b32 v6, a126
	v_accvgpr_read_b32 v8, a128
	;; [unrolled: 1-line block ×3, first 2 shown]
	v_add_f64 v[0:1], v[0:1], v[4:5]
	v_accvgpr_read_b32 v7, a127
	v_mul_f64 v[4:5], v[118:119], v[8:9]
	v_fma_f64 v[4:5], v[116:117], v[6:7], -v[4:5]
	v_add_f64 v[0:1], v[0:1], v[4:5]
	v_mul_f64 v[4:5], v[122:123], v[236:237]
	v_fma_f64 v[4:5], v[120:121], v[234:235], -v[4:5]
	v_add_f64 v[0:1], v[0:1], v[4:5]
	;; [unrolled: 3-line block ×25, first 2 shown]
	s_waitcnt vmcnt(0)
	v_add_f64 v[4:5], v[228:229], -v[0:1]
	v_accvgpr_read_b32 v0, a112
	v_add_f64 v[6:7], v[230:231], -v[244:245]
	v_cmp_lt_u32_e32 vcc, 7, v0
	scratch_store_dwordx4 off, v[4:7], off offset:144
	s_and_saveexec_b64 s[0:1], vcc
	s_cbranch_execz .LBB55_335
; %bb.334:
	scratch_load_dwordx4 v[6:9], off, s42
	v_mov_b32_e32 v3, v2
	v_mov_b32_e32 v4, v2
	v_mov_b32_e32 v5, v2
	v_accvgpr_read_b32 v0, a113
	scratch_store_dwordx4 off, v[2:5], off offset:128
	s_waitcnt vmcnt(1)
	ds_write_b128 v0, v[6:9]
.LBB55_335:
	s_or_b64 exec, exec, s[0:1]
	s_waitcnt lgkmcnt(0)
	; wave barrier
	scratch_load_dwordx4 v[40:43], off, off offset:144
	scratch_load_dwordx4 v[44:47], off, off offset:160
	;; [unrolled: 1-line block ×18, first 2 shown]
	ds_read_b128 v[164:167], v2 offset:1024
	ds_read_b128 v[232:235], v2 offset:1040
	;; [unrolled: 1-line block ×6, first 2 shown]
	scratch_load_dwordx4 v[140:143], off, off offset:432
	ds_read_b128 v[224:227], v2 offset:1120
	ds_read_b128 v[212:215], v2 offset:1136
	;; [unrolled: 1-line block ×3, first 2 shown]
	scratch_load_dwordx4 v[4:7], off, off offset:448
	ds_read_b128 v[228:231], v2 offset:1168
	ds_read_b128 v[216:219], v2 offset:1184
	;; [unrolled: 1-line block ×5, first 2 shown]
	scratch_load_dwordx4 v[8:11], off, off offset:464
	ds_read_b128 v[208:211], v2 offset:1248
	ds_read_b128 v[196:199], v2 offset:1264
	;; [unrolled: 1-line block ×3, first 2 shown]
	scratch_load_dwordx4 v[12:15], off, off offset:480
	ds_read_b128 v[200:203], v2 offset:1296
	scratch_load_dwordx4 v[16:19], off, off offset:496
	scratch_load_dwordx4 v[20:23], off, off offset:512
	;; [unrolled: 1-line block ×7, first 2 shown]
	ds_read_b128 v[236:239], v2 offset:1312
	ds_read_b128 v[156:159], v2 offset:1376
	;; [unrolled: 1-line block ×4, first 2 shown]
	s_waitcnt vmcnt(28) lgkmcnt(14)
	v_mul_f64 v[0:1], v[164:165], v[42:43]
	s_waitcnt vmcnt(27)
	v_mul_f64 v[108:109], v[232:233], v[46:47]
	v_fmac_f64_e32 v[0:1], v[166:167], v[40:41]
	s_waitcnt vmcnt(26)
	v_mul_f64 v[110:111], v[168:169], v[50:51]
	v_fmac_f64_e32 v[108:109], v[234:235], v[44:45]
	v_add_f64 v[0:1], v[0:1], 0
	s_waitcnt vmcnt(25)
	v_mul_f64 v[116:117], v[220:221], v[54:55]
	v_fmac_f64_e32 v[110:111], v[170:171], v[48:49]
	v_add_f64 v[0:1], v[0:1], v[108:109]
	;; [unrolled: 4-line block ×6, first 2 shown]
	s_waitcnt vmcnt(20) lgkmcnt(13)
	v_mul_f64 v[126:127], v[180:181], v[78:79]
	v_fmac_f64_e32 v[124:125], v[214:215], v[68:69]
	v_add_f64 v[0:1], v[0:1], v[122:123]
	s_waitcnt vmcnt(19) lgkmcnt(12)
	v_mul_f64 v[128:129], v[228:229], v[82:83]
	v_fmac_f64_e32 v[126:127], v[182:183], v[76:77]
	v_add_f64 v[0:1], v[0:1], v[124:125]
	;; [unrolled: 4-line block ×9, first 2 shown]
	v_add_f64 v[0:1], v[0:1], v[148:149]
	v_fmac_f64_e32 v[150:151], v[186:187], v[112:113]
	s_waitcnt vmcnt(11) lgkmcnt(4)
	v_mul_f64 v[116:117], v[200:201], v[138:139]
	v_add_f64 v[0:1], v[0:1], v[150:151]
	v_fmac_f64_e32 v[116:117], v[202:203], v[136:137]
	v_add_f64 v[0:1], v[0:1], v[116:117]
	ds_read_b128 v[144:147], v2 offset:1328
	s_waitcnt vmcnt(10) lgkmcnt(4)
	v_mul_f64 v[116:117], v[236:237], v[142:143]
	scratch_load_dwordx4 v[108:111], off, off offset:608
	v_fmac_f64_e32 v[116:117], v[238:239], v[140:141]
	v_add_f64 v[0:1], v[0:1], v[116:117]
	scratch_load_dwordx4 v[116:119], off, off offset:624
	ds_read_b128 v[148:151], v2 offset:1344
	scratch_load_dwordx4 v[120:123], off, off offset:640
	s_waitcnt vmcnt(12) lgkmcnt(1)
	v_mul_f64 v[124:125], v[144:145], v[6:7]
	v_fmac_f64_e32 v[124:125], v[146:147], v[4:5]
	v_add_f64 v[0:1], v[0:1], v[124:125]
	s_waitcnt vmcnt(11) lgkmcnt(0)
	v_mul_f64 v[124:125], v[148:149], v[10:11]
	v_fmac_f64_e32 v[124:125], v[150:151], v[8:9]
	s_waitcnt vmcnt(10)
	v_mul_f64 v[128:129], v[152:153], v[14:15]
	v_add_f64 v[0:1], v[0:1], v[124:125]
	scratch_load_dwordx4 v[124:127], off, off offset:656
	v_fmac_f64_e32 v[128:129], v[154:155], v[12:13]
	v_add_f64 v[0:1], v[0:1], v[128:129]
	scratch_load_dwordx4 v[128:131], off, off offset:672
	s_waitcnt vmcnt(11)
	v_mul_f64 v[132:133], v[156:157], v[18:19]
	v_fmac_f64_e32 v[132:133], v[158:159], v[16:17]
	v_add_f64 v[0:1], v[0:1], v[132:133]
	scratch_load_dwordx4 v[132:135], off, off offset:688
	v_mul_f64 v[42:43], v[166:167], v[42:43]
	v_fma_f64 v[244:245], v[164:165], v[40:41], -v[42:43]
	scratch_load_dwordx4 v[40:43], off, off offset:704
	v_mul_f64 v[46:47], v[234:235], v[46:47]
	v_fma_f64 v[246:247], v[232:233], v[44:45], -v[46:47]
	;; [unrolled: 3-line block ×3, first 2 shown]
	v_mul_f64 v[48:49], v[222:223], v[54:55]
	v_fma_f64 v[250:251], v[220:221], v[52:53], -v[48:49]
	scratch_load_dwordx4 v[48:51], off, off offset:736
	scratch_load_dwordx4 v[52:55], off, off offset:752
	s_waitcnt vmcnt(15)
	v_mul_f64 v[164:165], v[160:161], v[22:23]
	v_fmac_f64_e32 v[164:165], v[162:163], v[20:21]
	v_add_f64 v[0:1], v[0:1], v[164:165]
	ds_read_b128 v[164:167], v2 offset:1408
	ds_read_b128 v[168:171], v2 offset:1424
	v_mul_f64 v[58:59], v[174:175], v[58:59]
	v_fma_f64 v[252:253], v[172:173], v[56:57], -v[58:59]
	ds_read_b128 v[172:175], v2 offset:1440
	v_mul_f64 v[56:57], v[178:179], v[62:63]
	v_fma_f64 v[254:255], v[176:177], v[60:61], -v[56:57]
	scratch_load_dwordx4 v[60:63], off, off offset:768
	scratch_load_dwordx4 v[56:59], off, off offset:784
	s_waitcnt vmcnt(16) lgkmcnt(2)
	v_mul_f64 v[232:233], v[164:165], v[34:35]
	v_fmac_f64_e32 v[232:233], v[166:167], v[32:33]
	s_waitcnt vmcnt(15) lgkmcnt(1)
	v_mul_f64 v[220:221], v[168:169], v[38:39]
	v_mul_f64 v[66:67], v[226:227], v[66:67]
	v_add_f64 v[0:1], v[0:1], v[232:233]
	v_fmac_f64_e32 v[220:221], v[170:171], v[36:37]
	v_fma_f64 v[240:241], v[224:225], v[64:65], -v[66:67]
	s_waitcnt vmcnt(14) lgkmcnt(0)
	v_mul_f64 v[64:65], v[172:173], v[30:31]
	v_add_f64 v[0:1], v[0:1], v[220:221]
	v_fmac_f64_e32 v[64:65], v[174:175], v[28:29]
	v_accvgpr_write_b32 a141, v23
	v_add_f64 v[0:1], v[0:1], v[64:65]
	v_mul_f64 v[64:65], v[214:215], v[70:71]
	v_accvgpr_write_b32 a140, v22
	v_accvgpr_write_b32 a139, v21
	;; [unrolled: 1-line block ×3, first 2 shown]
	ds_read_b128 v[176:179], v2 offset:1456
	v_fma_f64 v[20:21], v[212:213], v[68:69], -v[64:65]
	scratch_load_dwordx4 v[68:71], off, off offset:800
	scratch_load_dwordx4 v[64:67], off, off offset:816
	v_accvgpr_write_b32 a125, v7
	v_accvgpr_write_b32 a124, v6
	;; [unrolled: 1-line block ×5, first 2 shown]
	v_mul_f64 v[6:7], v[182:183], v[78:79]
	v_accvgpr_write_b32 a136, v18
	v_accvgpr_write_b32 a135, v17
	;; [unrolled: 1-line block ×3, first 2 shown]
	v_fma_f64 v[16:17], v[180:181], v[76:77], -v[6:7]
	s_waitcnt vmcnt(15) lgkmcnt(0)
	v_mul_f64 v[76:77], v[176:177], v[26:27]
	v_fmac_f64_e32 v[76:77], v[178:179], v[24:25]
	v_accvgpr_write_b32 a133, v15
	v_add_f64 v[0:1], v[0:1], v[76:77]
	v_mul_f64 v[76:77], v[230:231], v[82:83]
	v_accvgpr_write_b32 a132, v14
	v_accvgpr_write_b32 a131, v13
	v_accvgpr_write_b32 a130, v12
	v_fma_f64 v[12:13], v[228:229], v[80:81], -v[76:77]
	scratch_load_dwordx4 v[76:79], off, off offset:832
	scratch_load_dwordx4 v[232:235], off, off offset:896
	ds_read_b128 v[180:183], v2 offset:1472
	ds_read_b128 v[80:83], v2 offset:1488
	v_accvgpr_write_b32 a129, v11
	v_accvgpr_write_b32 a128, v10
	;; [unrolled: 1-line block ×4, first 2 shown]
	s_waitcnt vmcnt(16) lgkmcnt(1)
	v_mul_f64 v[10:11], v[180:181], v[74:75]
	v_fmac_f64_e32 v[10:11], v[182:183], v[72:73]
	v_add_f64 v[0:1], v[0:1], v[10:11]
	v_mul_f64 v[10:11], v[218:219], v[86:87]
	v_fma_f64 v[10:11], v[216:217], v[84:85], -v[10:11]
	ds_read_b128 v[84:87], v2 offset:1504
	v_mul_f64 v[90:91], v[190:191], v[90:91]
	v_fma_f64 v[8:9], v[188:189], v[88:89], -v[90:91]
	ds_read_b128 v[88:91], v2 offset:1520
	s_waitcnt vmcnt(15) lgkmcnt(2)
	v_mul_f64 v[212:213], v[80:81], v[110:111]
	v_fmac_f64_e32 v[212:213], v[82:83], v[108:109]
	s_waitcnt vmcnt(14) lgkmcnt(1)
	v_mul_f64 v[14:15], v[84:85], v[118:119]
	v_add_f64 v[0:1], v[0:1], v[212:213]
	v_fmac_f64_e32 v[14:15], v[86:87], v[116:117]
	v_add_f64 v[0:1], v[0:1], v[14:15]
	s_waitcnt vmcnt(13) lgkmcnt(0)
	v_mul_f64 v[14:15], v[88:89], v[122:123]
	v_fmac_f64_e32 v[14:15], v[90:91], v[120:121]
	ds_read_b128 v[188:191], v2 offset:1536
	v_add_f64 v[0:1], v[0:1], v[14:15]
	v_mul_f64 v[14:15], v[206:207], v[94:95]
	v_fma_f64 v[14:15], v[204:205], v[92:93], -v[14:15]
	ds_read_b128 v[92:95], v2 offset:1552
	v_mul_f64 v[98:99], v[194:195], v[98:99]
	v_fma_f64 v[6:7], v[192:193], v[96:97], -v[98:99]
	ds_read_b128 v[96:99], v2 offset:1568
	ds_read_b128 v[192:195], v2 offset:1584
	s_waitcnt vmcnt(12) lgkmcnt(3)
	v_mul_f64 v[204:205], v[188:189], v[126:127]
	v_fmac_f64_e32 v[204:205], v[190:191], v[124:125]
	s_waitcnt vmcnt(11) lgkmcnt(2)
	v_mul_f64 v[18:19], v[92:93], v[130:131]
	v_add_f64 v[0:1], v[0:1], v[204:205]
	v_fmac_f64_e32 v[18:19], v[94:95], v[128:129]
	v_add_f64 v[0:1], v[0:1], v[18:19]
	s_waitcnt vmcnt(10) lgkmcnt(1)
	v_mul_f64 v[18:19], v[96:97], v[134:135]
	v_fmac_f64_e32 v[18:19], v[98:99], v[132:133]
	v_add_f64 v[0:1], v[0:1], v[18:19]
	v_mul_f64 v[18:19], v[210:211], v[102:103]
	v_fma_f64 v[18:19], v[208:209], v[100:101], -v[18:19]
	ds_read_b128 v[100:103], v2 offset:1600
	v_mul_f64 v[106:107], v[198:199], v[106:107]
	v_fma_f64 v[4:5], v[196:197], v[104:105], -v[106:107]
	ds_read_b128 v[104:107], v2 offset:1616
	s_waitcnt vmcnt(9) lgkmcnt(2)
	v_mul_f64 v[204:205], v[192:193], v[42:43]
	v_fmac_f64_e32 v[204:205], v[194:195], v[40:41]
	s_waitcnt vmcnt(8) lgkmcnt(1)
	v_mul_f64 v[22:23], v[100:101], v[46:47]
	v_add_f64 v[0:1], v[0:1], v[204:205]
	v_fmac_f64_e32 v[22:23], v[102:103], v[44:45]
	v_add_f64 v[0:1], v[0:1], v[22:23]
	s_waitcnt vmcnt(7) lgkmcnt(0)
	v_mul_f64 v[22:23], v[104:105], v[50:51]
	ds_read_b128 v[196:199], v2 offset:1632
	v_fmac_f64_e32 v[22:23], v[106:107], v[48:49]
	v_add_f64 v[0:1], v[0:1], v[22:23]
	v_mul_f64 v[22:23], v[186:187], v[114:115]
	v_fma_f64 v[22:23], v[184:185], v[112:113], -v[22:23]
	ds_read_b128 v[112:115], v2 offset:1648
	s_waitcnt vmcnt(6) lgkmcnt(1)
	v_mul_f64 v[184:185], v[196:197], v[54:55]
	v_fmac_f64_e32 v[184:185], v[198:199], v[52:53]
	v_add_f64 v[184:185], v[0:1], v[184:185]
	v_mul_f64 v[0:1], v[202:203], v[138:139]
	v_fma_f64 v[0:1], v[200:201], v[136:137], -v[0:1]
	ds_read_b128 v[136:139], v2 offset:1664
	s_waitcnt vmcnt(5) lgkmcnt(1)
	v_mul_f64 v[186:187], v[112:113], v[62:63]
	v_fmac_f64_e32 v[186:187], v[114:115], v[60:61]
	v_add_f64 v[200:201], v[184:185], v[186:187]
	ds_read_b128 v[184:187], v2 offset:1680
	v_mul_f64 v[142:143], v[238:239], v[142:143]
	v_fma_f64 v[242:243], v[236:237], v[140:141], -v[142:143]
	ds_read_b128 v[140:143], v2 offset:1696
	ds_read_b128 v[208:211], v2 offset:1728
	s_waitcnt vmcnt(4) lgkmcnt(3)
	v_mul_f64 v[202:203], v[136:137], v[58:59]
	v_fmac_f64_e32 v[202:203], v[138:139], v[56:57]
	v_add_f64 v[200:201], v[200:201], v[202:203]
	s_waitcnt vmcnt(3) lgkmcnt(2)
	v_mul_f64 v[202:203], v[184:185], v[70:71]
	v_fmac_f64_e32 v[202:203], v[186:187], v[68:69]
	v_add_f64 v[200:201], v[200:201], v[202:203]
	s_waitcnt vmcnt(2) lgkmcnt(1)
	v_mul_f64 v[202:203], v[140:141], v[66:67]
	v_fmac_f64_e32 v[202:203], v[142:143], v[64:65]
	v_add_f64 v[204:205], v[200:201], v[202:203]
	ds_read_b128 v[200:203], v2 offset:1712
	ds_read_b128 v[216:219], v2 offset:1744
	;; [unrolled: 1-line block ×3, first 2 shown]
	s_waitcnt vmcnt(1) lgkmcnt(2)
	v_mul_f64 v[206:207], v[200:201], v[78:79]
	v_fmac_f64_e32 v[206:207], v[202:203], v[76:77]
	v_add_f64 v[212:213], v[204:205], v[206:207]
	scratch_load_dwordx4 v[204:207], off, off offset:848
	s_waitcnt vmcnt(0)
	v_mul_f64 v[214:215], v[208:209], v[206:207]
	v_fmac_f64_e32 v[214:215], v[210:211], v[204:205]
	v_add_f64 v[220:221], v[212:213], v[214:215]
	scratch_load_dwordx4 v[212:215], off, off offset:864
	s_waitcnt vmcnt(0) lgkmcnt(1)
	v_mul_f64 v[222:223], v[216:217], v[214:215]
	v_fmac_f64_e32 v[222:223], v[218:219], v[212:213]
	v_add_f64 v[228:229], v[220:221], v[222:223]
	scratch_load_dwordx4 v[220:223], off, off offset:880
	s_waitcnt vmcnt(0) lgkmcnt(0)
	v_mul_f64 v[230:231], v[224:225], v[222:223]
	v_fmac_f64_e32 v[230:231], v[226:227], v[220:221]
	v_add_f64 v[236:237], v[228:229], v[230:231]
	ds_read_b128 v[228:231], v2 offset:1776
	s_waitcnt lgkmcnt(0)
	v_mul_f64 v[2:3], v[228:229], v[234:235]
	v_fmac_f64_e32 v[2:3], v[230:231], v[232:233]
	v_add_f64 v[2:3], v[236:237], v[2:3]
	v_add_f64 v[236:237], v[244:245], 0
	;; [unrolled: 1-line block ×9, first 2 shown]
	scratch_load_dwordx4 v[236:239], off, off offset:128
	v_add_f64 v[16:17], v[20:21], v[16:17]
	v_add_f64 v[12:13], v[16:17], v[12:13]
	;; [unrolled: 1-line block ×8, first 2 shown]
	v_accvgpr_read_b32 v6, a122
	v_accvgpr_read_b32 v8, a124
	;; [unrolled: 1-line block ×3, first 2 shown]
	v_add_f64 v[244:245], v[4:5], v[22:23]
	v_accvgpr_read_b32 v7, a123
	v_mul_f64 v[4:5], v[146:147], v[8:9]
	v_add_f64 v[0:1], v[244:245], v[0:1]
	v_fma_f64 v[4:5], v[144:145], v[6:7], -v[4:5]
	v_accvgpr_read_b32 v6, a126
	v_add_f64 v[0:1], v[0:1], v[242:243]
	v_accvgpr_read_b32 v8, a128
	v_accvgpr_read_b32 v9, a129
	v_add_f64 v[0:1], v[0:1], v[4:5]
	v_accvgpr_read_b32 v7, a127
	v_mul_f64 v[4:5], v[150:151], v[8:9]
	v_fma_f64 v[4:5], v[148:149], v[6:7], -v[4:5]
	v_accvgpr_read_b32 v6, a130
	v_accvgpr_read_b32 v8, a132
	v_accvgpr_read_b32 v9, a133
	v_add_f64 v[0:1], v[0:1], v[4:5]
	v_accvgpr_read_b32 v7, a131
	v_mul_f64 v[4:5], v[154:155], v[8:9]
	v_fma_f64 v[4:5], v[152:153], v[6:7], -v[4:5]
	v_accvgpr_read_b32 v6, a134
	;; [unrolled: 7-line block ×3, first 2 shown]
	v_accvgpr_read_b32 v8, a140
	v_accvgpr_read_b32 v9, a141
	v_add_f64 v[0:1], v[0:1], v[4:5]
	v_accvgpr_read_b32 v7, a139
	v_mul_f64 v[4:5], v[162:163], v[8:9]
	v_fma_f64 v[4:5], v[160:161], v[6:7], -v[4:5]
	v_add_f64 v[0:1], v[0:1], v[4:5]
	v_mul_f64 v[4:5], v[166:167], v[34:35]
	v_fma_f64 v[4:5], v[164:165], v[32:33], -v[4:5]
	v_add_f64 v[0:1], v[0:1], v[4:5]
	;; [unrolled: 3-line block ×25, first 2 shown]
	s_waitcnt vmcnt(0)
	v_add_f64 v[4:5], v[236:237], -v[0:1]
	v_accvgpr_read_b32 v0, a112
	v_add_f64 v[6:7], v[238:239], -v[2:3]
	v_cmp_lt_u32_e32 vcc, 6, v0
	scratch_store_dwordx4 off, v[4:7], off offset:128
	s_and_saveexec_b64 s[0:1], vcc
	s_cbranch_execz .LBB55_337
; %bb.336:
	scratch_load_dwordx4 v[2:5], off, s41
	v_mov_b32_e32 v6, 0
	v_mov_b32_e32 v7, v6
	;; [unrolled: 1-line block ×4, first 2 shown]
	v_accvgpr_read_b32 v0, a113
	scratch_store_dwordx4 off, v[6:9], off offset:112
	s_waitcnt vmcnt(1)
	ds_write_b128 v0, v[2:5]
.LBB55_337:
	s_or_b64 exec, exec, s[0:1]
	s_waitcnt lgkmcnt(0)
	; wave barrier
	scratch_load_dwordx4 v[56:59], off, off offset:128
	scratch_load_dwordx4 v[60:63], off, off offset:144
	;; [unrolled: 1-line block ×28, first 2 shown]
	v_mov_b32_e32 v2, 0
	ds_read_b128 v[116:119], v2 offset:1008
	ds_read_b128 v[120:123], v2 offset:1024
	;; [unrolled: 1-line block ×22, first 2 shown]
	s_waitcnt vmcnt(27) lgkmcnt(14)
	v_mul_f64 v[0:1], v[116:117], v[58:59]
	s_waitcnt vmcnt(26)
	v_mul_f64 v[32:33], v[120:121], v[62:63]
	v_fmac_f64_e32 v[0:1], v[118:119], v[56:57]
	s_waitcnt vmcnt(25)
	v_mul_f64 v[34:35], v[124:125], v[66:67]
	v_fmac_f64_e32 v[32:33], v[122:123], v[60:61]
	v_add_f64 v[0:1], v[0:1], 0
	v_fmac_f64_e32 v[34:35], v[126:127], v[64:65]
	v_add_f64 v[0:1], v[0:1], v[32:33]
	v_add_f64 v[0:1], v[0:1], v[34:35]
	scratch_load_dwordx4 v[32:35], off, off offset:576
	s_waitcnt vmcnt(25)
	v_mul_f64 v[36:37], v[128:129], v[70:71]
	s_waitcnt vmcnt(24)
	v_mul_f64 v[38:39], v[132:133], v[74:75]
	v_fmac_f64_e32 v[36:37], v[130:131], v[68:69]
	s_waitcnt vmcnt(23)
	v_mul_f64 v[40:41], v[140:141], v[78:79]
	v_fmac_f64_e32 v[38:39], v[134:135], v[72:73]
	v_add_f64 v[0:1], v[0:1], v[36:37]
	s_waitcnt vmcnt(22)
	v_mul_f64 v[42:43], v[152:153], v[82:83]
	v_fmac_f64_e32 v[40:41], v[142:143], v[76:77]
	v_add_f64 v[0:1], v[0:1], v[38:39]
	;; [unrolled: 4-line block ×3, first 2 shown]
	s_waitcnt vmcnt(20) lgkmcnt(13)
	v_mul_f64 v[46:47], v[176:177], v[94:95]
	v_fmac_f64_e32 v[44:45], v[166:167], v[84:85]
	v_add_f64 v[0:1], v[0:1], v[42:43]
	s_waitcnt vmcnt(19) lgkmcnt(12)
	v_mul_f64 v[48:49], v[188:189], v[98:99]
	v_fmac_f64_e32 v[46:47], v[178:179], v[92:93]
	v_add_f64 v[0:1], v[0:1], v[44:45]
	;; [unrolled: 4-line block ×9, first 2 shown]
	v_add_f64 v[0:1], v[0:1], v[104:105]
	v_fmac_f64_e32 v[106:107], v[222:223], v[168:169]
	s_waitcnt vmcnt(11) lgkmcnt(4)
	v_mul_f64 v[40:41], v[224:225], v[174:175]
	v_add_f64 v[0:1], v[0:1], v[106:107]
	v_fmac_f64_e32 v[40:41], v[226:227], v[172:173]
	scratch_load_dwordx4 v[36:39], off, off offset:592
	v_add_f64 v[0:1], v[0:1], v[40:41]
	s_waitcnt vmcnt(11) lgkmcnt(3)
	v_mul_f64 v[40:41], v[228:229], v[182:183]
	v_fmac_f64_e32 v[40:41], v[230:231], v[180:181]
	s_waitcnt vmcnt(10) lgkmcnt(2)
	v_mul_f64 v[44:45], v[238:239], v[186:187]
	v_add_f64 v[0:1], v[0:1], v[40:41]
	v_fmac_f64_e32 v[44:45], v[240:241], v[184:185]
	scratch_load_dwordx4 v[40:43], off, off offset:608
	ds_read_b128 v[88:91], v2 offset:1344
	v_add_f64 v[0:1], v[0:1], v[44:45]
	s_waitcnt vmcnt(10) lgkmcnt(2)
	v_mul_f64 v[44:45], v[242:243], v[194:195]
	v_fmac_f64_e32 v[44:45], v[244:245], v[192:193]
	v_add_f64 v[0:1], v[0:1], v[44:45]
	scratch_load_dwordx4 v[44:47], off, off offset:624
	ds_read_b128 v[104:107], v2 offset:1360
	s_waitcnt vmcnt(10) lgkmcnt(1)
	v_mul_f64 v[48:49], v[88:89], v[6:7]
	v_accvgpr_write_b32 a117, v7
	v_fmac_f64_e32 v[48:49], v[90:91], v[4:5]
	v_accvgpr_write_b32 a116, v6
	v_accvgpr_write_b32 a115, v5
	;; [unrolled: 1-line block ×3, first 2 shown]
	s_waitcnt vmcnt(9)
	v_mov_b64_e32 v[4:5], v[8:9]
	v_add_f64 v[0:1], v[0:1], v[48:49]
	scratch_load_dwordx4 v[48:51], off, off offset:640
	v_mov_b64_e32 v[6:7], v[10:11]
	s_waitcnt lgkmcnt(0)
	v_mul_f64 v[52:53], v[104:105], v[6:7]
	v_fmac_f64_e32 v[52:53], v[106:107], v[4:5]
	v_add_f64 v[0:1], v[0:1], v[52:53]
	scratch_load_dwordx4 v[52:55], off, off offset:656
	v_mul_f64 v[58:59], v[118:119], v[58:59]
	v_fma_f64 v[246:247], v[116:117], v[56:57], -v[58:59]
	scratch_load_dwordx4 v[56:59], off, off offset:672
	s_waitcnt vmcnt(11)
	v_mov_b64_e32 v[4:5], v[12:13]
	v_mov_b64_e32 v[6:7], v[14:15]
	v_mul_f64 v[112:113], v[108:109], v[6:7]
	v_fmac_f64_e32 v[112:113], v[110:111], v[4:5]
	v_mul_f64 v[62:63], v[122:123], v[62:63]
	v_add_f64 v[0:1], v[0:1], v[112:113]
	ds_read_b128 v[112:115], v2 offset:1392
	ds_read_b128 v[116:119], v2 offset:1408
	v_fma_f64 v[248:249], v[120:121], v[60:61], -v[62:63]
	scratch_load_dwordx4 v[60:63], off, off offset:688
	v_mul_f64 v[66:67], v[126:127], v[66:67]
	v_fma_f64 v[250:251], v[124:125], v[64:65], -v[66:67]
	scratch_load_dwordx4 v[64:67], off, off offset:704
	s_waitcnt vmcnt(12)
	v_mov_b64_e32 v[4:5], v[16:17]
	v_mov_b64_e32 v[6:7], v[18:19]
	s_waitcnt lgkmcnt(1)
	v_mul_f64 v[120:121], v[112:113], v[6:7]
	v_fmac_f64_e32 v[120:121], v[114:115], v[4:5]
	s_waitcnt vmcnt(11)
	v_mov_b64_e32 v[4:5], v[20:21]
	v_mov_b64_e32 v[6:7], v[22:23]
	v_mul_f64 v[70:71], v[130:131], v[70:71]
	v_add_f64 v[0:1], v[0:1], v[120:121]
	s_waitcnt lgkmcnt(0)
	v_mul_f64 v[120:121], v[116:117], v[6:7]
	v_fma_f64 v[252:253], v[128:129], v[68:69], -v[70:71]
	scratch_load_dwordx4 v[68:71], off, off offset:720
	v_fmac_f64_e32 v[120:121], v[118:119], v[4:5]
	v_mul_f64 v[74:75], v[134:135], v[74:75]
	v_add_f64 v[0:1], v[0:1], v[120:121]
	ds_read_b128 v[120:123], v2 offset:1424
	ds_read_b128 v[124:127], v2 offset:1440
	v_fma_f64 v[254:255], v[132:133], v[72:73], -v[74:75]
	scratch_load_dwordx4 v[72:75], off, off offset:736
	v_mul_f64 v[78:79], v[142:143], v[78:79]
	v_fma_f64 v[232:233], v[140:141], v[76:77], -v[78:79]
	scratch_load_dwordx4 v[76:79], off, off offset:752
	s_waitcnt vmcnt(13) lgkmcnt(1)
	v_mul_f64 v[128:129], v[120:121], v[236:237]
	v_fmac_f64_e32 v[128:129], v[122:123], v[234:235]
	v_mul_f64 v[82:83], v[154:155], v[82:83]
	s_waitcnt vmcnt(12) lgkmcnt(0)
	v_mul_f64 v[6:7], v[124:125], v[30:31]
	v_add_f64 v[0:1], v[0:1], v[128:129]
	v_fma_f64 v[24:25], v[152:153], v[80:81], -v[82:83]
	v_fmac_f64_e32 v[6:7], v[126:127], v[28:29]
	scratch_load_dwordx4 v[80:83], off, off offset:768
	v_accvgpr_write_b32 a133, v23
	v_add_f64 v[0:1], v[0:1], v[6:7]
	v_mul_f64 v[6:7], v[166:167], v[86:87]
	v_accvgpr_write_b32 a132, v22
	v_accvgpr_write_b32 a131, v21
	v_accvgpr_write_b32 a130, v20
	v_fma_f64 v[20:21], v[164:165], v[84:85], -v[6:7]
	scratch_load_dwordx4 v[84:87], off, off offset:784
	ds_read_b128 v[132:135], v2 offset:1456
	ds_read_b128 v[128:131], v2 offset:1472
	v_accvgpr_write_b32 a129, v19
	v_mul_f64 v[6:7], v[178:179], v[94:95]
	v_accvgpr_write_b32 a125, v15
	v_accvgpr_write_b32 a128, v18
	v_accvgpr_write_b32 a127, v17
	v_accvgpr_write_b32 a126, v16
	v_fma_f64 v[16:17], v[176:177], v[92:93], -v[6:7]
	v_mul_f64 v[6:7], v[190:191], v[98:99]
	v_accvgpr_write_b32 a124, v14
	v_accvgpr_write_b32 a123, v13
	;; [unrolled: 1-line block ×3, first 2 shown]
	v_fma_f64 v[12:13], v[188:189], v[96:97], -v[6:7]
	scratch_load_dwordx4 v[96:99], off, off offset:800
	scratch_load_dwordx4 v[92:95], off, off offset:816
	s_waitcnt vmcnt(15) lgkmcnt(1)
	v_mul_f64 v[6:7], v[132:133], v[34:35]
	v_fmac_f64_e32 v[6:7], v[134:135], v[32:33]
	v_add_f64 v[0:1], v[0:1], v[6:7]
	v_mul_f64 v[6:7], v[198:199], v[102:103]
	v_fma_f64 v[14:15], v[196:197], v[100:101], -v[6:7]
	scratch_load_dwordx4 v[100:103], off, off offset:832
	v_accvgpr_write_b32 a121, v11
	v_mul_f64 v[6:7], v[202:203], v[138:139]
	v_accvgpr_write_b32 a120, v10
	v_accvgpr_write_b32 a119, v9
	;; [unrolled: 1-line block ×3, first 2 shown]
	v_fma_f64 v[10:11], v[200:201], v[136:137], -v[6:7]
	ds_read_b128 v[136:139], v2 offset:1488
	ds_read_b128 v[140:143], v2 offset:1504
	s_waitcnt vmcnt(15) lgkmcnt(2)
	v_mul_f64 v[6:7], v[128:129], v[38:39]
	v_fmac_f64_e32 v[6:7], v[130:131], v[36:37]
	v_add_f64 v[0:1], v[0:1], v[6:7]
	s_waitcnt vmcnt(14) lgkmcnt(1)
	v_mul_f64 v[6:7], v[136:137], v[42:43]
	v_fmac_f64_e32 v[6:7], v[138:139], v[40:41]
	v_add_f64 v[0:1], v[0:1], v[6:7]
	v_mul_f64 v[6:7], v[206:207], v[146:147]
	v_fma_f64 v[18:19], v[204:205], v[144:145], -v[6:7]
	ds_read_b128 v[144:147], v2 offset:1520
	s_waitcnt vmcnt(13) lgkmcnt(1)
	v_mul_f64 v[6:7], v[140:141], v[46:47]
	v_fmac_f64_e32 v[6:7], v[142:143], v[44:45]
	v_add_f64 v[0:1], v[0:1], v[6:7]
	v_mul_f64 v[6:7], v[210:211], v[150:151]
	v_fma_f64 v[8:9], v[208:209], v[148:149], -v[6:7]
	ds_read_b128 v[148:151], v2 offset:1536
	s_waitcnt vmcnt(12) lgkmcnt(1)
	v_mul_f64 v[6:7], v[144:145], v[50:51]
	ds_read_b128 v[152:155], v2 offset:1552
	v_fmac_f64_e32 v[6:7], v[146:147], v[48:49]
	v_add_f64 v[0:1], v[0:1], v[6:7]
	v_mul_f64 v[6:7], v[214:215], v[158:159]
	v_fma_f64 v[22:23], v[212:213], v[156:157], -v[6:7]
	s_waitcnt vmcnt(11) lgkmcnt(1)
	v_mul_f64 v[6:7], v[148:149], v[54:55]
	v_fmac_f64_e32 v[6:7], v[150:151], v[52:53]
	ds_read_b128 v[156:159], v2 offset:1568
	v_add_f64 v[0:1], v[0:1], v[6:7]
	s_waitcnt vmcnt(10) lgkmcnt(1)
	v_mul_f64 v[6:7], v[152:153], v[58:59]
	v_fmac_f64_e32 v[6:7], v[154:155], v[56:57]
	v_add_f64 v[0:1], v[0:1], v[6:7]
	v_mul_f64 v[6:7], v[218:219], v[162:163]
	v_fma_f64 v[4:5], v[216:217], v[160:161], -v[6:7]
	ds_read_b128 v[160:163], v2 offset:1584
	ds_read_b128 v[164:167], v2 offset:1600
	s_waitcnt vmcnt(9) lgkmcnt(2)
	v_mul_f64 v[6:7], v[156:157], v[62:63]
	v_fmac_f64_e32 v[6:7], v[158:159], v[60:61]
	v_add_f64 v[0:1], v[0:1], v[6:7]
	s_waitcnt vmcnt(8) lgkmcnt(1)
	v_mul_f64 v[6:7], v[160:161], v[66:67]
	v_fmac_f64_e32 v[6:7], v[162:163], v[64:65]
	v_add_f64 v[0:1], v[0:1], v[6:7]
	v_mul_f64 v[6:7], v[222:223], v[170:171]
	v_fma_f64 v[26:27], v[220:221], v[168:169], -v[6:7]
	ds_read_b128 v[168:171], v2 offset:1616
	v_mul_f64 v[6:7], v[226:227], v[174:175]
	v_fma_f64 v[6:7], v[224:225], v[172:173], -v[6:7]
	ds_read_b128 v[172:175], v2 offset:1632
	s_waitcnt vmcnt(7) lgkmcnt(2)
	v_mul_f64 v[176:177], v[164:165], v[70:71]
	v_fmac_f64_e32 v[176:177], v[166:167], v[68:69]
	v_add_f64 v[0:1], v[0:1], v[176:177]
	s_waitcnt vmcnt(6) lgkmcnt(1)
	v_mul_f64 v[176:177], v[168:169], v[74:75]
	v_fmac_f64_e32 v[176:177], v[170:171], v[72:73]
	v_add_f64 v[0:1], v[0:1], v[176:177]
	s_waitcnt vmcnt(5) lgkmcnt(0)
	v_mul_f64 v[188:189], v[172:173], v[78:79]
	ds_read_b128 v[176:179], v2 offset:1648
	v_fmac_f64_e32 v[188:189], v[174:175], v[76:77]
	v_add_f64 v[188:189], v[0:1], v[188:189]
	v_mul_f64 v[0:1], v[230:231], v[182:183]
	v_fma_f64 v[0:1], v[228:229], v[180:181], -v[0:1]
	ds_read_b128 v[180:183], v2 offset:1664
	v_mul_f64 v[186:187], v[240:241], v[186:187]
	s_waitcnt vmcnt(4) lgkmcnt(1)
	v_mul_f64 v[190:191], v[176:177], v[82:83]
	v_fma_f64 v[238:239], v[238:239], v[184:185], -v[186:187]
	ds_read_b128 v[184:187], v2 offset:1680
	v_fmac_f64_e32 v[190:191], v[178:179], v[80:81]
	v_add_f64 v[196:197], v[188:189], v[190:191]
	ds_read_b128 v[188:191], v2 offset:1696
	s_waitcnt vmcnt(3) lgkmcnt(2)
	v_mul_f64 v[198:199], v[180:181], v[86:87]
	v_mul_f64 v[194:195], v[244:245], v[194:195]
	v_fmac_f64_e32 v[198:199], v[182:183], v[84:85]
	v_fma_f64 v[240:241], v[242:243], v[192:193], -v[194:195]
	ds_read_b128 v[192:195], v2 offset:1712
	ds_read_b128 v[200:203], v2 offset:1728
	v_add_f64 v[196:197], v[196:197], v[198:199]
	s_waitcnt vmcnt(2) lgkmcnt(3)
	v_mul_f64 v[198:199], v[184:185], v[98:99]
	v_fmac_f64_e32 v[198:199], v[186:187], v[96:97]
	v_add_f64 v[196:197], v[196:197], v[198:199]
	s_waitcnt vmcnt(1) lgkmcnt(2)
	v_mul_f64 v[198:199], v[188:189], v[94:95]
	v_fmac_f64_e32 v[198:199], v[190:191], v[92:93]
	;; [unrolled: 4-line block ×3, first 2 shown]
	v_add_f64 v[204:205], v[196:197], v[198:199]
	scratch_load_dwordx4 v[196:199], off, off offset:848
	ds_read_b128 v[208:211], v2 offset:1744
	ds_read_b128 v[216:219], v2 offset:1760
	;; [unrolled: 1-line block ×3, first 2 shown]
	s_waitcnt vmcnt(0) lgkmcnt(3)
	v_mul_f64 v[206:207], v[200:201], v[198:199]
	v_fmac_f64_e32 v[206:207], v[202:203], v[196:197]
	v_add_f64 v[212:213], v[204:205], v[206:207]
	scratch_load_dwordx4 v[204:207], off, off offset:864
	s_waitcnt vmcnt(0) lgkmcnt(2)
	v_mul_f64 v[214:215], v[208:209], v[206:207]
	v_fmac_f64_e32 v[214:215], v[210:211], v[204:205]
	v_add_f64 v[220:221], v[212:213], v[214:215]
	scratch_load_dwordx4 v[212:215], off, off offset:880
	;; [unrolled: 5-line block ×3, first 2 shown]
	s_waitcnt vmcnt(0) lgkmcnt(0)
	v_mul_f64 v[230:231], v[224:225], v[222:223]
	v_fmac_f64_e32 v[230:231], v[226:227], v[220:221]
	v_add_f64 v[244:245], v[228:229], v[230:231]
	v_add_f64 v[228:229], v[246:247], 0
	;; [unrolled: 1-line block ×8, first 2 shown]
	scratch_load_dwordx4 v[228:231], off, off offset:112
	v_add_f64 v[20:21], v[24:25], v[20:21]
	v_add_f64 v[16:17], v[20:21], v[16:17]
	;; [unrolled: 1-line block ×11, first 2 shown]
	v_accvgpr_read_b32 v6, a114
	v_accvgpr_read_b32 v8, a116
	v_accvgpr_read_b32 v9, a117
	v_add_f64 v[0:1], v[4:5], v[0:1]
	v_accvgpr_read_b32 v7, a115
	v_mul_f64 v[4:5], v[90:91], v[8:9]
	v_add_f64 v[0:1], v[0:1], v[238:239]
	v_fma_f64 v[4:5], v[88:89], v[6:7], -v[4:5]
	v_accvgpr_read_b32 v6, a118
	v_add_f64 v[0:1], v[0:1], v[240:241]
	v_accvgpr_read_b32 v8, a120
	v_accvgpr_read_b32 v9, a121
	v_add_f64 v[0:1], v[0:1], v[4:5]
	v_accvgpr_read_b32 v7, a119
	v_mul_f64 v[4:5], v[106:107], v[8:9]
	v_fma_f64 v[4:5], v[104:105], v[6:7], -v[4:5]
	v_accvgpr_read_b32 v6, a122
	v_accvgpr_read_b32 v8, a124
	v_accvgpr_read_b32 v9, a125
	v_add_f64 v[0:1], v[0:1], v[4:5]
	v_accvgpr_read_b32 v7, a123
	v_mul_f64 v[4:5], v[110:111], v[8:9]
	v_fma_f64 v[4:5], v[108:109], v[6:7], -v[4:5]
	v_accvgpr_read_b32 v6, a126
	;; [unrolled: 7-line block ×3, first 2 shown]
	v_accvgpr_read_b32 v8, a132
	v_accvgpr_read_b32 v9, a133
	v_add_f64 v[0:1], v[0:1], v[4:5]
	v_accvgpr_read_b32 v7, a131
	v_mul_f64 v[4:5], v[118:119], v[8:9]
	v_fma_f64 v[4:5], v[116:117], v[6:7], -v[4:5]
	v_add_f64 v[0:1], v[0:1], v[4:5]
	v_mul_f64 v[4:5], v[122:123], v[236:237]
	v_fma_f64 v[4:5], v[120:121], v[234:235], -v[4:5]
	v_add_f64 v[0:1], v[0:1], v[4:5]
	;; [unrolled: 3-line block ×24, first 2 shown]
	s_waitcnt vmcnt(0)
	v_add_f64 v[4:5], v[228:229], -v[0:1]
	v_accvgpr_read_b32 v0, a112
	v_add_f64 v[6:7], v[230:231], -v[244:245]
	v_cmp_lt_u32_e32 vcc, 5, v0
	scratch_store_dwordx4 off, v[4:7], off offset:112
	s_and_saveexec_b64 s[0:1], vcc
	s_cbranch_execz .LBB55_339
; %bb.338:
	scratch_load_dwordx4 v[6:9], off, s40
	v_mov_b32_e32 v3, v2
	v_mov_b32_e32 v4, v2
	;; [unrolled: 1-line block ×3, first 2 shown]
	v_accvgpr_read_b32 v0, a113
	scratch_store_dwordx4 off, v[2:5], off offset:96
	s_waitcnt vmcnt(1)
	ds_write_b128 v0, v[6:9]
.LBB55_339:
	s_or_b64 exec, exec, s[0:1]
	s_waitcnt lgkmcnt(0)
	; wave barrier
	scratch_load_dwordx4 v[56:59], off, off offset:112
	scratch_load_dwordx4 v[60:63], off, off offset:128
	;; [unrolled: 1-line block ×18, first 2 shown]
	ds_read_b128 v[116:119], v2 offset:992
	ds_read_b128 v[220:223], v2 offset:1008
	;; [unrolled: 1-line block ×6, first 2 shown]
	scratch_load_dwordx4 v[180:183], off, off offset:400
	ds_read_b128 v[204:207], v2 offset:1088
	ds_read_b128 v[132:135], v2 offset:1104
	scratch_load_dwordx4 v[184:187], off, off offset:416
	ds_read_b128 v[224:227], v2 offset:1120
	ds_read_b128 v[216:219], v2 offset:1136
	;; [unrolled: 1-line block ×5, first 2 shown]
	scratch_load_dwordx4 v[192:195], off, off offset:432
	ds_read_b128 v[200:203], v2 offset:1200
	ds_read_b128 v[164:167], v2 offset:1216
	scratch_load_dwordx4 v[4:7], off, off offset:448
	ds_read_b128 v[212:215], v2 offset:1232
	ds_read_b128 v[188:191], v2 offset:1248
	;; [unrolled: 1-line block ×3, first 2 shown]
	scratch_load_dwordx4 v[8:11], off, off offset:464
	scratch_load_dwordx4 v[12:15], off, off offset:480
	;; [unrolled: 1-line block ×6, first 2 shown]
	ds_read_b128 v[228:231], v2 offset:1280
	ds_read_b128 v[232:235], v2 offset:1296
	;; [unrolled: 1-line block ×4, first 2 shown]
	s_waitcnt vmcnt(27) lgkmcnt(14)
	v_mul_f64 v[0:1], v[116:117], v[58:59]
	s_waitcnt vmcnt(26)
	v_mul_f64 v[32:33], v[220:221], v[62:63]
	v_fmac_f64_e32 v[0:1], v[118:119], v[56:57]
	s_waitcnt vmcnt(25)
	v_mul_f64 v[34:35], v[208:209], v[66:67]
	v_fmac_f64_e32 v[32:33], v[222:223], v[60:61]
	v_add_f64 v[0:1], v[0:1], 0
	v_fmac_f64_e32 v[34:35], v[210:211], v[64:65]
	v_add_f64 v[0:1], v[0:1], v[32:33]
	v_add_f64 v[0:1], v[0:1], v[34:35]
	scratch_load_dwordx4 v[32:35], off, off offset:560
	s_waitcnt vmcnt(25)
	v_mul_f64 v[36:37], v[120:121], v[70:71]
	s_waitcnt vmcnt(24)
	v_mul_f64 v[38:39], v[128:129], v[74:75]
	v_fmac_f64_e32 v[36:37], v[122:123], v[68:69]
	s_waitcnt vmcnt(23)
	v_mul_f64 v[40:41], v[124:125], v[78:79]
	v_fmac_f64_e32 v[38:39], v[130:131], v[72:73]
	v_add_f64 v[0:1], v[0:1], v[36:37]
	s_waitcnt vmcnt(22)
	v_mul_f64 v[42:43], v[204:205], v[82:83]
	v_fmac_f64_e32 v[40:41], v[126:127], v[76:77]
	v_add_f64 v[0:1], v[0:1], v[38:39]
	s_waitcnt vmcnt(21)
	v_mul_f64 v[44:45], v[132:133], v[86:87]
	v_fmac_f64_e32 v[42:43], v[206:207], v[80:81]
	v_add_f64 v[0:1], v[0:1], v[40:41]
	s_waitcnt vmcnt(20) lgkmcnt(13)
	v_mul_f64 v[46:47], v[224:225], v[94:95]
	v_fmac_f64_e32 v[44:45], v[134:135], v[84:85]
	v_add_f64 v[0:1], v[0:1], v[42:43]
	s_waitcnt vmcnt(19) lgkmcnt(12)
	v_mul_f64 v[48:49], v[216:217], v[98:99]
	v_fmac_f64_e32 v[46:47], v[226:227], v[92:93]
	v_add_f64 v[0:1], v[0:1], v[44:45]
	;; [unrolled: 4-line block ×9, first 2 shown]
	v_fmac_f64_e32 v[106:107], v[190:191], v[168:169]
	v_add_f64 v[0:1], v[0:1], v[104:105]
	s_waitcnt vmcnt(11) lgkmcnt(4)
	v_mul_f64 v[40:41], v[176:177], v[174:175]
	v_add_f64 v[0:1], v[0:1], v[106:107]
	v_fmac_f64_e32 v[40:41], v[178:179], v[172:173]
	scratch_load_dwordx4 v[36:39], off, off offset:576
	v_add_f64 v[0:1], v[0:1], v[40:41]
	s_waitcnt vmcnt(11) lgkmcnt(3)
	v_mul_f64 v[40:41], v[228:229], v[182:183]
	v_fmac_f64_e32 v[40:41], v[230:231], v[180:181]
	v_add_f64 v[0:1], v[0:1], v[40:41]
	scratch_load_dwordx4 v[40:43], off, off offset:592
	ds_read_b128 v[88:91], v2 offset:1328
	s_waitcnt vmcnt(11) lgkmcnt(3)
	v_mul_f64 v[44:45], v[232:233], v[186:187]
	v_fmac_f64_e32 v[44:45], v[234:235], v[184:185]
	v_add_f64 v[0:1], v[0:1], v[44:45]
	s_waitcnt vmcnt(10) lgkmcnt(2)
	v_mul_f64 v[44:45], v[236:237], v[194:195]
	v_fmac_f64_e32 v[44:45], v[238:239], v[192:193]
	s_waitcnt vmcnt(9) lgkmcnt(0)
	v_mul_f64 v[48:49], v[88:89], v[6:7]
	ds_read_b128 v[104:107], v2 offset:1344
	v_add_f64 v[0:1], v[0:1], v[44:45]
	scratch_load_dwordx4 v[44:47], off, off offset:608
	v_fmac_f64_e32 v[48:49], v[90:91], v[4:5]
	v_accvgpr_write_b32 a117, v7
	v_add_f64 v[0:1], v[0:1], v[48:49]
	scratch_load_dwordx4 v[48:51], off, off offset:624
	v_accvgpr_write_b32 a116, v6
	v_accvgpr_write_b32 a115, v5
	;; [unrolled: 1-line block ×3, first 2 shown]
	s_waitcnt vmcnt(10)
	v_mov_b64_e32 v[4:5], v[8:9]
	v_mov_b64_e32 v[6:7], v[10:11]
	s_waitcnt lgkmcnt(0)
	v_mul_f64 v[52:53], v[104:105], v[6:7]
	v_fmac_f64_e32 v[52:53], v[106:107], v[4:5]
	v_add_f64 v[0:1], v[0:1], v[52:53]
	scratch_load_dwordx4 v[52:55], off, off offset:640
	v_mul_f64 v[58:59], v[118:119], v[58:59]
	v_fma_f64 v[244:245], v[116:117], v[56:57], -v[58:59]
	scratch_load_dwordx4 v[56:59], off, off offset:656
	v_mul_f64 v[62:63], v[222:223], v[62:63]
	v_fma_f64 v[246:247], v[220:221], v[60:61], -v[62:63]
	scratch_load_dwordx4 v[60:63], off, off offset:672
	s_waitcnt vmcnt(12)
	v_mov_b64_e32 v[4:5], v[12:13]
	v_mul_f64 v[66:67], v[210:211], v[66:67]
	v_mov_b64_e32 v[6:7], v[14:15]
	v_fma_f64 v[248:249], v[208:209], v[64:65], -v[66:67]
	scratch_load_dwordx4 v[64:67], off, off offset:688
	v_mul_f64 v[112:113], v[108:109], v[6:7]
	v_fmac_f64_e32 v[112:113], v[110:111], v[4:5]
	v_add_f64 v[0:1], v[0:1], v[112:113]
	ds_read_b128 v[112:115], v2 offset:1376
	ds_read_b128 v[116:119], v2 offset:1392
	s_waitcnt vmcnt(12)
	v_mov_b64_e32 v[4:5], v[16:17]
	v_mul_f64 v[70:71], v[122:123], v[70:71]
	v_mov_b64_e32 v[6:7], v[18:19]
	v_fma_f64 v[250:251], v[120:121], v[68:69], -v[70:71]
	scratch_load_dwordx4 v[68:71], off, off offset:704
	v_mul_f64 v[74:75], v[130:131], v[74:75]
	s_waitcnt lgkmcnt(1)
	v_mul_f64 v[220:221], v[112:113], v[6:7]
	v_fma_f64 v[252:253], v[128:129], v[72:73], -v[74:75]
	scratch_load_dwordx4 v[72:75], off, off offset:720
	v_fmac_f64_e32 v[220:221], v[114:115], v[4:5]
	s_waitcnt vmcnt(13)
	v_mov_b64_e32 v[4:5], v[20:21]
	ds_read_b128 v[120:123], v2 offset:1408
	v_mul_f64 v[78:79], v[126:127], v[78:79]
	v_mov_b64_e32 v[6:7], v[22:23]
	v_fma_f64 v[254:255], v[124:125], v[76:77], -v[78:79]
	scratch_load_dwordx4 v[76:79], off, off offset:736
	s_waitcnt lgkmcnt(1)
	v_mul_f64 v[208:209], v[116:117], v[6:7]
	ds_read_b128 v[124:127], v2 offset:1424
	v_fmac_f64_e32 v[208:209], v[118:119], v[4:5]
	s_waitcnt vmcnt(13)
	v_mov_b64_e32 v[4:5], v[24:25]
	v_mul_f64 v[82:83], v[206:207], v[82:83]
	v_mov_b64_e32 v[6:7], v[26:27]
	v_fma_f64 v[240:241], v[204:205], v[80:81], -v[82:83]
	scratch_load_dwordx4 v[80:83], off, off offset:752
	v_add_f64 v[0:1], v[0:1], v[220:221]
	s_waitcnt lgkmcnt(1)
	v_mul_f64 v[128:129], v[120:121], v[6:7]
	v_add_f64 v[0:1], v[0:1], v[208:209]
	v_fmac_f64_e32 v[128:129], v[122:123], v[4:5]
	v_add_f64 v[0:1], v[0:1], v[128:129]
	s_waitcnt vmcnt(13) lgkmcnt(0)
	v_mul_f64 v[128:129], v[124:125], v[30:31]
	v_accvgpr_write_b32 a137, v27
	v_fmac_f64_e32 v[128:129], v[126:127], v[28:29]
	v_mul_f64 v[86:87], v[134:135], v[86:87]
	v_accvgpr_write_b32 a136, v26
	v_accvgpr_write_b32 a135, v25
	;; [unrolled: 1-line block ×3, first 2 shown]
	v_add_f64 v[0:1], v[0:1], v[128:129]
	v_fma_f64 v[24:25], v[132:133], v[84:85], -v[86:87]
	scratch_load_dwordx4 v[84:87], off, off offset:768
	ds_read_b128 v[132:135], v2 offset:1440
	ds_read_b128 v[128:131], v2 offset:1456
	v_accvgpr_write_b32 a133, v23
	v_mul_f64 v[6:7], v[226:227], v[94:95]
	v_accvgpr_write_b32 a129, v19
	v_accvgpr_write_b32 a132, v22
	;; [unrolled: 1-line block ×4, first 2 shown]
	v_fma_f64 v[20:21], v[224:225], v[92:93], -v[6:7]
	v_mul_f64 v[92:93], v[218:219], v[98:99]
	v_accvgpr_write_b32 a121, v11
	v_accvgpr_write_b32 a128, v18
	;; [unrolled: 1-line block ×4, first 2 shown]
	v_fma_f64 v[16:17], v[216:217], v[96:97], -v[92:93]
	scratch_load_dwordx4 v[96:99], off, off offset:784
	scratch_load_dwordx4 v[92:95], off, off offset:800
	v_accvgpr_write_b32 a120, v10
	v_accvgpr_write_b32 a119, v9
	;; [unrolled: 1-line block ×3, first 2 shown]
	s_waitcnt vmcnt(15) lgkmcnt(1)
	v_mul_f64 v[10:11], v[132:133], v[34:35]
	v_fmac_f64_e32 v[10:11], v[134:135], v[32:33]
	v_accvgpr_write_b32 a125, v15
	v_add_f64 v[0:1], v[0:1], v[10:11]
	v_mul_f64 v[10:11], v[198:199], v[102:103]
	v_accvgpr_write_b32 a124, v14
	v_accvgpr_write_b32 a123, v13
	;; [unrolled: 1-line block ×3, first 2 shown]
	v_fma_f64 v[12:13], v[196:197], v[100:101], -v[10:11]
	scratch_load_dwordx4 v[100:103], off, off offset:816
	v_mul_f64 v[138:139], v[142:143], v[138:139]
	v_fma_f64 v[10:11], v[140:141], v[136:137], -v[138:139]
	ds_read_b128 v[136:139], v2 offset:1472
	ds_read_b128 v[140:143], v2 offset:1488
	s_waitcnt vmcnt(15) lgkmcnt(2)
	v_mul_f64 v[14:15], v[128:129], v[38:39]
	v_fmac_f64_e32 v[14:15], v[130:131], v[36:37]
	v_add_f64 v[0:1], v[0:1], v[14:15]
	s_waitcnt vmcnt(14) lgkmcnt(1)
	v_mul_f64 v[14:15], v[136:137], v[42:43]
	v_fmac_f64_e32 v[14:15], v[138:139], v[40:41]
	v_add_f64 v[0:1], v[0:1], v[14:15]
	v_mul_f64 v[14:15], v[154:155], v[146:147]
	v_fma_f64 v[14:15], v[152:153], v[144:145], -v[14:15]
	ds_read_b128 v[144:147], v2 offset:1504
	s_waitcnt vmcnt(13) lgkmcnt(1)
	v_mul_f64 v[152:153], v[140:141], v[46:47]
	v_mul_f64 v[150:151], v[202:203], v[150:151]
	v_fmac_f64_e32 v[152:153], v[142:143], v[44:45]
	v_fma_f64 v[8:9], v[200:201], v[148:149], -v[150:151]
	ds_read_b128 v[148:151], v2 offset:1520
	s_waitcnt vmcnt(12) lgkmcnt(1)
	v_mul_f64 v[18:19], v[144:145], v[50:51]
	v_add_f64 v[0:1], v[0:1], v[152:153]
	v_fmac_f64_e32 v[18:19], v[146:147], v[48:49]
	v_add_f64 v[0:1], v[0:1], v[18:19]
	ds_read_b128 v[152:155], v2 offset:1536
	v_mul_f64 v[18:19], v[166:167], v[158:159]
	v_fma_f64 v[18:19], v[164:165], v[156:157], -v[18:19]
	ds_read_b128 v[156:159], v2 offset:1552
	v_mul_f64 v[162:163], v[214:215], v[162:163]
	s_waitcnt vmcnt(11) lgkmcnt(2)
	v_mul_f64 v[164:165], v[148:149], v[54:55]
	v_fma_f64 v[6:7], v[212:213], v[160:161], -v[162:163]
	ds_read_b128 v[160:163], v2 offset:1568
	v_fmac_f64_e32 v[164:165], v[150:151], v[52:53]
	v_add_f64 v[0:1], v[0:1], v[164:165]
	s_waitcnt vmcnt(10) lgkmcnt(2)
	v_mul_f64 v[164:165], v[152:153], v[58:59]
	v_fmac_f64_e32 v[164:165], v[154:155], v[56:57]
	s_waitcnt vmcnt(9) lgkmcnt(1)
	v_mul_f64 v[22:23], v[156:157], v[62:63]
	v_add_f64 v[0:1], v[0:1], v[164:165]
	v_fmac_f64_e32 v[22:23], v[158:159], v[60:61]
	v_add_f64 v[0:1], v[0:1], v[22:23]
	ds_read_b128 v[164:167], v2 offset:1584
	s_waitcnt vmcnt(8) lgkmcnt(1)
	v_mul_f64 v[22:23], v[160:161], v[66:67]
	v_fmac_f64_e32 v[22:23], v[162:163], v[64:65]
	v_add_f64 v[0:1], v[0:1], v[22:23]
	v_mul_f64 v[22:23], v[190:191], v[170:171]
	v_fma_f64 v[22:23], v[188:189], v[168:169], -v[22:23]
	ds_read_b128 v[168:171], v2 offset:1600
	v_mul_f64 v[174:175], v[178:179], v[174:175]
	v_fma_f64 v[4:5], v[176:177], v[172:173], -v[174:175]
	ds_read_b128 v[172:175], v2 offset:1616
	s_waitcnt vmcnt(7) lgkmcnt(2)
	v_mul_f64 v[188:189], v[164:165], v[70:71]
	v_fmac_f64_e32 v[188:189], v[166:167], v[68:69]
	s_waitcnt vmcnt(6) lgkmcnt(1)
	v_mul_f64 v[26:27], v[168:169], v[74:75]
	ds_read_b128 v[176:179], v2 offset:1632
	v_add_f64 v[0:1], v[0:1], v[188:189]
	v_fmac_f64_e32 v[26:27], v[170:171], v[72:73]
	v_add_f64 v[0:1], v[0:1], v[26:27]
	s_waitcnt vmcnt(5) lgkmcnt(1)
	v_mul_f64 v[26:27], v[172:173], v[78:79]
	v_fmac_f64_e32 v[26:27], v[174:175], v[76:77]
	v_add_f64 v[0:1], v[0:1], v[26:27]
	v_mul_f64 v[26:27], v[230:231], v[182:183]
	v_fma_f64 v[26:27], v[228:229], v[180:181], -v[26:27]
	ds_read_b128 v[180:183], v2 offset:1648
	s_waitcnt vmcnt(4) lgkmcnt(1)
	v_mul_f64 v[188:189], v[176:177], v[82:83]
	v_fmac_f64_e32 v[188:189], v[178:179], v[80:81]
	v_add_f64 v[196:197], v[0:1], v[188:189]
	v_mul_f64 v[0:1], v[234:235], v[186:187]
	v_fma_f64 v[0:1], v[232:233], v[184:185], -v[0:1]
	ds_read_b128 v[184:187], v2 offset:1664
	ds_read_b128 v[188:191], v2 offset:1680
	s_waitcnt vmcnt(3) lgkmcnt(2)
	v_mul_f64 v[198:199], v[180:181], v[86:87]
	v_mul_f64 v[194:195], v[238:239], v[194:195]
	v_fmac_f64_e32 v[198:199], v[182:183], v[84:85]
	v_fma_f64 v[242:243], v[236:237], v[192:193], -v[194:195]
	ds_read_b128 v[192:195], v2 offset:1696
	ds_read_b128 v[200:203], v2 offset:1712
	v_add_f64 v[196:197], v[196:197], v[198:199]
	s_waitcnt vmcnt(2) lgkmcnt(3)
	v_mul_f64 v[198:199], v[184:185], v[98:99]
	v_fmac_f64_e32 v[198:199], v[186:187], v[96:97]
	v_add_f64 v[196:197], v[196:197], v[198:199]
	s_waitcnt vmcnt(1) lgkmcnt(2)
	v_mul_f64 v[198:199], v[188:189], v[94:95]
	v_fmac_f64_e32 v[198:199], v[190:191], v[92:93]
	v_add_f64 v[196:197], v[196:197], v[198:199]
	scratch_load_dwordx4 v[232:235], off, off offset:896
	s_waitcnt vmcnt(1) lgkmcnt(1)
	v_mul_f64 v[198:199], v[192:193], v[102:103]
	v_fmac_f64_e32 v[198:199], v[194:195], v[100:101]
	v_add_f64 v[204:205], v[196:197], v[198:199]
	scratch_load_dwordx4 v[196:199], off, off offset:832
	ds_read_b128 v[208:211], v2 offset:1728
	ds_read_b128 v[216:219], v2 offset:1744
	;; [unrolled: 1-line block ×3, first 2 shown]
	s_waitcnt vmcnt(0) lgkmcnt(3)
	v_mul_f64 v[206:207], v[200:201], v[198:199]
	v_fmac_f64_e32 v[206:207], v[202:203], v[196:197]
	v_add_f64 v[212:213], v[204:205], v[206:207]
	scratch_load_dwordx4 v[204:207], off, off offset:848
	s_waitcnt vmcnt(0) lgkmcnt(2)
	v_mul_f64 v[214:215], v[208:209], v[206:207]
	v_fmac_f64_e32 v[214:215], v[210:211], v[204:205]
	v_add_f64 v[220:221], v[212:213], v[214:215]
	scratch_load_dwordx4 v[212:215], off, off offset:864
	;; [unrolled: 5-line block ×3, first 2 shown]
	s_waitcnt vmcnt(0) lgkmcnt(0)
	v_mul_f64 v[230:231], v[224:225], v[222:223]
	v_fmac_f64_e32 v[230:231], v[226:227], v[220:221]
	v_add_f64 v[236:237], v[228:229], v[230:231]
	ds_read_b128 v[228:231], v2 offset:1776
	s_waitcnt lgkmcnt(0)
	v_mul_f64 v[2:3], v[228:229], v[234:235]
	v_fmac_f64_e32 v[2:3], v[230:231], v[232:233]
	v_add_f64 v[2:3], v[236:237], v[2:3]
	v_add_f64 v[236:237], v[244:245], 0
	;; [unrolled: 1-line block ×9, first 2 shown]
	scratch_load_dwordx4 v[236:239], off, off offset:96
	v_add_f64 v[20:21], v[24:25], v[20:21]
	v_add_f64 v[16:17], v[20:21], v[16:17]
	;; [unrolled: 1-line block ×10, first 2 shown]
	v_accvgpr_read_b32 v6, a114
	v_accvgpr_read_b32 v8, a116
	;; [unrolled: 1-line block ×3, first 2 shown]
	v_add_f64 v[244:245], v[4:5], v[26:27]
	v_accvgpr_read_b32 v7, a115
	v_mul_f64 v[4:5], v[90:91], v[8:9]
	v_add_f64 v[0:1], v[244:245], v[0:1]
	v_fma_f64 v[4:5], v[88:89], v[6:7], -v[4:5]
	v_accvgpr_read_b32 v6, a118
	v_add_f64 v[0:1], v[0:1], v[242:243]
	v_accvgpr_read_b32 v8, a120
	v_accvgpr_read_b32 v9, a121
	v_add_f64 v[0:1], v[0:1], v[4:5]
	v_accvgpr_read_b32 v7, a119
	v_mul_f64 v[4:5], v[106:107], v[8:9]
	v_fma_f64 v[4:5], v[104:105], v[6:7], -v[4:5]
	v_accvgpr_read_b32 v6, a122
	v_accvgpr_read_b32 v8, a124
	v_accvgpr_read_b32 v9, a125
	v_add_f64 v[0:1], v[0:1], v[4:5]
	v_accvgpr_read_b32 v7, a123
	v_mul_f64 v[4:5], v[110:111], v[8:9]
	v_fma_f64 v[4:5], v[108:109], v[6:7], -v[4:5]
	v_accvgpr_read_b32 v6, a126
	;; [unrolled: 7-line block ×4, first 2 shown]
	v_accvgpr_read_b32 v8, a136
	v_accvgpr_read_b32 v9, a137
	v_add_f64 v[0:1], v[0:1], v[4:5]
	v_accvgpr_read_b32 v7, a135
	v_mul_f64 v[4:5], v[122:123], v[8:9]
	v_fma_f64 v[4:5], v[120:121], v[6:7], -v[4:5]
	v_add_f64 v[0:1], v[0:1], v[4:5]
	v_mul_f64 v[4:5], v[126:127], v[30:31]
	v_fma_f64 v[4:5], v[124:125], v[28:29], -v[4:5]
	v_add_f64 v[0:1], v[0:1], v[4:5]
	;; [unrolled: 3-line block ×24, first 2 shown]
	s_waitcnt vmcnt(0)
	v_add_f64 v[4:5], v[236:237], -v[0:1]
	v_accvgpr_read_b32 v0, a112
	v_add_f64 v[6:7], v[238:239], -v[2:3]
	v_cmp_lt_u32_e32 vcc, 4, v0
	scratch_store_dwordx4 off, v[4:7], off offset:96
	s_and_saveexec_b64 s[0:1], vcc
	s_cbranch_execz .LBB55_341
; %bb.340:
	scratch_load_dwordx4 v[2:5], off, s39
	v_mov_b32_e32 v6, 0
	v_mov_b32_e32 v7, v6
	;; [unrolled: 1-line block ×4, first 2 shown]
	v_accvgpr_read_b32 v0, a113
	scratch_store_dwordx4 off, v[6:9], off offset:80
	s_waitcnt vmcnt(1)
	ds_write_b128 v0, v[2:5]
.LBB55_341:
	s_or_b64 exec, exec, s[0:1]
	s_waitcnt lgkmcnt(0)
	; wave barrier
	scratch_load_dwordx4 v[48:51], off, off offset:96
	scratch_load_dwordx4 v[52:55], off, off offset:112
	;; [unrolled: 1-line block ×28, first 2 shown]
	v_mov_b32_e32 v2, 0
	ds_read_b128 v[104:107], v2 offset:976
	ds_read_b128 v[112:115], v2 offset:992
	ds_read_b128 v[116:119], v2 offset:1008
	ds_read_b128 v[120:123], v2 offset:1024
	ds_read_b128 v[124:127], v2 offset:1040
	ds_read_b128 v[128:131], v2 offset:1056
	ds_read_b128 v[132:135], v2 offset:1072
	ds_read_b128 v[148:151], v2 offset:1088
	ds_read_b128 v[160:163], v2 offset:1104
	ds_read_b128 v[172:175], v2 offset:1120
	ds_read_b128 v[184:187], v2 offset:1136
	ds_read_b128 v[192:195], v2 offset:1152
	ds_read_b128 v[196:199], v2 offset:1168
	ds_read_b128 v[200:203], v2 offset:1184
	ds_read_b128 v[204:207], v2 offset:1200
	ds_read_b128 v[208:211], v2 offset:1216
	ds_read_b128 v[212:215], v2 offset:1232
	ds_read_b128 v[216:219], v2 offset:1248
	scratch_load_dwordx4 a[114:117], off, off offset:544
	scratch_load_dwordx4 v[234:237], off, off offset:560
	ds_read_b128 v[220:223], v2 offset:1264
	ds_read_b128 v[224:227], v2 offset:1280
	ds_read_b128 v[228:231], v2 offset:1296
	ds_read_b128 v[238:241], v2 offset:1312
	ds_read_b128 v[242:245], v2 offset:1328
	s_waitcnt vmcnt(29) lgkmcnt(14)
	v_mul_f64 v[0:1], v[104:105], v[50:51]
	s_waitcnt vmcnt(28)
	v_mul_f64 v[24:25], v[112:113], v[54:55]
	v_fmac_f64_e32 v[0:1], v[106:107], v[48:49]
	s_waitcnt vmcnt(27)
	v_mul_f64 v[26:27], v[116:117], v[58:59]
	v_fmac_f64_e32 v[24:25], v[114:115], v[52:53]
	v_add_f64 v[0:1], v[0:1], 0
	s_waitcnt vmcnt(26)
	v_mul_f64 v[28:29], v[120:121], v[62:63]
	v_fmac_f64_e32 v[26:27], v[118:119], v[56:57]
	v_add_f64 v[0:1], v[0:1], v[24:25]
	;; [unrolled: 4-line block ×7, first 2 shown]
	s_waitcnt vmcnt(20) lgkmcnt(13)
	v_mul_f64 v[40:41], v[172:173], v[86:87]
	v_fmac_f64_e32 v[38:39], v[162:163], v[80:81]
	v_add_f64 v[0:1], v[0:1], v[36:37]
	s_waitcnt vmcnt(19) lgkmcnt(12)
	v_mul_f64 v[42:43], v[184:185], v[94:95]
	v_fmac_f64_e32 v[40:41], v[174:175], v[84:85]
	v_add_f64 v[0:1], v[0:1], v[38:39]
	;; [unrolled: 4-line block ×8, first 2 shown]
	v_add_f64 v[0:1], v[0:1], v[96:97]
	v_fmac_f64_e32 v[98:99], v[214:215], v[152:153]
	s_waitcnt vmcnt(12) lgkmcnt(5)
	v_mul_f64 v[32:33], v[216:217], v[158:159]
	v_add_f64 v[0:1], v[0:1], v[98:99]
	v_fmac_f64_e32 v[32:33], v[218:219], v[156:157]
	v_add_f64 v[0:1], v[0:1], v[32:33]
	s_waitcnt vmcnt(11) lgkmcnt(4)
	v_mul_f64 v[32:33], v[220:221], v[166:167]
	v_fmac_f64_e32 v[32:33], v[222:223], v[164:165]
	v_add_f64 v[0:1], v[0:1], v[32:33]
	scratch_load_dwordx4 v[32:35], off, off offset:576
	s_waitcnt vmcnt(11) lgkmcnt(3)
	v_mul_f64 v[36:37], v[224:225], v[170:171]
	v_fmac_f64_e32 v[36:37], v[226:227], v[168:169]
	v_add_f64 v[0:1], v[0:1], v[36:37]
	s_waitcnt vmcnt(10) lgkmcnt(2)
	v_mul_f64 v[36:37], v[228:229], v[178:179]
	v_fmac_f64_e32 v[36:37], v[230:231], v[176:177]
	v_add_f64 v[0:1], v[0:1], v[36:37]
	scratch_load_dwordx4 v[36:39], off, off offset:592
	s_waitcnt vmcnt(10) lgkmcnt(1)
	v_mul_f64 v[40:41], v[238:239], v[182:183]
	v_fmac_f64_e32 v[40:41], v[240:241], v[180:181]
	v_add_f64 v[0:1], v[0:1], v[40:41]
	scratch_load_dwordx4 v[40:43], off, off offset:608
	ds_read_b128 v[88:91], v2 offset:1344
	s_waitcnt vmcnt(10) lgkmcnt(1)
	v_mul_f64 v[44:45], v[242:243], v[190:191]
	v_fmac_f64_e32 v[44:45], v[244:245], v[188:189]
	v_add_f64 v[0:1], v[0:1], v[44:45]
	scratch_load_dwordx4 v[44:47], off, off offset:624
	v_mul_f64 v[50:51], v[106:107], v[50:51]
	v_fma_f64 v[246:247], v[104:105], v[48:49], -v[50:51]
	scratch_load_dwordx4 v[48:51], off, off offset:640
	v_mul_f64 v[54:55], v[114:115], v[54:55]
	v_fma_f64 v[248:249], v[112:113], v[52:53], -v[54:55]
	scratch_load_dwordx4 v[52:55], off, off offset:656
	s_waitcnt vmcnt(12) lgkmcnt(0)
	v_mul_f64 v[96:97], v[88:89], v[6:7]
	v_fmac_f64_e32 v[96:97], v[90:91], v[4:5]
	v_mul_f64 v[58:59], v[118:119], v[58:59]
	v_add_f64 v[0:1], v[0:1], v[96:97]
	ds_read_b128 v[96:99], v2 offset:1360
	ds_read_b128 v[104:107], v2 offset:1376
	v_fma_f64 v[250:251], v[116:117], v[56:57], -v[58:59]
	scratch_load_dwordx4 v[56:59], off, off offset:672
	v_mul_f64 v[62:63], v[122:123], v[62:63]
	v_accvgpr_write_b32 a121, v7
	v_fma_f64 v[252:253], v[120:121], v[60:61], -v[62:63]
	scratch_load_dwordx4 v[60:63], off, off offset:688
	v_accvgpr_write_b32 a120, v6
	v_accvgpr_write_b32 a119, v5
	;; [unrolled: 1-line block ×3, first 2 shown]
	s_waitcnt vmcnt(13)
	v_mov_b64_e32 v[4:5], v[8:9]
	v_mov_b64_e32 v[6:7], v[10:11]
	v_mul_f64 v[66:67], v[126:127], v[66:67]
	s_waitcnt lgkmcnt(1)
	v_mul_f64 v[112:113], v[96:97], v[6:7]
	v_fma_f64 v[254:255], v[124:125], v[64:65], -v[66:67]
	scratch_load_dwordx4 v[64:67], off, off offset:704
	v_fmac_f64_e32 v[112:113], v[98:99], v[4:5]
	s_waitcnt vmcnt(13)
	v_mov_b64_e32 v[4:5], v[12:13]
	v_mov_b64_e32 v[6:7], v[14:15]
	v_add_f64 v[0:1], v[0:1], v[112:113]
	s_waitcnt lgkmcnt(0)
	v_mul_f64 v[112:113], v[104:105], v[6:7]
	v_fmac_f64_e32 v[112:113], v[106:107], v[4:5]
	v_add_f64 v[0:1], v[0:1], v[112:113]
	ds_read_b128 v[112:115], v2 offset:1392
	ds_read_b128 v[116:119], v2 offset:1408
	v_mul_f64 v[70:71], v[130:131], v[70:71]
	v_fma_f64 v[232:233], v[128:129], v[68:69], -v[70:71]
	scratch_load_dwordx4 v[68:71], off, off offset:720
	v_mul_f64 v[74:75], v[134:135], v[74:75]
	v_accvgpr_write_b32 a125, v11
	s_waitcnt vmcnt(13)
	v_mov_b64_e32 v[4:5], v[16:17]
	v_fma_f64 v[28:29], v[132:133], v[72:73], -v[74:75]
	scratch_load_dwordx4 v[72:75], off, off offset:736
	v_accvgpr_write_b32 a124, v10
	v_accvgpr_write_b32 a123, v9
	;; [unrolled: 1-line block ×3, first 2 shown]
	v_mov_b64_e32 v[6:7], v[18:19]
	s_waitcnt vmcnt(13)
	v_mov_b64_e32 v[8:9], v[20:21]
	s_waitcnt lgkmcnt(1)
	v_mul_f64 v[120:121], v[112:113], v[6:7]
	v_mov_b64_e32 v[10:11], v[22:23]
	v_fmac_f64_e32 v[120:121], v[114:115], v[4:5]
	s_waitcnt lgkmcnt(0)
	v_mul_f64 v[6:7], v[116:117], v[10:11]
	v_add_f64 v[0:1], v[0:1], v[120:121]
	v_fmac_f64_e32 v[6:7], v[118:119], v[8:9]
	v_add_f64 v[0:1], v[0:1], v[6:7]
	v_mul_f64 v[6:7], v[150:151], v[78:79]
	v_accvgpr_write_b32 a137, v23
	v_fma_f64 v[24:25], v[148:149], v[76:77], -v[6:7]
	scratch_load_dwordx4 v[76:79], off, off offset:752
	v_mul_f64 v[6:7], v[162:163], v[82:83]
	ds_read_b128 v[124:127], v2 offset:1424
	ds_read_b128 v[120:123], v2 offset:1440
	v_accvgpr_write_b32 a133, v19
	v_accvgpr_write_b32 a136, v22
	;; [unrolled: 1-line block ×4, first 2 shown]
	v_fma_f64 v[20:21], v[160:161], v[80:81], -v[6:7]
	v_mul_f64 v[6:7], v[174:175], v[86:87]
	v_accvgpr_write_b32 a132, v18
	v_accvgpr_write_b32 a131, v17
	;; [unrolled: 1-line block ×3, first 2 shown]
	v_fma_f64 v[16:17], v[172:173], v[84:85], -v[6:7]
	scratch_load_dwordx4 v[84:87], off, off offset:768
	scratch_load_dwordx4 v[80:83], off, off offset:784
	s_waitcnt vmcnt(15)
	v_accvgpr_read_b32 v8, a114
	v_accvgpr_read_b32 v10, a116
	;; [unrolled: 1-line block ×4, first 2 shown]
	s_waitcnt lgkmcnt(1)
	v_mul_f64 v[6:7], v[124:125], v[10:11]
	v_fmac_f64_e32 v[6:7], v[126:127], v[8:9]
	v_add_f64 v[0:1], v[0:1], v[6:7]
	s_waitcnt vmcnt(14) lgkmcnt(0)
	v_mul_f64 v[6:7], v[120:121], v[236:237]
	v_fmac_f64_e32 v[6:7], v[122:123], v[234:235]
	v_accvgpr_write_b32 a129, v15
	v_add_f64 v[0:1], v[0:1], v[6:7]
	v_mul_f64 v[6:7], v[186:187], v[94:95]
	v_accvgpr_write_b32 a128, v14
	v_accvgpr_write_b32 a127, v13
	;; [unrolled: 1-line block ×3, first 2 shown]
	v_fma_f64 v[14:15], v[184:185], v[92:93], -v[6:7]
	scratch_load_dwordx4 v[92:95], off, off offset:800
	v_mul_f64 v[6:7], v[194:195], v[102:103]
	v_fma_f64 v[12:13], v[192:193], v[100:101], -v[6:7]
	scratch_load_dwordx4 v[100:103], off, off offset:816
	v_mul_f64 v[6:7], v[198:199], v[110:111]
	v_fma_f64 v[18:19], v[196:197], v[108:109], -v[6:7]
	scratch_load_dwordx4 v[108:111], off, off offset:832
	ds_read_b128 v[128:131], v2 offset:1456
	ds_read_b128 v[132:135], v2 offset:1472
	;; [unrolled: 1-line block ×4, first 2 shown]
	v_mul_f64 v[182:183], v[240:241], v[182:183]
	s_waitcnt vmcnt(16) lgkmcnt(3)
	v_mul_f64 v[6:7], v[128:129], v[34:35]
	v_fmac_f64_e32 v[6:7], v[130:131], v[32:33]
	v_add_f64 v[0:1], v[0:1], v[6:7]
	v_mul_f64 v[6:7], v[202:203], v[138:139]
	v_fma_f64 v[10:11], v[200:201], v[136:137], -v[6:7]
	ds_read_b128 v[136:139], v2 offset:1488
	s_waitcnt vmcnt(15) lgkmcnt(3)
	v_mul_f64 v[6:7], v[132:133], v[38:39]
	v_fmac_f64_e32 v[6:7], v[134:135], v[36:37]
	v_add_f64 v[0:1], v[0:1], v[6:7]
	v_mul_f64 v[6:7], v[206:207], v[142:143]
	v_fma_f64 v[22:23], v[204:205], v[140:141], -v[6:7]
	ds_read_b128 v[140:143], v2 offset:1504
	;; [unrolled: 7-line block ×3, first 2 shown]
	s_waitcnt vmcnt(13) lgkmcnt(1)
	v_mul_f64 v[6:7], v[140:141], v[46:47]
	v_fmac_f64_e32 v[6:7], v[142:143], v[44:45]
	v_add_f64 v[0:1], v[0:1], v[6:7]
	v_fma_f64 v[238:239], v[238:239], v[180:181], -v[182:183]
	s_waitcnt vmcnt(12) lgkmcnt(0)
	v_mul_f64 v[6:7], v[144:145], v[50:51]
	v_fmac_f64_e32 v[6:7], v[146:147], v[48:49]
	v_add_f64 v[0:1], v[0:1], v[6:7]
	v_mul_f64 v[6:7], v[214:215], v[154:155]
	v_fma_f64 v[26:27], v[212:213], v[152:153], -v[6:7]
	s_waitcnt vmcnt(11)
	v_mul_f64 v[6:7], v[148:149], v[54:55]
	v_fmac_f64_e32 v[6:7], v[150:151], v[52:53]
	ds_read_b128 v[152:155], v2 offset:1552
	v_add_f64 v[0:1], v[0:1], v[6:7]
	v_mul_f64 v[6:7], v[218:219], v[158:159]
	v_fma_f64 v[4:5], v[216:217], v[156:157], -v[6:7]
	ds_read_b128 v[156:159], v2 offset:1568
	s_waitcnt vmcnt(10) lgkmcnt(1)
	v_mul_f64 v[6:7], v[152:153], v[58:59]
	v_fmac_f64_e32 v[6:7], v[154:155], v[56:57]
	v_add_f64 v[0:1], v[0:1], v[6:7]
	ds_read_b128 v[180:183], v2 offset:1664
	s_waitcnt vmcnt(9) lgkmcnt(1)
	v_mul_f64 v[6:7], v[156:157], v[62:63]
	v_fmac_f64_e32 v[6:7], v[158:159], v[60:61]
	v_add_f64 v[0:1], v[0:1], v[6:7]
	v_mul_f64 v[6:7], v[222:223], v[166:167]
	v_fma_f64 v[30:31], v[220:221], v[164:165], -v[6:7]
	ds_read_b128 v[164:167], v2 offset:1600
	s_waitcnt vmcnt(8)
	v_mul_f64 v[6:7], v[160:161], v[66:67]
	v_fmac_f64_e32 v[6:7], v[162:163], v[64:65]
	v_add_f64 v[0:1], v[0:1], v[6:7]
	v_mul_f64 v[6:7], v[226:227], v[170:171]
	v_fma_f64 v[6:7], v[224:225], v[168:169], -v[6:7]
	ds_read_b128 v[168:171], v2 offset:1616
	s_waitcnt vmcnt(7) lgkmcnt(1)
	v_mul_f64 v[172:173], v[164:165], v[70:71]
	v_fmac_f64_e32 v[172:173], v[166:167], v[68:69]
	v_add_f64 v[0:1], v[0:1], v[172:173]
	ds_read_b128 v[172:175], v2 offset:1632
	s_waitcnt vmcnt(6) lgkmcnt(1)
	v_mul_f64 v[184:185], v[168:169], v[74:75]
	v_fmac_f64_e32 v[184:185], v[170:171], v[72:73]
	v_add_f64 v[184:185], v[0:1], v[184:185]
	v_mul_f64 v[0:1], v[230:231], v[178:179]
	v_fma_f64 v[0:1], v[228:229], v[176:177], -v[0:1]
	ds_read_b128 v[176:179], v2 offset:1648
	s_waitcnt vmcnt(5) lgkmcnt(1)
	v_mul_f64 v[186:187], v[172:173], v[78:79]
	v_fmac_f64_e32 v[186:187], v[174:175], v[76:77]
	v_add_f64 v[184:185], v[184:185], v[186:187]
	v_mul_f64 v[190:191], v[244:245], v[190:191]
	s_waitcnt vmcnt(4) lgkmcnt(0)
	v_mul_f64 v[186:187], v[176:177], v[86:87]
	v_fmac_f64_e32 v[186:187], v[178:179], v[84:85]
	v_add_f64 v[192:193], v[184:185], v[186:187]
	ds_read_b128 v[184:187], v2 offset:1680
	v_fma_f64 v[240:241], v[242:243], v[188:189], -v[190:191]
	ds_read_b128 v[188:191], v2 offset:1696
	s_waitcnt vmcnt(3)
	v_mul_f64 v[194:195], v[180:181], v[82:83]
	v_fmac_f64_e32 v[194:195], v[182:183], v[80:81]
	v_add_f64 v[192:193], v[192:193], v[194:195]
	s_waitcnt vmcnt(2) lgkmcnt(1)
	v_mul_f64 v[194:195], v[184:185], v[94:95]
	v_fmac_f64_e32 v[194:195], v[186:187], v[92:93]
	v_add_f64 v[192:193], v[192:193], v[194:195]
	s_waitcnt vmcnt(1) lgkmcnt(0)
	v_mul_f64 v[194:195], v[188:189], v[102:103]
	v_fmac_f64_e32 v[194:195], v[190:191], v[100:101]
	v_add_f64 v[196:197], v[192:193], v[194:195]
	ds_read_b128 v[192:195], v2 offset:1712
	ds_read_b128 v[200:203], v2 offset:1728
	;; [unrolled: 1-line block ×5, first 2 shown]
	s_waitcnt vmcnt(0) lgkmcnt(4)
	v_mul_f64 v[198:199], v[192:193], v[110:111]
	v_fmac_f64_e32 v[198:199], v[194:195], v[108:109]
	v_add_f64 v[204:205], v[196:197], v[198:199]
	scratch_load_dwordx4 v[196:199], off, off offset:848
	s_waitcnt vmcnt(0) lgkmcnt(3)
	v_mul_f64 v[206:207], v[200:201], v[198:199]
	v_fmac_f64_e32 v[206:207], v[202:203], v[196:197]
	v_add_f64 v[212:213], v[204:205], v[206:207]
	scratch_load_dwordx4 v[204:207], off, off offset:864
	;; [unrolled: 5-line block ×4, first 2 shown]
	s_waitcnt vmcnt(0) lgkmcnt(0)
	v_mul_f64 v[230:231], v[224:225], v[222:223]
	v_fmac_f64_e32 v[230:231], v[226:227], v[220:221]
	v_add_f64 v[244:245], v[228:229], v[230:231]
	v_add_f64 v[228:229], v[246:247], 0
	;; [unrolled: 1-line block ×8, first 2 shown]
	scratch_load_dwordx4 v[228:231], off, off offset:80
	v_add_f64 v[24:25], v[28:29], v[24:25]
	v_add_f64 v[20:21], v[24:25], v[20:21]
	;; [unrolled: 1-line block ×13, first 2 shown]
	v_accvgpr_read_b32 v6, a118
	v_accvgpr_read_b32 v8, a120
	;; [unrolled: 1-line block ×3, first 2 shown]
	v_add_f64 v[0:1], v[4:5], v[0:1]
	v_accvgpr_read_b32 v7, a119
	v_mul_f64 v[4:5], v[90:91], v[8:9]
	v_add_f64 v[0:1], v[0:1], v[238:239]
	v_fma_f64 v[4:5], v[88:89], v[6:7], -v[4:5]
	v_accvgpr_read_b32 v6, a122
	v_add_f64 v[0:1], v[0:1], v[240:241]
	v_accvgpr_read_b32 v8, a124
	v_accvgpr_read_b32 v9, a125
	v_add_f64 v[0:1], v[0:1], v[4:5]
	v_accvgpr_read_b32 v7, a123
	v_mul_f64 v[4:5], v[98:99], v[8:9]
	v_fma_f64 v[4:5], v[96:97], v[6:7], -v[4:5]
	v_accvgpr_read_b32 v6, a126
	v_accvgpr_read_b32 v8, a128
	v_accvgpr_read_b32 v9, a129
	v_add_f64 v[0:1], v[0:1], v[4:5]
	v_accvgpr_read_b32 v7, a127
	v_mul_f64 v[4:5], v[106:107], v[8:9]
	v_fma_f64 v[4:5], v[104:105], v[6:7], -v[4:5]
	v_accvgpr_read_b32 v6, a130
	;; [unrolled: 7-line block ×4, first 2 shown]
	v_accvgpr_read_b32 v8, a116
	v_accvgpr_read_b32 v9, a117
	v_add_f64 v[0:1], v[0:1], v[4:5]
	v_accvgpr_read_b32 v7, a115
	v_mul_f64 v[4:5], v[126:127], v[8:9]
	v_fma_f64 v[4:5], v[124:125], v[6:7], -v[4:5]
	v_add_f64 v[0:1], v[0:1], v[4:5]
	v_mul_f64 v[4:5], v[122:123], v[236:237]
	v_fma_f64 v[4:5], v[120:121], v[234:235], -v[4:5]
	v_add_f64 v[0:1], v[0:1], v[4:5]
	;; [unrolled: 3-line block ×23, first 2 shown]
	s_waitcnt vmcnt(0)
	v_add_f64 v[4:5], v[228:229], -v[0:1]
	v_accvgpr_read_b32 v0, a112
	v_add_f64 v[6:7], v[230:231], -v[244:245]
	v_cmp_lt_u32_e32 vcc, 3, v0
	scratch_store_dwordx4 off, v[4:7], off offset:80
	s_and_saveexec_b64 s[0:1], vcc
	s_cbranch_execz .LBB55_343
; %bb.342:
	scratch_load_dwordx4 v[6:9], off, s69
	v_mov_b32_e32 v3, v2
	v_mov_b32_e32 v4, v2
	;; [unrolled: 1-line block ×3, first 2 shown]
	v_accvgpr_read_b32 v0, a113
	scratch_store_dwordx4 off, v[2:5], off offset:64
	s_waitcnt vmcnt(1)
	ds_write_b128 v0, v[6:9]
.LBB55_343:
	s_or_b64 exec, exec, s[0:1]
	s_waitcnt lgkmcnt(0)
	; wave barrier
	scratch_load_dwordx4 v[48:51], off, off offset:80
	scratch_load_dwordx4 v[52:55], off, off offset:96
	;; [unrolled: 1-line block ×18, first 2 shown]
	ds_read_b128 v[104:107], v2 offset:960
	ds_read_b128 v[208:211], v2 offset:976
	;; [unrolled: 1-line block ×6, first 2 shown]
	scratch_load_dwordx4 v[164:167], off, off offset:368
	ds_read_b128 v[192:195], v2 offset:1056
	ds_read_b128 v[124:127], v2 offset:1072
	scratch_load_dwordx4 v[168:171], off, off offset:384
	ds_read_b128 v[212:215], v2 offset:1088
	ds_read_b128 v[204:207], v2 offset:1104
	;; [unrolled: 1-line block ×5, first 2 shown]
	scratch_load_dwordx4 v[176:179], off, off offset:400
	ds_read_b128 v[200:203], v2 offset:1168
	ds_read_b128 v[172:175], v2 offset:1184
	scratch_load_dwordx4 v[180:183], off, off offset:416
	ds_read_b128 v[216:219], v2 offset:1200
	ds_read_b128 v[184:187], v2 offset:1216
	;; [unrolled: 1-line block ×3, first 2 shown]
	scratch_load_dwordx4 v[188:191], off, off offset:432
	scratch_load_dwordx4 v[4:7], off, off offset:448
	scratch_load_dwordx4 v[8:11], off, off offset:464
	scratch_load_dwordx4 v[12:15], off, off offset:480
	scratch_load_dwordx4 v[16:19], off, off offset:496
	scratch_load_dwordx4 v[20:23], off, off offset:512
	scratch_load_dwordx4 a[114:117], off, off offset:528
	scratch_load_dwordx4 a[118:121], off, off offset:544
	ds_read_b128 v[220:223], v2 offset:1248
	ds_read_b128 v[224:227], v2 offset:1264
	;; [unrolled: 1-line block ×5, first 2 shown]
	s_waitcnt vmcnt(29) lgkmcnt(14)
	v_mul_f64 v[0:1], v[104:105], v[50:51]
	s_waitcnt vmcnt(28)
	v_mul_f64 v[24:25], v[208:209], v[54:55]
	v_fmac_f64_e32 v[0:1], v[106:107], v[48:49]
	s_waitcnt vmcnt(27)
	v_mul_f64 v[26:27], v[196:197], v[58:59]
	v_fmac_f64_e32 v[24:25], v[210:211], v[52:53]
	v_add_f64 v[0:1], v[0:1], 0
	s_waitcnt vmcnt(26)
	v_mul_f64 v[28:29], v[112:113], v[62:63]
	v_fmac_f64_e32 v[26:27], v[198:199], v[56:57]
	v_add_f64 v[0:1], v[0:1], v[24:25]
	;; [unrolled: 4-line block ×7, first 2 shown]
	s_waitcnt vmcnt(20) lgkmcnt(13)
	v_mul_f64 v[40:41], v[204:205], v[86:87]
	v_fmac_f64_e32 v[38:39], v[214:215], v[80:81]
	v_add_f64 v[0:1], v[0:1], v[36:37]
	s_waitcnt vmcnt(19) lgkmcnt(12)
	v_mul_f64 v[42:43], v[128:129], v[94:95]
	v_fmac_f64_e32 v[40:41], v[206:207], v[84:85]
	v_add_f64 v[0:1], v[0:1], v[38:39]
	;; [unrolled: 4-line block ×8, first 2 shown]
	v_fmac_f64_e32 v[98:99], v[186:187], v[152:153]
	v_add_f64 v[0:1], v[0:1], v[96:97]
	s_waitcnt vmcnt(12) lgkmcnt(5)
	v_mul_f64 v[32:33], v[160:161], v[158:159]
	v_add_f64 v[0:1], v[0:1], v[98:99]
	v_fmac_f64_e32 v[32:33], v[162:163], v[156:157]
	v_add_f64 v[0:1], v[0:1], v[32:33]
	s_waitcnt vmcnt(11) lgkmcnt(4)
	v_mul_f64 v[32:33], v[220:221], v[166:167]
	v_fmac_f64_e32 v[32:33], v[222:223], v[164:165]
	v_add_f64 v[0:1], v[0:1], v[32:33]
	scratch_load_dwordx4 v[32:35], off, off offset:560
	s_waitcnt vmcnt(11) lgkmcnt(3)
	v_mul_f64 v[36:37], v[224:225], v[170:171]
	v_fmac_f64_e32 v[36:37], v[226:227], v[168:169]
	v_add_f64 v[0:1], v[0:1], v[36:37]
	s_waitcnt vmcnt(10) lgkmcnt(2)
	v_mul_f64 v[36:37], v[228:229], v[178:179]
	v_fmac_f64_e32 v[36:37], v[230:231], v[176:177]
	v_add_f64 v[0:1], v[0:1], v[36:37]
	scratch_load_dwordx4 v[36:39], off, off offset:576
	s_waitcnt vmcnt(10) lgkmcnt(1)
	v_mul_f64 v[40:41], v[232:233], v[182:183]
	v_fmac_f64_e32 v[40:41], v[234:235], v[180:181]
	ds_read_b128 v[88:91], v2 offset:1328
	s_waitcnt vmcnt(9) lgkmcnt(1)
	v_mul_f64 v[44:45], v[236:237], v[190:191]
	v_add_f64 v[0:1], v[0:1], v[40:41]
	scratch_load_dwordx4 v[40:43], off, off offset:592
	v_fmac_f64_e32 v[44:45], v[238:239], v[188:189]
	v_add_f64 v[0:1], v[0:1], v[44:45]
	scratch_load_dwordx4 v[44:47], off, off offset:608
	v_mul_f64 v[50:51], v[106:107], v[50:51]
	v_fma_f64 v[244:245], v[104:105], v[48:49], -v[50:51]
	scratch_load_dwordx4 v[48:51], off, off offset:624
	s_waitcnt vmcnt(11) lgkmcnt(0)
	v_mul_f64 v[96:97], v[88:89], v[6:7]
	v_mul_f64 v[54:55], v[210:211], v[54:55]
	v_fmac_f64_e32 v[96:97], v[90:91], v[4:5]
	v_fma_f64 v[246:247], v[208:209], v[52:53], -v[54:55]
	scratch_load_dwordx4 v[52:55], off, off offset:640
	v_mul_f64 v[58:59], v[198:199], v[58:59]
	v_add_f64 v[0:1], v[0:1], v[96:97]
	ds_read_b128 v[96:99], v2 offset:1344
	ds_read_b128 v[104:107], v2 offset:1360
	v_fma_f64 v[248:249], v[196:197], v[56:57], -v[58:59]
	scratch_load_dwordx4 v[56:59], off, off offset:656
	v_mul_f64 v[62:63], v[114:115], v[62:63]
	v_accvgpr_write_b32 a125, v7
	v_fma_f64 v[250:251], v[112:113], v[60:61], -v[62:63]
	scratch_load_dwordx4 v[60:63], off, off offset:672
	v_accvgpr_write_b32 a124, v6
	v_accvgpr_write_b32 a123, v5
	;; [unrolled: 1-line block ×3, first 2 shown]
	s_waitcnt vmcnt(13)
	v_mov_b64_e32 v[4:5], v[8:9]
	v_mov_b64_e32 v[6:7], v[10:11]
	s_waitcnt lgkmcnt(1)
	v_mul_f64 v[208:209], v[96:97], v[6:7]
	v_fmac_f64_e32 v[208:209], v[98:99], v[4:5]
	s_waitcnt vmcnt(12)
	v_mov_b64_e32 v[4:5], v[12:13]
	ds_read_b128 v[112:115], v2 offset:1376
	v_mov_b64_e32 v[6:7], v[14:15]
	s_waitcnt lgkmcnt(1)
	v_mul_f64 v[196:197], v[104:105], v[6:7]
	v_mul_f64 v[66:67], v[122:123], v[66:67]
	;; [unrolled: 1-line block ×3, first 2 shown]
	v_fmac_f64_e32 v[196:197], v[106:107], v[4:5]
	v_fma_f64 v[252:253], v[120:121], v[64:65], -v[66:67]
	scratch_load_dwordx4 v[64:67], off, off offset:688
	v_fma_f64 v[254:255], v[116:117], v[68:69], -v[70:71]
	ds_read_b128 v[116:119], v2 offset:1392
	s_waitcnt vmcnt(12)
	v_mov_b64_e32 v[4:5], v[16:17]
	v_mov_b64_e32 v[6:7], v[18:19]
	scratch_load_dwordx4 v[68:71], off, off offset:704
	s_waitcnt lgkmcnt(1)
	v_mul_f64 v[120:121], v[112:113], v[6:7]
	v_mul_f64 v[74:75], v[194:195], v[74:75]
	v_add_f64 v[0:1], v[0:1], v[208:209]
	v_fmac_f64_e32 v[120:121], v[114:115], v[4:5]
	v_fma_f64 v[240:241], v[192:193], v[72:73], -v[74:75]
	s_waitcnt vmcnt(12)
	v_mov_b64_e32 v[4:5], v[20:21]
	scratch_load_dwordx4 v[72:75], off, off offset:720
	v_add_f64 v[0:1], v[0:1], v[196:197]
	v_mov_b64_e32 v[6:7], v[22:23]
	v_add_f64 v[0:1], v[0:1], v[120:121]
	s_waitcnt lgkmcnt(0)
	v_mul_f64 v[120:121], v[116:117], v[6:7]
	v_fmac_f64_e32 v[120:121], v[118:119], v[4:5]
	v_mul_f64 v[78:79], v[126:127], v[78:79]
	v_add_f64 v[0:1], v[0:1], v[120:121]
	v_fma_f64 v[28:29], v[124:125], v[76:77], -v[78:79]
	scratch_load_dwordx4 v[76:79], off, off offset:736
	ds_read_b128 v[124:127], v2 offset:1408
	ds_read_b128 v[120:123], v2 offset:1424
	v_mul_f64 v[6:7], v[214:215], v[82:83]
	v_fma_f64 v[24:25], v[212:213], v[80:81], -v[6:7]
	s_waitcnt vmcnt(13)
	v_accvgpr_read_b32 v4, a114
	v_accvgpr_write_b32 a129, v11
	v_accvgpr_write_b32 a141, v23
	v_mul_f64 v[80:81], v[206:207], v[86:87]
	v_accvgpr_read_b32 v6, a116
	v_accvgpr_read_b32 v7, a117
	v_accvgpr_write_b32 a128, v10
	v_accvgpr_write_b32 a127, v9
	;; [unrolled: 1-line block ×6, first 2 shown]
	v_fma_f64 v[20:21], v[204:205], v[84:85], -v[80:81]
	scratch_load_dwordx4 v[84:87], off, off offset:752
	v_accvgpr_read_b32 v5, a115
	s_waitcnt lgkmcnt(1)
	v_mul_f64 v[10:11], v[124:125], v[6:7]
	v_fmac_f64_e32 v[10:11], v[126:127], v[4:5]
	s_waitcnt vmcnt(13)
	v_accvgpr_read_b32 v4, a118
	v_accvgpr_read_b32 v6, a120
	;; [unrolled: 1-line block ×3, first 2 shown]
	v_add_f64 v[0:1], v[0:1], v[10:11]
	v_accvgpr_read_b32 v5, a119
	s_waitcnt lgkmcnt(0)
	v_mul_f64 v[10:11], v[120:121], v[6:7]
	v_fmac_f64_e32 v[10:11], v[122:123], v[4:5]
	v_accvgpr_write_b32 a137, v19
	scratch_load_dwordx4 v[80:83], off, off offset:768
	v_add_f64 v[0:1], v[0:1], v[10:11]
	v_mul_f64 v[10:11], v[130:131], v[94:95]
	v_accvgpr_write_b32 a133, v15
	v_accvgpr_write_b32 a136, v18
	;; [unrolled: 1-line block ×4, first 2 shown]
	v_fma_f64 v[16:17], v[128:129], v[92:93], -v[10:11]
	v_mul_f64 v[92:93], v[134:135], v[102:103]
	v_accvgpr_write_b32 a132, v14
	v_accvgpr_write_b32 a131, v13
	v_accvgpr_write_b32 a130, v12
	v_fma_f64 v[12:13], v[132:133], v[100:101], -v[92:93]
	scratch_load_dwordx4 v[92:95], off, off offset:784
	ds_read_b128 v[128:131], v2 offset:1440
	ds_read_b128 v[132:135], v2 offset:1456
	scratch_load_dwordx4 v[100:103], off, off offset:800
	v_mul_f64 v[14:15], v[150:151], v[110:111]
	v_fma_f64 v[14:15], v[148:149], v[108:109], -v[14:15]
	s_waitcnt vmcnt(15) lgkmcnt(1)
	v_mul_f64 v[108:109], v[128:129], v[34:35]
	v_fmac_f64_e32 v[108:109], v[130:131], v[32:33]
	v_add_f64 v[0:1], v[0:1], v[108:109]
	v_mul_f64 v[108:109], v[202:203], v[138:139]
	v_fma_f64 v[10:11], v[200:201], v[136:137], -v[108:109]
	scratch_load_dwordx4 v[108:111], off, off offset:816
	s_waitcnt vmcnt(15) lgkmcnt(0)
	v_mul_f64 v[18:19], v[132:133], v[38:39]
	v_fmac_f64_e32 v[18:19], v[134:135], v[36:37]
	ds_read_b128 v[136:139], v2 offset:1472
	v_add_f64 v[0:1], v[0:1], v[18:19]
	v_mul_f64 v[18:19], v[174:175], v[142:143]
	v_fma_f64 v[18:19], v[172:173], v[140:141], -v[18:19]
	ds_read_b128 v[140:143], v2 offset:1488
	v_mul_f64 v[146:147], v[218:219], v[146:147]
	v_fma_f64 v[8:9], v[216:217], v[144:145], -v[146:147]
	ds_read_b128 v[144:147], v2 offset:1504
	s_waitcnt vmcnt(14) lgkmcnt(2)
	v_mul_f64 v[148:149], v[136:137], v[42:43]
	v_fmac_f64_e32 v[148:149], v[138:139], v[40:41]
	s_waitcnt vmcnt(13) lgkmcnt(1)
	v_mul_f64 v[22:23], v[140:141], v[46:47]
	v_add_f64 v[0:1], v[0:1], v[148:149]
	v_fmac_f64_e32 v[22:23], v[142:143], v[44:45]
	ds_read_b128 v[148:151], v2 offset:1520
	v_add_f64 v[0:1], v[0:1], v[22:23]
	s_waitcnt vmcnt(12) lgkmcnt(1)
	v_mul_f64 v[22:23], v[144:145], v[50:51]
	v_fmac_f64_e32 v[22:23], v[146:147], v[48:49]
	v_add_f64 v[0:1], v[0:1], v[22:23]
	v_mul_f64 v[22:23], v[186:187], v[154:155]
	v_fma_f64 v[22:23], v[184:185], v[152:153], -v[22:23]
	ds_read_b128 v[152:155], v2 offset:1536
	v_mul_f64 v[158:159], v[162:163], v[158:159]
	v_fma_f64 v[6:7], v[160:161], v[156:157], -v[158:159]
	ds_read_b128 v[156:159], v2 offset:1552
	s_waitcnt vmcnt(11) lgkmcnt(2)
	v_mul_f64 v[172:173], v[148:149], v[54:55]
	v_fmac_f64_e32 v[172:173], v[150:151], v[52:53]
	s_waitcnt vmcnt(10) lgkmcnt(1)
	v_mul_f64 v[26:27], v[152:153], v[58:59]
	v_add_f64 v[0:1], v[0:1], v[172:173]
	v_fmac_f64_e32 v[26:27], v[154:155], v[56:57]
	v_add_f64 v[0:1], v[0:1], v[26:27]
	s_waitcnt vmcnt(9) lgkmcnt(0)
	v_mul_f64 v[26:27], v[156:157], v[62:63]
	v_fmac_f64_e32 v[26:27], v[158:159], v[60:61]
	ds_read_b128 v[160:163], v2 offset:1568
	v_add_f64 v[0:1], v[0:1], v[26:27]
	v_mul_f64 v[26:27], v[222:223], v[166:167]
	v_fma_f64 v[26:27], v[220:221], v[164:165], -v[26:27]
	ds_read_b128 v[164:167], v2 offset:1584
	v_mul_f64 v[170:171], v[226:227], v[170:171]
	v_fma_f64 v[4:5], v[224:225], v[168:169], -v[170:171]
	ds_read_b128 v[168:171], v2 offset:1600
	s_waitcnt vmcnt(8) lgkmcnt(2)
	v_mul_f64 v[172:173], v[160:161], v[66:67]
	v_fmac_f64_e32 v[172:173], v[162:163], v[64:65]
	s_waitcnt vmcnt(7) lgkmcnt(1)
	v_mul_f64 v[30:31], v[164:165], v[70:71]
	v_add_f64 v[0:1], v[0:1], v[172:173]
	v_fmac_f64_e32 v[30:31], v[166:167], v[68:69]
	v_add_f64 v[0:1], v[0:1], v[30:31]
	ds_read_b128 v[172:175], v2 offset:1616
	s_waitcnt vmcnt(6) lgkmcnt(1)
	v_mul_f64 v[30:31], v[168:169], v[74:75]
	v_fmac_f64_e32 v[30:31], v[170:171], v[72:73]
	v_add_f64 v[30:31], v[0:1], v[30:31]
	v_mul_f64 v[0:1], v[230:231], v[178:179]
	v_fma_f64 v[0:1], v[228:229], v[176:177], -v[0:1]
	ds_read_b128 v[176:179], v2 offset:1632
	v_mul_f64 v[182:183], v[234:235], v[182:183]
	s_waitcnt vmcnt(5) lgkmcnt(1)
	v_mul_f64 v[184:185], v[172:173], v[78:79]
	v_fma_f64 v[180:181], v[232:233], v[180:181], -v[182:183]
	v_fmac_f64_e32 v[184:185], v[174:175], v[76:77]
	v_accvgpr_write_b32 a142, v180
	v_mul_f64 v[190:191], v[238:239], v[190:191]
	v_accvgpr_write_b32 a143, v181
	ds_read_b128 v[180:183], v2 offset:1648
	v_add_f64 v[30:31], v[30:31], v[184:185]
	v_fma_f64 v[242:243], v[236:237], v[188:189], -v[190:191]
	scratch_load_dwordx4 v[236:239], off, off offset:64
	s_waitcnt vmcnt(5) lgkmcnt(1)
	v_mul_f64 v[184:185], v[176:177], v[86:87]
	v_fmac_f64_e32 v[184:185], v[178:179], v[84:85]
	v_add_f64 v[30:31], v[30:31], v[184:185]
	ds_read_b128 v[184:187], v2 offset:1664
	ds_read_b128 v[188:191], v2 offset:1680
	s_waitcnt vmcnt(4) lgkmcnt(2)
	v_mul_f64 v[192:193], v[180:181], v[82:83]
	v_fmac_f64_e32 v[192:193], v[182:183], v[80:81]
	v_add_f64 v[30:31], v[30:31], v[192:193]
	s_waitcnt vmcnt(3) lgkmcnt(1)
	v_mul_f64 v[192:193], v[184:185], v[94:95]
	v_fmac_f64_e32 v[192:193], v[186:187], v[92:93]
	v_add_f64 v[30:31], v[30:31], v[192:193]
	;; [unrolled: 4-line block ×3, first 2 shown]
	ds_read_b128 v[192:195], v2 offset:1696
	ds_read_b128 v[200:203], v2 offset:1712
	scratch_load_dwordx4 v[232:235], off, off offset:896
	ds_read_b128 v[208:211], v2 offset:1728
	ds_read_b128 v[216:219], v2 offset:1744
	s_waitcnt vmcnt(2) lgkmcnt(3)
	v_mul_f64 v[196:197], v[192:193], v[110:111]
	v_fmac_f64_e32 v[196:197], v[194:195], v[108:109]
	v_add_f64 v[30:31], v[30:31], v[196:197]
	scratch_load_dwordx4 v[196:199], off, off offset:832
	ds_read_b128 v[224:227], v2 offset:1760
	s_waitcnt vmcnt(0) lgkmcnt(3)
	v_mul_f64 v[204:205], v[200:201], v[198:199]
	v_fmac_f64_e32 v[204:205], v[202:203], v[196:197]
	v_add_f64 v[30:31], v[30:31], v[204:205]
	scratch_load_dwordx4 v[204:207], off, off offset:848
	s_waitcnt vmcnt(0) lgkmcnt(2)
	v_mul_f64 v[212:213], v[208:209], v[206:207]
	v_fmac_f64_e32 v[212:213], v[210:211], v[204:205]
	v_add_f64 v[30:31], v[30:31], v[212:213]
	scratch_load_dwordx4 v[212:215], off, off offset:864
	;; [unrolled: 5-line block ×3, first 2 shown]
	s_waitcnt vmcnt(0) lgkmcnt(0)
	v_mul_f64 v[228:229], v[224:225], v[222:223]
	v_fmac_f64_e32 v[228:229], v[226:227], v[220:221]
	v_add_f64 v[30:31], v[30:31], v[228:229]
	ds_read_b128 v[228:231], v2 offset:1776
	s_waitcnt lgkmcnt(0)
	v_mul_f64 v[2:3], v[228:229], v[234:235]
	v_fmac_f64_e32 v[2:3], v[230:231], v[232:233]
	v_add_f64 v[2:3], v[30:31], v[2:3]
	v_add_f64 v[30:31], v[244:245], 0
	v_add_f64 v[30:31], v[30:31], v[246:247]
	v_add_f64 v[30:31], v[30:31], v[248:249]
	v_add_f64 v[30:31], v[30:31], v[250:251]
	v_add_f64 v[30:31], v[30:31], v[252:253]
	v_add_f64 v[30:31], v[30:31], v[254:255]
	v_add_f64 v[30:31], v[30:31], v[240:241]
	v_add_f64 v[28:29], v[30:31], v[28:29]
	v_add_f64 v[24:25], v[28:29], v[24:25]
	v_add_f64 v[20:21], v[24:25], v[20:21]
	v_add_f64 v[16:17], v[20:21], v[16:17]
	v_add_f64 v[12:13], v[16:17], v[12:13]
	v_add_f64 v[12:13], v[12:13], v[14:15]
	v_add_f64 v[10:11], v[12:13], v[10:11]
	v_add_f64 v[10:11], v[10:11], v[18:19]
	v_add_f64 v[8:9], v[10:11], v[8:9]
	v_add_f64 v[8:9], v[8:9], v[22:23]
	v_add_f64 v[6:7], v[8:9], v[6:7]
	v_add_f64 v[6:7], v[6:7], v[26:27]
	v_add_f64 v[4:5], v[6:7], v[4:5]
	v_accvgpr_read_b32 v6, a122
	v_add_f64 v[244:245], v[4:5], v[0:1]
	v_accvgpr_read_b32 v0, a142
	v_accvgpr_read_b32 v8, a124
	;; [unrolled: 1-line block ×5, first 2 shown]
	v_mul_f64 v[4:5], v[90:91], v[8:9]
	v_add_f64 v[0:1], v[244:245], v[0:1]
	v_fma_f64 v[4:5], v[88:89], v[6:7], -v[4:5]
	v_accvgpr_read_b32 v6, a126
	v_add_f64 v[0:1], v[0:1], v[242:243]
	v_accvgpr_read_b32 v8, a128
	v_accvgpr_read_b32 v9, a129
	v_add_f64 v[0:1], v[0:1], v[4:5]
	v_accvgpr_read_b32 v7, a127
	v_mul_f64 v[4:5], v[98:99], v[8:9]
	v_fma_f64 v[4:5], v[96:97], v[6:7], -v[4:5]
	v_accvgpr_read_b32 v6, a130
	v_accvgpr_read_b32 v8, a132
	v_accvgpr_read_b32 v9, a133
	v_add_f64 v[0:1], v[0:1], v[4:5]
	v_accvgpr_read_b32 v7, a131
	v_mul_f64 v[4:5], v[106:107], v[8:9]
	v_fma_f64 v[4:5], v[104:105], v[6:7], -v[4:5]
	v_accvgpr_read_b32 v6, a134
	;; [unrolled: 7-line block ×5, first 2 shown]
	v_accvgpr_read_b32 v8, a120
	v_accvgpr_read_b32 v9, a121
	v_add_f64 v[0:1], v[0:1], v[4:5]
	v_accvgpr_read_b32 v7, a119
	v_mul_f64 v[4:5], v[122:123], v[8:9]
	v_fma_f64 v[4:5], v[120:121], v[6:7], -v[4:5]
	v_add_f64 v[0:1], v[0:1], v[4:5]
	v_mul_f64 v[4:5], v[130:131], v[34:35]
	v_fma_f64 v[4:5], v[128:129], v[32:33], -v[4:5]
	v_add_f64 v[0:1], v[0:1], v[4:5]
	;; [unrolled: 3-line block ×23, first 2 shown]
	v_add_f64 v[4:5], v[236:237], -v[0:1]
	v_accvgpr_read_b32 v0, a112
	v_add_f64 v[6:7], v[238:239], -v[2:3]
	v_cmp_lt_u32_e32 vcc, 2, v0
	scratch_store_dwordx4 off, v[4:7], off offset:64
	s_and_saveexec_b64 s[0:1], vcc
	s_cbranch_execz .LBB55_345
; %bb.344:
	scratch_load_dwordx4 v[2:5], off, s70
	v_mov_b32_e32 v6, 0
	v_mov_b32_e32 v7, v6
	;; [unrolled: 1-line block ×4, first 2 shown]
	v_accvgpr_read_b32 v0, a113
	scratch_store_dwordx4 off, v[6:9], off offset:48
	s_waitcnt vmcnt(1)
	ds_write_b128 v0, v[2:5]
.LBB55_345:
	s_or_b64 exec, exec, s[0:1]
	s_waitcnt lgkmcnt(0)
	; wave barrier
	scratch_load_dwordx4 v[40:43], off, off offset:64
	scratch_load_dwordx4 v[44:47], off, off offset:80
	;; [unrolled: 1-line block ×29, first 2 shown]
	v_mov_b32_e32 v2, 0
	ds_read_b128 v[80:83], v2 offset:944
	ds_read_b128 v[100:103], v2 offset:960
	;; [unrolled: 1-line block ×18, first 2 shown]
	scratch_load_dwordx4 a[114:117], off, off offset:528
	scratch_load_dwordx4 a[118:121], off, off offset:544
	;; [unrolled: 1-line block ×4, first 2 shown]
	ds_read_b128 v[228:231], v2 offset:1296
	ds_read_b128 v[238:241], v2 offset:1312
	ds_read_b128 v[242:245], v2 offset:1328
	ds_read_b128 v[224:227], v2 offset:1280
	s_waitcnt vmcnt(32) lgkmcnt(14)
	v_mul_f64 v[0:1], v[80:81], v[42:43]
	s_waitcnt vmcnt(31)
	v_mul_f64 v[20:21], v[100:101], v[46:47]
	v_fmac_f64_e32 v[0:1], v[82:83], v[40:41]
	s_waitcnt vmcnt(30)
	v_mul_f64 v[22:23], v[104:105], v[50:51]
	v_fmac_f64_e32 v[20:21], v[102:103], v[44:45]
	v_add_f64 v[0:1], v[0:1], 0
	s_waitcnt vmcnt(29)
	v_mul_f64 v[24:25], v[108:109], v[54:55]
	v_fmac_f64_e32 v[22:23], v[106:107], v[48:49]
	v_add_f64 v[0:1], v[0:1], v[20:21]
	s_waitcnt vmcnt(28)
	v_mul_f64 v[26:27], v[112:113], v[58:59]
	v_fmac_f64_e32 v[24:25], v[110:111], v[52:53]
	v_add_f64 v[0:1], v[0:1], v[22:23]
	s_waitcnt vmcnt(27)
	v_mul_f64 v[28:29], v[116:117], v[62:63]
	v_fmac_f64_e32 v[26:27], v[114:115], v[56:57]
	v_add_f64 v[0:1], v[0:1], v[24:25]
	s_waitcnt vmcnt(26)
	v_mul_f64 v[30:31], v[120:121], v[66:67]
	v_fmac_f64_e32 v[28:29], v[118:119], v[60:61]
	v_add_f64 v[0:1], v[0:1], v[26:27]
	s_waitcnt vmcnt(25)
	v_mul_f64 v[32:33], v[132:133], v[70:71]
	v_fmac_f64_e32 v[30:31], v[122:123], v[64:65]
	v_add_f64 v[0:1], v[0:1], v[28:29]
	s_waitcnt vmcnt(24) lgkmcnt(13)
	v_mul_f64 v[34:35], v[144:145], v[74:75]
	v_fmac_f64_e32 v[32:33], v[134:135], v[68:69]
	v_add_f64 v[0:1], v[0:1], v[30:31]
	s_waitcnt vmcnt(23) lgkmcnt(12)
	v_mul_f64 v[36:37], v[156:157], v[78:79]
	v_fmac_f64_e32 v[34:35], v[146:147], v[72:73]
	v_add_f64 v[0:1], v[0:1], v[32:33]
	;; [unrolled: 4-line block ×7, first 2 shown]
	v_fmac_f64_e32 v[218:219], v[198:199], v[124:125]
	v_add_f64 v[0:1], v[0:1], v[216:217]
	ds_read_b128 v[212:215], v2 offset:1232
	s_waitcnt vmcnt(17) lgkmcnt(7)
	v_mul_f64 v[220:221], v[200:201], v[130:131]
	v_add_f64 v[0:1], v[0:1], v[218:219]
	ds_read_b128 v[216:219], v2 offset:1248
	v_fmac_f64_e32 v[220:221], v[202:203], v[128:129]
	s_waitcnt vmcnt(16) lgkmcnt(7)
	v_mul_f64 v[20:21], v[204:205], v[138:139]
	v_add_f64 v[0:1], v[0:1], v[220:221]
	v_fmac_f64_e32 v[20:21], v[206:207], v[136:137]
	s_waitcnt vmcnt(15) lgkmcnt(6)
	v_mul_f64 v[24:25], v[208:209], v[142:143]
	ds_read_b128 v[220:223], v2 offset:1264
	v_add_f64 v[0:1], v[0:1], v[20:21]
	v_fmac_f64_e32 v[24:25], v[210:211], v[140:141]
	v_add_f64 v[0:1], v[0:1], v[24:25]
	s_waitcnt vmcnt(14) lgkmcnt(2)
	v_mul_f64 v[24:25], v[212:213], v[150:151]
	v_fmac_f64_e32 v[24:25], v[214:215], v[148:149]
	s_waitcnt vmcnt(13) lgkmcnt(1)
	v_mul_f64 v[28:29], v[216:217], v[154:155]
	v_add_f64 v[0:1], v[0:1], v[24:25]
	v_fmac_f64_e32 v[28:29], v[218:219], v[152:153]
	v_add_f64 v[0:1], v[0:1], v[28:29]
	s_waitcnt vmcnt(12) lgkmcnt(0)
	v_mul_f64 v[28:29], v[220:221], v[162:163]
	v_fmac_f64_e32 v[28:29], v[222:223], v[160:161]
	s_waitcnt vmcnt(11)
	v_mul_f64 v[32:33], v[224:225], v[166:167]
	v_add_f64 v[0:1], v[0:1], v[28:29]
	v_fmac_f64_e32 v[32:33], v[226:227], v[164:165]
	v_add_f64 v[0:1], v[0:1], v[32:33]
	s_waitcnt vmcnt(10)
	v_mul_f64 v[32:33], v[228:229], v[174:175]
	v_fmac_f64_e32 v[32:33], v[230:231], v[172:173]
	s_waitcnt vmcnt(9)
	v_mul_f64 v[36:37], v[238:239], v[178:179]
	v_add_f64 v[0:1], v[0:1], v[32:33]
	v_fmac_f64_e32 v[36:37], v[240:241], v[176:177]
	v_mul_f64 v[42:43], v[82:83], v[42:43]
	v_add_f64 v[0:1], v[0:1], v[36:37]
	scratch_load_dwordx4 v[36:39], off, off offset:592
	v_fma_f64 v[246:247], v[80:81], v[40:41], -v[42:43]
	ds_read_b128 v[80:83], v2 offset:1344
	s_waitcnt vmcnt(9)
	v_mul_f64 v[40:41], v[242:243], v[186:187]
	v_fmac_f64_e32 v[40:41], v[244:245], v[184:185]
	v_add_f64 v[0:1], v[0:1], v[40:41]
	v_mul_f64 v[40:41], v[102:103], v[46:47]
	v_fma_f64 v[248:249], v[100:101], v[44:45], -v[40:41]
	scratch_load_dwordx4 v[40:43], off, off offset:608
	s_waitcnt vmcnt(9) lgkmcnt(0)
	v_mul_f64 v[44:45], v[80:81], v[6:7]
	v_fmac_f64_e32 v[44:45], v[82:83], v[4:5]
	v_add_f64 v[0:1], v[0:1], v[44:45]
	scratch_load_dwordx4 v[44:47], off, off offset:624
	v_mul_f64 v[50:51], v[106:107], v[50:51]
	v_fma_f64 v[250:251], v[104:105], v[48:49], -v[50:51]
	ds_read_b128 v[100:103], v2 offset:1360
	v_mul_f64 v[48:49], v[110:111], v[54:55]
	v_fma_f64 v[252:253], v[108:109], v[52:53], -v[48:49]
	scratch_load_dwordx4 v[52:55], off, off offset:640
	scratch_load_dwordx4 v[48:51], off, off offset:656
	v_accvgpr_write_b32 a129, v7
	v_accvgpr_write_b32 a128, v6
	;; [unrolled: 1-line block ×4, first 2 shown]
	s_waitcnt vmcnt(11)
	v_mov_b64_e32 v[4:5], v[8:9]
	v_mul_f64 v[58:59], v[114:115], v[58:59]
	v_mov_b64_e32 v[6:7], v[10:11]
	v_fma_f64 v[254:255], v[112:113], v[56:57], -v[58:59]
	s_waitcnt lgkmcnt(0)
	v_mul_f64 v[56:57], v[100:101], v[6:7]
	v_fmac_f64_e32 v[56:57], v[102:103], v[4:5]
	v_add_f64 v[0:1], v[0:1], v[56:57]
	v_mul_f64 v[56:57], v[118:119], v[62:63]
	v_fma_f64 v[232:233], v[116:117], v[60:61], -v[56:57]
	scratch_load_dwordx4 v[56:59], off, off offset:672
	scratch_load_dwordx4 v[60:63], off, off offset:688
	ds_read_b128 v[104:107], v2 offset:1376
	ds_read_b128 v[112:115], v2 offset:1408
	v_mul_f64 v[66:67], v[122:123], v[66:67]
	v_fma_f64 v[32:33], v[120:121], v[64:65], -v[66:67]
	scratch_load_dwordx4 v[64:67], off, off offset:704
	s_waitcnt vmcnt(13)
	v_mov_b64_e32 v[4:5], v[12:13]
	v_mov_b64_e32 v[6:7], v[14:15]
	s_waitcnt lgkmcnt(1)
	v_mul_f64 v[108:109], v[104:105], v[6:7]
	v_fmac_f64_e32 v[108:109], v[106:107], v[4:5]
	v_mul_f64 v[6:7], v[134:135], v[70:71]
	v_add_f64 v[0:1], v[0:1], v[108:109]
	ds_read_b128 v[108:111], v2 offset:1392
	ds_read_b128 v[116:119], v2 offset:1424
	v_fma_f64 v[28:29], v[132:133], v[68:69], -v[6:7]
	scratch_load_dwordx4 v[68:71], off, off offset:720
	v_mul_f64 v[6:7], v[146:147], v[74:75]
	v_accvgpr_write_b32 a133, v11
	v_fma_f64 v[24:25], v[144:145], v[72:73], -v[6:7]
	scratch_load_dwordx4 v[72:75], off, off offset:736
	v_accvgpr_write_b32 a132, v10
	v_accvgpr_write_b32 a131, v9
	;; [unrolled: 1-line block ×3, first 2 shown]
	s_waitcnt vmcnt(14)
	v_mov_b64_e32 v[8:9], v[16:17]
	v_mov_b64_e32 v[10:11], v[18:19]
	s_waitcnt lgkmcnt(1)
	v_mul_f64 v[6:7], v[108:109], v[10:11]
	v_fmac_f64_e32 v[6:7], v[110:111], v[8:9]
	s_waitcnt vmcnt(13)
	v_accvgpr_read_b32 v8, a114
	v_add_f64 v[0:1], v[0:1], v[6:7]
	v_mul_f64 v[6:7], v[158:159], v[78:79]
	v_accvgpr_read_b32 v10, a116
	v_accvgpr_read_b32 v11, a117
	v_fma_f64 v[20:21], v[156:157], v[76:77], -v[6:7]
	v_accvgpr_read_b32 v9, a115
	v_mul_f64 v[6:7], v[112:113], v[10:11]
	scratch_load_dwordx4 v[76:79], off, off offset:752
	v_accvgpr_write_b32 a137, v15
	v_fmac_f64_e32 v[6:7], v[114:115], v[8:9]
	v_accvgpr_write_b32 a136, v14
	v_accvgpr_write_b32 a135, v13
	;; [unrolled: 1-line block ×4, first 2 shown]
	v_mul_f64 v[14:15], v[170:171], v[86:87]
	v_add_f64 v[0:1], v[0:1], v[6:7]
	v_mul_f64 v[6:7], v[182:183], v[90:91]
	v_accvgpr_write_b32 a140, v18
	v_accvgpr_write_b32 a139, v17
	;; [unrolled: 1-line block ×3, first 2 shown]
	v_fma_f64 v[16:17], v[168:169], v[84:85], -v[14:15]
	v_fma_f64 v[14:15], v[180:181], v[88:89], -v[6:7]
	ds_read_b128 v[120:123], v2 offset:1440
	scratch_load_dwordx4 v[88:91], off, off offset:768
	scratch_load_dwordx4 v[84:87], off, off offset:784
	s_waitcnt vmcnt(15)
	v_accvgpr_read_b32 v8, a118
	v_accvgpr_read_b32 v10, a120
	;; [unrolled: 1-line block ×3, first 2 shown]
	v_mul_f64 v[18:19], v[190:191], v[94:95]
	v_accvgpr_read_b32 v9, a119
	s_waitcnt lgkmcnt(1)
	v_mul_f64 v[6:7], v[116:117], v[10:11]
	v_fma_f64 v[18:19], v[188:189], v[92:93], -v[18:19]
	v_mul_f64 v[92:93], v[194:195], v[98:99]
	v_fmac_f64_e32 v[6:7], v[118:119], v[8:9]
	s_waitcnt vmcnt(14)
	v_accvgpr_read_b32 v8, a122
	v_fma_f64 v[12:13], v[192:193], v[96:97], -v[92:93]
	scratch_load_dwordx4 v[92:95], off, off offset:800
	v_accvgpr_read_b32 v10, a124
	v_accvgpr_read_b32 v11, a125
	v_mul_f64 v[96:97], v[202:203], v[130:131]
	v_add_f64 v[0:1], v[0:1], v[6:7]
	s_waitcnt lgkmcnt(0)
	v_mul_f64 v[6:7], v[120:121], v[10:11]
	v_fma_f64 v[10:11], v[200:201], v[128:129], -v[96:97]
	scratch_load_dwordx4 v[96:99], off, off offset:816
	v_mul_f64 v[22:23], v[198:199], v[126:127]
	v_fma_f64 v[22:23], v[196:197], v[124:125], -v[22:23]
	ds_read_b128 v[124:127], v2 offset:1456
	ds_read_b128 v[128:131], v2 offset:1472
	v_accvgpr_read_b32 v9, a123
	v_fmac_f64_e32 v[6:7], v[122:123], v[8:9]
	v_add_f64 v[0:1], v[0:1], v[6:7]
	s_waitcnt vmcnt(15) lgkmcnt(1)
	v_mul_f64 v[6:7], v[124:125], v[236:237]
	ds_read_b128 v[132:135], v2 offset:1488
	v_fmac_f64_e32 v[6:7], v[126:127], v[234:235]
	v_add_f64 v[0:1], v[0:1], v[6:7]
	s_waitcnt vmcnt(14) lgkmcnt(1)
	v_mul_f64 v[6:7], v[128:129], v[38:39]
	v_fmac_f64_e32 v[6:7], v[130:131], v[36:37]
	v_add_f64 v[0:1], v[0:1], v[6:7]
	v_mul_f64 v[6:7], v[206:207], v[138:139]
	v_fma_f64 v[26:27], v[204:205], v[136:137], -v[6:7]
	ds_read_b128 v[136:139], v2 offset:1504
	s_waitcnt vmcnt(13) lgkmcnt(1)
	v_mul_f64 v[6:7], v[132:133], v[42:43]
	v_fmac_f64_e32 v[6:7], v[134:135], v[40:41]
	v_add_f64 v[0:1], v[0:1], v[6:7]
	v_mul_f64 v[6:7], v[210:211], v[142:143]
	v_fma_f64 v[8:9], v[208:209], v[140:141], -v[6:7]
	ds_read_b128 v[140:143], v2 offset:1520
	ds_read_b128 v[144:147], v2 offset:1536
	s_waitcnt vmcnt(12) lgkmcnt(2)
	v_mul_f64 v[6:7], v[136:137], v[46:47]
	v_fmac_f64_e32 v[6:7], v[138:139], v[44:45]
	v_add_f64 v[0:1], v[0:1], v[6:7]
	s_waitcnt vmcnt(11) lgkmcnt(1)
	v_mul_f64 v[6:7], v[140:141], v[54:55]
	v_fmac_f64_e32 v[6:7], v[142:143], v[52:53]
	v_add_f64 v[0:1], v[0:1], v[6:7]
	v_mul_f64 v[6:7], v[214:215], v[150:151]
	v_fma_f64 v[30:31], v[212:213], v[148:149], -v[6:7]
	ds_read_b128 v[148:151], v2 offset:1552
	v_mul_f64 v[154:155], v[218:219], v[154:155]
	v_fma_f64 v[4:5], v[216:217], v[152:153], -v[154:155]
	ds_read_b128 v[152:155], v2 offset:1568
	s_waitcnt vmcnt(10) lgkmcnt(2)
	v_mul_f64 v[6:7], v[144:145], v[50:51]
	v_fmac_f64_e32 v[6:7], v[146:147], v[48:49]
	v_add_f64 v[0:1], v[0:1], v[6:7]
	s_waitcnt vmcnt(9) lgkmcnt(1)
	v_mul_f64 v[6:7], v[148:149], v[58:59]
	ds_read_b128 v[156:159], v2 offset:1584
	v_fmac_f64_e32 v[6:7], v[150:151], v[56:57]
	v_add_f64 v[0:1], v[0:1], v[6:7]
	s_waitcnt vmcnt(8) lgkmcnt(1)
	v_mul_f64 v[6:7], v[152:153], v[62:63]
	v_fmac_f64_e32 v[6:7], v[154:155], v[60:61]
	v_add_f64 v[0:1], v[0:1], v[6:7]
	v_mul_f64 v[6:7], v[222:223], v[162:163]
	v_fma_f64 v[34:35], v[220:221], v[160:161], -v[6:7]
	ds_read_b128 v[160:163], v2 offset:1600
	s_waitcnt vmcnt(7) lgkmcnt(1)
	v_mul_f64 v[6:7], v[156:157], v[66:67]
	v_fmac_f64_e32 v[6:7], v[158:159], v[64:65]
	v_add_f64 v[0:1], v[0:1], v[6:7]
	v_mul_f64 v[6:7], v[226:227], v[166:167]
	v_fma_f64 v[6:7], v[224:225], v[164:165], -v[6:7]
	ds_read_b128 v[164:167], v2 offset:1616
	s_waitcnt vmcnt(6) lgkmcnt(1)
	v_mul_f64 v[168:169], v[160:161], v[70:71]
	v_fmac_f64_e32 v[168:169], v[162:163], v[68:69]
	v_add_f64 v[0:1], v[0:1], v[168:169]
	ds_read_b128 v[168:171], v2 offset:1632
	s_waitcnt vmcnt(5) lgkmcnt(1)
	v_mul_f64 v[180:181], v[164:165], v[74:75]
	v_fmac_f64_e32 v[180:181], v[166:167], v[72:73]
	v_add_f64 v[180:181], v[0:1], v[180:181]
	v_mul_f64 v[0:1], v[230:231], v[174:175]
	v_fma_f64 v[0:1], v[228:229], v[172:173], -v[0:1]
	ds_read_b128 v[172:175], v2 offset:1648
	s_waitcnt vmcnt(4) lgkmcnt(1)
	v_mul_f64 v[182:183], v[168:169], v[78:79]
	v_fmac_f64_e32 v[182:183], v[170:171], v[76:77]
	v_mul_f64 v[178:179], v[240:241], v[178:179]
	v_fma_f64 v[238:239], v[238:239], v[176:177], -v[178:179]
	ds_read_b128 v[176:179], v2 offset:1664
	v_add_f64 v[180:181], v[180:181], v[182:183]
	s_waitcnt vmcnt(3) lgkmcnt(1)
	v_mul_f64 v[182:183], v[172:173], v[90:91]
	v_fmac_f64_e32 v[182:183], v[174:175], v[88:89]
	v_add_f64 v[188:189], v[180:181], v[182:183]
	ds_read_b128 v[180:183], v2 offset:1680
	v_mul_f64 v[186:187], v[244:245], v[186:187]
	v_fma_f64 v[240:241], v[242:243], v[184:185], -v[186:187]
	ds_read_b128 v[184:187], v2 offset:1696
	s_waitcnt vmcnt(2) lgkmcnt(2)
	v_mul_f64 v[190:191], v[176:177], v[86:87]
	v_fmac_f64_e32 v[190:191], v[178:179], v[84:85]
	v_add_f64 v[188:189], v[188:189], v[190:191]
	s_waitcnt vmcnt(1) lgkmcnt(1)
	v_mul_f64 v[190:191], v[180:181], v[94:95]
	v_fmac_f64_e32 v[190:191], v[182:183], v[92:93]
	v_add_f64 v[188:189], v[188:189], v[190:191]
	;; [unrolled: 4-line block ×3, first 2 shown]
	scratch_load_dwordx4 v[188:191], off, off offset:832
	ds_read_b128 v[192:195], v2 offset:1712
	ds_read_b128 v[200:203], v2 offset:1728
	;; [unrolled: 1-line block ×5, first 2 shown]
	s_waitcnt vmcnt(0) lgkmcnt(4)
	v_mul_f64 v[198:199], v[192:193], v[190:191]
	v_fmac_f64_e32 v[198:199], v[194:195], v[188:189]
	v_add_f64 v[204:205], v[196:197], v[198:199]
	scratch_load_dwordx4 v[196:199], off, off offset:848
	s_waitcnt vmcnt(0) lgkmcnt(3)
	v_mul_f64 v[206:207], v[200:201], v[198:199]
	v_fmac_f64_e32 v[206:207], v[202:203], v[196:197]
	v_add_f64 v[212:213], v[204:205], v[206:207]
	scratch_load_dwordx4 v[204:207], off, off offset:864
	s_waitcnt vmcnt(0) lgkmcnt(2)
	v_mul_f64 v[214:215], v[208:209], v[206:207]
	v_fmac_f64_e32 v[214:215], v[210:211], v[204:205]
	v_add_f64 v[220:221], v[212:213], v[214:215]
	scratch_load_dwordx4 v[212:215], off, off offset:880
	s_waitcnt vmcnt(0) lgkmcnt(1)
	v_mul_f64 v[222:223], v[216:217], v[214:215]
	v_fmac_f64_e32 v[222:223], v[218:219], v[212:213]
	v_add_f64 v[228:229], v[220:221], v[222:223]
	scratch_load_dwordx4 v[220:223], off, off offset:896
	s_waitcnt vmcnt(0) lgkmcnt(0)
	v_mul_f64 v[230:231], v[224:225], v[222:223]
	v_fmac_f64_e32 v[230:231], v[226:227], v[220:221]
	v_add_f64 v[244:245], v[228:229], v[230:231]
	v_add_f64 v[228:229], v[246:247], 0
	;; [unrolled: 1-line block ×8, first 2 shown]
	scratch_load_dwordx4 v[228:231], off, off offset:48
	v_add_f64 v[28:29], v[32:33], v[28:29]
	v_add_f64 v[24:25], v[28:29], v[24:25]
	;; [unrolled: 1-line block ×15, first 2 shown]
	v_accvgpr_read_b32 v6, a126
	v_accvgpr_read_b32 v8, a128
	;; [unrolled: 1-line block ×3, first 2 shown]
	v_add_f64 v[0:1], v[4:5], v[0:1]
	v_accvgpr_read_b32 v7, a127
	v_mul_f64 v[4:5], v[82:83], v[8:9]
	v_add_f64 v[0:1], v[0:1], v[238:239]
	v_fma_f64 v[4:5], v[80:81], v[6:7], -v[4:5]
	v_accvgpr_read_b32 v6, a130
	v_add_f64 v[0:1], v[0:1], v[240:241]
	v_accvgpr_read_b32 v8, a132
	v_accvgpr_read_b32 v9, a133
	v_add_f64 v[0:1], v[0:1], v[4:5]
	v_accvgpr_read_b32 v7, a131
	v_mul_f64 v[4:5], v[102:103], v[8:9]
	v_fma_f64 v[4:5], v[100:101], v[6:7], -v[4:5]
	v_accvgpr_read_b32 v6, a134
	v_accvgpr_read_b32 v8, a136
	v_accvgpr_read_b32 v9, a137
	v_add_f64 v[0:1], v[0:1], v[4:5]
	v_accvgpr_read_b32 v7, a135
	v_mul_f64 v[4:5], v[106:107], v[8:9]
	v_fma_f64 v[4:5], v[104:105], v[6:7], -v[4:5]
	v_accvgpr_read_b32 v6, a138
	;; [unrolled: 7-line block ×5, first 2 shown]
	v_accvgpr_read_b32 v8, a124
	v_accvgpr_read_b32 v9, a125
	v_add_f64 v[0:1], v[0:1], v[4:5]
	v_accvgpr_read_b32 v7, a123
	v_mul_f64 v[4:5], v[122:123], v[8:9]
	v_fma_f64 v[4:5], v[120:121], v[6:7], -v[4:5]
	v_add_f64 v[0:1], v[0:1], v[4:5]
	v_mul_f64 v[4:5], v[126:127], v[236:237]
	v_fma_f64 v[4:5], v[124:125], v[234:235], -v[4:5]
	v_add_f64 v[0:1], v[0:1], v[4:5]
	;; [unrolled: 3-line block ×22, first 2 shown]
	s_waitcnt vmcnt(0)
	v_add_f64 v[4:5], v[228:229], -v[0:1]
	v_accvgpr_read_b32 v0, a112
	v_add_f64 v[6:7], v[230:231], -v[244:245]
	v_cmp_lt_u32_e32 vcc, 1, v0
	scratch_store_dwordx4 off, v[4:7], off offset:48
	s_and_saveexec_b64 s[0:1], vcc
	s_cbranch_execz .LBB55_347
; %bb.346:
	scratch_load_dwordx4 v[6:9], off, s71
	v_mov_b32_e32 v3, v2
	v_mov_b32_e32 v4, v2
	;; [unrolled: 1-line block ×3, first 2 shown]
	v_accvgpr_read_b32 v0, a113
	scratch_store_dwordx4 off, v[2:5], off offset:32
	s_waitcnt vmcnt(1)
	ds_write_b128 v0, v[6:9]
.LBB55_347:
	s_or_b64 exec, exec, s[0:1]
	s_waitcnt lgkmcnt(0)
	; wave barrier
	scratch_load_dwordx4 v[40:43], off, off offset:48
	scratch_load_dwordx4 v[44:47], off, off offset:64
	;; [unrolled: 1-line block ×18, first 2 shown]
	ds_read_b128 v[80:83], v2 offset:928
	ds_read_b128 v[204:207], v2 offset:944
	;; [unrolled: 1-line block ×6, first 2 shown]
	scratch_load_dwordx4 v[148:151], off, off offset:336
	ds_read_b128 v[180:183], v2 offset:1024
	ds_read_b128 v[112:115], v2 offset:1040
	scratch_load_dwordx4 v[152:155], off, off offset:352
	ds_read_b128 v[208:211], v2 offset:1056
	ds_read_b128 v[200:203], v2 offset:1072
	;; [unrolled: 1-line block ×5, first 2 shown]
	scratch_load_dwordx4 v[160:163], off, off offset:368
	ds_read_b128 v[196:199], v2 offset:1136
	ds_read_b128 v[192:195], v2 offset:1152
	;; [unrolled: 1-line block ×4, first 2 shown]
	scratch_load_dwordx4 v[164:167], off, off offset:384
	ds_read_b128 v[168:171], v2 offset:1200
	scratch_load_dwordx4 v[172:175], off, off offset:400
	scratch_load_dwordx4 v[176:179], off, off offset:416
	;; [unrolled: 1-line block ×7, first 2 shown]
	ds_read_b128 v[228:231], v2 offset:1280
	ds_read_b128 v[232:235], v2 offset:1296
	scratch_load_dwordx4 a[118:121], off, off offset:544
	scratch_load_dwordx4 a[122:125], off, off offset:560
	ds_read_b128 v[236:239], v2 offset:1312
	scratch_load_dwordx4 a[114:117], off, off offset:528
	ds_read_b128 v[224:227], v2 offset:1264
	s_waitcnt vmcnt(31) lgkmcnt(14)
	v_mul_f64 v[0:1], v[80:81], v[42:43]
	s_waitcnt vmcnt(30)
	v_mul_f64 v[20:21], v[204:205], v[46:47]
	v_fmac_f64_e32 v[0:1], v[82:83], v[40:41]
	s_waitcnt vmcnt(29)
	v_mul_f64 v[22:23], v[100:101], v[50:51]
	v_fmac_f64_e32 v[20:21], v[206:207], v[44:45]
	v_add_f64 v[0:1], v[0:1], 0
	v_fmac_f64_e32 v[22:23], v[102:103], v[48:49]
	v_add_f64 v[0:1], v[0:1], v[20:21]
	v_add_f64 v[0:1], v[0:1], v[22:23]
	scratch_load_dwordx4 v[20:23], off, off offset:512
	s_waitcnt vmcnt(29)
	v_mul_f64 v[24:25], v[116:117], v[54:55]
	s_waitcnt vmcnt(28)
	v_mul_f64 v[26:27], v[104:105], v[58:59]
	v_fmac_f64_e32 v[24:25], v[118:119], v[52:53]
	s_waitcnt vmcnt(27)
	v_mul_f64 v[28:29], v[108:109], v[62:63]
	v_fmac_f64_e32 v[26:27], v[106:107], v[56:57]
	v_add_f64 v[0:1], v[0:1], v[24:25]
	s_waitcnt vmcnt(26)
	v_mul_f64 v[30:31], v[180:181], v[66:67]
	v_fmac_f64_e32 v[28:29], v[110:111], v[60:61]
	v_add_f64 v[0:1], v[0:1], v[26:27]
	;; [unrolled: 4-line block ×3, first 2 shown]
	s_waitcnt vmcnt(24) lgkmcnt(13)
	v_mul_f64 v[34:35], v[208:209], v[74:75]
	v_fmac_f64_e32 v[32:33], v[114:115], v[68:69]
	v_add_f64 v[0:1], v[0:1], v[30:31]
	s_waitcnt vmcnt(23) lgkmcnt(12)
	v_mul_f64 v[36:37], v[200:201], v[78:79]
	v_fmac_f64_e32 v[34:35], v[210:211], v[72:73]
	v_add_f64 v[0:1], v[0:1], v[32:33]
	;; [unrolled: 4-line block ×8, first 2 shown]
	ds_read_b128 v[212:215], v2 offset:1216
	s_waitcnt vmcnt(16) lgkmcnt(6)
	v_mul_f64 v[222:223], v[144:145], v[138:139]
	v_fmac_f64_e32 v[220:221], v[158:159], v[128:129]
	v_add_f64 v[0:1], v[0:1], v[218:219]
	ds_read_b128 v[216:219], v2 offset:1232
	v_add_f64 v[0:1], v[0:1], v[220:221]
	v_fmac_f64_e32 v[222:223], v[146:147], v[136:137]
	v_add_f64 v[0:1], v[0:1], v[222:223]
	s_waitcnt vmcnt(15) lgkmcnt(6)
	v_mul_f64 v[24:25], v[168:169], v[142:143]
	ds_read_b128 v[220:223], v2 offset:1248
	v_fmac_f64_e32 v[24:25], v[170:171], v[140:141]
	v_add_f64 v[0:1], v[0:1], v[24:25]
	s_waitcnt vmcnt(14) lgkmcnt(2)
	v_mul_f64 v[24:25], v[212:213], v[150:151]
	v_fmac_f64_e32 v[24:25], v[214:215], v[148:149]
	s_waitcnt vmcnt(13) lgkmcnt(1)
	v_mul_f64 v[28:29], v[216:217], v[154:155]
	v_add_f64 v[0:1], v[0:1], v[24:25]
	v_fmac_f64_e32 v[28:29], v[218:219], v[152:153]
	v_add_f64 v[0:1], v[0:1], v[28:29]
	s_waitcnt vmcnt(12) lgkmcnt(0)
	v_mul_f64 v[28:29], v[220:221], v[162:163]
	v_fmac_f64_e32 v[28:29], v[222:223], v[160:161]
	s_waitcnt vmcnt(11)
	v_mul_f64 v[32:33], v[224:225], v[166:167]
	v_add_f64 v[0:1], v[0:1], v[28:29]
	v_fmac_f64_e32 v[32:33], v[226:227], v[164:165]
	v_add_f64 v[0:1], v[0:1], v[32:33]
	s_waitcnt vmcnt(10)
	v_mul_f64 v[32:33], v[228:229], v[174:175]
	v_fmac_f64_e32 v[32:33], v[230:231], v[172:173]
	s_waitcnt vmcnt(9)
	v_mul_f64 v[36:37], v[232:233], v[178:179]
	v_add_f64 v[0:1], v[0:1], v[32:33]
	v_fmac_f64_e32 v[36:37], v[234:235], v[176:177]
	v_mul_f64 v[42:43], v[82:83], v[42:43]
	v_add_f64 v[0:1], v[0:1], v[36:37]
	scratch_load_dwordx4 v[36:39], off, off offset:576
	v_fma_f64 v[244:245], v[80:81], v[40:41], -v[42:43]
	ds_read_b128 v[80:83], v2 offset:1328
	s_waitcnt vmcnt(9)
	v_mul_f64 v[40:41], v[236:237], v[186:187]
	v_fmac_f64_e32 v[40:41], v[238:239], v[184:185]
	v_add_f64 v[0:1], v[0:1], v[40:41]
	v_mul_f64 v[40:41], v[206:207], v[46:47]
	v_fma_f64 v[246:247], v[204:205], v[44:45], -v[40:41]
	scratch_load_dwordx4 v[40:43], off, off offset:592
	s_waitcnt vmcnt(9) lgkmcnt(0)
	v_mul_f64 v[44:45], v[80:81], v[6:7]
	v_fmac_f64_e32 v[44:45], v[82:83], v[4:5]
	v_add_f64 v[0:1], v[0:1], v[44:45]
	scratch_load_dwordx4 v[44:47], off, off offset:608
	v_mul_f64 v[50:51], v[102:103], v[50:51]
	v_fma_f64 v[248:249], v[100:101], v[48:49], -v[50:51]
	ds_read_b128 v[100:103], v2 offset:1344
	v_mul_f64 v[48:49], v[118:119], v[54:55]
	v_fma_f64 v[250:251], v[116:117], v[52:53], -v[48:49]
	scratch_load_dwordx4 v[52:55], off, off offset:624
	scratch_load_dwordx4 v[48:51], off, off offset:640
	v_accvgpr_write_b32 a129, v7
	v_accvgpr_write_b32 a128, v6
	v_accvgpr_write_b32 a127, v5
	v_accvgpr_write_b32 a126, v4
	s_waitcnt vmcnt(11)
	v_mov_b64_e32 v[4:5], v[8:9]
	v_mul_f64 v[58:59], v[106:107], v[58:59]
	v_mov_b64_e32 v[6:7], v[10:11]
	v_fma_f64 v[252:253], v[104:105], v[56:57], -v[58:59]
	s_waitcnt lgkmcnt(0)
	v_mul_f64 v[56:57], v[100:101], v[6:7]
	ds_read_b128 v[104:107], v2 offset:1360
	v_fmac_f64_e32 v[56:57], v[102:103], v[4:5]
	v_add_f64 v[0:1], v[0:1], v[56:57]
	v_mul_f64 v[56:57], v[110:111], v[62:63]
	v_fma_f64 v[254:255], v[108:109], v[60:61], -v[56:57]
	scratch_load_dwordx4 v[56:59], off, off offset:656
	scratch_load_dwordx4 v[60:63], off, off offset:672
	s_waitcnt vmcnt(12)
	v_mov_b64_e32 v[4:5], v[12:13]
	v_mul_f64 v[66:67], v[182:183], v[66:67]
	v_mov_b64_e32 v[6:7], v[14:15]
	v_fma_f64 v[240:241], v[180:181], v[64:65], -v[66:67]
	v_mul_f64 v[64:65], v[114:115], v[70:71]
	v_fma_f64 v[32:33], v[112:113], v[68:69], -v[64:65]
	ds_read_b128 v[112:115], v2 offset:1392
	s_waitcnt lgkmcnt(1)
	v_mul_f64 v[108:109], v[104:105], v[6:7]
	v_fmac_f64_e32 v[108:109], v[106:107], v[4:5]
	v_add_f64 v[0:1], v[0:1], v[108:109]
	ds_read_b128 v[108:111], v2 offset:1376
	ds_read_b128 v[116:119], v2 offset:1408
	scratch_load_dwordx4 v[64:67], off, off offset:688
	scratch_load_dwordx4 v[68:71], off, off offset:704
	v_mul_f64 v[6:7], v[210:211], v[74:75]
	v_fma_f64 v[28:29], v[208:209], v[72:73], -v[6:7]
	s_waitcnt vmcnt(13)
	v_mov_b64_e32 v[4:5], v[16:17]
	v_mov_b64_e32 v[6:7], v[18:19]
	s_waitcnt lgkmcnt(1)
	v_mul_f64 v[72:73], v[108:109], v[6:7]
	v_fmac_f64_e32 v[72:73], v[110:111], v[4:5]
	v_add_f64 v[0:1], v[0:1], v[72:73]
	v_mul_f64 v[72:73], v[202:203], v[78:79]
	v_fma_f64 v[24:25], v[200:201], v[76:77], -v[72:73]
	scratch_load_dwordx4 v[72:75], off, off offset:720
	s_waitcnt vmcnt(10)
	v_mov_b64_e32 v[4:5], v[20:21]
	v_accvgpr_write_b32 a133, v11
	v_mov_b64_e32 v[6:7], v[22:23]
	v_mul_f64 v[76:77], v[190:191], v[86:87]
	v_accvgpr_write_b32 a132, v10
	v_accvgpr_write_b32 a131, v9
	;; [unrolled: 1-line block ×3, first 2 shown]
	v_mul_f64 v[10:11], v[112:113], v[6:7]
	v_fma_f64 v[242:243], v[188:189], v[84:85], -v[76:77]
	scratch_load_dwordx4 v[76:79], off, off offset:736
	v_fmac_f64_e32 v[10:11], v[114:115], v[4:5]
	v_accvgpr_write_b32 a145, v23
	v_add_f64 v[0:1], v[0:1], v[10:11]
	v_mul_f64 v[10:11], v[122:123], v[90:91]
	v_accvgpr_write_b32 a144, v22
	v_accvgpr_write_b32 a143, v21
	;; [unrolled: 1-line block ×3, first 2 shown]
	v_fma_f64 v[20:21], v[120:121], v[88:89], -v[10:11]
	ds_read_b128 v[120:123], v2 offset:1424
	scratch_load_dwordx4 v[88:91], off, off offset:752
	scratch_load_dwordx4 v[84:87], off, off offset:768
	v_accvgpr_write_b32 a137, v15
	v_accvgpr_write_b32 a136, v14
	;; [unrolled: 1-line block ×5, first 2 shown]
	v_mul_f64 v[14:15], v[134:135], v[94:95]
	v_accvgpr_write_b32 a140, v18
	v_accvgpr_write_b32 a139, v17
	;; [unrolled: 1-line block ×3, first 2 shown]
	v_fma_f64 v[16:17], v[132:133], v[92:93], -v[14:15]
	v_mul_f64 v[92:93], v[198:199], v[98:99]
	v_fma_f64 v[14:15], v[196:197], v[96:97], -v[92:93]
	scratch_load_dwordx4 v[92:95], off, off offset:784
	v_mul_f64 v[96:97], v[158:159], v[130:131]
	v_fma_f64 v[12:13], v[156:157], v[128:129], -v[96:97]
	scratch_load_dwordx4 v[96:99], off, off offset:800
	v_accvgpr_read_b32 v4, a114
	v_accvgpr_read_b32 v6, a116
	;; [unrolled: 1-line block ×4, first 2 shown]
	s_waitcnt lgkmcnt(1)
	v_mul_f64 v[10:11], v[116:117], v[6:7]
	v_mul_f64 v[18:19], v[194:195], v[126:127]
	v_fmac_f64_e32 v[10:11], v[118:119], v[4:5]
	v_accvgpr_read_b32 v4, a118
	v_fma_f64 v[18:19], v[192:193], v[124:125], -v[18:19]
	ds_read_b128 v[124:127], v2 offset:1440
	ds_read_b128 v[128:131], v2 offset:1456
	v_accvgpr_read_b32 v6, a120
	v_accvgpr_read_b32 v7, a121
	v_add_f64 v[0:1], v[0:1], v[10:11]
	v_accvgpr_read_b32 v5, a119
	s_waitcnt lgkmcnt(2)
	v_mul_f64 v[10:11], v[120:121], v[6:7]
	v_fmac_f64_e32 v[10:11], v[122:123], v[4:5]
	v_accvgpr_read_b32 v4, a122
	v_accvgpr_read_b32 v6, a124
	;; [unrolled: 1-line block ×3, first 2 shown]
	v_add_f64 v[0:1], v[0:1], v[10:11]
	v_accvgpr_read_b32 v5, a123
	s_waitcnt lgkmcnt(1)
	v_mul_f64 v[10:11], v[124:125], v[6:7]
	ds_read_b128 v[132:135], v2 offset:1472
	v_fmac_f64_e32 v[10:11], v[126:127], v[4:5]
	v_add_f64 v[0:1], v[0:1], v[10:11]
	s_waitcnt vmcnt(14) lgkmcnt(1)
	v_mul_f64 v[10:11], v[128:129], v[38:39]
	v_fmac_f64_e32 v[10:11], v[130:131], v[36:37]
	v_add_f64 v[0:1], v[0:1], v[10:11]
	v_mul_f64 v[10:11], v[146:147], v[138:139]
	v_fma_f64 v[22:23], v[144:145], v[136:137], -v[10:11]
	ds_read_b128 v[136:139], v2 offset:1488
	s_waitcnt vmcnt(13) lgkmcnt(1)
	v_mul_f64 v[10:11], v[132:133], v[42:43]
	v_fmac_f64_e32 v[10:11], v[134:135], v[40:41]
	v_add_f64 v[0:1], v[0:1], v[10:11]
	v_mul_f64 v[10:11], v[170:171], v[142:143]
	v_fma_f64 v[8:9], v[168:169], v[140:141], -v[10:11]
	ds_read_b128 v[140:143], v2 offset:1504
	ds_read_b128 v[144:147], v2 offset:1520
	s_waitcnt vmcnt(12) lgkmcnt(2)
	v_mul_f64 v[10:11], v[136:137], v[46:47]
	v_fmac_f64_e32 v[10:11], v[138:139], v[44:45]
	v_add_f64 v[0:1], v[0:1], v[10:11]
	s_waitcnt vmcnt(11) lgkmcnt(1)
	v_mul_f64 v[10:11], v[140:141], v[54:55]
	v_fmac_f64_e32 v[10:11], v[142:143], v[52:53]
	v_add_f64 v[0:1], v[0:1], v[10:11]
	v_mul_f64 v[10:11], v[214:215], v[150:151]
	v_fma_f64 v[26:27], v[212:213], v[148:149], -v[10:11]
	ds_read_b128 v[148:151], v2 offset:1536
	v_mul_f64 v[154:155], v[218:219], v[154:155]
	v_fma_f64 v[6:7], v[216:217], v[152:153], -v[154:155]
	ds_read_b128 v[152:155], v2 offset:1552
	s_waitcnt vmcnt(10) lgkmcnt(2)
	v_mul_f64 v[10:11], v[144:145], v[50:51]
	v_fmac_f64_e32 v[10:11], v[146:147], v[48:49]
	v_add_f64 v[0:1], v[0:1], v[10:11]
	s_waitcnt vmcnt(9) lgkmcnt(1)
	v_mul_f64 v[10:11], v[148:149], v[58:59]
	ds_read_b128 v[156:159], v2 offset:1568
	v_fmac_f64_e32 v[10:11], v[150:151], v[56:57]
	v_add_f64 v[0:1], v[0:1], v[10:11]
	s_waitcnt vmcnt(8) lgkmcnt(1)
	v_mul_f64 v[10:11], v[152:153], v[62:63]
	v_fmac_f64_e32 v[10:11], v[154:155], v[60:61]
	v_add_f64 v[0:1], v[0:1], v[10:11]
	v_mul_f64 v[10:11], v[222:223], v[162:163]
	v_fma_f64 v[30:31], v[220:221], v[160:161], -v[10:11]
	ds_read_b128 v[160:163], v2 offset:1584
	s_waitcnt vmcnt(7) lgkmcnt(1)
	v_mul_f64 v[10:11], v[156:157], v[66:67]
	v_fmac_f64_e32 v[10:11], v[158:159], v[64:65]
	v_add_f64 v[0:1], v[0:1], v[10:11]
	v_mul_f64 v[10:11], v[226:227], v[166:167]
	v_fma_f64 v[4:5], v[224:225], v[164:165], -v[10:11]
	ds_read_b128 v[164:167], v2 offset:1600
	ds_read_b128 v[168:171], v2 offset:1616
	s_waitcnt vmcnt(6) lgkmcnt(2)
	v_mul_f64 v[10:11], v[160:161], v[70:71]
	v_fmac_f64_e32 v[10:11], v[162:163], v[68:69]
	v_add_f64 v[0:1], v[0:1], v[10:11]
	s_waitcnt vmcnt(5) lgkmcnt(1)
	v_mul_f64 v[10:11], v[164:165], v[74:75]
	v_fmac_f64_e32 v[10:11], v[166:167], v[72:73]
	v_add_f64 v[10:11], v[0:1], v[10:11]
	v_mul_f64 v[0:1], v[230:231], v[174:175]
	v_fma_f64 v[34:35], v[228:229], v[172:173], -v[0:1]
	ds_read_b128 v[172:175], v2 offset:1632
	s_waitcnt vmcnt(4) lgkmcnt(1)
	v_mul_f64 v[180:181], v[168:169], v[78:79]
	v_fmac_f64_e32 v[180:181], v[170:171], v[76:77]
	v_mul_f64 v[0:1], v[234:235], v[178:179]
	v_fma_f64 v[0:1], v[232:233], v[176:177], -v[0:1]
	ds_read_b128 v[176:179], v2 offset:1648
	v_add_f64 v[10:11], v[10:11], v[180:181]
	s_waitcnt vmcnt(3) lgkmcnt(1)
	v_mul_f64 v[180:181], v[172:173], v[90:91]
	v_fmac_f64_e32 v[180:181], v[174:175], v[88:89]
	v_add_f64 v[188:189], v[10:11], v[180:181]
	ds_read_b128 v[180:183], v2 offset:1664
	v_mul_f64 v[10:11], v[238:239], v[186:187]
	v_fma_f64 v[10:11], v[236:237], v[184:185], -v[10:11]
	ds_read_b128 v[184:187], v2 offset:1680
	s_waitcnt vmcnt(2) lgkmcnt(2)
	v_mul_f64 v[190:191], v[176:177], v[86:87]
	v_fmac_f64_e32 v[190:191], v[178:179], v[84:85]
	v_add_f64 v[188:189], v[188:189], v[190:191]
	s_waitcnt vmcnt(1) lgkmcnt(1)
	v_mul_f64 v[190:191], v[180:181], v[94:95]
	v_fmac_f64_e32 v[190:191], v[182:183], v[92:93]
	v_add_f64 v[188:189], v[188:189], v[190:191]
	;; [unrolled: 4-line block ×3, first 2 shown]
	scratch_load_dwordx4 v[188:191], off, off offset:816
	scratch_load_dwordx4 v[232:235], off, off offset:896
	ds_read_b128 v[192:195], v2 offset:1696
	ds_read_b128 v[200:203], v2 offset:1712
	;; [unrolled: 1-line block ×5, first 2 shown]
	s_waitcnt vmcnt(1) lgkmcnt(4)
	v_mul_f64 v[198:199], v[192:193], v[190:191]
	v_fmac_f64_e32 v[198:199], v[194:195], v[188:189]
	v_add_f64 v[204:205], v[196:197], v[198:199]
	scratch_load_dwordx4 v[196:199], off, off offset:832
	s_waitcnt vmcnt(0) lgkmcnt(3)
	v_mul_f64 v[206:207], v[200:201], v[198:199]
	v_fmac_f64_e32 v[206:207], v[202:203], v[196:197]
	v_add_f64 v[212:213], v[204:205], v[206:207]
	scratch_load_dwordx4 v[204:207], off, off offset:848
	;; [unrolled: 5-line block ×4, first 2 shown]
	s_waitcnt vmcnt(0) lgkmcnt(0)
	v_mul_f64 v[230:231], v[224:225], v[222:223]
	v_fmac_f64_e32 v[230:231], v[226:227], v[220:221]
	v_add_f64 v[236:237], v[228:229], v[230:231]
	ds_read_b128 v[228:231], v2 offset:1776
	s_waitcnt lgkmcnt(0)
	v_mul_f64 v[2:3], v[228:229], v[234:235]
	v_fmac_f64_e32 v[2:3], v[230:231], v[232:233]
	v_add_f64 v[2:3], v[236:237], v[2:3]
	v_add_f64 v[236:237], v[244:245], 0
	;; [unrolled: 1-line block ×11, first 2 shown]
	scratch_load_dwordx4 v[236:239], off, off offset:32
	v_add_f64 v[24:25], v[24:25], v[242:243]
	v_add_f64 v[20:21], v[24:25], v[20:21]
	;; [unrolled: 1-line block ×12, first 2 shown]
	v_accvgpr_read_b32 v6, a126
	v_accvgpr_read_b32 v8, a128
	;; [unrolled: 1-line block ×3, first 2 shown]
	v_add_f64 v[244:245], v[4:5], v[34:35]
	v_accvgpr_read_b32 v7, a127
	v_mul_f64 v[4:5], v[82:83], v[8:9]
	v_add_f64 v[0:1], v[244:245], v[0:1]
	v_fma_f64 v[4:5], v[80:81], v[6:7], -v[4:5]
	v_accvgpr_read_b32 v6, a130
	v_add_f64 v[0:1], v[0:1], v[10:11]
	v_accvgpr_read_b32 v8, a132
	v_accvgpr_read_b32 v9, a133
	v_add_f64 v[0:1], v[0:1], v[4:5]
	v_accvgpr_read_b32 v7, a131
	v_mul_f64 v[4:5], v[102:103], v[8:9]
	v_fma_f64 v[4:5], v[100:101], v[6:7], -v[4:5]
	v_accvgpr_read_b32 v6, a134
	v_accvgpr_read_b32 v8, a136
	v_accvgpr_read_b32 v9, a137
	v_add_f64 v[0:1], v[0:1], v[4:5]
	v_accvgpr_read_b32 v7, a135
	v_mul_f64 v[4:5], v[106:107], v[8:9]
	v_fma_f64 v[4:5], v[104:105], v[6:7], -v[4:5]
	v_accvgpr_read_b32 v6, a138
	;; [unrolled: 7-line block ×6, first 2 shown]
	v_accvgpr_read_b32 v8, a124
	v_accvgpr_read_b32 v9, a125
	v_add_f64 v[0:1], v[0:1], v[4:5]
	v_accvgpr_read_b32 v7, a123
	v_mul_f64 v[4:5], v[126:127], v[8:9]
	v_fma_f64 v[4:5], v[124:125], v[6:7], -v[4:5]
	v_add_f64 v[0:1], v[0:1], v[4:5]
	v_mul_f64 v[4:5], v[130:131], v[38:39]
	v_fma_f64 v[4:5], v[128:129], v[36:37], -v[4:5]
	v_add_f64 v[0:1], v[0:1], v[4:5]
	;; [unrolled: 3-line block ×22, first 2 shown]
	s_waitcnt vmcnt(0)
	v_add_f64 v[4:5], v[236:237], -v[0:1]
	v_accvgpr_read_b32 v0, a112
	v_add_f64 v[6:7], v[238:239], -v[2:3]
	v_cmp_ne_u32_e32 vcc, 0, v0
	scratch_store_dwordx4 off, v[4:7], off offset:32
	s_and_saveexec_b64 s[0:1], vcc
	s_cbranch_execz .LBB55_349
; %bb.348:
	scratch_load_dwordx4 v[2:5], off, off offset:16
	v_mov_b32_e32 v6, 0
	v_mov_b32_e32 v7, v6
	;; [unrolled: 1-line block ×4, first 2 shown]
	v_accvgpr_read_b32 v0, a113
	scratch_store_dwordx4 off, v[6:9], off offset:16
	s_waitcnt vmcnt(1)
	ds_write_b128 v0, v[2:5]
.LBB55_349:
	s_or_b64 exec, exec, s[0:1]
	s_waitcnt lgkmcnt(0)
	; wave barrier
	scratch_load_dwordx4 v[16:19], off, off offset:32
	scratch_load_dwordx4 v[20:23], off, off offset:48
	scratch_load_dwordx4 v[24:27], off, off offset:64
	scratch_load_dwordx4 v[28:31], off, off offset:80
	scratch_load_dwordx4 v[32:35], off, off offset:96
	scratch_load_dwordx4 v[0:3], off, off offset:112
	scratch_load_dwordx4 v[4:7], off, off offset:128
	scratch_load_dwordx4 v[48:51], off, off offset:144
	scratch_load_dwordx4 v[56:59], off, off offset:160
	scratch_load_dwordx4 v[68:71], off, off offset:176
	scratch_load_dwordx4 v[72:75], off, off offset:192
	scratch_load_dwordx4 v[76:79], off, off offset:208
	scratch_load_dwordx4 v[84:87], off, off offset:224
	scratch_load_dwordx4 v[92:95], off, off offset:240
	scratch_load_dwordx4 v[96:99], off, off offset:256
	scratch_load_dwordx4 v[104:107], off, off offset:272
	scratch_load_dwordx4 v[120:123], off, off offset:288
	scratch_load_dwordx4 v[132:135], off, off offset:304
	scratch_load_dwordx4 v[136:139], off, off offset:320
	scratch_load_dwordx4 v[144:147], off, off offset:336
	scratch_load_dwordx4 v[152:155], off, off offset:352
	scratch_load_dwordx4 v[156:159], off, off offset:368
	scratch_load_dwordx4 v[164:167], off, off offset:384
	scratch_load_dwordx4 v[168:171], off, off offset:400
	scratch_load_dwordx4 v[176:179], off, off offset:416
	scratch_load_dwordx4 v[180:183], off, off offset:432
	scratch_load_dwordx4 v[8:11], off, off offset:448
	scratch_load_dwordx4 v[12:15], off, off offset:464
	scratch_load_dwordx4 v[36:39], off, off offset:480
	scratch_load_dwordx4 a[112:115], off, off offset:496
	v_mov_b32_e32 v42, 0
	ds_read_b128 v[80:83], v42 offset:912
	ds_read_b128 v[88:91], v42 offset:928
	;; [unrolled: 1-line block ×17, first 2 shown]
	scratch_load_dwordx4 a[116:119], off, off offset:512
	scratch_load_dwordx4 a[120:123], off, off offset:528
	;; [unrolled: 1-line block ×4, first 2 shown]
	ds_read_b128 v[220:223], v42 offset:1248
	ds_read_b128 v[224:227], v42 offset:1264
	ds_read_b128 v[228:231], v42 offset:1280
	ds_read_b128 v[232:235], v42 offset:1296
	ds_read_b128 v[240:243], v42 offset:1312
	s_and_b64 vcc, exec, s[18:19]
	s_waitcnt vmcnt(33) lgkmcnt(14)
	v_mul_f64 v[44:45], v[80:81], v[18:19]
	s_waitcnt vmcnt(32)
	v_mul_f64 v[46:47], v[88:89], v[22:23]
	v_fmac_f64_e32 v[44:45], v[82:83], v[16:17]
	s_waitcnt vmcnt(31)
	v_mul_f64 v[52:53], v[100:101], v[26:27]
	v_fmac_f64_e32 v[46:47], v[90:91], v[20:21]
	v_add_f64 v[44:45], v[44:45], 0
	s_waitcnt vmcnt(30)
	v_mul_f64 v[54:55], v[108:109], v[30:31]
	v_fmac_f64_e32 v[52:53], v[102:103], v[24:25]
	v_add_f64 v[44:45], v[44:45], v[46:47]
	;; [unrolled: 4-line block ×6, first 2 shown]
	s_waitcnt vmcnt(25) lgkmcnt(13)
	v_mul_f64 v[204:205], v[140:141], v[58:59]
	v_fmac_f64_e32 v[66:67], v[130:131], v[48:49]
	v_add_f64 v[44:45], v[44:45], v[64:65]
	s_waitcnt vmcnt(24) lgkmcnt(12)
	v_mul_f64 v[206:207], v[148:149], v[70:71]
	v_fmac_f64_e32 v[204:205], v[142:143], v[56:57]
	v_add_f64 v[44:45], v[44:45], v[66:67]
	;; [unrolled: 4-line block ×6, first 2 shown]
	ds_read_b128 v[204:207], v42 offset:1184
	ds_read_b128 v[208:211], v42 offset:1200
	s_waitcnt vmcnt(19) lgkmcnt(9)
	v_mul_f64 v[216:217], v[192:193], v[98:99]
	v_fmac_f64_e32 v[214:215], v[190:191], v[92:93]
	v_add_f64 v[44:45], v[44:45], v[212:213]
	s_waitcnt vmcnt(18) lgkmcnt(8)
	v_mul_f64 v[218:219], v[196:197], v[106:107]
	v_fmac_f64_e32 v[216:217], v[194:195], v[96:97]
	v_add_f64 v[44:45], v[44:45], v[214:215]
	v_fmac_f64_e32 v[218:219], v[198:199], v[104:105]
	v_add_f64 v[44:45], v[44:45], v[216:217]
	s_waitcnt vmcnt(17) lgkmcnt(7)
	v_mul_f64 v[46:47], v[200:201], v[122:123]
	ds_read_b128 v[212:215], v42 offset:1216
	v_add_f64 v[44:45], v[44:45], v[218:219]
	v_fmac_f64_e32 v[46:47], v[202:203], v[120:121]
	ds_read_b128 v[216:219], v42 offset:1232
	v_add_f64 v[44:45], v[44:45], v[46:47]
	s_waitcnt vmcnt(16) lgkmcnt(3)
	v_mul_f64 v[46:47], v[204:205], v[134:135]
	v_fmac_f64_e32 v[46:47], v[206:207], v[132:133]
	s_waitcnt vmcnt(15) lgkmcnt(2)
	v_mul_f64 v[54:55], v[208:209], v[138:139]
	v_add_f64 v[52:53], v[44:45], v[46:47]
	v_fmac_f64_e32 v[54:55], v[210:211], v[136:137]
	v_add_f64 v[52:53], v[52:53], v[54:55]
	s_waitcnt vmcnt(14) lgkmcnt(1)
	v_mul_f64 v[54:55], v[212:213], v[146:147]
	v_fmac_f64_e32 v[54:55], v[214:215], v[144:145]
	s_waitcnt vmcnt(13) lgkmcnt(0)
	v_mul_f64 v[62:63], v[216:217], v[154:155]
	v_add_f64 v[60:61], v[52:53], v[54:55]
	v_fmac_f64_e32 v[62:63], v[218:219], v[152:153]
	v_mul_f64 v[18:19], v[82:83], v[18:19]
	v_add_f64 v[60:61], v[60:61], v[62:63]
	s_waitcnt vmcnt(12)
	v_mul_f64 v[62:63], v[220:221], v[158:159]
	v_fma_f64 v[246:247], v[80:81], v[16:17], -v[18:19]
	ds_read_b128 v[80:83], v42 offset:1328
	scratch_load_dwordx4 a[136:139], off, off offset:576
	scratch_load_dwordx4 a[132:135], off, off offset:592
	v_fmac_f64_e32 v[62:63], v[222:223], v[156:157]
	s_waitcnt vmcnt(13)
	v_mul_f64 v[66:67], v[224:225], v[166:167]
	v_add_f64 v[64:65], v[60:61], v[62:63]
	v_fmac_f64_e32 v[66:67], v[226:227], v[164:165]
	v_add_f64 v[64:65], v[64:65], v[66:67]
	s_waitcnt vmcnt(12)
	v_mul_f64 v[66:67], v[228:229], v[170:171]
	v_fmac_f64_e32 v[66:67], v[230:231], v[168:169]
	v_add_f64 v[64:65], v[64:65], v[66:67]
	s_waitcnt vmcnt(11)
	v_mul_f64 v[66:67], v[232:233], v[178:179]
	v_fmac_f64_e32 v[66:67], v[234:235], v[176:177]
	v_add_f64 v[236:237], v[64:65], v[66:67]
	scratch_load_dwordx4 v[64:67], off, off offset:608
	scratch_load_dwordx4 v[60:63], off, off offset:624
	v_mul_f64 v[16:17], v[90:91], v[22:23]
	v_fma_f64 v[248:249], v[88:89], v[20:21], -v[16:17]
	ds_read_b128 v[88:91], v42 offset:1344
	s_waitcnt vmcnt(12)
	v_mul_f64 v[238:239], v[240:241], v[182:183]
	v_mul_f64 v[26:27], v[102:103], v[26:27]
	v_fmac_f64_e32 v[238:239], v[242:243], v[180:181]
	v_fma_f64 v[250:251], v[100:101], v[24:25], -v[26:27]
	s_waitcnt vmcnt(11) lgkmcnt(1)
	v_mul_f64 v[24:25], v[80:81], v[10:11]
	v_add_f64 v[236:237], v[236:237], v[238:239]
	v_fmac_f64_e32 v[24:25], v[82:83], v[8:9]
	v_add_f64 v[100:101], v[236:237], v[24:25]
	v_mul_f64 v[24:25], v[110:111], v[30:31]
	v_fma_f64 v[252:253], v[108:109], v[28:29], -v[24:25]
	s_waitcnt vmcnt(10) lgkmcnt(0)
	v_mul_f64 v[28:29], v[88:89], v[14:15]
	v_fmac_f64_e32 v[28:29], v[90:91], v[12:13]
	v_add_f64 v[236:237], v[100:101], v[28:29]
	ds_read_b128 v[100:103], v42 offset:1360
	scratch_load_dwordx4 v[44:47], off, off offset:640
	scratch_load_dwordx4 v[52:55], off, off offset:656
	v_mul_f64 v[34:35], v[114:115], v[34:35]
	v_fma_f64 v[254:255], v[112:113], v[32:33], -v[34:35]
	v_mul_f64 v[32:33], v[118:119], v[2:3]
	s_waitcnt vmcnt(11) lgkmcnt(0)
	v_mul_f64 v[40:41], v[100:101], v[38:39]
	v_fma_f64 v[28:29], v[116:117], v[0:1], -v[32:33]
	v_fmac_f64_e32 v[40:41], v[102:103], v[36:37]
	scratch_load_dwordx4 v[32:35], off, off offset:672
	v_add_f64 v[112:113], v[236:237], v[40:41]
	v_mul_f64 v[40:41], v[130:131], v[50:51]
	v_fma_f64 v[20:21], v[128:129], v[48:49], -v[40:41]
	scratch_load_dwordx4 v[48:51], off, off offset:688
	ds_read_b128 v[108:111], v42 offset:1376
	ds_read_b128 v[116:119], v42 offset:1408
	v_mul_f64 v[2:3], v[126:127], v[6:7]
	v_fma_f64 v[24:25], v[124:125], v[4:5], -v[2:3]
	s_waitcnt vmcnt(12)
	v_accvgpr_read_b32 v0, a112
	v_accvgpr_read_b32 v2, a114
	;; [unrolled: 1-line block ×4, first 2 shown]
	s_waitcnt lgkmcnt(1)
	v_mul_f64 v[6:7], v[108:109], v[2:3]
	v_fmac_f64_e32 v[6:7], v[110:111], v[0:1]
	v_add_f64 v[6:7], v[112:113], v[6:7]
	ds_read_b128 v[112:115], v42 offset:1392
	ds_read_b128 v[124:127], v42 offset:1424
	v_accvgpr_write_b32 a143, v11
	s_waitcnt vmcnt(11)
	v_accvgpr_read_b32 v0, a116
	v_accvgpr_write_b32 a142, v10
	v_accvgpr_write_b32 a141, v9
	;; [unrolled: 1-line block ×4, first 2 shown]
	v_mul_f64 v[10:11], v[162:163], v[74:75]
	v_accvgpr_read_b32 v2, a118
	v_accvgpr_read_b32 v3, a119
	v_accvgpr_write_b32 a146, v14
	v_accvgpr_write_b32 a145, v13
	;; [unrolled: 1-line block ×3, first 2 shown]
	v_fma_f64 v[12:13], v[160:161], v[72:73], -v[10:11]
	v_accvgpr_read_b32 v1, a117
	s_waitcnt lgkmcnt(1)
	v_mul_f64 v[72:73], v[112:113], v[2:3]
	v_fmac_f64_e32 v[72:73], v[114:115], v[0:1]
	s_waitcnt vmcnt(10)
	v_accvgpr_read_b32 v0, a120
	v_accvgpr_read_b32 v2, a122
	;; [unrolled: 1-line block ×4, first 2 shown]
	v_mul_f64 v[14:15], v[116:117], v[2:3]
	v_add_f64 v[6:7], v[6:7], v[72:73]
	v_fmac_f64_e32 v[14:15], v[118:119], v[0:1]
	ds_read_b128 v[128:131], v42 offset:1440
	s_waitcnt vmcnt(9)
	v_accvgpr_read_b32 v0, a124
	v_mul_f64 v[58:59], v[142:143], v[58:59]
	v_add_f64 v[6:7], v[6:7], v[14:15]
	v_mul_f64 v[14:15], v[190:191], v[94:95]
	v_accvgpr_read_b32 v2, a126
	v_accvgpr_read_b32 v3, a127
	v_fma_f64 v[236:237], v[140:141], v[56:57], -v[58:59]
	v_mul_f64 v[56:57], v[150:151], v[70:71]
	v_mul_f64 v[72:73], v[174:175], v[78:79]
	v_fma_f64 v[8:9], v[188:189], v[92:93], -v[14:15]
	v_accvgpr_read_b32 v1, a125
	s_waitcnt lgkmcnt(1)
	v_mul_f64 v[14:15], v[124:125], v[2:3]
	v_fma_f64 v[16:17], v[148:149], v[68:69], -v[56:57]
	scratch_load_dwordx4 v[56:59], off, off offset:704
	scratch_load_dwordx4 v[68:71], off, off offset:720
	v_fma_f64 v[10:11], v[172:173], v[76:77], -v[72:73]
	v_mul_f64 v[76:77], v[186:187], v[86:87]
	v_mul_f64 v[18:19], v[194:195], v[98:99]
	v_fmac_f64_e32 v[14:15], v[126:127], v[0:1]
	s_waitcnt vmcnt(10)
	v_accvgpr_read_b32 v0, a128
	v_mul_f64 v[22:23], v[202:203], v[122:123]
	scratch_load_dwordx4 v[72:75], off, off offset:736
	v_fma_f64 v[238:239], v[184:185], v[84:85], -v[76:77]
	scratch_load_dwordx4 v[76:79], off, off offset:752
	v_fma_f64 v[18:19], v[192:193], v[96:97], -v[18:19]
	scratch_load_dwordx4 v[92:95], off, off offset:768
	scratch_load_dwordx4 v[84:87], off, off offset:784
	v_add_f64 v[6:7], v[6:7], v[14:15]
	v_mul_f64 v[14:15], v[198:199], v[106:107]
	scratch_load_dwordx4 v[96:99], off, off offset:800
	v_accvgpr_read_b32 v2, a130
	v_accvgpr_read_b32 v3, a131
	v_fma_f64 v[22:23], v[200:201], v[120:121], -v[22:23]
	ds_read_b128 v[140:143], v42 offset:1456
	ds_read_b128 v[120:123], v42 offset:1472
	v_accvgpr_write_b32 a151, v39
	v_fma_f64 v[4:5], v[196:197], v[104:105], -v[14:15]
	v_accvgpr_read_b32 v1, a129
	s_waitcnt lgkmcnt(2)
	v_mul_f64 v[14:15], v[128:129], v[2:3]
	v_accvgpr_write_b32 a150, v38
	v_accvgpr_write_b32 a149, v37
	;; [unrolled: 1-line block ×3, first 2 shown]
	v_fmac_f64_e32 v[14:15], v[130:131], v[0:1]
	s_waitcnt vmcnt(14)
	v_accvgpr_read_b32 v36, a136
	v_add_f64 v[6:7], v[6:7], v[14:15]
	v_mul_f64 v[14:15], v[206:207], v[134:135]
	v_accvgpr_read_b32 v38, a138
	v_accvgpr_read_b32 v39, a139
	v_fma_f64 v[2:3], v[204:205], v[132:133], -v[14:15]
	v_accvgpr_read_b32 v37, a137
	s_waitcnt lgkmcnt(1)
	v_mul_f64 v[14:15], v[140:141], v[38:39]
	v_fmac_f64_e32 v[14:15], v[142:143], v[36:37]
	s_waitcnt vmcnt(13)
	v_accvgpr_read_b32 v36, a132
	ds_read_b128 v[132:135], v42 offset:1488
	v_accvgpr_read_b32 v38, a134
	v_accvgpr_read_b32 v39, a135
	v_add_f64 v[6:7], v[6:7], v[14:15]
	v_accvgpr_read_b32 v37, a133
	s_waitcnt lgkmcnt(1)
	v_mul_f64 v[14:15], v[120:121], v[38:39]
	v_fmac_f64_e32 v[14:15], v[122:123], v[36:37]
	v_add_f64 v[6:7], v[6:7], v[14:15]
	v_mul_f64 v[14:15], v[210:211], v[138:139]
	v_fma_f64 v[26:27], v[208:209], v[136:137], -v[14:15]
	ds_read_b128 v[136:139], v42 offset:1504
	s_waitcnt vmcnt(12) lgkmcnt(1)
	v_mul_f64 v[14:15], v[132:133], v[66:67]
	v_fmac_f64_e32 v[14:15], v[134:135], v[64:65]
	v_add_f64 v[6:7], v[6:7], v[14:15]
	v_mul_f64 v[14:15], v[214:215], v[146:147]
	v_fma_f64 v[0:1], v[212:213], v[144:145], -v[14:15]
	ds_read_b128 v[144:147], v42 offset:1520
	ds_read_b128 v[148:151], v42 offset:1536
	s_waitcnt vmcnt(11) lgkmcnt(2)
	v_mul_f64 v[14:15], v[136:137], v[62:63]
	v_fmac_f64_e32 v[14:15], v[138:139], v[60:61]
	v_add_f64 v[6:7], v[6:7], v[14:15]
	s_waitcnt vmcnt(10) lgkmcnt(1)
	v_mul_f64 v[14:15], v[144:145], v[46:47]
	v_fmac_f64_e32 v[14:15], v[146:147], v[44:45]
	v_add_f64 v[6:7], v[6:7], v[14:15]
	v_mul_f64 v[14:15], v[218:219], v[154:155]
	scratch_load_dwordx4 v[104:107], off, off offset:816
	v_fma_f64 v[30:31], v[216:217], v[152:153], -v[14:15]
	ds_read_b128 v[152:155], v42 offset:1552
	v_mul_f64 v[158:159], v[222:223], v[158:159]
	v_fma_f64 v[244:245], v[220:221], v[156:157], -v[158:159]
	ds_read_b128 v[156:159], v42 offset:1568
	scratch_load_dwordx4 v[192:195], off, off offset:832
	scratch_load_dwordx4 v[200:203], off, off offset:848
	s_waitcnt vmcnt(12) lgkmcnt(2)
	v_mul_f64 v[14:15], v[148:149], v[54:55]
	v_fmac_f64_e32 v[14:15], v[150:151], v[52:53]
	v_add_f64 v[6:7], v[6:7], v[14:15]
	s_waitcnt vmcnt(11) lgkmcnt(1)
	v_mul_f64 v[14:15], v[152:153], v[34:35]
	v_fmac_f64_e32 v[14:15], v[154:155], v[32:33]
	scratch_load_dwordx4 v[208:211], off, off offset:864
	scratch_load_dwordx4 v[216:219], off, off offset:880
	v_add_f64 v[6:7], v[6:7], v[14:15]
	s_waitcnt vmcnt(12) lgkmcnt(0)
	v_mul_f64 v[14:15], v[156:157], v[50:51]
	v_fmac_f64_e32 v[14:15], v[158:159], v[48:49]
	v_add_f64 v[6:7], v[6:7], v[14:15]
	v_mul_f64 v[14:15], v[226:227], v[166:167]
	v_fma_f64 v[38:39], v[224:225], v[164:165], -v[14:15]
	scratch_load_dwordx4 v[224:227], off, off offset:896
	ds_read_b128 v[160:163], v42 offset:1584
	ds_read_b128 v[164:167], v42 offset:1600
	;; [unrolled: 1-line block ×5, first 2 shown]
	s_waitcnt vmcnt(12) lgkmcnt(4)
	v_mul_f64 v[14:15], v[160:161], v[58:59]
	v_fmac_f64_e32 v[14:15], v[162:163], v[56:57]
	v_add_f64 v[6:7], v[6:7], v[14:15]
	v_mul_f64 v[14:15], v[230:231], v[170:171]
	v_fma_f64 v[36:37], v[228:229], v[168:169], -v[14:15]
	ds_read_b128 v[168:171], v42 offset:1616
	s_waitcnt vmcnt(11) lgkmcnt(4)
	v_mul_f64 v[14:15], v[164:165], v[70:71]
	v_fmac_f64_e32 v[14:15], v[166:167], v[68:69]
	v_add_f64 v[6:7], v[6:7], v[14:15]
	s_waitcnt vmcnt(9) lgkmcnt(3)
	v_mul_f64 v[40:41], v[172:173], v[78:79]
	s_waitcnt lgkmcnt(0)
	v_mul_f64 v[14:15], v[168:169], v[74:75]
	v_fmac_f64_e32 v[14:15], v[170:171], v[72:73]
	v_add_f64 v[6:7], v[6:7], v[14:15]
	v_mul_f64 v[14:15], v[234:235], v[178:179]
	v_fma_f64 v[14:15], v[232:233], v[176:177], -v[14:15]
	v_fmac_f64_e32 v[40:41], v[174:175], v[76:77]
	ds_read_b128 v[176:179], v42 offset:1648
	v_add_f64 v[6:7], v[6:7], v[40:41]
	v_mul_f64 v[40:41], v[242:243], v[182:183]
	v_fma_f64 v[240:241], v[240:241], v[180:181], -v[40:41]
	ds_read_b128 v[180:183], v42 offset:1664
	s_waitcnt vmcnt(8) lgkmcnt(1)
	v_mul_f64 v[40:41], v[176:177], v[94:95]
	v_fmac_f64_e32 v[40:41], v[178:179], v[92:93]
	v_add_f64 v[6:7], v[6:7], v[40:41]
	ds_read_b128 v[196:199], v42 offset:1712
	ds_read_b128 v[204:207], v42 offset:1728
	s_waitcnt vmcnt(7) lgkmcnt(2)
	v_mul_f64 v[40:41], v[180:181], v[86:87]
	v_fmac_f64_e32 v[40:41], v[182:183], v[84:85]
	v_add_f64 v[6:7], v[6:7], v[40:41]
	s_waitcnt vmcnt(6)
	v_mul_f64 v[40:41], v[184:185], v[98:99]
	v_fmac_f64_e32 v[40:41], v[186:187], v[96:97]
	v_add_f64 v[6:7], v[6:7], v[40:41]
	scratch_load_dwordx4 v[232:235], off, off offset:16
	ds_read_b128 v[212:215], v42 offset:1744
	ds_read_b128 v[220:223], v42 offset:1760
	;; [unrolled: 1-line block ×3, first 2 shown]
	s_waitcnt vmcnt(6)
	v_mul_f64 v[40:41], v[188:189], v[106:107]
	v_fmac_f64_e32 v[40:41], v[190:191], v[104:105]
	v_add_f64 v[6:7], v[6:7], v[40:41]
	s_waitcnt vmcnt(5) lgkmcnt(4)
	v_mul_f64 v[40:41], v[196:197], v[194:195]
	v_fmac_f64_e32 v[40:41], v[198:199], v[192:193]
	v_add_f64 v[6:7], v[6:7], v[40:41]
	s_waitcnt vmcnt(4) lgkmcnt(3)
	;; [unrolled: 4-line block ×5, first 2 shown]
	v_mul_f64 v[40:41], v[228:229], v[226:227]
	v_fmac_f64_e32 v[40:41], v[230:231], v[224:225]
	v_add_f64 v[6:7], v[6:7], v[40:41]
	v_add_f64 v[40:41], v[246:247], 0
	;; [unrolled: 1-line block ×23, first 2 shown]
	v_accvgpr_read_b32 v8, a140
	v_add_f64 v[0:1], v[0:1], v[38:39]
	v_accvgpr_read_b32 v10, a142
	v_accvgpr_read_b32 v11, a143
	v_add_f64 v[242:243], v[0:1], v[36:37]
	v_accvgpr_read_b32 v9, a141
	v_mul_f64 v[2:3], v[82:83], v[10:11]
	v_add_f64 v[0:1], v[242:243], v[14:15]
	v_fma_f64 v[2:3], v[80:81], v[8:9], -v[2:3]
	v_accvgpr_read_b32 v8, a144
	v_add_f64 v[0:1], v[0:1], v[240:241]
	v_accvgpr_read_b32 v10, a146
	v_accvgpr_read_b32 v11, a147
	v_add_f64 v[0:1], v[0:1], v[2:3]
	v_accvgpr_read_b32 v9, a145
	v_mul_f64 v[2:3], v[90:91], v[10:11]
	v_fma_f64 v[2:3], v[88:89], v[8:9], -v[2:3]
	v_accvgpr_read_b32 v8, a148
	v_accvgpr_read_b32 v10, a150
	v_accvgpr_read_b32 v11, a151
	v_add_f64 v[0:1], v[0:1], v[2:3]
	v_accvgpr_read_b32 v9, a149
	v_mul_f64 v[2:3], v[102:103], v[10:11]
	v_fma_f64 v[2:3], v[100:101], v[8:9], -v[2:3]
	v_accvgpr_read_b32 v8, a112
	;; [unrolled: 7-line block ×8, first 2 shown]
	v_accvgpr_read_b32 v10, a134
	v_accvgpr_read_b32 v11, a135
	v_add_f64 v[0:1], v[0:1], v[2:3]
	v_accvgpr_read_b32 v9, a133
	v_mul_f64 v[2:3], v[122:123], v[10:11]
	v_fma_f64 v[2:3], v[120:121], v[8:9], -v[2:3]
	v_add_f64 v[0:1], v[0:1], v[2:3]
	v_mul_f64 v[2:3], v[134:135], v[66:67]
	v_fma_f64 v[2:3], v[132:133], v[64:65], -v[2:3]
	v_add_f64 v[0:1], v[0:1], v[2:3]
	;; [unrolled: 3-line block ×20, first 2 shown]
	s_waitcnt vmcnt(0)
	v_add_f64 v[0:1], v[232:233], -v[0:1]
	v_add_f64 v[2:3], v[234:235], -v[6:7]
	scratch_store_dwordx4 off, v[0:3], off offset:16
	s_cbranch_vccz .LBB55_460
; %bb.350:
	global_load_dword v0, v42, s[16:17] offset:216
	s_waitcnt vmcnt(0)
	v_readfirstlane_b32 s0, v0
	s_add_i32 s0, s0, -1
	s_cmp_lg_u32 s0, 54
	s_cbranch_scc0 .LBB55_352
; %bb.351:
	s_lshl_b32 s0, s0, 4
	s_add_i32 s0, s0, 16
	scratch_load_dwordx4 v[0:3], off, s0
	scratch_load_dwordx4 v[4:7], off, s38
	s_waitcnt vmcnt(1)
	scratch_store_dwordx4 off, v[0:3], s38
	s_waitcnt vmcnt(1)
	scratch_store_dwordx4 off, v[4:7], s0
.LBB55_352:
	v_mov_b32_e32 v0, 0
	global_load_dword v1, v0, s[16:17] offset:212
	s_waitcnt vmcnt(0)
	v_readfirstlane_b32 s0, v1
	s_add_i32 s0, s0, -1
	s_cmp_eq_u32 s0, 53
	s_cbranch_scc1 .LBB55_354
; %bb.353:
	s_lshl_b32 s0, s0, 4
	s_add_i32 s0, s0, 16
	scratch_load_dwordx4 v[2:5], off, s0
	scratch_load_dwordx4 v[6:9], off, s37
	s_waitcnt vmcnt(1)
	scratch_store_dwordx4 off, v[2:5], s37
	s_waitcnt vmcnt(1)
	scratch_store_dwordx4 off, v[6:9], s0
.LBB55_354:
	global_load_dword v0, v0, s[16:17] offset:208
	s_waitcnt vmcnt(0)
	v_readfirstlane_b32 s0, v0
	s_add_i32 s0, s0, -1
	s_cmp_eq_u32 s0, 52
	s_cbranch_scc1 .LBB55_356
; %bb.355:
	s_lshl_b32 s0, s0, 4
	s_add_i32 s0, s0, 16
	scratch_load_dwordx4 v[0:3], off, s0
	scratch_load_dwordx4 v[4:7], off, s36
	s_waitcnt vmcnt(1)
	scratch_store_dwordx4 off, v[0:3], s36
	s_waitcnt vmcnt(1)
	scratch_store_dwordx4 off, v[4:7], s0
.LBB55_356:
	v_mov_b32_e32 v0, 0
	global_load_dword v1, v0, s[16:17] offset:204
	s_waitcnt vmcnt(0)
	v_readfirstlane_b32 s0, v1
	s_add_i32 s0, s0, -1
	s_cmp_eq_u32 s0, 51
	s_cbranch_scc1 .LBB55_358
; %bb.357:
	s_lshl_b32 s0, s0, 4
	s_add_i32 s0, s0, 16
	scratch_load_dwordx4 v[2:5], off, s0
	scratch_load_dwordx4 v[6:9], off, s35
	s_waitcnt vmcnt(1)
	scratch_store_dwordx4 off, v[2:5], s35
	s_waitcnt vmcnt(1)
	scratch_store_dwordx4 off, v[6:9], s0
.LBB55_358:
	global_load_dword v0, v0, s[16:17] offset:200
	s_waitcnt vmcnt(0)
	v_readfirstlane_b32 s0, v0
	s_add_i32 s0, s0, -1
	s_cmp_eq_u32 s0, 50
	s_cbranch_scc1 .LBB55_360
; %bb.359:
	s_lshl_b32 s0, s0, 4
	s_add_i32 s0, s0, 16
	scratch_load_dwordx4 v[0:3], off, s0
	scratch_load_dwordx4 v[4:7], off, s34
	s_waitcnt vmcnt(1)
	scratch_store_dwordx4 off, v[0:3], s34
	s_waitcnt vmcnt(1)
	scratch_store_dwordx4 off, v[4:7], s0
.LBB55_360:
	;; [unrolled: 33-line block ×26, first 2 shown]
	v_mov_b32_e32 v0, 0
	global_load_dword v1, v0, s[16:17] offset:4
	s_waitcnt vmcnt(0)
	v_readfirstlane_b32 s0, v1
	s_add_i32 s0, s0, -1
	s_cmp_eq_u32 s0, 1
	s_cbranch_scc1 .LBB55_458
; %bb.457:
	s_lshl_b32 s0, s0, 4
	s_add_i32 s0, s0, 16
	scratch_load_dwordx4 v[2:5], off, s0
	scratch_load_dwordx4 v[6:9], off, s71
	s_waitcnt vmcnt(1)
	scratch_store_dwordx4 off, v[2:5], s71
	s_waitcnt vmcnt(1)
	scratch_store_dwordx4 off, v[6:9], s0
.LBB55_458:
	global_load_dword v0, v0, s[16:17]
	s_waitcnt vmcnt(0)
	v_readfirstlane_b32 s0, v0
	s_add_i32 s0, s0, -1
	s_cmp_eq_u32 s0, 0
	s_cbranch_scc1 .LBB55_460
; %bb.459:
	s_lshl_b32 s0, s0, 4
	s_add_i32 s0, s0, 16
	scratch_load_dwordx4 v[0:3], off, s0
	scratch_load_dwordx4 v[4:7], off, off offset:16
	s_waitcnt vmcnt(1)
	scratch_store_dwordx4 off, v[0:3], off offset:16
	s_waitcnt vmcnt(1)
	scratch_store_dwordx4 off, v[4:7], s0
.LBB55_460:
	scratch_load_dwordx4 v[0:3], off, off offset:16
	s_nop 0
	scratch_load_dwordx4 v[4:7], off, s71
	scratch_load_dwordx4 v[8:11], off, s70
	;; [unrolled: 1-line block ×33, first 2 shown]
	v_accvgpr_read_b32 v137, a1
	v_accvgpr_read_b32 v136, a0
	;; [unrolled: 1-line block ×18, first 2 shown]
	s_waitcnt vmcnt(33)
	global_store_dwordx4 v[136:137], v[0:3], off
	scratch_load_dwordx4 v[0:3], off, s12
	s_nop 0
	scratch_load_dwordx4 v[136:139], off, s13
	s_waitcnt vmcnt(35)
	global_store_dwordx4 v[140:141], v[4:7], off
	scratch_load_dwordx4 v[4:7], off, s14
	s_nop 0
	scratch_load_dwordx4 v[140:143], off, s20
	s_waitcnt vmcnt(37)
	global_store_dwordx4 v[144:145], v[8:11], off
	v_accvgpr_read_b32 v145, a9
	v_accvgpr_read_b32 v144, a8
	v_accvgpr_read_b32 v9, a7
	v_accvgpr_read_b32 v8, a6
	s_waitcnt vmcnt(37)
	global_store_dwordx4 v[8:9], v[12:15], off
	scratch_load_dwordx4 v[8:11], off, s15
	s_nop 0
	scratch_load_dwordx4 v[12:15], off, s21
	s_waitcnt vmcnt(39)
	global_store_dwordx4 v[144:145], v[16:19], off
	scratch_load_dwordx4 v[16:19], off, s22
	s_nop 0
	scratch_load_dwordx4 v[144:147], off, s23
	s_waitcnt vmcnt(41)
	global_store_dwordx4 v[148:149], v[20:23], off
	scratch_load_dwordx4 v[20:23], off, s24
	s_nop 0
	scratch_load_dwordx4 v[148:151], off, s26
	s_waitcnt vmcnt(43)
	global_store_dwordx4 v[152:153], v[24:27], off
	v_accvgpr_read_b32 v153, a17
	v_accvgpr_read_b32 v152, a16
	v_accvgpr_read_b32 v25, a15
	v_accvgpr_read_b32 v24, a14
	s_waitcnt vmcnt(43)
	global_store_dwordx4 v[24:25], v[28:31], off
	scratch_load_dwordx4 v[24:27], off, s25
	s_nop 0
	scratch_load_dwordx4 v[28:31], off, s27
	;; [unrolled: 21-line block ×3, first 2 shown]
	s_waitcnt vmcnt(51)
	global_store_dwordx4 v[160:161], v[48:51], off
	scratch_load_dwordx4 v[48:51], off, s35
	s_nop 0
	scratch_load_dwordx4 v[160:163], off, s36
	s_waitcnt vmcnt(53)
	global_store_dwordx4 v[164:165], v[52:55], off
	scratch_load_dwordx4 v[52:55], off, s37
	s_nop 0
	scratch_load_dwordx4 v[164:167], off, s38
	s_waitcnt vmcnt(55)
	global_store_dwordx4 v[168:169], v[56:59], off
	s_nop 1
	v_accvgpr_read_b32 v57, a31
	v_accvgpr_read_b32 v56, a30
	s_waitcnt vmcnt(55)
	global_store_dwordx4 v[56:57], v[60:63], off
	v_accvgpr_read_b32 v57, a33
	v_accvgpr_read_b32 v56, a32
	s_waitcnt vmcnt(55)
	global_store_dwordx4 v[56:57], v[64:67], off
	;; [unrolled: 4-line block ×19, first 2 shown]
	s_nop 1
	v_accvgpr_read_b32 v0, a68
	v_accvgpr_read_b32 v1, a69
	s_waitcnt vmcnt(53)
	global_store_dwordx4 v[0:1], v[136:139], off
	v_accvgpr_read_b32 v0, a70
	v_accvgpr_read_b32 v1, a71
	s_waitcnt vmcnt(52)
	global_store_dwordx4 v[0:1], v[4:7], off
	;; [unrolled: 4-line block ×21, first 2 shown]
	v_accvgpr_read_b32 v0, a110
	v_accvgpr_read_b32 v1, a111
	global_store_dwordx4 v[0:1], v[132:135], off
	s_endpgm
	.section	.rodata,"a",@progbits
	.p2align	6, 0x0
	.amdhsa_kernel _ZN9rocsolver6v33100L18getri_kernel_smallILi56E19rocblas_complex_numIdEPS3_EEvT1_iilPiilS6_bb
		.amdhsa_group_segment_fixed_size 1800
		.amdhsa_private_segment_fixed_size 928
		.amdhsa_kernarg_size 60
		.amdhsa_user_sgpr_count 2
		.amdhsa_user_sgpr_dispatch_ptr 0
		.amdhsa_user_sgpr_queue_ptr 0
		.amdhsa_user_sgpr_kernarg_segment_ptr 1
		.amdhsa_user_sgpr_dispatch_id 0
		.amdhsa_user_sgpr_kernarg_preload_length 0
		.amdhsa_user_sgpr_kernarg_preload_offset 0
		.amdhsa_user_sgpr_private_segment_size 0
		.amdhsa_uses_dynamic_stack 0
		.amdhsa_enable_private_segment 1
		.amdhsa_system_sgpr_workgroup_id_x 1
		.amdhsa_system_sgpr_workgroup_id_y 0
		.amdhsa_system_sgpr_workgroup_id_z 0
		.amdhsa_system_sgpr_workgroup_info 0
		.amdhsa_system_vgpr_workitem_id 0
		.amdhsa_next_free_vgpr 408
		.amdhsa_next_free_sgpr 72
		.amdhsa_accum_offset 256
		.amdhsa_reserve_vcc 1
		.amdhsa_float_round_mode_32 0
		.amdhsa_float_round_mode_16_64 0
		.amdhsa_float_denorm_mode_32 3
		.amdhsa_float_denorm_mode_16_64 3
		.amdhsa_dx10_clamp 1
		.amdhsa_ieee_mode 1
		.amdhsa_fp16_overflow 0
		.amdhsa_tg_split 0
		.amdhsa_exception_fp_ieee_invalid_op 0
		.amdhsa_exception_fp_denorm_src 0
		.amdhsa_exception_fp_ieee_div_zero 0
		.amdhsa_exception_fp_ieee_overflow 0
		.amdhsa_exception_fp_ieee_underflow 0
		.amdhsa_exception_fp_ieee_inexact 0
		.amdhsa_exception_int_div_zero 0
	.end_amdhsa_kernel
	.section	.text._ZN9rocsolver6v33100L18getri_kernel_smallILi56E19rocblas_complex_numIdEPS3_EEvT1_iilPiilS6_bb,"axG",@progbits,_ZN9rocsolver6v33100L18getri_kernel_smallILi56E19rocblas_complex_numIdEPS3_EEvT1_iilPiilS6_bb,comdat
.Lfunc_end55:
	.size	_ZN9rocsolver6v33100L18getri_kernel_smallILi56E19rocblas_complex_numIdEPS3_EEvT1_iilPiilS6_bb, .Lfunc_end55-_ZN9rocsolver6v33100L18getri_kernel_smallILi56E19rocblas_complex_numIdEPS3_EEvT1_iilPiilS6_bb
                                        ; -- End function
	.set _ZN9rocsolver6v33100L18getri_kernel_smallILi56E19rocblas_complex_numIdEPS3_EEvT1_iilPiilS6_bb.num_vgpr, 256
	.set _ZN9rocsolver6v33100L18getri_kernel_smallILi56E19rocblas_complex_numIdEPS3_EEvT1_iilPiilS6_bb.num_agpr, 152
	.set _ZN9rocsolver6v33100L18getri_kernel_smallILi56E19rocblas_complex_numIdEPS3_EEvT1_iilPiilS6_bb.numbered_sgpr, 72
	.set _ZN9rocsolver6v33100L18getri_kernel_smallILi56E19rocblas_complex_numIdEPS3_EEvT1_iilPiilS6_bb.num_named_barrier, 0
	.set _ZN9rocsolver6v33100L18getri_kernel_smallILi56E19rocblas_complex_numIdEPS3_EEvT1_iilPiilS6_bb.private_seg_size, 928
	.set _ZN9rocsolver6v33100L18getri_kernel_smallILi56E19rocblas_complex_numIdEPS3_EEvT1_iilPiilS6_bb.uses_vcc, 1
	.set _ZN9rocsolver6v33100L18getri_kernel_smallILi56E19rocblas_complex_numIdEPS3_EEvT1_iilPiilS6_bb.uses_flat_scratch, 0
	.set _ZN9rocsolver6v33100L18getri_kernel_smallILi56E19rocblas_complex_numIdEPS3_EEvT1_iilPiilS6_bb.has_dyn_sized_stack, 0
	.set _ZN9rocsolver6v33100L18getri_kernel_smallILi56E19rocblas_complex_numIdEPS3_EEvT1_iilPiilS6_bb.has_recursion, 0
	.set _ZN9rocsolver6v33100L18getri_kernel_smallILi56E19rocblas_complex_numIdEPS3_EEvT1_iilPiilS6_bb.has_indirect_call, 0
	.section	.AMDGPU.csdata,"",@progbits
; Kernel info:
; codeLenInByte = 132168
; TotalNumSgprs: 78
; NumVgprs: 256
; NumAgprs: 152
; TotalNumVgprs: 408
; ScratchSize: 928
; MemoryBound: 0
; FloatMode: 240
; IeeeMode: 1
; LDSByteSize: 1800 bytes/workgroup (compile time only)
; SGPRBlocks: 9
; VGPRBlocks: 50
; NumSGPRsForWavesPerEU: 78
; NumVGPRsForWavesPerEU: 408
; AccumOffset: 256
; Occupancy: 1
; WaveLimiterHint : 1
; COMPUTE_PGM_RSRC2:SCRATCH_EN: 1
; COMPUTE_PGM_RSRC2:USER_SGPR: 2
; COMPUTE_PGM_RSRC2:TRAP_HANDLER: 0
; COMPUTE_PGM_RSRC2:TGID_X_EN: 1
; COMPUTE_PGM_RSRC2:TGID_Y_EN: 0
; COMPUTE_PGM_RSRC2:TGID_Z_EN: 0
; COMPUTE_PGM_RSRC2:TIDIG_COMP_CNT: 0
; COMPUTE_PGM_RSRC3_GFX90A:ACCUM_OFFSET: 63
; COMPUTE_PGM_RSRC3_GFX90A:TG_SPLIT: 0
	.section	.text._ZN9rocsolver6v33100L18getri_kernel_smallILi57E19rocblas_complex_numIdEPS3_EEvT1_iilPiilS6_bb,"axG",@progbits,_ZN9rocsolver6v33100L18getri_kernel_smallILi57E19rocblas_complex_numIdEPS3_EEvT1_iilPiilS6_bb,comdat
	.globl	_ZN9rocsolver6v33100L18getri_kernel_smallILi57E19rocblas_complex_numIdEPS3_EEvT1_iilPiilS6_bb ; -- Begin function _ZN9rocsolver6v33100L18getri_kernel_smallILi57E19rocblas_complex_numIdEPS3_EEvT1_iilPiilS6_bb
	.p2align	8
	.type	_ZN9rocsolver6v33100L18getri_kernel_smallILi57E19rocblas_complex_numIdEPS3_EEvT1_iilPiilS6_bb,@function
_ZN9rocsolver6v33100L18getri_kernel_smallILi57E19rocblas_complex_numIdEPS3_EEvT1_iilPiilS6_bb: ; @_ZN9rocsolver6v33100L18getri_kernel_smallILi57E19rocblas_complex_numIdEPS3_EEvT1_iilPiilS6_bb
; %bb.0:
	v_mov_b32_e32 v240, v0
	v_cmp_gt_u32_e32 vcc, 57, v240
	s_and_saveexec_b64 s[4:5], vcc
	s_cbranch_execz .LBB56_242
; %bb.1:
	s_load_dword s8, s[0:1], 0x38
	s_load_dwordx4 s[12:15], s[0:1], 0x10
	s_load_dwordx4 s[4:7], s[0:1], 0x28
                                        ; implicit-def: $sgpr16_sgpr17
	s_waitcnt lgkmcnt(0)
	s_bitcmp1_b32 s8, 8
	s_cselect_b64 s[18:19], -1, 0
	s_ashr_i32 s3, s2, 31
	s_bfe_u32 s8, s8, 0x10008
	s_cmp_eq_u32 s8, 0
	s_cbranch_scc1 .LBB56_3
; %bb.2:
	s_load_dword s8, s[0:1], 0x20
	s_mul_i32 s9, s4, s3
	s_mul_hi_u32 s10, s4, s2
	s_mul_i32 s5, s5, s2
	s_add_i32 s10, s10, s9
	s_add_i32 s5, s10, s5
	s_mul_i32 s4, s4, s2
	s_waitcnt lgkmcnt(0)
	s_ashr_i32 s9, s8, 31
	s_lshl_b64 s[4:5], s[4:5], 2
	s_add_u32 s10, s14, s4
	s_addc_u32 s11, s15, s5
	s_lshl_b64 s[4:5], s[8:9], 2
	s_add_u32 s16, s10, s4
	s_addc_u32 s17, s11, s5
.LBB56_3:
	s_load_dwordx4 s[8:11], s[0:1], 0x0
	s_load_dword s4, s[0:1], 0x38
	s_mul_i32 s5, s12, s3
	s_mul_hi_u32 s14, s12, s2
	s_add_i32 s5, s14, s5
	s_waitcnt lgkmcnt(0)
	s_ashr_i32 s1, s10, 31
	s_mov_b32 s0, s10
	s_mul_i32 s10, s13, s2
	s_add_i32 s13, s5, s10
	s_mul_i32 s12, s12, s2
	s_lshl_b64 s[12:13], s[12:13], 4
	s_add_u32 s5, s8, s12
	s_addc_u32 s8, s9, s13
	s_lshl_b64 s[0:1], s[0:1], 4
	s_add_u32 s0, s5, s0
	s_addc_u32 s1, s8, s1
	s_add_i32 s5, s11, s11
	v_add_u32_e32 v14, s5, v240
	v_lshlrev_b32_e32 v30, 4, v240
	v_mov_b32_e32 v31, 0
	v_ashrrev_i32_e32 v15, 31, v14
	v_lshl_add_u64 v[0:1], s[0:1], 0, v[30:31]
	v_lshl_add_u64 v[10:11], v[14:15], 4, s[0:1]
	v_add_u32_e32 v14, s11, v14
	s_ashr_i32 s9, s11, 31
	s_mov_b32 s8, s11
	v_accvgpr_write_b32 a0, v0
	v_add_u32_e32 v22, s11, v14
	v_accvgpr_write_b32 a1, v1
	v_lshl_add_u64 v[0:1], s[8:9], 4, v[0:1]
	v_ashrrev_i32_e32 v23, 31, v22
	v_accvgpr_write_b32 a3, v1
	v_ashrrev_i32_e32 v15, 31, v14
	v_lshl_add_u64 v[18:19], v[22:23], 4, s[0:1]
	v_add_u32_e32 v22, s11, v22
	global_load_dwordx4 v[2:5], v30, s[0:1]
	global_load_dwordx4 v[6:9], v[0:1], off
	v_accvgpr_write_b32 a2, v0
	v_lshl_add_u64 v[0:1], v[14:15], 4, s[0:1]
	v_add_u32_e32 v32, s11, v22
	v_accvgpr_write_b32 a4, v10
	v_accvgpr_write_b32 a7, v1
	v_ashrrev_i32_e32 v23, 31, v22
	v_ashrrev_i32_e32 v33, 31, v32
	v_accvgpr_write_b32 a5, v11
	global_load_dwordx4 v[10:13], v[10:11], off
	v_accvgpr_write_b32 a6, v0
	global_load_dwordx4 v[14:17], v[0:1], off
	v_lshl_add_u64 v[0:1], v[22:23], 4, s[0:1]
	v_lshl_add_u64 v[26:27], v[32:33], 4, s[0:1]
	v_add_u32_e32 v32, s11, v32
	v_accvgpr_write_b32 a8, v18
	v_accvgpr_write_b32 a11, v1
	v_ashrrev_i32_e32 v33, 31, v32
	v_accvgpr_write_b32 a9, v19
	global_load_dwordx4 v[18:21], v[18:19], off
	v_accvgpr_write_b32 a10, v0
	global_load_dwordx4 v[22:25], v[0:1], off
	v_lshl_add_u64 v[0:1], v[32:33], 4, s[0:1]
	v_add_u32_e32 v32, s11, v32
	v_add_u32_e32 v40, s11, v32
	v_accvgpr_write_b32 a12, v26
	v_ashrrev_i32_e32 v33, 31, v32
	v_ashrrev_i32_e32 v41, 31, v40
	v_add_u32_e32 v42, s11, v40
	v_accvgpr_write_b32 a15, v1
	v_accvgpr_write_b32 a13, v27
	global_load_dwordx4 v[26:29], v[26:27], off
	v_lshl_add_u64 v[36:37], v[32:33], 4, s[0:1]
	v_accvgpr_write_b32 a14, v0
	global_load_dwordx4 v[32:35], v[0:1], off
	v_lshl_add_u64 v[0:1], v[40:41], 4, s[0:1]
	v_add_u32_e32 v48, s11, v42
	v_accvgpr_write_b32 a16, v36
	v_ashrrev_i32_e32 v43, 31, v42
	v_ashrrev_i32_e32 v49, 31, v48
	v_add_u32_e32 v50, s11, v48
	v_accvgpr_write_b32 a19, v1
	v_accvgpr_write_b32 a17, v37
	global_load_dwordx4 v[36:39], v[36:37], off
	v_lshl_add_u64 v[44:45], v[42:43], 4, s[0:1]
	v_accvgpr_write_b32 a18, v0
	global_load_dwordx4 v[40:43], v[0:1], off
	v_lshl_add_u64 v[0:1], v[48:49], 4, s[0:1]
	v_add_u32_e32 v56, s11, v50
	v_accvgpr_write_b32 a20, v44
	v_ashrrev_i32_e32 v51, 31, v50
	v_ashrrev_i32_e32 v57, 31, v56
	v_accvgpr_write_b32 a23, v1
	v_accvgpr_write_b32 a21, v45
	global_load_dwordx4 v[44:47], v[44:45], off
	v_lshl_add_u64 v[52:53], v[50:51], 4, s[0:1]
	v_accvgpr_write_b32 a22, v0
	global_load_dwordx4 v[48:51], v[0:1], off
	v_lshl_add_u64 v[0:1], v[56:57], 4, s[0:1]
	v_add_u32_e32 v56, s11, v56
	v_add_u32_e32 v64, s11, v56
	;; [unrolled: 1-line block ×3, first 2 shown]
	v_accvgpr_write_b32 a24, v52
	v_ashrrev_i32_e32 v57, 31, v56
	v_add_u32_e32 v72, s11, v66
	v_accvgpr_write_b32 a25, v53
	global_load_dwordx4 v[52:55], v[52:53], off
	v_lshl_add_u64 v[60:61], v[56:57], 4, s[0:1]
	v_add_u32_e32 v80, s11, v72
	v_ashrrev_i32_e32 v65, 31, v64
	v_accvgpr_write_b32 a27, v1
	global_load_dwordx4 v[56:59], v[0:1], off
	v_accvgpr_write_b32 a28, v60
	v_ashrrev_i32_e32 v67, 31, v66
	v_ashrrev_i32_e32 v81, 31, v80
	v_accvgpr_write_b32 a26, v0
	v_accvgpr_write_b32 a29, v61
	global_load_dwordx4 v[60:63], v[60:61], off
	v_lshl_add_u64 v[0:1], v[64:65], 4, s[0:1]
	v_lshl_add_u64 v[68:69], v[66:67], 4, s[0:1]
	v_lshl_add_u64 v[76:77], v[80:81], 4, s[0:1]
	v_add_u32_e32 v80, s11, v80
	v_ashrrev_i32_e32 v73, 31, v72
	v_accvgpr_write_b32 a31, v1
	global_load_dwordx4 v[64:67], v[0:1], off
	v_accvgpr_write_b32 a32, v68
	v_add_u32_e32 v88, s11, v80
	v_accvgpr_write_b32 a30, v0
	v_accvgpr_write_b32 a33, v69
	global_load_dwordx4 v[68:71], v[68:69], off
	v_lshl_add_u64 v[0:1], v[72:73], 4, s[0:1]
	v_ashrrev_i32_e32 v89, 31, v88
	v_accvgpr_write_b32 a35, v1
	global_load_dwordx4 v[72:75], v[0:1], off
	v_accvgpr_write_b32 a36, v76
	v_ashrrev_i32_e32 v81, 31, v80
	v_lshl_add_u64 v[84:85], v[88:89], 4, s[0:1]
	v_add_u32_e32 v88, s11, v88
	v_accvgpr_write_b32 a34, v0
	v_accvgpr_write_b32 a37, v77
	global_load_dwordx4 v[76:79], v[76:77], off
	v_lshl_add_u64 v[0:1], v[80:81], 4, s[0:1]
	v_add_u32_e32 v96, s11, v88
	v_accvgpr_write_b32 a39, v1
	global_load_dwordx4 v[80:83], v[0:1], off
	v_accvgpr_write_b32 a40, v84
	v_ashrrev_i32_e32 v89, 31, v88
	v_ashrrev_i32_e32 v97, 31, v96
	v_accvgpr_write_b32 a38, v0
	v_accvgpr_write_b32 a41, v85
	global_load_dwordx4 v[84:87], v[84:85], off
	v_lshl_add_u64 v[0:1], v[88:89], 4, s[0:1]
	v_lshl_add_u64 v[92:93], v[96:97], 4, s[0:1]
	global_load_dwordx4 v[88:91], v[0:1], off
	v_accvgpr_write_b32 a44, v92
	v_accvgpr_write_b32 a45, v93
	global_load_dwordx4 v[92:95], v[92:93], off
	v_add_u32_e32 v100, s11, v96
	v_accvgpr_write_b32 a43, v1
	v_ashrrev_i32_e32 v101, 31, v100
	v_accvgpr_write_b32 a42, v0
	v_lshl_add_u64 v[0:1], v[100:101], 4, s[0:1]
	global_load_dwordx4 v[96:99], v[0:1], off
	s_waitcnt vmcnt(23)
	scratch_store_dwordx4 off, v[2:5], off offset:16
	s_waitcnt vmcnt(23)
	scratch_store_dwordx4 off, v[6:9], off offset:32
	;; [unrolled: 2-line block ×23, first 2 shown]
	v_add_u32_e32 v6, s11, v100
	v_accvgpr_write_b32 a47, v1
	v_ashrrev_i32_e32 v7, 31, v6
	v_accvgpr_write_b32 a46, v0
	v_lshl_add_u64 v[0:1], v[6:7], 4, s[0:1]
	v_add_u32_e32 v6, s11, v6
	v_add_u32_e32 v14, s11, v6
	v_ashrrev_i32_e32 v15, 31, v14
	v_lshl_add_u64 v[10:11], v[14:15], 4, s[0:1]
	v_add_u32_e32 v14, s11, v14
	v_add_u32_e32 v22, s11, v14
	v_ashrrev_i32_e32 v23, 31, v22
	;; [unrolled: 4-line block ×6, first 2 shown]
	v_accvgpr_write_b32 a49, v1
	v_ashrrev_i32_e32 v7, 31, v6
	v_accvgpr_write_b32 a53, v11
	v_lshl_add_u64 v[52:53], v[56:57], 4, s[0:1]
	v_add_u32_e32 v56, s11, v56
	v_accvgpr_write_b32 a48, v0
	global_load_dwordx4 v[2:5], v[0:1], off
	v_accvgpr_write_b32 a52, v10
	global_load_dwordx4 v[10:13], v[10:11], off
	v_lshl_add_u64 v[0:1], v[6:7], 4, s[0:1]
	v_add_u32_e32 v64, s11, v56
	v_accvgpr_write_b32 a51, v1
	v_ashrrev_i32_e32 v15, 31, v14
	v_accvgpr_write_b32 a57, v19
	v_ashrrev_i32_e32 v65, 31, v64
	v_accvgpr_write_b32 a50, v0
	global_load_dwordx4 v[6:9], v[0:1], off
	v_accvgpr_write_b32 a56, v18
	global_load_dwordx4 v[18:21], v[18:19], off
	v_lshl_add_u64 v[0:1], v[14:15], 4, s[0:1]
	v_lshl_add_u64 v[60:61], v[64:65], 4, s[0:1]
	v_add_u32_e32 v64, s11, v64
	v_accvgpr_write_b32 a55, v1
	v_ashrrev_i32_e32 v23, 31, v22
	v_accvgpr_write_b32 a61, v27
	v_add_u32_e32 v72, s11, v64
	v_accvgpr_write_b32 a54, v0
	global_load_dwordx4 v[14:17], v[0:1], off
	v_accvgpr_write_b32 a60, v26
	global_load_dwordx4 v[26:29], v[26:27], off
	v_lshl_add_u64 v[0:1], v[22:23], 4, s[0:1]
	v_ashrrev_i32_e32 v73, 31, v72
	v_accvgpr_write_b32 a59, v1
	v_ashrrev_i32_e32 v33, 31, v32
	v_accvgpr_write_b32 a65, v37
	v_lshl_add_u64 v[68:69], v[72:73], 4, s[0:1]
	v_add_u32_e32 v72, s11, v72
	v_accvgpr_write_b32 a58, v0
	global_load_dwordx4 v[22:25], v[0:1], off
	v_accvgpr_write_b32 a64, v36
	global_load_dwordx4 v[36:39], v[36:37], off
	v_lshl_add_u64 v[0:1], v[32:33], 4, s[0:1]
	v_add_u32_e32 v80, s11, v72
	v_accvgpr_write_b32 a63, v1
	v_ashrrev_i32_e32 v41, 31, v40
	v_accvgpr_write_b32 a69, v45
	v_ashrrev_i32_e32 v81, 31, v80
	v_accvgpr_write_b32 a62, v0
	global_load_dwordx4 v[32:35], v[0:1], off
	v_accvgpr_write_b32 a68, v44
	global_load_dwordx4 v[44:47], v[44:45], off
	v_lshl_add_u64 v[0:1], v[40:41], 4, s[0:1]
	v_lshl_add_u64 v[76:77], v[80:81], 4, s[0:1]
	v_add_u32_e32 v80, s11, v80
	v_accvgpr_write_b32 a67, v1
	v_ashrrev_i32_e32 v49, 31, v48
	v_accvgpr_write_b32 a73, v53
	v_add_u32_e32 v88, s11, v80
	v_accvgpr_write_b32 a66, v0
	global_load_dwordx4 v[40:43], v[0:1], off
	v_accvgpr_write_b32 a72, v52
	global_load_dwordx4 v[52:55], v[52:53], off
	v_lshl_add_u64 v[0:1], v[48:49], 4, s[0:1]
	v_ashrrev_i32_e32 v89, 31, v88
	v_accvgpr_write_b32 a71, v1
	v_ashrrev_i32_e32 v57, 31, v56
	v_accvgpr_write_b32 a77, v61
	v_lshl_add_u64 v[84:85], v[88:89], 4, s[0:1]
	v_add_u32_e32 v88, s11, v88
	s_waitcnt vmcnt(35)
	scratch_store_dwordx4 off, v[96:99], off offset:384
	v_accvgpr_write_b32 a70, v0
	global_load_dwordx4 v[48:51], v[0:1], off
	v_accvgpr_write_b32 a76, v60
	global_load_dwordx4 v[60:63], v[60:61], off
	v_lshl_add_u64 v[0:1], v[56:57], 4, s[0:1]
	v_add_u32_e32 v96, s11, v88
	v_accvgpr_write_b32 a75, v1
	v_ashrrev_i32_e32 v65, 31, v64
	v_accvgpr_write_b32 a81, v69
	v_ashrrev_i32_e32 v97, 31, v96
	v_accvgpr_write_b32 a74, v0
	global_load_dwordx4 v[56:59], v[0:1], off
	v_accvgpr_write_b32 a80, v68
	global_load_dwordx4 v[68:71], v[68:69], off
	v_lshl_add_u64 v[0:1], v[64:65], 4, s[0:1]
	v_lshl_add_u64 v[92:93], v[96:97], 4, s[0:1]
	v_add_u32_e32 v96, s11, v96
	v_accvgpr_write_b32 a79, v1
	v_ashrrev_i32_e32 v73, 31, v72
	v_accvgpr_write_b32 a85, v77
	v_add_u32_e32 v104, s11, v96
	v_accvgpr_write_b32 a78, v0
	global_load_dwordx4 v[64:67], v[0:1], off
	v_accvgpr_write_b32 a84, v76
	global_load_dwordx4 v[76:79], v[76:77], off
	v_lshl_add_u64 v[0:1], v[72:73], 4, s[0:1]
	v_ashrrev_i32_e32 v105, 31, v104
	v_accvgpr_write_b32 a83, v1
	v_ashrrev_i32_e32 v81, 31, v80
	v_accvgpr_write_b32 a89, v85
	v_lshl_add_u64 v[100:101], v[104:105], 4, s[0:1]
	v_add_u32_e32 v104, s11, v104
	v_accvgpr_write_b32 a82, v0
	global_load_dwordx4 v[72:75], v[0:1], off
	v_accvgpr_write_b32 a88, v84
	global_load_dwordx4 v[84:87], v[84:85], off
	v_lshl_add_u64 v[0:1], v[80:81], 4, s[0:1]
	v_add_u32_e32 v112, s11, v104
	v_accvgpr_write_b32 a87, v1
	v_ashrrev_i32_e32 v89, 31, v88
	v_accvgpr_write_b32 a92, v92
	v_ashrrev_i32_e32 v113, 31, v112
	v_accvgpr_write_b32 a86, v0
	global_load_dwordx4 v[80:83], v[0:1], off
	v_accvgpr_write_b32 a93, v93
	global_load_dwordx4 v[92:95], v[92:93], off
	v_lshl_add_u64 v[0:1], v[88:89], 4, s[0:1]
	v_lshl_add_u64 v[108:109], v[112:113], 4, s[0:1]
	v_add_u32_e32 v112, s11, v112
	v_accvgpr_write_b32 a91, v1
	v_ashrrev_i32_e32 v97, 31, v96
	v_accvgpr_write_b32 a96, v100
	v_add_u32_e32 v120, s11, v112
	v_accvgpr_write_b32 a90, v0
	global_load_dwordx4 v[88:91], v[0:1], off
	v_accvgpr_write_b32 a97, v101
	global_load_dwordx4 v[100:103], v[100:101], off
	v_lshl_add_u64 v[0:1], v[96:97], 4, s[0:1]
	v_ashrrev_i32_e32 v121, 31, v120
	v_accvgpr_write_b32 a95, v1
	v_ashrrev_i32_e32 v105, 31, v104
	v_accvgpr_write_b32 a100, v108
	v_lshl_add_u64 v[116:117], v[120:121], 4, s[0:1]
	v_add_u32_e32 v120, s11, v120
	v_accvgpr_write_b32 a94, v0
	global_load_dwordx4 v[96:99], v[0:1], off
	v_accvgpr_write_b32 a101, v109
	global_load_dwordx4 v[108:111], v[108:109], off
	v_lshl_add_u64 v[0:1], v[104:105], 4, s[0:1]
	v_add_u32_e32 v128, s11, v120
	v_accvgpr_write_b32 a99, v1
	v_ashrrev_i32_e32 v113, 31, v112
	v_accvgpr_write_b32 a104, v116
	v_ashrrev_i32_e32 v129, 31, v128
	v_accvgpr_write_b32 a98, v0
	global_load_dwordx4 v[104:107], v[0:1], off
	v_accvgpr_write_b32 a105, v117
	global_load_dwordx4 v[116:119], v[116:117], off
	v_lshl_add_u64 v[0:1], v[112:113], 4, s[0:1]
	v_lshl_add_u64 v[124:125], v[128:129], 4, s[0:1]
	v_accvgpr_write_b32 a103, v1
	v_ashrrev_i32_e32 v121, 31, v120
	v_accvgpr_write_b32 a108, v124
	v_accvgpr_write_b32 a102, v0
	global_load_dwordx4 v[112:115], v[0:1], off
	v_accvgpr_write_b32 a109, v125
	global_load_dwordx4 v[124:127], v[124:125], off
	v_lshl_add_u64 v[0:1], v[120:121], 4, s[0:1]
	v_add_u32_e32 v128, s11, v128
	v_accvgpr_write_b32 a107, v1
	v_ashrrev_i32_e32 v129, 31, v128
	v_accvgpr_write_b32 a106, v0
	global_load_dwordx4 v[120:123], v[0:1], off
	v_lshl_add_u64 v[0:1], v[128:129], 4, s[0:1]
	v_add_u32_e32 v128, s11, v128
	v_ashrrev_i32_e32 v129, 31, v128
	v_lshl_add_u64 v[132:133], v[128:129], 4, s[0:1]
	s_movk_i32 s0, 0x50
	s_add_i32 s42, s0, 16
	s_movk_i32 s0, 0x60
	s_add_i32 s43, s0, 16
	;; [unrolled: 2-line block ×4, first 2 shown]
	s_movk_i32 s0, 0x90
	global_load_dwordx4 v[128:131], v[0:1], off
	v_accvgpr_write_b32 a112, v132
	s_add_i32 s46, s0, 16
	s_movk_i32 s0, 0xa0
	v_accvgpr_write_b32 a113, v133
	global_load_dwordx4 v[132:135], v[132:133], off
	s_add_i32 s47, s0, 16
	s_movk_i32 s0, 0xb0
	s_add_i32 s48, s0, 16
	s_movk_i32 s0, 0xc0
	s_add_i32 s49, s0, 16
	s_movk_i32 s0, 0xd0
	s_add_i32 s50, s0, 16
	s_movk_i32 s0, 0xe0
	s_add_i32 s51, s0, 16
	s_movk_i32 s0, 0xf0
	s_add_i32 s52, s0, 16
	s_movk_i32 s0, 0x100
	s_add_i32 s53, s0, 16
	s_movk_i32 s0, 0x110
	s_add_i32 s54, s0, 16
	s_movk_i32 s0, 0x120
	s_add_i32 s55, s0, 16
	s_movk_i32 s0, 0x130
	s_add_i32 s56, s0, 16
	s_movk_i32 s0, 0x140
	s_add_i32 s57, s0, 16
	s_movk_i32 s0, 0x150
	s_add_i32 s58, s0, 16
	s_movk_i32 s0, 0x160
	s_add_i32 s59, s0, 16
	s_movk_i32 s0, 0x170
	s_add_i32 s60, s0, 16
	s_movk_i32 s0, 0x180
	s_add_i32 s61, s0, 16
	s_movk_i32 s0, 0x190
	s_add_i32 s62, s0, 16
	s_movk_i32 s0, 0x1a0
	s_add_i32 s63, s0, 16
	s_movk_i32 s0, 0x1b0
	s_add_i32 s64, s0, 16
	s_movk_i32 s0, 0x1c0
	s_add_i32 s65, s0, 16
	s_movk_i32 s0, 0x1d0
	s_add_i32 s66, s0, 16
	s_movk_i32 s0, 0x1e0
	s_add_i32 s67, s0, 16
	s_movk_i32 s0, 0x1f0
	s_add_i32 s68, s0, 16
	s_movk_i32 s0, 0x200
	s_add_i32 s69, s0, 16
	s_movk_i32 s0, 0x210
	s_add_i32 s39, s0, 16
	s_movk_i32 s0, 0x220
	s_add_i32 s40, s0, 16
	s_movk_i32 s0, 0x230
	s_add_i32 s37, s0, 16
	s_movk_i32 s0, 0x240
	s_add_i32 s38, s0, 16
	s_movk_i32 s0, 0x250
	s_add_i32 s35, s0, 16
	s_movk_i32 s0, 0x260
	s_add_i32 s36, s0, 16
	s_movk_i32 s0, 0x270
	s_add_i32 s33, s0, 16
	s_movk_i32 s0, 0x280
	s_add_i32 s34, s0, 16
	s_movk_i32 s0, 0x290
	s_add_i32 s30, s0, 16
	s_movk_i32 s0, 0x2a0
	s_add_i32 s31, s0, 16
	s_movk_i32 s0, 0x2b0
	s_add_i32 s28, s0, 16
	s_movk_i32 s0, 0x2c0
	s_add_i32 s29, s0, 16
	s_movk_i32 s0, 0x2d0
	s_add_i32 s26, s0, 16
	s_movk_i32 s0, 0x2e0
	s_add_i32 s27, s0, 16
	s_movk_i32 s0, 0x2f0
	s_add_i32 s24, s0, 16
	s_movk_i32 s0, 0x300
	s_add_i32 s25, s0, 16
	s_movk_i32 s0, 0x310
	s_add_i32 s22, s0, 16
	s_movk_i32 s0, 0x320
	s_add_i32 s23, s0, 16
	s_movk_i32 s0, 0x330
	s_add_i32 s20, s0, 16
	s_movk_i32 s0, 0x340
	s_add_i32 s21, s0, 16
	s_movk_i32 s0, 0x350
	s_add_i32 s14, s0, 16
	s_movk_i32 s0, 0x360
	s_add_i32 s15, s0, 16
	s_movk_i32 s0, 0x370
	s_add_i32 s12, s0, 16
	s_movk_i32 s0, 0x380
	v_accvgpr_write_b32 a111, v1
	s_add_i32 s13, s0, 16
	v_accvgpr_write_b32 a110, v0
	s_mov_b32 s72, 32
	s_mov_b32 s71, 48
	s_mov_b32 s70, 64
	s_movk_i32 s41, 0x50
	s_bitcmp0_b32 s4, 0
	s_mov_b64 s[4:5], -1
	s_waitcnt vmcnt(33)
	scratch_store_dwordx4 off, v[2:5], off offset:400
	s_waitcnt vmcnt(32)
	scratch_store_dwordx4 off, v[6:9], off offset:416
	scratch_store_dwordx4 off, v[10:13], off offset:432
	s_waitcnt vmcnt(32)
	scratch_store_dwordx4 off, v[14:17], off offset:448
	;; [unrolled: 3-line block ×16, first 2 shown]
	s_waitcnt vmcnt(32)
	scratch_store_dwordx4 off, v[132:135], off offset:912
	s_cbranch_scc1 .LBB56_240
; %bb.4:
	v_cmp_eq_u32_e64 s[0:1], 0, v240
	s_and_saveexec_b64 s[4:5], s[0:1]
; %bb.5:
	v_mov_b32_e32 v0, 0
	ds_write_b32 v0, v0 offset:1824
; %bb.6:
	s_or_b64 exec, exec, s[4:5]
	s_waitcnt lgkmcnt(0)
	; wave barrier
	scratch_load_dwordx4 v[2:5], v30, off offset:16
	s_waitcnt vmcnt(0)
	v_cmp_eq_f64_e32 vcc, 0, v[2:3]
	v_cmp_eq_f64_e64 s[4:5], 0, v[4:5]
	s_and_b64 s[4:5], vcc, s[4:5]
	s_and_saveexec_b64 s[8:9], s[4:5]
	s_cbranch_execz .LBB56_10
; %bb.7:
	v_mov_b32_e32 v1, 0
	ds_read_b32 v0, v1 offset:1824
	v_add_u32_e32 v2, 1, v240
	s_waitcnt lgkmcnt(0)
	v_readfirstlane_b32 s4, v0
	s_cmp_eq_u32 s4, 0
	s_cselect_b64 s[10:11], -1, 0
	v_cmp_gt_i32_e32 vcc, s4, v2
	s_or_b64 s[10:11], s[10:11], vcc
	s_and_b64 exec, exec, s[10:11]
	s_cbranch_execz .LBB56_10
; %bb.8:
	s_mov_b64 s[10:11], 0
	v_mov_b32_e32 v3, s4
.LBB56_9:                               ; =>This Inner Loop Header: Depth=1
	ds_cmpst_rtn_b32 v3, v1, v3, v2 offset:1824
	s_waitcnt lgkmcnt(0)
	v_cmp_ne_u32_e32 vcc, 0, v3
	v_cmp_le_i32_e64 s[4:5], v3, v2
	s_and_b64 s[4:5], vcc, s[4:5]
	s_and_b64 s[4:5], exec, s[4:5]
	s_or_b64 s[10:11], s[4:5], s[10:11]
	s_andn2_b64 exec, exec, s[10:11]
	s_cbranch_execnz .LBB56_9
.LBB56_10:
	s_or_b64 exec, exec, s[8:9]
	v_mov_b32_e32 v2, 0
	; wave barrier
	ds_read_b32 v1, v2 offset:1824
	s_and_saveexec_b64 s[4:5], s[0:1]
	s_cbranch_execz .LBB56_12
; %bb.11:
	s_lshl_b64 s[8:9], s[2:3], 2
	s_add_u32 s8, s6, s8
	s_addc_u32 s9, s7, s9
	s_waitcnt lgkmcnt(0)
	global_store_dword v2, v1, s[8:9]
.LBB56_12:
	s_or_b64 exec, exec, s[4:5]
	s_waitcnt lgkmcnt(0)
	v_cmp_ne_u32_e32 vcc, 0, v1
	s_mov_b64 s[4:5], 0
	s_cbranch_vccnz .LBB56_240
; %bb.13:
	v_add_u32_e32 v14, 16, v30
	scratch_load_dwordx4 v[2:5], v14, off
                                        ; implicit-def: $vgpr6_vgpr7
                                        ; implicit-def: $vgpr10_vgpr11
	s_waitcnt vmcnt(0)
	v_cmp_ngt_f64_e64 s[4:5], |v[2:3]|, |v[4:5]|
	s_and_saveexec_b64 s[8:9], s[4:5]
	s_xor_b64 s[4:5], exec, s[8:9]
	s_cbranch_execz .LBB56_15
; %bb.14:
	v_div_scale_f64 v[6:7], s[8:9], v[4:5], v[4:5], v[2:3]
	v_rcp_f64_e32 v[8:9], v[6:7]
	v_div_scale_f64 v[10:11], vcc, v[2:3], v[4:5], v[2:3]
	v_fma_f64 v[12:13], -v[6:7], v[8:9], 1.0
	v_fmac_f64_e32 v[8:9], v[8:9], v[12:13]
	v_fma_f64 v[12:13], -v[6:7], v[8:9], 1.0
	v_fmac_f64_e32 v[8:9], v[8:9], v[12:13]
	v_mul_f64 v[12:13], v[10:11], v[8:9]
	v_fma_f64 v[6:7], -v[6:7], v[12:13], v[10:11]
	v_div_fmas_f64 v[6:7], v[6:7], v[8:9], v[12:13]
	v_div_fixup_f64 v[6:7], v[6:7], v[4:5], v[2:3]
	v_fmac_f64_e32 v[4:5], v[2:3], v[6:7]
	v_div_scale_f64 v[2:3], s[8:9], v[4:5], v[4:5], 1.0
	v_rcp_f64_e32 v[8:9], v[2:3]
	s_nop 0
	v_fma_f64 v[10:11], -v[2:3], v[8:9], 1.0
	v_fmac_f64_e32 v[8:9], v[8:9], v[10:11]
	v_fma_f64 v[10:11], -v[2:3], v[8:9], 1.0
	v_fmac_f64_e32 v[8:9], v[8:9], v[10:11]
	v_div_scale_f64 v[10:11], vcc, 1.0, v[4:5], 1.0
	v_mul_f64 v[12:13], v[10:11], v[8:9]
	v_fma_f64 v[2:3], -v[2:3], v[12:13], v[10:11]
	s_nop 1
	v_div_fmas_f64 v[2:3], v[2:3], v[8:9], v[12:13]
	v_div_fixup_f64 v[8:9], v[2:3], v[4:5], 1.0
	v_mul_f64 v[6:7], v[6:7], v[8:9]
	v_xor_b32_e32 v9, 0x80000000, v9
	v_xor_b32_e32 v11, 0x80000000, v7
	v_mov_b32_e32 v10, v6
                                        ; implicit-def: $vgpr2_vgpr3
.LBB56_15:
	s_andn2_saveexec_b64 s[4:5], s[4:5]
	s_cbranch_execz .LBB56_17
; %bb.16:
	v_div_scale_f64 v[6:7], s[8:9], v[2:3], v[2:3], v[4:5]
	v_rcp_f64_e32 v[8:9], v[6:7]
	v_div_scale_f64 v[10:11], vcc, v[4:5], v[2:3], v[4:5]
	v_fma_f64 v[12:13], -v[6:7], v[8:9], 1.0
	v_fmac_f64_e32 v[8:9], v[8:9], v[12:13]
	v_fma_f64 v[12:13], -v[6:7], v[8:9], 1.0
	v_fmac_f64_e32 v[8:9], v[8:9], v[12:13]
	v_mul_f64 v[12:13], v[10:11], v[8:9]
	v_fma_f64 v[6:7], -v[6:7], v[12:13], v[10:11]
	v_div_fmas_f64 v[6:7], v[6:7], v[8:9], v[12:13]
	v_div_fixup_f64 v[8:9], v[6:7], v[2:3], v[4:5]
	v_fmac_f64_e32 v[2:3], v[4:5], v[8:9]
	v_div_scale_f64 v[4:5], s[8:9], v[2:3], v[2:3], 1.0
	v_rcp_f64_e32 v[6:7], v[4:5]
	s_nop 0
	v_fma_f64 v[10:11], -v[4:5], v[6:7], 1.0
	v_fmac_f64_e32 v[6:7], v[6:7], v[10:11]
	v_fma_f64 v[10:11], -v[4:5], v[6:7], 1.0
	v_fmac_f64_e32 v[6:7], v[6:7], v[10:11]
	v_div_scale_f64 v[10:11], vcc, 1.0, v[2:3], 1.0
	v_mul_f64 v[12:13], v[10:11], v[6:7]
	v_fma_f64 v[4:5], -v[4:5], v[12:13], v[10:11]
	s_nop 1
	v_div_fmas_f64 v[4:5], v[4:5], v[6:7], v[12:13]
	v_div_fixup_f64 v[6:7], v[4:5], v[2:3], 1.0
	v_xor_b32_e32 v11, 0x80000000, v7
	v_mov_b32_e32 v10, v6
	v_mul_f64 v[8:9], v[8:9], -v[6:7]
.LBB56_17:
	s_or_b64 exec, exec, s[4:5]
	scratch_store_dwordx4 v14, v[6:9], off
	scratch_load_dwordx4 v[2:5], off, s72
	v_xor_b32_e32 v13, 0x80000000, v9
	v_mov_b32_e32 v12, v8
	v_add_u32_e32 v1, 0x390, v30
	ds_write_b128 v30, v[10:13]
	s_waitcnt vmcnt(0)
	ds_write_b128 v30, v[2:5] offset:912
	s_waitcnt lgkmcnt(0)
	; wave barrier
	s_and_saveexec_b64 s[4:5], s[0:1]
	s_cbranch_execz .LBB56_19
; %bb.18:
	scratch_load_dwordx4 v[2:5], v14, off
	ds_read_b128 v[6:9], v1
	v_mov_b32_e32 v0, 0
	ds_read_b128 v[10:13], v0 offset:16
	s_waitcnt vmcnt(0) lgkmcnt(1)
	v_mul_f64 v[16:17], v[8:9], v[4:5]
	v_mul_f64 v[4:5], v[6:7], v[4:5]
	v_fma_f64 v[6:7], v[6:7], v[2:3], -v[16:17]
	v_fmac_f64_e32 v[4:5], v[8:9], v[2:3]
	v_add_f64 v[2:3], v[6:7], 0
	v_add_f64 v[6:7], v[4:5], 0
	s_waitcnt lgkmcnt(0)
	v_mul_f64 v[8:9], v[6:7], v[12:13]
	v_mul_f64 v[4:5], v[2:3], v[12:13]
	v_fma_f64 v[2:3], v[2:3], v[10:11], -v[8:9]
	v_fmac_f64_e32 v[4:5], v[6:7], v[10:11]
	scratch_store_dwordx4 off, v[2:5], off offset:32
.LBB56_19:
	s_or_b64 exec, exec, s[4:5]
	; wave barrier
	scratch_load_dwordx4 v[2:5], off, s71
	v_cmp_gt_u32_e32 vcc, 2, v240
	s_waitcnt vmcnt(0)
	ds_write_b128 v1, v[2:5]
	s_waitcnt lgkmcnt(0)
	; wave barrier
	s_and_saveexec_b64 s[4:5], vcc
	s_cbranch_execz .LBB56_23
; %bb.20:
	scratch_load_dwordx4 v[2:5], v14, off
	ds_read_b128 v[6:9], v1
	s_waitcnt vmcnt(0) lgkmcnt(0)
	v_mul_f64 v[10:11], v[8:9], v[4:5]
	v_mul_f64 v[12:13], v[6:7], v[4:5]
	v_fma_f64 v[4:5], v[6:7], v[2:3], -v[10:11]
	v_fmac_f64_e32 v[12:13], v[8:9], v[2:3]
	v_add_f64 v[4:5], v[4:5], 0
	v_add_f64 v[2:3], v[12:13], 0
	s_and_saveexec_b64 s[8:9], s[0:1]
	s_cbranch_execz .LBB56_22
; %bb.21:
	scratch_load_dwordx4 v[6:9], off, off offset:32
	v_mov_b32_e32 v0, 0
	ds_read_b128 v[10:13], v0 offset:928
	s_waitcnt vmcnt(0) lgkmcnt(0)
	v_mul_f64 v[14:15], v[10:11], v[8:9]
	v_mul_f64 v[8:9], v[12:13], v[8:9]
	v_fmac_f64_e32 v[14:15], v[12:13], v[6:7]
	v_fma_f64 v[6:7], v[10:11], v[6:7], -v[8:9]
	v_add_f64 v[2:3], v[2:3], v[14:15]
	v_add_f64 v[4:5], v[4:5], v[6:7]
.LBB56_22:
	s_or_b64 exec, exec, s[8:9]
	v_mov_b32_e32 v0, 0
	ds_read_b128 v[6:9], v0 offset:32
	s_waitcnt lgkmcnt(0)
	v_mul_f64 v[12:13], v[2:3], v[8:9]
	v_mul_f64 v[10:11], v[4:5], v[8:9]
	v_fma_f64 v[8:9], v[4:5], v[6:7], -v[12:13]
	v_fmac_f64_e32 v[10:11], v[2:3], v[6:7]
	scratch_store_dwordx4 off, v[8:11], off offset:48
.LBB56_23:
	s_or_b64 exec, exec, s[4:5]
	; wave barrier
	scratch_load_dwordx4 v[2:5], off, s70
	v_cmp_gt_u32_e32 vcc, 3, v240
	v_add_u32_e32 v6, -1, v240
	s_waitcnt vmcnt(0)
	ds_write_b128 v1, v[2:5]
	s_waitcnt lgkmcnt(0)
	; wave barrier
	s_and_saveexec_b64 s[0:1], vcc
	s_cbranch_execz .LBB56_27
; %bb.24:
	v_add_u32_e32 v7, -1, v240
	v_add_u32_e32 v8, 0x390, v30
	v_add_u32_e32 v9, 16, v30
	v_mov_b64_e32 v[2:3], 0
	s_mov_b64 s[4:5], 0
	v_mov_b64_e32 v[4:5], 0
.LBB56_25:                              ; =>This Inner Loop Header: Depth=1
	scratch_load_dwordx4 v[10:13], v9, off
	ds_read_b128 v[14:17], v8
	v_add_u32_e32 v7, 1, v7
	v_cmp_lt_u32_e32 vcc, 1, v7
	v_add_u32_e32 v8, 16, v8
	v_add_u32_e32 v9, 16, v9
	s_or_b64 s[4:5], vcc, s[4:5]
	s_waitcnt vmcnt(0) lgkmcnt(0)
	v_mul_f64 v[18:19], v[16:17], v[12:13]
	v_mul_f64 v[12:13], v[14:15], v[12:13]
	v_fma_f64 v[14:15], v[14:15], v[10:11], -v[18:19]
	v_fmac_f64_e32 v[12:13], v[16:17], v[10:11]
	v_add_f64 v[4:5], v[4:5], v[14:15]
	v_add_f64 v[2:3], v[2:3], v[12:13]
	s_andn2_b64 exec, exec, s[4:5]
	s_cbranch_execnz .LBB56_25
; %bb.26:
	s_or_b64 exec, exec, s[4:5]
	v_mov_b32_e32 v0, 0
	ds_read_b128 v[8:11], v0 offset:48
	s_waitcnt lgkmcnt(0)
	v_mul_f64 v[14:15], v[2:3], v[10:11]
	v_mul_f64 v[12:13], v[4:5], v[10:11]
	v_fma_f64 v[10:11], v[4:5], v[8:9], -v[14:15]
	v_fmac_f64_e32 v[12:13], v[2:3], v[8:9]
	scratch_store_dwordx4 off, v[10:13], off offset:64
.LBB56_27:
	s_or_b64 exec, exec, s[0:1]
	; wave barrier
	scratch_load_dwordx4 v[2:5], off, s41
	v_cmp_gt_u32_e32 vcc, 4, v240
	s_waitcnt vmcnt(0)
	ds_write_b128 v1, v[2:5]
	s_waitcnt lgkmcnt(0)
	; wave barrier
	s_and_saveexec_b64 s[0:1], vcc
	s_cbranch_execz .LBB56_31
; %bb.28:
	v_add_u32_e32 v7, -1, v240
	v_add_u32_e32 v8, 0x390, v30
	v_add_u32_e32 v9, 16, v30
	v_mov_b64_e32 v[2:3], 0
	s_mov_b64 s[4:5], 0
	v_mov_b64_e32 v[4:5], 0
.LBB56_29:                              ; =>This Inner Loop Header: Depth=1
	scratch_load_dwordx4 v[10:13], v9, off
	ds_read_b128 v[14:17], v8
	v_add_u32_e32 v7, 1, v7
	v_cmp_lt_u32_e32 vcc, 2, v7
	v_add_u32_e32 v8, 16, v8
	v_add_u32_e32 v9, 16, v9
	s_or_b64 s[4:5], vcc, s[4:5]
	s_waitcnt vmcnt(0) lgkmcnt(0)
	v_mul_f64 v[18:19], v[16:17], v[12:13]
	v_mul_f64 v[12:13], v[14:15], v[12:13]
	v_fma_f64 v[14:15], v[14:15], v[10:11], -v[18:19]
	v_fmac_f64_e32 v[12:13], v[16:17], v[10:11]
	v_add_f64 v[4:5], v[4:5], v[14:15]
	v_add_f64 v[2:3], v[2:3], v[12:13]
	s_andn2_b64 exec, exec, s[4:5]
	s_cbranch_execnz .LBB56_29
; %bb.30:
	s_or_b64 exec, exec, s[4:5]
	v_mov_b32_e32 v0, 0
	ds_read_b128 v[8:11], v0 offset:64
	s_waitcnt lgkmcnt(0)
	v_mul_f64 v[14:15], v[2:3], v[10:11]
	v_mul_f64 v[12:13], v[4:5], v[10:11]
	v_fma_f64 v[10:11], v[4:5], v[8:9], -v[14:15]
	v_fmac_f64_e32 v[12:13], v[2:3], v[8:9]
	scratch_store_dwordx4 off, v[10:13], off offset:80
.LBB56_31:
	s_or_b64 exec, exec, s[0:1]
	; wave barrier
	scratch_load_dwordx4 v[2:5], off, s42
	v_cmp_gt_u32_e32 vcc, 5, v240
	;; [unrolled: 45-line block ×19, first 2 shown]
	s_waitcnt vmcnt(0)
	ds_write_b128 v1, v[2:5]
	s_waitcnt lgkmcnt(0)
	; wave barrier
	s_and_saveexec_b64 s[0:1], vcc
	s_cbranch_execz .LBB56_103
; %bb.100:
	v_add_u32_e32 v7, -1, v240
	v_add_u32_e32 v8, 0x390, v30
	v_add_u32_e32 v9, 16, v30
	v_mov_b64_e32 v[2:3], 0
	s_mov_b64 s[4:5], 0
	v_mov_b64_e32 v[4:5], 0
.LBB56_101:                             ; =>This Inner Loop Header: Depth=1
	scratch_load_dwordx4 v[10:13], v9, off
	ds_read_b128 v[14:17], v8
	v_add_u32_e32 v7, 1, v7
	v_cmp_lt_u32_e32 vcc, 20, v7
	v_add_u32_e32 v8, 16, v8
	v_add_u32_e32 v9, 16, v9
	s_or_b64 s[4:5], vcc, s[4:5]
	s_waitcnt vmcnt(0) lgkmcnt(0)
	v_mul_f64 v[18:19], v[16:17], v[12:13]
	v_mul_f64 v[12:13], v[14:15], v[12:13]
	v_fma_f64 v[14:15], v[14:15], v[10:11], -v[18:19]
	v_fmac_f64_e32 v[12:13], v[16:17], v[10:11]
	v_add_f64 v[4:5], v[4:5], v[14:15]
	v_add_f64 v[2:3], v[2:3], v[12:13]
	s_andn2_b64 exec, exec, s[4:5]
	s_cbranch_execnz .LBB56_101
; %bb.102:
	s_or_b64 exec, exec, s[4:5]
	v_mov_b32_e32 v0, 0
	ds_read_b128 v[8:11], v0 offset:352
	s_waitcnt lgkmcnt(0)
	v_mul_f64 v[14:15], v[2:3], v[10:11]
	v_mul_f64 v[12:13], v[4:5], v[10:11]
	v_fma_f64 v[10:11], v[4:5], v[8:9], -v[14:15]
	v_fmac_f64_e32 v[12:13], v[2:3], v[8:9]
	scratch_store_dwordx4 off, v[10:13], off offset:368
.LBB56_103:
	s_or_b64 exec, exec, s[0:1]
	; wave barrier
	scratch_load_dwordx4 v[2:5], off, s60
	v_cmp_gt_u32_e32 vcc, 23, v240
	s_waitcnt vmcnt(0)
	ds_write_b128 v1, v[2:5]
	s_waitcnt lgkmcnt(0)
	; wave barrier
	s_and_saveexec_b64 s[0:1], vcc
	s_cbranch_execz .LBB56_107
; %bb.104:
	v_add_u32_e32 v7, -1, v240
	v_add_u32_e32 v8, 0x390, v30
	v_add_u32_e32 v9, 16, v30
	v_mov_b64_e32 v[2:3], 0
	s_mov_b64 s[4:5], 0
	v_mov_b64_e32 v[4:5], 0
.LBB56_105:                             ; =>This Inner Loop Header: Depth=1
	scratch_load_dwordx4 v[10:13], v9, off
	ds_read_b128 v[14:17], v8
	v_add_u32_e32 v7, 1, v7
	v_cmp_lt_u32_e32 vcc, 21, v7
	v_add_u32_e32 v8, 16, v8
	v_add_u32_e32 v9, 16, v9
	s_or_b64 s[4:5], vcc, s[4:5]
	s_waitcnt vmcnt(0) lgkmcnt(0)
	v_mul_f64 v[18:19], v[16:17], v[12:13]
	v_mul_f64 v[12:13], v[14:15], v[12:13]
	v_fma_f64 v[14:15], v[14:15], v[10:11], -v[18:19]
	v_fmac_f64_e32 v[12:13], v[16:17], v[10:11]
	v_add_f64 v[4:5], v[4:5], v[14:15]
	v_add_f64 v[2:3], v[2:3], v[12:13]
	s_andn2_b64 exec, exec, s[4:5]
	s_cbranch_execnz .LBB56_105
; %bb.106:
	s_or_b64 exec, exec, s[4:5]
	v_mov_b32_e32 v0, 0
	ds_read_b128 v[8:11], v0 offset:368
	s_waitcnt lgkmcnt(0)
	v_mul_f64 v[14:15], v[2:3], v[10:11]
	v_mul_f64 v[12:13], v[4:5], v[10:11]
	v_fma_f64 v[10:11], v[4:5], v[8:9], -v[14:15]
	v_fmac_f64_e32 v[12:13], v[2:3], v[8:9]
	scratch_store_dwordx4 off, v[10:13], off offset:384
.LBB56_107:
	s_or_b64 exec, exec, s[0:1]
	; wave barrier
	scratch_load_dwordx4 v[2:5], off, s61
	v_cmp_gt_u32_e32 vcc, 24, v240
	;; [unrolled: 45-line block ×33, first 2 shown]
	s_waitcnt vmcnt(0)
	ds_write_b128 v1, v[2:5]
	s_waitcnt lgkmcnt(0)
	; wave barrier
	s_and_saveexec_b64 s[0:1], vcc
	s_cbranch_execz .LBB56_235
; %bb.232:
	v_add_u32_e32 v7, -1, v240
	v_add_u32_e32 v8, 0x390, v30
	v_add_u32_e32 v9, 16, v30
	v_mov_b64_e32 v[2:3], 0
	s_mov_b64 s[4:5], 0
	v_mov_b64_e32 v[4:5], 0
.LBB56_233:                             ; =>This Inner Loop Header: Depth=1
	scratch_load_dwordx4 v[10:13], v9, off
	ds_read_b128 v[14:17], v8
	v_add_u32_e32 v7, 1, v7
	v_cmp_lt_u32_e32 vcc, 53, v7
	v_add_u32_e32 v8, 16, v8
	v_add_u32_e32 v9, 16, v9
	s_or_b64 s[4:5], vcc, s[4:5]
	s_waitcnt vmcnt(0) lgkmcnt(0)
	v_mul_f64 v[18:19], v[16:17], v[12:13]
	v_mul_f64 v[12:13], v[14:15], v[12:13]
	v_fma_f64 v[14:15], v[14:15], v[10:11], -v[18:19]
	v_fmac_f64_e32 v[12:13], v[16:17], v[10:11]
	v_add_f64 v[4:5], v[4:5], v[14:15]
	v_add_f64 v[2:3], v[2:3], v[12:13]
	s_andn2_b64 exec, exec, s[4:5]
	s_cbranch_execnz .LBB56_233
; %bb.234:
	s_or_b64 exec, exec, s[4:5]
	v_mov_b32_e32 v0, 0
	ds_read_b128 v[8:11], v0 offset:880
	s_waitcnt lgkmcnt(0)
	v_mul_f64 v[14:15], v[2:3], v[10:11]
	v_mul_f64 v[12:13], v[4:5], v[10:11]
	v_fma_f64 v[10:11], v[4:5], v[8:9], -v[14:15]
	v_fmac_f64_e32 v[12:13], v[2:3], v[8:9]
	scratch_store_dwordx4 off, v[10:13], off offset:896
.LBB56_235:
	s_or_b64 exec, exec, s[0:1]
	; wave barrier
	scratch_load_dwordx4 v[2:5], off, s13
	v_cmp_ne_u32_e32 vcc, 56, v240
	s_waitcnt vmcnt(0)
	ds_write_b128 v1, v[2:5]
	s_waitcnt lgkmcnt(0)
	; wave barrier
	s_and_saveexec_b64 s[0:1], vcc
	s_cbranch_execz .LBB56_239
; %bb.236:
	v_add_u32_e32 v1, 0x390, v30
	v_add_u32_e32 v7, 16, v30
	v_mov_b64_e32 v[2:3], 0
	s_mov_b64 s[4:5], 0
	v_mov_b64_e32 v[4:5], 0
.LBB56_237:                             ; =>This Inner Loop Header: Depth=1
	scratch_load_dwordx4 v[8:11], v7, off
	ds_read_b128 v[12:15], v1
	v_add_u32_e32 v6, 1, v6
	v_cmp_lt_u32_e32 vcc, 54, v6
	v_add_u32_e32 v1, 16, v1
	v_add_u32_e32 v7, 16, v7
	s_or_b64 s[4:5], vcc, s[4:5]
	s_waitcnt vmcnt(0) lgkmcnt(0)
	v_mul_f64 v[16:17], v[14:15], v[10:11]
	v_mul_f64 v[10:11], v[12:13], v[10:11]
	v_fma_f64 v[12:13], v[12:13], v[8:9], -v[16:17]
	v_fmac_f64_e32 v[10:11], v[14:15], v[8:9]
	v_add_f64 v[4:5], v[4:5], v[12:13]
	v_add_f64 v[2:3], v[2:3], v[10:11]
	s_andn2_b64 exec, exec, s[4:5]
	s_cbranch_execnz .LBB56_237
; %bb.238:
	s_or_b64 exec, exec, s[4:5]
	v_mov_b32_e32 v0, 0
	ds_read_b128 v[6:9], v0 offset:896
	s_waitcnt lgkmcnt(0)
	v_mul_f64 v[12:13], v[2:3], v[8:9]
	v_mul_f64 v[10:11], v[4:5], v[8:9]
	v_fma_f64 v[8:9], v[4:5], v[6:7], -v[12:13]
	v_fmac_f64_e32 v[10:11], v[2:3], v[6:7]
	scratch_store_dwordx4 off, v[8:11], off offset:912
.LBB56_239:
	s_or_b64 exec, exec, s[0:1]
	s_mov_b64 s[4:5], -1
	; wave barrier
.LBB56_240:
	s_and_b64 vcc, exec, s[4:5]
	s_cbranch_vccz .LBB56_242
; %bb.241:
	s_lshl_b64 s[0:1], s[2:3], 2
	s_add_u32 s0, s6, s0
	s_addc_u32 s1, s7, s1
	v_mov_b32_e32 v0, 0
	global_load_dword v0, v0, s[0:1]
	s_waitcnt vmcnt(0)
	v_cmp_ne_u32_e32 vcc, 0, v0
	s_cbranch_vccz .LBB56_243
.LBB56_242:
	s_endpgm
.LBB56_243:
	v_mov_b32_e32 v0, 0x390
	v_lshl_add_u32 v0, v240, 4, v0
	v_accvgpr_write_b32 a115, v0
	v_cmp_eq_u32_e32 vcc, 56, v240
	s_and_saveexec_b64 s[0:1], vcc
	s_cbranch_execz .LBB56_245
; %bb.244:
	scratch_load_dwordx4 v[2:5], off, s12
	v_mov_b32_e32 v6, 0
	v_mov_b32_e32 v7, v6
	;; [unrolled: 1-line block ×4, first 2 shown]
	v_accvgpr_read_b32 v0, a115
	scratch_store_dwordx4 off, v[6:9], off offset:896
	s_waitcnt vmcnt(1)
	ds_write_b128 v0, v[2:5]
.LBB56_245:
	s_or_b64 exec, exec, s[0:1]
	s_waitcnt lgkmcnt(0)
	; wave barrier
	scratch_load_dwordx4 v[4:7], off, off offset:912
	scratch_load_dwordx4 v[8:11], off, off offset:896
	v_mov_b32_e32 v2, 0
	ds_read_b128 v[12:15], v2 offset:1808
	v_cmp_lt_u32_e32 vcc, 54, v240
	s_waitcnt vmcnt(1) lgkmcnt(0)
	v_mul_f64 v[16:17], v[12:13], v[6:7]
	v_mul_f64 v[6:7], v[14:15], v[6:7]
	v_fmac_f64_e32 v[16:17], v[14:15], v[4:5]
	v_fma_f64 v[4:5], v[12:13], v[4:5], -v[6:7]
	v_add_f64 v[6:7], v[16:17], 0
	v_add_f64 v[4:5], v[4:5], 0
	s_waitcnt vmcnt(0)
	v_add_f64 v[4:5], v[8:9], -v[4:5]
	v_add_f64 v[6:7], v[10:11], -v[6:7]
	scratch_store_dwordx4 off, v[4:7], off offset:896
	s_and_saveexec_b64 s[0:1], vcc
	s_cbranch_execz .LBB56_247
; %bb.246:
	scratch_load_dwordx4 v[6:9], off, s15
	v_mov_b32_e32 v3, v2
	v_mov_b32_e32 v4, v2
	;; [unrolled: 1-line block ×3, first 2 shown]
	v_accvgpr_read_b32 v0, a115
	scratch_store_dwordx4 off, v[2:5], off offset:880
	s_waitcnt vmcnt(1)
	ds_write_b128 v0, v[6:9]
.LBB56_247:
	s_or_b64 exec, exec, s[0:1]
	s_waitcnt lgkmcnt(0)
	; wave barrier
	scratch_load_dwordx4 v[4:7], off, off offset:896
	scratch_load_dwordx4 v[8:11], off, off offset:912
	scratch_load_dwordx4 v[12:15], off, off offset:880
	ds_read_b128 v[16:19], v2 offset:1792
	ds_read_b128 v[20:23], v2 offset:1808
	v_cmp_lt_u32_e32 vcc, 53, v240
	s_waitcnt vmcnt(2) lgkmcnt(1)
	v_mul_f64 v[2:3], v[16:17], v[6:7]
	v_mul_f64 v[6:7], v[18:19], v[6:7]
	s_waitcnt vmcnt(1) lgkmcnt(0)
	v_mul_f64 v[24:25], v[20:21], v[10:11]
	v_mul_f64 v[10:11], v[22:23], v[10:11]
	v_fmac_f64_e32 v[2:3], v[18:19], v[4:5]
	v_fma_f64 v[4:5], v[16:17], v[4:5], -v[6:7]
	v_fmac_f64_e32 v[24:25], v[22:23], v[8:9]
	v_fma_f64 v[6:7], v[20:21], v[8:9], -v[10:11]
	v_add_f64 v[2:3], v[2:3], 0
	v_add_f64 v[4:5], v[4:5], 0
	;; [unrolled: 1-line block ×4, first 2 shown]
	s_waitcnt vmcnt(0)
	v_add_f64 v[2:3], v[12:13], -v[2:3]
	v_add_f64 v[4:5], v[14:15], -v[8:9]
	scratch_store_dwordx4 off, v[2:5], off offset:880
	s_and_saveexec_b64 s[0:1], vcc
	s_cbranch_execz .LBB56_249
; %bb.248:
	scratch_load_dwordx4 v[2:5], off, s14
	v_mov_b32_e32 v6, 0
	v_mov_b32_e32 v7, v6
	;; [unrolled: 1-line block ×4, first 2 shown]
	v_accvgpr_read_b32 v0, a115
	scratch_store_dwordx4 off, v[6:9], off offset:864
	s_waitcnt vmcnt(1)
	ds_write_b128 v0, v[2:5]
.LBB56_249:
	s_or_b64 exec, exec, s[0:1]
	s_waitcnt lgkmcnt(0)
	; wave barrier
	scratch_load_dwordx4 v[4:7], off, off offset:880
	scratch_load_dwordx4 v[8:11], off, off offset:896
	scratch_load_dwordx4 v[12:15], off, off offset:912
	scratch_load_dwordx4 v[16:19], off, off offset:864
	v_mov_b32_e32 v2, 0
	ds_read_b128 v[20:23], v2 offset:1776
	ds_read_b128 v[24:27], v2 offset:1792
	;; [unrolled: 1-line block ×3, first 2 shown]
	v_cmp_lt_u32_e32 vcc, 52, v240
	s_waitcnt vmcnt(3) lgkmcnt(2)
	v_mul_f64 v[32:33], v[20:21], v[6:7]
	v_mul_f64 v[6:7], v[22:23], v[6:7]
	s_waitcnt vmcnt(2) lgkmcnt(1)
	v_mul_f64 v[34:35], v[24:25], v[10:11]
	v_mul_f64 v[10:11], v[26:27], v[10:11]
	v_fmac_f64_e32 v[32:33], v[22:23], v[4:5]
	v_fma_f64 v[4:5], v[20:21], v[4:5], -v[6:7]
	s_waitcnt vmcnt(1) lgkmcnt(0)
	v_mul_f64 v[36:37], v[28:29], v[14:15]
	v_mul_f64 v[14:15], v[30:31], v[14:15]
	v_fmac_f64_e32 v[34:35], v[26:27], v[8:9]
	v_fma_f64 v[6:7], v[24:25], v[8:9], -v[10:11]
	v_add_f64 v[10:11], v[32:33], 0
	v_add_f64 v[4:5], v[4:5], 0
	v_fmac_f64_e32 v[36:37], v[30:31], v[12:13]
	v_fma_f64 v[8:9], v[28:29], v[12:13], -v[14:15]
	v_add_f64 v[10:11], v[10:11], v[34:35]
	v_add_f64 v[4:5], v[4:5], v[6:7]
	;; [unrolled: 1-line block ×4, first 2 shown]
	s_waitcnt vmcnt(0)
	v_add_f64 v[4:5], v[16:17], -v[4:5]
	v_add_f64 v[6:7], v[18:19], -v[6:7]
	scratch_store_dwordx4 off, v[4:7], off offset:864
	s_and_saveexec_b64 s[0:1], vcc
	s_cbranch_execz .LBB56_251
; %bb.250:
	scratch_load_dwordx4 v[6:9], off, s21
	v_mov_b32_e32 v3, v2
	v_mov_b32_e32 v4, v2
	;; [unrolled: 1-line block ×3, first 2 shown]
	v_accvgpr_read_b32 v0, a115
	scratch_store_dwordx4 off, v[2:5], off offset:848
	s_waitcnt vmcnt(1)
	ds_write_b128 v0, v[6:9]
.LBB56_251:
	s_or_b64 exec, exec, s[0:1]
	s_waitcnt lgkmcnt(0)
	; wave barrier
	scratch_load_dwordx4 v[4:7], off, off offset:864
	scratch_load_dwordx4 v[8:11], off, off offset:880
	;; [unrolled: 1-line block ×5, first 2 shown]
	ds_read_b128 v[24:27], v2 offset:1760
	ds_read_b128 v[28:31], v2 offset:1776
	;; [unrolled: 1-line block ×4, first 2 shown]
	v_cmp_lt_u32_e32 vcc, 51, v240
	s_waitcnt vmcnt(4) lgkmcnt(3)
	v_mul_f64 v[2:3], v[24:25], v[6:7]
	v_mul_f64 v[6:7], v[26:27], v[6:7]
	s_waitcnt vmcnt(3) lgkmcnt(2)
	v_mul_f64 v[40:41], v[28:29], v[10:11]
	v_mul_f64 v[10:11], v[30:31], v[10:11]
	v_fmac_f64_e32 v[2:3], v[26:27], v[4:5]
	v_fma_f64 v[4:5], v[24:25], v[4:5], -v[6:7]
	s_waitcnt vmcnt(2) lgkmcnt(1)
	v_mul_f64 v[42:43], v[32:33], v[14:15]
	v_mul_f64 v[14:15], v[34:35], v[14:15]
	v_fmac_f64_e32 v[40:41], v[30:31], v[8:9]
	v_fma_f64 v[6:7], v[28:29], v[8:9], -v[10:11]
	v_add_f64 v[2:3], v[2:3], 0
	v_add_f64 v[4:5], v[4:5], 0
	s_waitcnt vmcnt(1) lgkmcnt(0)
	v_mul_f64 v[44:45], v[36:37], v[18:19]
	v_mul_f64 v[18:19], v[38:39], v[18:19]
	v_fmac_f64_e32 v[42:43], v[34:35], v[12:13]
	v_fma_f64 v[8:9], v[32:33], v[12:13], -v[14:15]
	v_add_f64 v[2:3], v[2:3], v[40:41]
	v_add_f64 v[4:5], v[4:5], v[6:7]
	v_fmac_f64_e32 v[44:45], v[38:39], v[16:17]
	v_fma_f64 v[10:11], v[36:37], v[16:17], -v[18:19]
	v_add_f64 v[2:3], v[2:3], v[42:43]
	v_add_f64 v[4:5], v[4:5], v[8:9]
	v_add_f64 v[6:7], v[2:3], v[44:45]
	v_add_f64 v[2:3], v[4:5], v[10:11]
	s_waitcnt vmcnt(0)
	v_add_f64 v[2:3], v[20:21], -v[2:3]
	v_add_f64 v[4:5], v[22:23], -v[6:7]
	scratch_store_dwordx4 off, v[2:5], off offset:848
	s_and_saveexec_b64 s[0:1], vcc
	s_cbranch_execz .LBB56_253
; %bb.252:
	scratch_load_dwordx4 v[2:5], off, s20
	v_mov_b32_e32 v6, 0
	v_mov_b32_e32 v7, v6
	;; [unrolled: 1-line block ×4, first 2 shown]
	v_accvgpr_read_b32 v0, a115
	scratch_store_dwordx4 off, v[6:9], off offset:832
	s_waitcnt vmcnt(1)
	ds_write_b128 v0, v[2:5]
.LBB56_253:
	s_or_b64 exec, exec, s[0:1]
	v_mov_b32_e32 v2, 0
	s_waitcnt lgkmcnt(0)
	; wave barrier
	ds_read_b128 v[4:7], v2 offset:1744
	ds_read_b128 v[8:11], v2 offset:1760
	;; [unrolled: 1-line block ×4, first 2 shown]
	scratch_load_dwordx4 v[20:23], off, off offset:848
	scratch_load_dwordx4 v[40:43], off, off offset:912
	v_cmp_lt_u32_e32 vcc, 50, v240
	s_waitcnt vmcnt(1) lgkmcnt(3)
	v_mul_f64 v[24:25], v[4:5], v[22:23]
	v_fmac_f64_e32 v[24:25], v[6:7], v[20:21]
	v_add_f64 v[28:29], v[24:25], 0
	scratch_load_dwordx4 v[24:27], off, off offset:864
	v_mul_f64 v[6:7], v[6:7], v[22:23]
	v_fma_f64 v[4:5], v[4:5], v[20:21], -v[6:7]
	v_add_f64 v[4:5], v[4:5], 0
	s_waitcnt vmcnt(0) lgkmcnt(2)
	v_mul_f64 v[30:31], v[8:9], v[26:27]
	v_fmac_f64_e32 v[30:31], v[10:11], v[24:25]
	v_add_f64 v[32:33], v[28:29], v[30:31]
	scratch_load_dwordx4 v[28:31], off, off offset:880
	v_mul_f64 v[6:7], v[10:11], v[26:27]
	v_fma_f64 v[6:7], v[8:9], v[24:25], -v[6:7]
	v_add_f64 v[4:5], v[4:5], v[6:7]
	;; [unrolled: 8-line block ×3, first 2 shown]
	s_waitcnt vmcnt(0) lgkmcnt(0)
	v_mul_f64 v[38:39], v[16:17], v[34:35]
	v_fmac_f64_e32 v[38:39], v[18:19], v[32:33]
	v_add_f64 v[44:45], v[36:37], v[38:39]
	ds_read_b128 v[36:39], v2 offset:1808
	v_mul_f64 v[6:7], v[18:19], v[34:35]
	v_fma_f64 v[6:7], v[16:17], v[32:33], -v[6:7]
	v_add_f64 v[4:5], v[4:5], v[6:7]
	s_waitcnt lgkmcnt(0)
	v_mul_f64 v[6:7], v[38:39], v[42:43]
	v_fma_f64 v[6:7], v[36:37], v[40:41], -v[6:7]
	v_add_f64 v[8:9], v[4:5], v[6:7]
	scratch_load_dwordx4 v[4:7], off, off offset:832
	v_mul_f64 v[46:47], v[36:37], v[42:43]
	v_fmac_f64_e32 v[46:47], v[38:39], v[40:41]
	v_add_f64 v[44:45], v[44:45], v[46:47]
	s_waitcnt vmcnt(0)
	v_add_f64 v[4:5], v[4:5], -v[8:9]
	v_add_f64 v[6:7], v[6:7], -v[44:45]
	scratch_store_dwordx4 off, v[4:7], off offset:832
	s_and_saveexec_b64 s[0:1], vcc
	s_cbranch_execz .LBB56_255
; %bb.254:
	scratch_load_dwordx4 v[6:9], off, s23
	v_mov_b32_e32 v3, v2
	v_mov_b32_e32 v4, v2
	;; [unrolled: 1-line block ×3, first 2 shown]
	v_accvgpr_read_b32 v0, a115
	scratch_store_dwordx4 off, v[2:5], off offset:816
	s_waitcnt vmcnt(1)
	ds_write_b128 v0, v[6:9]
.LBB56_255:
	s_or_b64 exec, exec, s[0:1]
	s_waitcnt lgkmcnt(0)
	; wave barrier
	scratch_load_dwordx4 v[4:7], off, off offset:832
	scratch_load_dwordx4 v[8:11], off, off offset:848
	;; [unrolled: 1-line block ×7, first 2 shown]
	ds_read_b128 v[32:35], v2 offset:1728
	ds_read_b128 v[36:39], v2 offset:1744
	;; [unrolled: 1-line block ×6, first 2 shown]
	v_cmp_lt_u32_e32 vcc, 49, v240
	s_waitcnt vmcnt(6) lgkmcnt(5)
	v_mul_f64 v[2:3], v[32:33], v[6:7]
	v_mul_f64 v[6:7], v[34:35], v[6:7]
	s_waitcnt vmcnt(5) lgkmcnt(4)
	v_mul_f64 v[56:57], v[36:37], v[10:11]
	v_mul_f64 v[10:11], v[38:39], v[10:11]
	v_fmac_f64_e32 v[2:3], v[34:35], v[4:5]
	v_fma_f64 v[4:5], v[32:33], v[4:5], -v[6:7]
	s_waitcnt vmcnt(4) lgkmcnt(3)
	v_mul_f64 v[58:59], v[40:41], v[14:15]
	v_mul_f64 v[14:15], v[42:43], v[14:15]
	v_fmac_f64_e32 v[56:57], v[38:39], v[8:9]
	v_fma_f64 v[6:7], v[36:37], v[8:9], -v[10:11]
	v_add_f64 v[2:3], v[2:3], 0
	v_add_f64 v[4:5], v[4:5], 0
	s_waitcnt vmcnt(3) lgkmcnt(2)
	v_mul_f64 v[60:61], v[44:45], v[18:19]
	v_mul_f64 v[18:19], v[46:47], v[18:19]
	v_fmac_f64_e32 v[58:59], v[42:43], v[12:13]
	v_fma_f64 v[8:9], v[40:41], v[12:13], -v[14:15]
	v_add_f64 v[2:3], v[2:3], v[56:57]
	v_add_f64 v[4:5], v[4:5], v[6:7]
	;; [unrolled: 7-line block ×4, first 2 shown]
	v_fmac_f64_e32 v[64:65], v[54:55], v[24:25]
	v_fma_f64 v[14:15], v[52:53], v[24:25], -v[26:27]
	v_add_f64 v[2:3], v[2:3], v[62:63]
	v_add_f64 v[4:5], v[4:5], v[12:13]
	;; [unrolled: 1-line block ×4, first 2 shown]
	s_waitcnt vmcnt(0)
	v_add_f64 v[2:3], v[28:29], -v[2:3]
	v_add_f64 v[4:5], v[30:31], -v[6:7]
	scratch_store_dwordx4 off, v[2:5], off offset:816
	s_and_saveexec_b64 s[0:1], vcc
	s_cbranch_execz .LBB56_257
; %bb.256:
	scratch_load_dwordx4 v[2:5], off, s22
	v_mov_b32_e32 v6, 0
	v_mov_b32_e32 v7, v6
	;; [unrolled: 1-line block ×4, first 2 shown]
	v_accvgpr_read_b32 v0, a115
	scratch_store_dwordx4 off, v[6:9], off offset:800
	s_waitcnt vmcnt(1)
	ds_write_b128 v0, v[2:5]
.LBB56_257:
	s_or_b64 exec, exec, s[0:1]
	s_waitcnt lgkmcnt(0)
	; wave barrier
	scratch_load_dwordx4 v[4:7], off, off offset:816
	scratch_load_dwordx4 v[8:11], off, off offset:832
	;; [unrolled: 1-line block ×8, first 2 shown]
	v_mov_b32_e32 v2, 0
	ds_read_b128 v[36:39], v2 offset:1712
	ds_read_b128 v[40:43], v2 offset:1728
	;; [unrolled: 1-line block ×7, first 2 shown]
	v_cmp_lt_u32_e32 vcc, 48, v240
	s_waitcnt vmcnt(7) lgkmcnt(6)
	v_mul_f64 v[64:65], v[36:37], v[6:7]
	v_mul_f64 v[6:7], v[38:39], v[6:7]
	s_waitcnt vmcnt(6) lgkmcnt(5)
	v_mul_f64 v[66:67], v[40:41], v[10:11]
	s_waitcnt vmcnt(4) lgkmcnt(3)
	v_mul_f64 v[70:71], v[48:49], v[18:19]
	v_mul_f64 v[10:11], v[42:43], v[10:11]
	;; [unrolled: 1-line block ×3, first 2 shown]
	v_fmac_f64_e32 v[64:65], v[38:39], v[4:5]
	v_fma_f64 v[4:5], v[36:37], v[4:5], -v[6:7]
	v_mul_f64 v[68:69], v[44:45], v[14:15]
	v_mul_f64 v[14:15], v[46:47], v[14:15]
	v_fmac_f64_e32 v[66:67], v[42:43], v[8:9]
	v_fma_f64 v[6:7], v[40:41], v[8:9], -v[10:11]
	v_fma_f64 v[10:11], v[48:49], v[16:17], -v[18:19]
	v_add_f64 v[18:19], v[64:65], 0
	v_add_f64 v[4:5], v[4:5], 0
	v_fmac_f64_e32 v[68:69], v[46:47], v[12:13]
	v_fma_f64 v[8:9], v[44:45], v[12:13], -v[14:15]
	v_add_f64 v[18:19], v[18:19], v[66:67]
	v_add_f64 v[4:5], v[4:5], v[6:7]
	s_waitcnt vmcnt(3) lgkmcnt(2)
	v_mul_f64 v[72:73], v[52:53], v[22:23]
	v_mul_f64 v[22:23], v[54:55], v[22:23]
	v_fmac_f64_e32 v[70:71], v[50:51], v[16:17]
	v_add_f64 v[6:7], v[18:19], v[68:69]
	v_add_f64 v[4:5], v[4:5], v[8:9]
	s_waitcnt vmcnt(2) lgkmcnt(1)
	v_mul_f64 v[74:75], v[56:57], v[26:27]
	v_mul_f64 v[26:27], v[58:59], v[26:27]
	v_fmac_f64_e32 v[72:73], v[54:55], v[20:21]
	v_fma_f64 v[12:13], v[52:53], v[20:21], -v[22:23]
	v_add_f64 v[6:7], v[6:7], v[70:71]
	v_add_f64 v[4:5], v[4:5], v[10:11]
	s_waitcnt vmcnt(1) lgkmcnt(0)
	v_mul_f64 v[76:77], v[60:61], v[30:31]
	v_mul_f64 v[30:31], v[62:63], v[30:31]
	v_fmac_f64_e32 v[74:75], v[58:59], v[24:25]
	v_fma_f64 v[14:15], v[56:57], v[24:25], -v[26:27]
	v_add_f64 v[6:7], v[6:7], v[72:73]
	v_add_f64 v[4:5], v[4:5], v[12:13]
	v_fmac_f64_e32 v[76:77], v[62:63], v[28:29]
	v_fma_f64 v[16:17], v[60:61], v[28:29], -v[30:31]
	v_add_f64 v[6:7], v[6:7], v[74:75]
	v_add_f64 v[4:5], v[4:5], v[14:15]
	;; [unrolled: 1-line block ×4, first 2 shown]
	s_waitcnt vmcnt(0)
	v_add_f64 v[4:5], v[32:33], -v[4:5]
	v_add_f64 v[6:7], v[34:35], -v[6:7]
	scratch_store_dwordx4 off, v[4:7], off offset:800
	s_and_saveexec_b64 s[0:1], vcc
	s_cbranch_execz .LBB56_259
; %bb.258:
	scratch_load_dwordx4 v[6:9], off, s25
	v_mov_b32_e32 v3, v2
	v_mov_b32_e32 v4, v2
	;; [unrolled: 1-line block ×3, first 2 shown]
	v_accvgpr_read_b32 v0, a115
	scratch_store_dwordx4 off, v[2:5], off offset:784
	s_waitcnt vmcnt(1)
	ds_write_b128 v0, v[6:9]
.LBB56_259:
	s_or_b64 exec, exec, s[0:1]
	s_waitcnt lgkmcnt(0)
	; wave barrier
	scratch_load_dwordx4 v[4:7], off, off offset:800
	scratch_load_dwordx4 v[8:11], off, off offset:816
	;; [unrolled: 1-line block ×9, first 2 shown]
	ds_read_b128 v[40:43], v2 offset:1696
	ds_read_b128 v[44:47], v2 offset:1712
	ds_read_b128 v[48:51], v2 offset:1728
	ds_read_b128 v[52:55], v2 offset:1744
	ds_read_b128 v[56:59], v2 offset:1760
	ds_read_b128 v[60:63], v2 offset:1776
	ds_read_b128 v[64:67], v2 offset:1792
	ds_read_b128 v[68:71], v2 offset:1808
	v_cmp_lt_u32_e32 vcc, 47, v240
	s_waitcnt vmcnt(8) lgkmcnt(7)
	v_mul_f64 v[2:3], v[40:41], v[6:7]
	v_mul_f64 v[6:7], v[42:43], v[6:7]
	s_waitcnt vmcnt(7) lgkmcnt(6)
	v_mul_f64 v[72:73], v[44:45], v[10:11]
	v_mul_f64 v[10:11], v[46:47], v[10:11]
	v_fmac_f64_e32 v[2:3], v[42:43], v[4:5]
	v_fma_f64 v[4:5], v[40:41], v[4:5], -v[6:7]
	s_waitcnt vmcnt(6) lgkmcnt(5)
	v_mul_f64 v[74:75], v[48:49], v[14:15]
	v_mul_f64 v[14:15], v[50:51], v[14:15]
	v_fmac_f64_e32 v[72:73], v[46:47], v[8:9]
	v_fma_f64 v[6:7], v[44:45], v[8:9], -v[10:11]
	v_add_f64 v[2:3], v[2:3], 0
	v_add_f64 v[4:5], v[4:5], 0
	s_waitcnt vmcnt(5) lgkmcnt(4)
	v_mul_f64 v[76:77], v[52:53], v[18:19]
	v_mul_f64 v[18:19], v[54:55], v[18:19]
	v_fmac_f64_e32 v[74:75], v[50:51], v[12:13]
	v_fma_f64 v[8:9], v[48:49], v[12:13], -v[14:15]
	v_add_f64 v[2:3], v[2:3], v[72:73]
	v_add_f64 v[4:5], v[4:5], v[6:7]
	;; [unrolled: 7-line block ×6, first 2 shown]
	v_fmac_f64_e32 v[84:85], v[70:71], v[32:33]
	v_fma_f64 v[18:19], v[68:69], v[32:33], -v[34:35]
	v_add_f64 v[2:3], v[2:3], v[82:83]
	v_add_f64 v[4:5], v[4:5], v[16:17]
	;; [unrolled: 1-line block ×4, first 2 shown]
	s_waitcnt vmcnt(0)
	v_add_f64 v[2:3], v[36:37], -v[2:3]
	v_add_f64 v[4:5], v[38:39], -v[6:7]
	scratch_store_dwordx4 off, v[2:5], off offset:784
	s_and_saveexec_b64 s[0:1], vcc
	s_cbranch_execz .LBB56_261
; %bb.260:
	scratch_load_dwordx4 v[2:5], off, s24
	v_mov_b32_e32 v6, 0
	v_mov_b32_e32 v7, v6
	;; [unrolled: 1-line block ×4, first 2 shown]
	v_accvgpr_read_b32 v0, a115
	scratch_store_dwordx4 off, v[6:9], off offset:768
	s_waitcnt vmcnt(1)
	ds_write_b128 v0, v[2:5]
.LBB56_261:
	s_or_b64 exec, exec, s[0:1]
	s_waitcnt lgkmcnt(0)
	; wave barrier
	scratch_load_dwordx4 v[4:7], off, off offset:784
	scratch_load_dwordx4 v[8:11], off, off offset:800
	;; [unrolled: 1-line block ×10, first 2 shown]
	v_mov_b32_e32 v2, 0
	ds_read_b128 v[44:47], v2 offset:1680
	ds_read_b128 v[48:51], v2 offset:1696
	ds_read_b128 v[52:55], v2 offset:1712
	ds_read_b128 v[56:59], v2 offset:1728
	ds_read_b128 v[60:63], v2 offset:1744
	ds_read_b128 v[64:67], v2 offset:1760
	ds_read_b128 v[68:71], v2 offset:1776
	ds_read_b128 v[72:75], v2 offset:1792
	ds_read_b128 v[76:79], v2 offset:1808
	v_cmp_lt_u32_e32 vcc, 46, v240
	s_waitcnt vmcnt(9) lgkmcnt(8)
	v_mul_f64 v[80:81], v[44:45], v[6:7]
	v_mul_f64 v[6:7], v[46:47], v[6:7]
	s_waitcnt vmcnt(8) lgkmcnt(7)
	v_mul_f64 v[82:83], v[48:49], v[10:11]
	s_waitcnt vmcnt(7) lgkmcnt(6)
	;; [unrolled: 2-line block ×3, first 2 shown]
	v_mul_f64 v[88:89], v[60:61], v[22:23]
	v_mul_f64 v[10:11], v[50:51], v[10:11]
	;; [unrolled: 1-line block ×4, first 2 shown]
	v_fmac_f64_e32 v[80:81], v[46:47], v[4:5]
	v_fma_f64 v[4:5], v[44:45], v[4:5], -v[6:7]
	v_fmac_f64_e32 v[82:83], v[50:51], v[8:9]
	v_fmac_f64_e32 v[84:85], v[54:55], v[12:13]
	v_fma_f64 v[6:7], v[48:49], v[8:9], -v[10:11]
	v_fma_f64 v[8:9], v[52:53], v[12:13], -v[14:15]
	;; [unrolled: 1-line block ×3, first 2 shown]
	v_add_f64 v[22:23], v[80:81], 0
	v_add_f64 v[4:5], v[4:5], 0
	v_mul_f64 v[86:87], v[56:57], v[18:19]
	v_mul_f64 v[18:19], v[58:59], v[18:19]
	v_add_f64 v[22:23], v[22:23], v[82:83]
	v_add_f64 v[4:5], v[4:5], v[6:7]
	v_fmac_f64_e32 v[86:87], v[58:59], v[16:17]
	v_fma_f64 v[10:11], v[56:57], v[16:17], -v[18:19]
	v_add_f64 v[6:7], v[22:23], v[84:85]
	v_add_f64 v[4:5], v[4:5], v[8:9]
	s_waitcnt vmcnt(4) lgkmcnt(3)
	v_mul_f64 v[90:91], v[64:65], v[26:27]
	v_mul_f64 v[26:27], v[66:67], v[26:27]
	v_fmac_f64_e32 v[88:89], v[62:63], v[20:21]
	v_add_f64 v[6:7], v[6:7], v[86:87]
	v_add_f64 v[4:5], v[4:5], v[10:11]
	s_waitcnt vmcnt(3) lgkmcnt(2)
	v_mul_f64 v[92:93], v[68:69], v[30:31]
	v_mul_f64 v[30:31], v[70:71], v[30:31]
	v_fmac_f64_e32 v[90:91], v[66:67], v[24:25]
	v_fma_f64 v[14:15], v[64:65], v[24:25], -v[26:27]
	v_add_f64 v[6:7], v[6:7], v[88:89]
	v_add_f64 v[4:5], v[4:5], v[12:13]
	s_waitcnt vmcnt(2) lgkmcnt(1)
	v_mul_f64 v[94:95], v[72:73], v[34:35]
	v_mul_f64 v[34:35], v[74:75], v[34:35]
	v_fmac_f64_e32 v[92:93], v[70:71], v[28:29]
	v_fma_f64 v[16:17], v[68:69], v[28:29], -v[30:31]
	;; [unrolled: 7-line block ×3, first 2 shown]
	v_add_f64 v[6:7], v[6:7], v[92:93]
	v_add_f64 v[4:5], v[4:5], v[16:17]
	v_fmac_f64_e32 v[96:97], v[78:79], v[36:37]
	v_fma_f64 v[20:21], v[76:77], v[36:37], -v[38:39]
	v_add_f64 v[6:7], v[6:7], v[94:95]
	v_add_f64 v[4:5], v[4:5], v[18:19]
	;; [unrolled: 1-line block ×4, first 2 shown]
	s_waitcnt vmcnt(0)
	v_add_f64 v[4:5], v[40:41], -v[4:5]
	v_add_f64 v[6:7], v[42:43], -v[6:7]
	scratch_store_dwordx4 off, v[4:7], off offset:768
	s_and_saveexec_b64 s[0:1], vcc
	s_cbranch_execz .LBB56_263
; %bb.262:
	scratch_load_dwordx4 v[6:9], off, s27
	v_mov_b32_e32 v3, v2
	v_mov_b32_e32 v4, v2
	;; [unrolled: 1-line block ×3, first 2 shown]
	v_accvgpr_read_b32 v0, a115
	scratch_store_dwordx4 off, v[2:5], off offset:752
	s_waitcnt vmcnt(1)
	ds_write_b128 v0, v[6:9]
.LBB56_263:
	s_or_b64 exec, exec, s[0:1]
	s_waitcnt lgkmcnt(0)
	; wave barrier
	scratch_load_dwordx4 v[4:7], off, off offset:768
	scratch_load_dwordx4 v[8:11], off, off offset:784
	;; [unrolled: 1-line block ×11, first 2 shown]
	ds_read_b128 v[48:51], v2 offset:1664
	ds_read_b128 v[52:55], v2 offset:1680
	;; [unrolled: 1-line block ×10, first 2 shown]
	v_cmp_lt_u32_e32 vcc, 45, v240
	s_waitcnt vmcnt(10) lgkmcnt(9)
	v_mul_f64 v[2:3], v[48:49], v[6:7]
	v_mul_f64 v[6:7], v[50:51], v[6:7]
	s_waitcnt vmcnt(9) lgkmcnt(8)
	v_mul_f64 v[88:89], v[52:53], v[10:11]
	v_mul_f64 v[10:11], v[54:55], v[10:11]
	v_fmac_f64_e32 v[2:3], v[50:51], v[4:5]
	v_fma_f64 v[4:5], v[48:49], v[4:5], -v[6:7]
	s_waitcnt vmcnt(8) lgkmcnt(7)
	v_mul_f64 v[90:91], v[56:57], v[14:15]
	v_mul_f64 v[14:15], v[58:59], v[14:15]
	v_fmac_f64_e32 v[88:89], v[54:55], v[8:9]
	v_fma_f64 v[6:7], v[52:53], v[8:9], -v[10:11]
	v_add_f64 v[2:3], v[2:3], 0
	v_add_f64 v[4:5], v[4:5], 0
	s_waitcnt vmcnt(7) lgkmcnt(6)
	v_mul_f64 v[92:93], v[60:61], v[18:19]
	v_mul_f64 v[18:19], v[62:63], v[18:19]
	v_fmac_f64_e32 v[90:91], v[58:59], v[12:13]
	v_fma_f64 v[8:9], v[56:57], v[12:13], -v[14:15]
	v_add_f64 v[2:3], v[2:3], v[88:89]
	v_add_f64 v[4:5], v[4:5], v[6:7]
	;; [unrolled: 7-line block ×8, first 2 shown]
	v_fmac_f64_e32 v[104:105], v[86:87], v[40:41]
	v_fma_f64 v[22:23], v[84:85], v[40:41], -v[42:43]
	v_add_f64 v[2:3], v[2:3], v[102:103]
	v_add_f64 v[4:5], v[4:5], v[20:21]
	v_add_f64 v[6:7], v[2:3], v[104:105]
	v_add_f64 v[2:3], v[4:5], v[22:23]
	s_waitcnt vmcnt(0)
	v_add_f64 v[2:3], v[44:45], -v[2:3]
	v_add_f64 v[4:5], v[46:47], -v[6:7]
	scratch_store_dwordx4 off, v[2:5], off offset:752
	s_and_saveexec_b64 s[0:1], vcc
	s_cbranch_execz .LBB56_265
; %bb.264:
	scratch_load_dwordx4 v[2:5], off, s26
	v_mov_b32_e32 v6, 0
	v_mov_b32_e32 v7, v6
	;; [unrolled: 1-line block ×4, first 2 shown]
	v_accvgpr_read_b32 v0, a115
	scratch_store_dwordx4 off, v[6:9], off offset:736
	s_waitcnt vmcnt(1)
	ds_write_b128 v0, v[2:5]
.LBB56_265:
	s_or_b64 exec, exec, s[0:1]
	s_waitcnt lgkmcnt(0)
	; wave barrier
	scratch_load_dwordx4 v[4:7], off, off offset:752
	scratch_load_dwordx4 v[8:11], off, off offset:768
	scratch_load_dwordx4 v[12:15], off, off offset:784
	scratch_load_dwordx4 v[16:19], off, off offset:800
	scratch_load_dwordx4 v[20:23], off, off offset:816
	scratch_load_dwordx4 v[24:27], off, off offset:832
	scratch_load_dwordx4 v[28:31], off, off offset:848
	scratch_load_dwordx4 v[32:35], off, off offset:864
	scratch_load_dwordx4 v[36:39], off, off offset:880
	scratch_load_dwordx4 v[40:43], off, off offset:896
	scratch_load_dwordx4 v[44:47], off, off offset:912
	scratch_load_dwordx4 v[48:51], off, off offset:736
	v_mov_b32_e32 v2, 0
	ds_read_b128 v[52:55], v2 offset:1648
	ds_read_b128 v[56:59], v2 offset:1664
	;; [unrolled: 1-line block ×11, first 2 shown]
	v_cmp_lt_u32_e32 vcc, 44, v240
	s_waitcnt vmcnt(11) lgkmcnt(10)
	v_mul_f64 v[96:97], v[52:53], v[6:7]
	v_mul_f64 v[6:7], v[54:55], v[6:7]
	s_waitcnt vmcnt(10) lgkmcnt(9)
	v_mul_f64 v[98:99], v[56:57], v[10:11]
	s_waitcnt vmcnt(9) lgkmcnt(8)
	v_mul_f64 v[100:101], v[60:61], v[14:15]
	v_mul_f64 v[10:11], v[58:59], v[10:11]
	s_waitcnt vmcnt(6) lgkmcnt(5)
	v_mul_f64 v[106:107], v[72:73], v[26:27]
	v_mul_f64 v[14:15], v[62:63], v[14:15]
	;; [unrolled: 1-line block ×3, first 2 shown]
	v_fmac_f64_e32 v[96:97], v[54:55], v[4:5]
	v_fma_f64 v[4:5], v[52:53], v[4:5], -v[6:7]
	v_fmac_f64_e32 v[98:99], v[58:59], v[8:9]
	v_fma_f64 v[6:7], v[56:57], v[8:9], -v[10:11]
	v_fma_f64 v[8:9], v[60:61], v[12:13], -v[14:15]
	;; [unrolled: 1-line block ×3, first 2 shown]
	v_add_f64 v[26:27], v[96:97], 0
	v_add_f64 v[4:5], v[4:5], 0
	v_mul_f64 v[102:103], v[64:65], v[18:19]
	v_mul_f64 v[18:19], v[66:67], v[18:19]
	v_fmac_f64_e32 v[100:101], v[62:63], v[12:13]
	v_add_f64 v[26:27], v[26:27], v[98:99]
	v_add_f64 v[4:5], v[4:5], v[6:7]
	v_mul_f64 v[104:105], v[68:69], v[22:23]
	v_mul_f64 v[22:23], v[70:71], v[22:23]
	v_fmac_f64_e32 v[102:103], v[66:67], v[16:17]
	v_fma_f64 v[10:11], v[64:65], v[16:17], -v[18:19]
	v_add_f64 v[6:7], v[26:27], v[100:101]
	v_add_f64 v[4:5], v[4:5], v[8:9]
	v_fmac_f64_e32 v[104:105], v[70:71], v[20:21]
	v_fma_f64 v[12:13], v[68:69], v[20:21], -v[22:23]
	v_add_f64 v[6:7], v[6:7], v[102:103]
	v_add_f64 v[4:5], v[4:5], v[10:11]
	s_waitcnt vmcnt(5) lgkmcnt(4)
	v_mul_f64 v[108:109], v[76:77], v[30:31]
	v_mul_f64 v[30:31], v[78:79], v[30:31]
	v_fmac_f64_e32 v[106:107], v[74:75], v[24:25]
	v_add_f64 v[6:7], v[6:7], v[104:105]
	v_add_f64 v[4:5], v[4:5], v[12:13]
	s_waitcnt vmcnt(4) lgkmcnt(3)
	v_mul_f64 v[110:111], v[80:81], v[34:35]
	v_mul_f64 v[34:35], v[82:83], v[34:35]
	v_fmac_f64_e32 v[108:109], v[78:79], v[28:29]
	v_fma_f64 v[16:17], v[76:77], v[28:29], -v[30:31]
	v_add_f64 v[6:7], v[6:7], v[106:107]
	v_add_f64 v[4:5], v[4:5], v[14:15]
	s_waitcnt vmcnt(3) lgkmcnt(2)
	v_mul_f64 v[112:113], v[84:85], v[38:39]
	v_mul_f64 v[38:39], v[86:87], v[38:39]
	v_fmac_f64_e32 v[110:111], v[82:83], v[32:33]
	v_fma_f64 v[18:19], v[80:81], v[32:33], -v[34:35]
	v_add_f64 v[6:7], v[6:7], v[108:109]
	v_add_f64 v[4:5], v[4:5], v[16:17]
	s_waitcnt vmcnt(2) lgkmcnt(1)
	v_mul_f64 v[114:115], v[88:89], v[42:43]
	v_mul_f64 v[42:43], v[90:91], v[42:43]
	v_fmac_f64_e32 v[112:113], v[86:87], v[36:37]
	v_fma_f64 v[20:21], v[84:85], v[36:37], -v[38:39]
	v_add_f64 v[6:7], v[6:7], v[110:111]
	v_add_f64 v[4:5], v[4:5], v[18:19]
	s_waitcnt vmcnt(1) lgkmcnt(0)
	v_mul_f64 v[116:117], v[92:93], v[46:47]
	v_mul_f64 v[46:47], v[94:95], v[46:47]
	v_fmac_f64_e32 v[114:115], v[90:91], v[40:41]
	v_fma_f64 v[22:23], v[88:89], v[40:41], -v[42:43]
	v_add_f64 v[6:7], v[6:7], v[112:113]
	v_add_f64 v[4:5], v[4:5], v[20:21]
	v_fmac_f64_e32 v[116:117], v[94:95], v[44:45]
	v_fma_f64 v[24:25], v[92:93], v[44:45], -v[46:47]
	v_add_f64 v[6:7], v[6:7], v[114:115]
	v_add_f64 v[4:5], v[4:5], v[22:23]
	;; [unrolled: 1-line block ×4, first 2 shown]
	s_waitcnt vmcnt(0)
	v_add_f64 v[4:5], v[48:49], -v[4:5]
	v_add_f64 v[6:7], v[50:51], -v[6:7]
	scratch_store_dwordx4 off, v[4:7], off offset:736
	s_and_saveexec_b64 s[0:1], vcc
	s_cbranch_execz .LBB56_267
; %bb.266:
	scratch_load_dwordx4 v[6:9], off, s29
	v_mov_b32_e32 v3, v2
	v_mov_b32_e32 v4, v2
	;; [unrolled: 1-line block ×3, first 2 shown]
	v_accvgpr_read_b32 v0, a115
	scratch_store_dwordx4 off, v[2:5], off offset:720
	s_waitcnt vmcnt(1)
	ds_write_b128 v0, v[6:9]
.LBB56_267:
	s_or_b64 exec, exec, s[0:1]
	s_waitcnt lgkmcnt(0)
	; wave barrier
	scratch_load_dwordx4 v[4:7], off, off offset:736
	scratch_load_dwordx4 v[8:11], off, off offset:752
	;; [unrolled: 1-line block ×12, first 2 shown]
	ds_read_b128 v[52:55], v2 offset:1632
	ds_read_b128 v[56:59], v2 offset:1648
	;; [unrolled: 1-line block ×4, first 2 shown]
	scratch_load_dwordx4 v[68:71], off, off offset:720
	ds_read_b128 v[72:75], v2 offset:1696
	ds_read_b128 v[76:79], v2 offset:1712
	;; [unrolled: 1-line block ×8, first 2 shown]
	v_cmp_lt_u32_e32 vcc, 43, v240
	s_waitcnt vmcnt(12) lgkmcnt(11)
	v_mul_f64 v[2:3], v[52:53], v[6:7]
	s_waitcnt vmcnt(11) lgkmcnt(10)
	v_mul_f64 v[104:105], v[56:57], v[10:11]
	v_fmac_f64_e32 v[2:3], v[54:55], v[4:5]
	s_waitcnt vmcnt(10) lgkmcnt(9)
	v_mul_f64 v[106:107], v[60:61], v[14:15]
	v_mul_f64 v[6:7], v[54:55], v[6:7]
	v_fmac_f64_e32 v[104:105], v[58:59], v[8:9]
	v_add_f64 v[2:3], v[2:3], 0
	s_waitcnt vmcnt(9) lgkmcnt(8)
	v_mul_f64 v[108:109], v[64:65], v[18:19]
	v_mul_f64 v[10:11], v[58:59], v[10:11]
	v_fmac_f64_e32 v[106:107], v[62:63], v[12:13]
	v_fma_f64 v[4:5], v[52:53], v[4:5], -v[6:7]
	v_add_f64 v[2:3], v[2:3], v[104:105]
	s_waitcnt vmcnt(8) lgkmcnt(7)
	v_mul_f64 v[110:111], v[72:73], v[22:23]
	v_mul_f64 v[14:15], v[62:63], v[14:15]
	v_fmac_f64_e32 v[108:109], v[66:67], v[16:17]
	v_fma_f64 v[6:7], v[56:57], v[8:9], -v[10:11]
	v_add_f64 v[4:5], v[4:5], 0
	v_add_f64 v[2:3], v[2:3], v[106:107]
	s_waitcnt vmcnt(7) lgkmcnt(6)
	v_mul_f64 v[112:113], v[76:77], v[26:27]
	v_mul_f64 v[18:19], v[66:67], v[18:19]
	v_fmac_f64_e32 v[110:111], v[74:75], v[20:21]
	v_fma_f64 v[8:9], v[60:61], v[12:13], -v[14:15]
	v_add_f64 v[4:5], v[4:5], v[6:7]
	;; [unrolled: 7-line block ×8, first 2 shown]
	v_add_f64 v[2:3], v[2:3], v[120:121]
	v_mul_f64 v[46:47], v[98:99], v[46:47]
	v_fmac_f64_e32 v[124:125], v[102:103], v[48:49]
	v_fma_f64 v[22:23], v[92:93], v[40:41], -v[42:43]
	v_add_f64 v[4:5], v[4:5], v[20:21]
	v_add_f64 v[2:3], v[2:3], v[122:123]
	v_add_f64 v[4:5], v[4:5], v[22:23]
	v_add_f64 v[6:7], v[2:3], v[124:125]
	v_fma_f64 v[2:3], v[96:97], v[44:45], -v[46:47]
	v_add_f64 v[2:3], v[4:5], v[2:3]
	v_mul_f64 v[4:5], v[102:103], v[50:51]
	v_fma_f64 v[4:5], v[100:101], v[48:49], -v[4:5]
	v_add_f64 v[2:3], v[2:3], v[4:5]
	s_waitcnt vmcnt(0)
	v_add_f64 v[2:3], v[68:69], -v[2:3]
	v_add_f64 v[4:5], v[70:71], -v[6:7]
	scratch_store_dwordx4 off, v[2:5], off offset:720
	s_and_saveexec_b64 s[0:1], vcc
	s_cbranch_execz .LBB56_269
; %bb.268:
	scratch_load_dwordx4 v[2:5], off, s28
	v_mov_b32_e32 v6, 0
	v_mov_b32_e32 v7, v6
	v_mov_b32_e32 v8, v6
	v_mov_b32_e32 v9, v6
	v_accvgpr_read_b32 v0, a115
	scratch_store_dwordx4 off, v[6:9], off offset:704
	s_waitcnt vmcnt(1)
	ds_write_b128 v0, v[2:5]
.LBB56_269:
	s_or_b64 exec, exec, s[0:1]
	s_waitcnt lgkmcnt(0)
	; wave barrier
	scratch_load_dwordx4 v[4:7], off, off offset:720
	scratch_load_dwordx4 v[8:11], off, off offset:736
	;; [unrolled: 1-line block ×14, first 2 shown]
	v_mov_b32_e32 v2, 0
	ds_read_b128 v[60:63], v2 offset:1616
	ds_read_b128 v[64:67], v2 offset:1632
	;; [unrolled: 1-line block ×13, first 2 shown]
	v_cmp_lt_u32_e32 vcc, 42, v240
	s_waitcnt vmcnt(13) lgkmcnt(12)
	v_mul_f64 v[112:113], v[60:61], v[6:7]
	v_mul_f64 v[6:7], v[62:63], v[6:7]
	s_waitcnt vmcnt(12) lgkmcnt(11)
	v_mul_f64 v[114:115], v[64:65], v[10:11]
	v_mul_f64 v[10:11], v[66:67], v[10:11]
	v_fmac_f64_e32 v[112:113], v[62:63], v[4:5]
	v_fma_f64 v[4:5], v[60:61], v[4:5], -v[6:7]
	s_waitcnt vmcnt(11) lgkmcnt(10)
	v_mul_f64 v[116:117], v[68:69], v[14:15]
	v_mul_f64 v[14:15], v[70:71], v[14:15]
	v_fma_f64 v[6:7], v[64:65], v[8:9], -v[10:11]
	v_add_f64 v[4:5], v[4:5], 0
	s_waitcnt vmcnt(10) lgkmcnt(9)
	v_mul_f64 v[118:119], v[72:73], v[18:19]
	v_mul_f64 v[18:19], v[74:75], v[18:19]
	v_fmac_f64_e32 v[114:115], v[66:67], v[8:9]
	v_fma_f64 v[8:9], v[68:69], v[12:13], -v[14:15]
	v_add_f64 v[4:5], v[4:5], v[6:7]
	s_waitcnt vmcnt(9) lgkmcnt(8)
	v_mul_f64 v[120:121], v[76:77], v[22:23]
	v_mul_f64 v[22:23], v[78:79], v[22:23]
	v_fma_f64 v[10:11], v[72:73], v[16:17], -v[18:19]
	v_add_f64 v[4:5], v[4:5], v[8:9]
	s_waitcnt vmcnt(8) lgkmcnt(7)
	v_mul_f64 v[122:123], v[80:81], v[26:27]
	v_mul_f64 v[26:27], v[82:83], v[26:27]
	v_fmac_f64_e32 v[116:117], v[70:71], v[12:13]
	v_fma_f64 v[12:13], v[76:77], v[20:21], -v[22:23]
	v_add_f64 v[22:23], v[112:113], 0
	v_add_f64 v[4:5], v[4:5], v[10:11]
	s_waitcnt vmcnt(7) lgkmcnt(6)
	v_mul_f64 v[124:125], v[84:85], v[30:31]
	v_mul_f64 v[30:31], v[86:87], v[30:31]
	v_fma_f64 v[14:15], v[80:81], v[24:25], -v[26:27]
	v_add_f64 v[22:23], v[22:23], v[114:115]
	v_add_f64 v[4:5], v[4:5], v[12:13]
	s_waitcnt vmcnt(6) lgkmcnt(5)
	v_mul_f64 v[126:127], v[88:89], v[34:35]
	v_mul_f64 v[34:35], v[90:91], v[34:35]
	v_fmac_f64_e32 v[118:119], v[74:75], v[16:17]
	v_fma_f64 v[16:17], v[84:85], v[28:29], -v[30:31]
	v_add_f64 v[6:7], v[22:23], v[116:117]
	v_add_f64 v[4:5], v[4:5], v[14:15]
	s_waitcnt vmcnt(5) lgkmcnt(4)
	v_mul_f64 v[128:129], v[92:93], v[38:39]
	v_mul_f64 v[38:39], v[94:95], v[38:39]
	v_fmac_f64_e32 v[120:121], v[78:79], v[20:21]
	v_fma_f64 v[18:19], v[88:89], v[32:33], -v[34:35]
	v_add_f64 v[6:7], v[6:7], v[118:119]
	v_add_f64 v[4:5], v[4:5], v[16:17]
	v_fmac_f64_e32 v[122:123], v[82:83], v[24:25]
	v_fma_f64 v[20:21], v[92:93], v[36:37], -v[38:39]
	v_add_f64 v[6:7], v[6:7], v[120:121]
	v_add_f64 v[4:5], v[4:5], v[18:19]
	s_waitcnt vmcnt(4) lgkmcnt(3)
	v_mul_f64 v[8:9], v[98:99], v[42:43]
	v_fmac_f64_e32 v[124:125], v[86:87], v[28:29]
	v_add_f64 v[6:7], v[6:7], v[122:123]
	v_add_f64 v[4:5], v[4:5], v[20:21]
	v_fma_f64 v[8:9], v[96:97], v[40:41], -v[8:9]
	v_fmac_f64_e32 v[126:127], v[90:91], v[32:33]
	v_add_f64 v[6:7], v[6:7], v[124:125]
	v_add_f64 v[4:5], v[4:5], v[8:9]
	s_waitcnt vmcnt(3) lgkmcnt(2)
	v_mul_f64 v[8:9], v[102:103], v[46:47]
	v_mul_f64 v[130:131], v[96:97], v[42:43]
	v_fmac_f64_e32 v[128:129], v[94:95], v[36:37]
	v_add_f64 v[6:7], v[6:7], v[126:127]
	v_fma_f64 v[8:9], v[100:101], v[44:45], -v[8:9]
	v_mul_f64 v[132:133], v[100:101], v[46:47]
	v_fmac_f64_e32 v[130:131], v[98:99], v[40:41]
	v_add_f64 v[6:7], v[6:7], v[128:129]
	v_add_f64 v[4:5], v[4:5], v[8:9]
	s_waitcnt vmcnt(2) lgkmcnt(1)
	v_mul_f64 v[8:9], v[106:107], v[50:51]
	v_mul_f64 v[134:135], v[104:105], v[50:51]
	v_fmac_f64_e32 v[132:133], v[102:103], v[44:45]
	v_add_f64 v[6:7], v[6:7], v[130:131]
	v_fma_f64 v[8:9], v[104:105], v[48:49], -v[8:9]
	s_waitcnt vmcnt(1) lgkmcnt(0)
	v_mul_f64 v[136:137], v[108:109], v[54:55]
	v_fmac_f64_e32 v[134:135], v[106:107], v[48:49]
	v_add_f64 v[6:7], v[6:7], v[132:133]
	v_add_f64 v[4:5], v[4:5], v[8:9]
	v_mul_f64 v[8:9], v[110:111], v[54:55]
	v_fmac_f64_e32 v[136:137], v[110:111], v[52:53]
	v_add_f64 v[6:7], v[6:7], v[134:135]
	v_fma_f64 v[8:9], v[108:109], v[52:53], -v[8:9]
	v_add_f64 v[6:7], v[6:7], v[136:137]
	v_add_f64 v[4:5], v[4:5], v[8:9]
	s_waitcnt vmcnt(0)
	v_add_f64 v[4:5], v[56:57], -v[4:5]
	v_add_f64 v[6:7], v[58:59], -v[6:7]
	scratch_store_dwordx4 off, v[4:7], off offset:704
	s_and_saveexec_b64 s[0:1], vcc
	s_cbranch_execz .LBB56_271
; %bb.270:
	scratch_load_dwordx4 v[6:9], off, s31
	v_mov_b32_e32 v3, v2
	v_mov_b32_e32 v4, v2
	;; [unrolled: 1-line block ×3, first 2 shown]
	v_accvgpr_read_b32 v0, a115
	scratch_store_dwordx4 off, v[2:5], off offset:688
	s_waitcnt vmcnt(1)
	ds_write_b128 v0, v[6:9]
.LBB56_271:
	s_or_b64 exec, exec, s[0:1]
	s_waitcnt lgkmcnt(0)
	; wave barrier
	ds_read_b128 v[16:19], v2 offset:1600
	ds_read_b128 v[12:15], v2 offset:1616
	;; [unrolled: 1-line block ×4, first 2 shown]
	scratch_load_dwordx4 v[20:23], off, off offset:704
	scratch_load_dwordx4 v[42:45], off, off offset:768
	;; [unrolled: 1-line block ×8, first 2 shown]
	v_cmp_lt_u32_e32 vcc, 41, v240
	scratch_load_dwordx4 v[50:53], off, off offset:784
	scratch_load_dwordx4 v[58:61], off, off offset:800
	;; [unrolled: 1-line block ×3, first 2 shown]
	s_waitcnt vmcnt(10) lgkmcnt(3)
	v_mul_f64 v[24:25], v[16:17], v[22:23]
	v_fmac_f64_e32 v[24:25], v[18:19], v[20:21]
	v_add_f64 v[28:29], v[24:25], 0
	scratch_load_dwordx4 v[24:27], off, off offset:720
	s_waitcnt vmcnt(0) lgkmcnt(2)
	v_mul_f64 v[30:31], v[12:13], v[26:27]
	v_fmac_f64_e32 v[30:31], v[14:15], v[24:25]
	v_add_f64 v[32:33], v[28:29], v[30:31]
	scratch_load_dwordx4 v[28:31], off, off offset:736
	v_mul_f64 v[14:15], v[14:15], v[26:27]
	v_fma_f64 v[12:13], v[12:13], v[24:25], -v[14:15]
	s_waitcnt vmcnt(0) lgkmcnt(1)
	v_mul_f64 v[34:35], v[8:9], v[30:31]
	v_fmac_f64_e32 v[34:35], v[10:11], v[28:29]
	v_add_f64 v[36:37], v[32:33], v[34:35]
	scratch_load_dwordx4 v[32:35], off, off offset:752
	v_mul_f64 v[10:11], v[10:11], v[30:31]
	v_fma_f64 v[8:9], v[8:9], v[28:29], -v[10:11]
	s_waitcnt vmcnt(0) lgkmcnt(0)
	v_mul_f64 v[38:39], v[4:5], v[34:35]
	v_fmac_f64_e32 v[38:39], v[6:7], v[32:33]
	v_add_f64 v[40:41], v[36:37], v[38:39]
	ds_read_b128 v[36:39], v2 offset:1664
	v_mul_f64 v[6:7], v[6:7], v[34:35]
	v_fma_f64 v[4:5], v[4:5], v[32:33], -v[6:7]
	s_waitcnt lgkmcnt(0)
	v_mul_f64 v[46:47], v[36:37], v[44:45]
	v_fmac_f64_e32 v[46:47], v[38:39], v[42:43]
	v_add_f64 v[40:41], v[40:41], v[46:47]
	ds_read_b128 v[46:49], v2 offset:1680
	s_waitcnt lgkmcnt(0)
	v_mul_f64 v[54:55], v[46:47], v[52:53]
	v_fmac_f64_e32 v[54:55], v[48:49], v[50:51]
	v_add_f64 v[40:41], v[40:41], v[54:55]
	ds_read_b128 v[54:57], v2 offset:1696
	;; [unrolled: 5-line block ×9, first 2 shown]
	s_waitcnt lgkmcnt(0)
	v_mul_f64 v[2:3], v[110:111], v[116:117]
	v_fmac_f64_e32 v[2:3], v[112:113], v[114:115]
	v_add_f64 v[40:41], v[40:41], v[2:3]
	v_mul_f64 v[2:3], v[18:19], v[22:23]
	v_fma_f64 v[2:3], v[16:17], v[20:21], -v[2:3]
	v_add_f64 v[2:3], v[2:3], 0
	v_add_f64 v[2:3], v[2:3], v[12:13]
	;; [unrolled: 1-line block ×4, first 2 shown]
	v_mul_f64 v[4:5], v[38:39], v[44:45]
	v_fma_f64 v[4:5], v[36:37], v[42:43], -v[4:5]
	v_add_f64 v[2:3], v[2:3], v[4:5]
	v_mul_f64 v[4:5], v[48:49], v[52:53]
	v_fma_f64 v[4:5], v[46:47], v[50:51], -v[4:5]
	v_add_f64 v[2:3], v[2:3], v[4:5]
	;; [unrolled: 3-line block ×10, first 2 shown]
	scratch_load_dwordx4 v[2:5], off, off offset:688
	s_waitcnt vmcnt(0)
	v_add_f64 v[2:3], v[2:3], -v[6:7]
	v_add_f64 v[4:5], v[4:5], -v[40:41]
	scratch_store_dwordx4 off, v[2:5], off offset:688
	s_and_saveexec_b64 s[0:1], vcc
	s_cbranch_execz .LBB56_273
; %bb.272:
	scratch_load_dwordx4 v[2:5], off, s30
	v_mov_b32_e32 v6, 0
	v_mov_b32_e32 v7, v6
	;; [unrolled: 1-line block ×4, first 2 shown]
	v_accvgpr_read_b32 v0, a115
	scratch_store_dwordx4 off, v[6:9], off offset:672
	s_waitcnt vmcnt(1)
	ds_write_b128 v0, v[2:5]
.LBB56_273:
	s_or_b64 exec, exec, s[0:1]
	v_mov_b32_e32 v2, 0
	s_waitcnt lgkmcnt(0)
	; wave barrier
	ds_read_b128 v[16:19], v2 offset:1584
	ds_read_b128 v[12:15], v2 offset:1600
	;; [unrolled: 1-line block ×4, first 2 shown]
	scratch_load_dwordx4 v[20:23], off, off offset:688
	scratch_load_dwordx4 v[40:43], off, off offset:752
	;; [unrolled: 1-line block ×9, first 2 shown]
	v_cmp_lt_u32_e32 vcc, 40, v240
	scratch_load_dwordx4 v[50:53], off, off offset:768
	scratch_load_dwordx4 v[58:61], off, off offset:784
	;; [unrolled: 1-line block ×3, first 2 shown]
	s_waitcnt vmcnt(11) lgkmcnt(3)
	v_mul_f64 v[24:25], v[16:17], v[22:23]
	v_fmac_f64_e32 v[24:25], v[18:19], v[20:21]
	v_add_f64 v[28:29], v[24:25], 0
	scratch_load_dwordx4 v[24:27], off, off offset:704
	v_mul_f64 v[18:19], v[18:19], v[22:23]
	v_fma_f64 v[16:17], v[16:17], v[20:21], -v[18:19]
	v_add_f64 v[16:17], v[16:17], 0
	s_waitcnt vmcnt(0) lgkmcnt(2)
	v_mul_f64 v[30:31], v[12:13], v[26:27]
	v_fmac_f64_e32 v[30:31], v[14:15], v[24:25]
	v_add_f64 v[32:33], v[28:29], v[30:31]
	scratch_load_dwordx4 v[28:31], off, off offset:720
	v_mul_f64 v[14:15], v[14:15], v[26:27]
	v_fma_f64 v[12:13], v[12:13], v[24:25], -v[14:15]
	v_add_f64 v[12:13], v[16:17], v[12:13]
	;; [unrolled: 8-line block ×3, first 2 shown]
	s_waitcnt vmcnt(0) lgkmcnt(0)
	v_mul_f64 v[38:39], v[4:5], v[34:35]
	v_fmac_f64_e32 v[38:39], v[6:7], v[32:33]
	v_add_f64 v[44:45], v[36:37], v[38:39]
	ds_read_b128 v[36:39], v2 offset:1648
	v_mul_f64 v[6:7], v[6:7], v[34:35]
	v_fma_f64 v[4:5], v[4:5], v[32:33], -v[6:7]
	v_add_f64 v[4:5], v[8:9], v[4:5]
	s_waitcnt lgkmcnt(0)
	v_mul_f64 v[46:47], v[36:37], v[42:43]
	v_fmac_f64_e32 v[46:47], v[38:39], v[40:41]
	v_add_f64 v[48:49], v[44:45], v[46:47]
	ds_read_b128 v[44:47], v2 offset:1664
	v_mul_f64 v[6:7], v[38:39], v[42:43]
	v_fma_f64 v[6:7], v[36:37], v[40:41], -v[6:7]
	v_add_f64 v[4:5], v[4:5], v[6:7]
	s_waitcnt lgkmcnt(0)
	;; [unrolled: 8-line block ×11, first 2 shown]
	v_mul_f64 v[6:7], v[120:121], v[124:125]
	v_fma_f64 v[6:7], v[118:119], v[122:123], -v[6:7]
	v_add_f64 v[8:9], v[4:5], v[6:7]
	scratch_load_dwordx4 v[4:7], off, off offset:672
	v_mul_f64 v[126:127], v[118:119], v[124:125]
	v_fmac_f64_e32 v[126:127], v[120:121], v[122:123]
	v_add_f64 v[48:49], v[48:49], v[126:127]
	s_waitcnt vmcnt(0)
	v_add_f64 v[4:5], v[4:5], -v[8:9]
	v_add_f64 v[6:7], v[6:7], -v[48:49]
	scratch_store_dwordx4 off, v[4:7], off offset:672
	s_and_saveexec_b64 s[0:1], vcc
	s_cbranch_execz .LBB56_275
; %bb.274:
	scratch_load_dwordx4 v[6:9], off, s34
	v_mov_b32_e32 v3, v2
	v_mov_b32_e32 v4, v2
	;; [unrolled: 1-line block ×3, first 2 shown]
	v_accvgpr_read_b32 v0, a115
	scratch_store_dwordx4 off, v[2:5], off offset:656
	s_waitcnt vmcnt(1)
	ds_write_b128 v0, v[6:9]
.LBB56_275:
	s_or_b64 exec, exec, s[0:1]
	s_waitcnt lgkmcnt(0)
	; wave barrier
	ds_read_b128 v[16:19], v2 offset:1568
	ds_read_b128 v[12:15], v2 offset:1584
	;; [unrolled: 1-line block ×4, first 2 shown]
	scratch_load_dwordx4 v[20:23], off, off offset:672
	scratch_load_dwordx4 v[40:43], off, off offset:736
	;; [unrolled: 1-line block ×10, first 2 shown]
	v_cmp_lt_u32_e32 vcc, 39, v240
	scratch_load_dwordx4 v[48:51], off, off offset:752
	scratch_load_dwordx4 v[56:59], off, off offset:768
	;; [unrolled: 1-line block ×3, first 2 shown]
	s_waitcnt vmcnt(12) lgkmcnt(3)
	v_mul_f64 v[24:25], v[16:17], v[22:23]
	v_fmac_f64_e32 v[24:25], v[18:19], v[20:21]
	v_add_f64 v[28:29], v[24:25], 0
	scratch_load_dwordx4 v[24:27], off, off offset:688
	s_waitcnt vmcnt(0) lgkmcnt(2)
	v_mul_f64 v[30:31], v[12:13], v[26:27]
	v_fmac_f64_e32 v[30:31], v[14:15], v[24:25]
	v_add_f64 v[32:33], v[28:29], v[30:31]
	scratch_load_dwordx4 v[28:31], off, off offset:704
	v_mul_f64 v[14:15], v[14:15], v[26:27]
	v_fma_f64 v[12:13], v[12:13], v[24:25], -v[14:15]
	s_waitcnt vmcnt(0) lgkmcnt(1)
	v_mul_f64 v[34:35], v[8:9], v[30:31]
	v_fmac_f64_e32 v[34:35], v[10:11], v[28:29]
	v_add_f64 v[36:37], v[32:33], v[34:35]
	scratch_load_dwordx4 v[32:35], off, off offset:720
	v_mul_f64 v[10:11], v[10:11], v[30:31]
	v_fma_f64 v[8:9], v[8:9], v[28:29], -v[10:11]
	s_waitcnt vmcnt(0) lgkmcnt(0)
	v_mul_f64 v[38:39], v[4:5], v[34:35]
	v_fmac_f64_e32 v[38:39], v[6:7], v[32:33]
	v_add_f64 v[44:45], v[36:37], v[38:39]
	ds_read_b128 v[36:39], v2 offset:1632
	v_mul_f64 v[6:7], v[6:7], v[34:35]
	v_fma_f64 v[4:5], v[4:5], v[32:33], -v[6:7]
	s_waitcnt lgkmcnt(0)
	v_mul_f64 v[46:47], v[36:37], v[42:43]
	v_fmac_f64_e32 v[46:47], v[38:39], v[40:41]
	v_add_f64 v[52:53], v[44:45], v[46:47]
	ds_read_b128 v[44:47], v2 offset:1648
	s_waitcnt lgkmcnt(0)
	v_mul_f64 v[54:55], v[44:45], v[50:51]
	v_fmac_f64_e32 v[54:55], v[46:47], v[48:49]
	v_add_f64 v[60:61], v[52:53], v[54:55]
	ds_read_b128 v[52:55], v2 offset:1664
	;; [unrolled: 5-line block ×11, first 2 shown]
	s_waitcnt lgkmcnt(0)
	v_mul_f64 v[2:3], v[126:127], v[132:133]
	v_fmac_f64_e32 v[2:3], v[128:129], v[130:131]
	v_add_f64 v[64:65], v[64:65], v[2:3]
	v_mul_f64 v[2:3], v[18:19], v[22:23]
	v_fma_f64 v[2:3], v[16:17], v[20:21], -v[2:3]
	v_add_f64 v[2:3], v[2:3], 0
	v_add_f64 v[2:3], v[2:3], v[12:13]
	;; [unrolled: 1-line block ×4, first 2 shown]
	v_mul_f64 v[4:5], v[38:39], v[42:43]
	v_fma_f64 v[4:5], v[36:37], v[40:41], -v[4:5]
	v_add_f64 v[2:3], v[2:3], v[4:5]
	v_mul_f64 v[4:5], v[46:47], v[50:51]
	v_fma_f64 v[4:5], v[44:45], v[48:49], -v[4:5]
	v_add_f64 v[2:3], v[2:3], v[4:5]
	;; [unrolled: 3-line block ×12, first 2 shown]
	scratch_load_dwordx4 v[2:5], off, off offset:656
	s_waitcnt vmcnt(0)
	v_add_f64 v[2:3], v[2:3], -v[6:7]
	v_add_f64 v[4:5], v[4:5], -v[64:65]
	scratch_store_dwordx4 off, v[2:5], off offset:656
	s_and_saveexec_b64 s[0:1], vcc
	s_cbranch_execz .LBB56_277
; %bb.276:
	scratch_load_dwordx4 v[2:5], off, s33
	v_mov_b32_e32 v6, 0
	v_mov_b32_e32 v7, v6
	;; [unrolled: 1-line block ×4, first 2 shown]
	v_accvgpr_read_b32 v0, a115
	scratch_store_dwordx4 off, v[6:9], off offset:640
	s_waitcnt vmcnt(1)
	ds_write_b128 v0, v[2:5]
.LBB56_277:
	s_or_b64 exec, exec, s[0:1]
	v_mov_b32_e32 v2, 0
	s_waitcnt lgkmcnt(0)
	; wave barrier
	ds_read_b128 v[16:19], v2 offset:1552
	ds_read_b128 v[12:15], v2 offset:1568
	;; [unrolled: 1-line block ×4, first 2 shown]
	scratch_load_dwordx4 v[20:23], off, off offset:656
	scratch_load_dwordx4 v[40:43], off, off offset:720
	;; [unrolled: 1-line block ×11, first 2 shown]
	v_cmp_lt_u32_e32 vcc, 38, v240
	scratch_load_dwordx4 v[48:51], off, off offset:736
	scratch_load_dwordx4 v[56:59], off, off offset:752
	;; [unrolled: 1-line block ×3, first 2 shown]
	s_waitcnt vmcnt(13) lgkmcnt(3)
	v_mul_f64 v[24:25], v[16:17], v[22:23]
	v_fmac_f64_e32 v[24:25], v[18:19], v[20:21]
	v_add_f64 v[28:29], v[24:25], 0
	scratch_load_dwordx4 v[24:27], off, off offset:672
	v_mul_f64 v[18:19], v[18:19], v[22:23]
	v_fma_f64 v[16:17], v[16:17], v[20:21], -v[18:19]
	v_add_f64 v[16:17], v[16:17], 0
	s_waitcnt vmcnt(0) lgkmcnt(2)
	v_mul_f64 v[30:31], v[12:13], v[26:27]
	v_fmac_f64_e32 v[30:31], v[14:15], v[24:25]
	v_add_f64 v[32:33], v[28:29], v[30:31]
	scratch_load_dwordx4 v[28:31], off, off offset:688
	v_mul_f64 v[14:15], v[14:15], v[26:27]
	v_fma_f64 v[12:13], v[12:13], v[24:25], -v[14:15]
	v_add_f64 v[12:13], v[16:17], v[12:13]
	s_waitcnt vmcnt(0) lgkmcnt(1)
	v_mul_f64 v[34:35], v[8:9], v[30:31]
	v_fmac_f64_e32 v[34:35], v[10:11], v[28:29]
	v_add_f64 v[36:37], v[32:33], v[34:35]
	scratch_load_dwordx4 v[32:35], off, off offset:704
	v_mul_f64 v[10:11], v[10:11], v[30:31]
	v_fma_f64 v[8:9], v[8:9], v[28:29], -v[10:11]
	v_add_f64 v[8:9], v[12:13], v[8:9]
	s_waitcnt vmcnt(0) lgkmcnt(0)
	v_mul_f64 v[38:39], v[4:5], v[34:35]
	v_fmac_f64_e32 v[38:39], v[6:7], v[32:33]
	v_add_f64 v[44:45], v[36:37], v[38:39]
	ds_read_b128 v[36:39], v2 offset:1616
	v_mul_f64 v[6:7], v[6:7], v[34:35]
	v_fma_f64 v[4:5], v[4:5], v[32:33], -v[6:7]
	v_add_f64 v[4:5], v[8:9], v[4:5]
	s_waitcnt lgkmcnt(0)
	v_mul_f64 v[46:47], v[36:37], v[42:43]
	v_fmac_f64_e32 v[46:47], v[38:39], v[40:41]
	v_add_f64 v[52:53], v[44:45], v[46:47]
	ds_read_b128 v[44:47], v2 offset:1632
	v_mul_f64 v[6:7], v[38:39], v[42:43]
	v_fma_f64 v[6:7], v[36:37], v[40:41], -v[6:7]
	v_add_f64 v[4:5], v[4:5], v[6:7]
	s_waitcnt lgkmcnt(0)
	;; [unrolled: 8-line block ×13, first 2 shown]
	v_mul_f64 v[6:7], v[136:137], v[140:141]
	v_fma_f64 v[6:7], v[134:135], v[138:139], -v[6:7]
	v_add_f64 v[8:9], v[4:5], v[6:7]
	scratch_load_dwordx4 v[4:7], off, off offset:640
	v_mul_f64 v[142:143], v[134:135], v[140:141]
	v_fmac_f64_e32 v[142:143], v[136:137], v[138:139]
	v_add_f64 v[72:73], v[72:73], v[142:143]
	s_waitcnt vmcnt(0)
	v_add_f64 v[4:5], v[4:5], -v[8:9]
	v_add_f64 v[6:7], v[6:7], -v[72:73]
	scratch_store_dwordx4 off, v[4:7], off offset:640
	s_and_saveexec_b64 s[0:1], vcc
	s_cbranch_execz .LBB56_279
; %bb.278:
	scratch_load_dwordx4 v[6:9], off, s36
	v_mov_b32_e32 v3, v2
	v_mov_b32_e32 v4, v2
	v_mov_b32_e32 v5, v2
	v_accvgpr_read_b32 v0, a115
	scratch_store_dwordx4 off, v[2:5], off offset:624
	s_waitcnt vmcnt(1)
	ds_write_b128 v0, v[6:9]
.LBB56_279:
	s_or_b64 exec, exec, s[0:1]
	s_waitcnt lgkmcnt(0)
	; wave barrier
	ds_read_b128 v[16:19], v2 offset:1536
	ds_read_b128 v[12:15], v2 offset:1552
	;; [unrolled: 1-line block ×4, first 2 shown]
	scratch_load_dwordx4 v[20:23], off, off offset:640
	scratch_load_dwordx4 v[40:43], off, off offset:704
	;; [unrolled: 1-line block ×12, first 2 shown]
	v_cmp_lt_u32_e32 vcc, 37, v240
	scratch_load_dwordx4 v[48:51], off, off offset:720
	scratch_load_dwordx4 v[56:59], off, off offset:736
	;; [unrolled: 1-line block ×3, first 2 shown]
	s_waitcnt vmcnt(14) lgkmcnt(3)
	v_mul_f64 v[24:25], v[16:17], v[22:23]
	v_fmac_f64_e32 v[24:25], v[18:19], v[20:21]
	v_add_f64 v[28:29], v[24:25], 0
	scratch_load_dwordx4 v[24:27], off, off offset:656
	s_waitcnt vmcnt(0) lgkmcnt(2)
	v_mul_f64 v[30:31], v[12:13], v[26:27]
	v_fmac_f64_e32 v[30:31], v[14:15], v[24:25]
	v_add_f64 v[32:33], v[28:29], v[30:31]
	scratch_load_dwordx4 v[28:31], off, off offset:672
	v_mul_f64 v[14:15], v[14:15], v[26:27]
	v_fma_f64 v[12:13], v[12:13], v[24:25], -v[14:15]
	s_waitcnt vmcnt(0) lgkmcnt(1)
	v_mul_f64 v[34:35], v[8:9], v[30:31]
	v_fmac_f64_e32 v[34:35], v[10:11], v[28:29]
	v_add_f64 v[36:37], v[32:33], v[34:35]
	scratch_load_dwordx4 v[32:35], off, off offset:688
	v_mul_f64 v[10:11], v[10:11], v[30:31]
	v_fma_f64 v[8:9], v[8:9], v[28:29], -v[10:11]
	s_waitcnt vmcnt(0) lgkmcnt(0)
	v_mul_f64 v[38:39], v[4:5], v[34:35]
	v_fmac_f64_e32 v[38:39], v[6:7], v[32:33]
	v_add_f64 v[44:45], v[36:37], v[38:39]
	ds_read_b128 v[36:39], v2 offset:1600
	v_mul_f64 v[6:7], v[6:7], v[34:35]
	v_fma_f64 v[4:5], v[4:5], v[32:33], -v[6:7]
	s_waitcnt lgkmcnt(0)
	v_mul_f64 v[46:47], v[36:37], v[42:43]
	v_fmac_f64_e32 v[46:47], v[38:39], v[40:41]
	v_add_f64 v[52:53], v[44:45], v[46:47]
	ds_read_b128 v[44:47], v2 offset:1616
	s_waitcnt lgkmcnt(0)
	v_mul_f64 v[54:55], v[44:45], v[50:51]
	v_fmac_f64_e32 v[54:55], v[46:47], v[48:49]
	v_add_f64 v[60:61], v[52:53], v[54:55]
	ds_read_b128 v[52:55], v2 offset:1632
	;; [unrolled: 5-line block ×13, first 2 shown]
	s_waitcnt lgkmcnt(0)
	v_mul_f64 v[2:3], v[142:143], v[148:149]
	v_fmac_f64_e32 v[2:3], v[144:145], v[146:147]
	v_add_f64 v[80:81], v[80:81], v[2:3]
	v_mul_f64 v[2:3], v[18:19], v[22:23]
	v_fma_f64 v[2:3], v[16:17], v[20:21], -v[2:3]
	v_add_f64 v[2:3], v[2:3], 0
	v_add_f64 v[2:3], v[2:3], v[12:13]
	;; [unrolled: 1-line block ×4, first 2 shown]
	v_mul_f64 v[4:5], v[38:39], v[42:43]
	v_fma_f64 v[4:5], v[36:37], v[40:41], -v[4:5]
	v_add_f64 v[2:3], v[2:3], v[4:5]
	v_mul_f64 v[4:5], v[46:47], v[50:51]
	v_fma_f64 v[4:5], v[44:45], v[48:49], -v[4:5]
	v_add_f64 v[2:3], v[2:3], v[4:5]
	;; [unrolled: 3-line block ×14, first 2 shown]
	scratch_load_dwordx4 v[2:5], off, off offset:624
	s_waitcnt vmcnt(0)
	v_add_f64 v[2:3], v[2:3], -v[6:7]
	v_add_f64 v[4:5], v[4:5], -v[80:81]
	scratch_store_dwordx4 off, v[2:5], off offset:624
	s_and_saveexec_b64 s[0:1], vcc
	s_cbranch_execz .LBB56_281
; %bb.280:
	scratch_load_dwordx4 v[2:5], off, s35
	v_mov_b32_e32 v6, 0
	v_mov_b32_e32 v7, v6
	;; [unrolled: 1-line block ×4, first 2 shown]
	v_accvgpr_read_b32 v0, a115
	scratch_store_dwordx4 off, v[6:9], off offset:608
	s_waitcnt vmcnt(1)
	ds_write_b128 v0, v[2:5]
.LBB56_281:
	s_or_b64 exec, exec, s[0:1]
	v_mov_b32_e32 v2, 0
	s_waitcnt lgkmcnt(0)
	; wave barrier
	ds_read_b128 v[16:19], v2 offset:1520
	ds_read_b128 v[12:15], v2 offset:1536
	;; [unrolled: 1-line block ×4, first 2 shown]
	scratch_load_dwordx4 v[20:23], off, off offset:624
	scratch_load_dwordx4 v[40:43], off, off offset:688
	;; [unrolled: 1-line block ×13, first 2 shown]
	v_cmp_lt_u32_e32 vcc, 36, v240
	scratch_load_dwordx4 v[48:51], off, off offset:704
	scratch_load_dwordx4 v[56:59], off, off offset:720
	;; [unrolled: 1-line block ×3, first 2 shown]
	s_waitcnt vmcnt(15) lgkmcnt(3)
	v_mul_f64 v[24:25], v[16:17], v[22:23]
	v_fmac_f64_e32 v[24:25], v[18:19], v[20:21]
	v_add_f64 v[28:29], v[24:25], 0
	scratch_load_dwordx4 v[24:27], off, off offset:640
	v_mul_f64 v[18:19], v[18:19], v[22:23]
	v_fma_f64 v[16:17], v[16:17], v[20:21], -v[18:19]
	v_add_f64 v[16:17], v[16:17], 0
	s_waitcnt vmcnt(0) lgkmcnt(2)
	v_mul_f64 v[30:31], v[12:13], v[26:27]
	v_fmac_f64_e32 v[30:31], v[14:15], v[24:25]
	v_add_f64 v[32:33], v[28:29], v[30:31]
	scratch_load_dwordx4 v[28:31], off, off offset:656
	v_mul_f64 v[14:15], v[14:15], v[26:27]
	v_fma_f64 v[12:13], v[12:13], v[24:25], -v[14:15]
	v_add_f64 v[12:13], v[16:17], v[12:13]
	s_waitcnt vmcnt(0) lgkmcnt(1)
	v_mul_f64 v[34:35], v[8:9], v[30:31]
	v_fmac_f64_e32 v[34:35], v[10:11], v[28:29]
	v_add_f64 v[36:37], v[32:33], v[34:35]
	scratch_load_dwordx4 v[32:35], off, off offset:672
	v_mul_f64 v[10:11], v[10:11], v[30:31]
	v_fma_f64 v[8:9], v[8:9], v[28:29], -v[10:11]
	v_add_f64 v[8:9], v[12:13], v[8:9]
	s_waitcnt vmcnt(0) lgkmcnt(0)
	v_mul_f64 v[38:39], v[4:5], v[34:35]
	v_fmac_f64_e32 v[38:39], v[6:7], v[32:33]
	v_add_f64 v[44:45], v[36:37], v[38:39]
	ds_read_b128 v[36:39], v2 offset:1584
	v_mul_f64 v[6:7], v[6:7], v[34:35]
	v_fma_f64 v[4:5], v[4:5], v[32:33], -v[6:7]
	v_add_f64 v[4:5], v[8:9], v[4:5]
	s_waitcnt lgkmcnt(0)
	v_mul_f64 v[46:47], v[36:37], v[42:43]
	v_fmac_f64_e32 v[46:47], v[38:39], v[40:41]
	v_add_f64 v[52:53], v[44:45], v[46:47]
	ds_read_b128 v[44:47], v2 offset:1600
	v_mul_f64 v[6:7], v[38:39], v[42:43]
	v_fma_f64 v[6:7], v[36:37], v[40:41], -v[6:7]
	v_add_f64 v[4:5], v[4:5], v[6:7]
	s_waitcnt lgkmcnt(0)
	;; [unrolled: 8-line block ×15, first 2 shown]
	v_mul_f64 v[6:7], v[152:153], v[156:157]
	v_fma_f64 v[6:7], v[150:151], v[154:155], -v[6:7]
	v_add_f64 v[8:9], v[4:5], v[6:7]
	scratch_load_dwordx4 v[4:7], off, off offset:608
	v_mul_f64 v[158:159], v[150:151], v[156:157]
	v_fmac_f64_e32 v[158:159], v[152:153], v[154:155]
	v_add_f64 v[88:89], v[88:89], v[158:159]
	s_waitcnt vmcnt(0)
	v_add_f64 v[4:5], v[4:5], -v[8:9]
	v_add_f64 v[6:7], v[6:7], -v[88:89]
	scratch_store_dwordx4 off, v[4:7], off offset:608
	s_and_saveexec_b64 s[0:1], vcc
	s_cbranch_execz .LBB56_283
; %bb.282:
	scratch_load_dwordx4 v[6:9], off, s38
	v_mov_b32_e32 v3, v2
	v_mov_b32_e32 v4, v2
	;; [unrolled: 1-line block ×3, first 2 shown]
	v_accvgpr_read_b32 v0, a115
	scratch_store_dwordx4 off, v[2:5], off offset:592
	s_waitcnt vmcnt(1)
	ds_write_b128 v0, v[6:9]
.LBB56_283:
	s_or_b64 exec, exec, s[0:1]
	s_waitcnt lgkmcnt(0)
	; wave barrier
	ds_read_b128 v[16:19], v2 offset:1504
	ds_read_b128 v[12:15], v2 offset:1520
	;; [unrolled: 1-line block ×4, first 2 shown]
	scratch_load_dwordx4 v[20:23], off, off offset:608
	scratch_load_dwordx4 v[40:43], off, off offset:672
	;; [unrolled: 1-line block ×14, first 2 shown]
	v_cmp_lt_u32_e32 vcc, 35, v240
	scratch_load_dwordx4 v[48:51], off, off offset:688
	scratch_load_dwordx4 v[56:59], off, off offset:704
	;; [unrolled: 1-line block ×3, first 2 shown]
	s_waitcnt vmcnt(16) lgkmcnt(3)
	v_mul_f64 v[24:25], v[16:17], v[22:23]
	v_fmac_f64_e32 v[24:25], v[18:19], v[20:21]
	v_add_f64 v[28:29], v[24:25], 0
	scratch_load_dwordx4 v[24:27], off, off offset:624
	s_waitcnt vmcnt(0) lgkmcnt(2)
	v_mul_f64 v[30:31], v[12:13], v[26:27]
	v_fmac_f64_e32 v[30:31], v[14:15], v[24:25]
	v_add_f64 v[32:33], v[28:29], v[30:31]
	scratch_load_dwordx4 v[28:31], off, off offset:640
	v_mul_f64 v[14:15], v[14:15], v[26:27]
	v_fma_f64 v[12:13], v[12:13], v[24:25], -v[14:15]
	s_waitcnt vmcnt(0) lgkmcnt(1)
	v_mul_f64 v[34:35], v[8:9], v[30:31]
	v_fmac_f64_e32 v[34:35], v[10:11], v[28:29]
	v_add_f64 v[36:37], v[32:33], v[34:35]
	scratch_load_dwordx4 v[32:35], off, off offset:656
	v_mul_f64 v[10:11], v[10:11], v[30:31]
	v_fma_f64 v[8:9], v[8:9], v[28:29], -v[10:11]
	s_waitcnt vmcnt(0) lgkmcnt(0)
	v_mul_f64 v[38:39], v[4:5], v[34:35]
	v_fmac_f64_e32 v[38:39], v[6:7], v[32:33]
	v_add_f64 v[44:45], v[36:37], v[38:39]
	ds_read_b128 v[36:39], v2 offset:1568
	v_mul_f64 v[6:7], v[6:7], v[34:35]
	v_fma_f64 v[4:5], v[4:5], v[32:33], -v[6:7]
	s_waitcnt lgkmcnt(0)
	v_mul_f64 v[46:47], v[36:37], v[42:43]
	v_fmac_f64_e32 v[46:47], v[38:39], v[40:41]
	v_add_f64 v[52:53], v[44:45], v[46:47]
	ds_read_b128 v[44:47], v2 offset:1584
	s_waitcnt lgkmcnt(0)
	v_mul_f64 v[54:55], v[44:45], v[50:51]
	v_fmac_f64_e32 v[54:55], v[46:47], v[48:49]
	v_add_f64 v[60:61], v[52:53], v[54:55]
	ds_read_b128 v[52:55], v2 offset:1600
	;; [unrolled: 5-line block ×15, first 2 shown]
	s_waitcnt lgkmcnt(0)
	v_mul_f64 v[2:3], v[158:159], v[164:165]
	v_fmac_f64_e32 v[2:3], v[160:161], v[162:163]
	v_add_f64 v[96:97], v[96:97], v[2:3]
	v_mul_f64 v[2:3], v[18:19], v[22:23]
	v_fma_f64 v[2:3], v[16:17], v[20:21], -v[2:3]
	v_add_f64 v[2:3], v[2:3], 0
	v_add_f64 v[2:3], v[2:3], v[12:13]
	;; [unrolled: 1-line block ×4, first 2 shown]
	v_mul_f64 v[4:5], v[38:39], v[42:43]
	v_fma_f64 v[4:5], v[36:37], v[40:41], -v[4:5]
	v_add_f64 v[2:3], v[2:3], v[4:5]
	v_mul_f64 v[4:5], v[46:47], v[50:51]
	v_fma_f64 v[4:5], v[44:45], v[48:49], -v[4:5]
	v_add_f64 v[2:3], v[2:3], v[4:5]
	;; [unrolled: 3-line block ×16, first 2 shown]
	scratch_load_dwordx4 v[2:5], off, off offset:592
	s_waitcnt vmcnt(0)
	v_add_f64 v[2:3], v[2:3], -v[6:7]
	v_add_f64 v[4:5], v[4:5], -v[96:97]
	scratch_store_dwordx4 off, v[2:5], off offset:592
	s_and_saveexec_b64 s[0:1], vcc
	s_cbranch_execz .LBB56_285
; %bb.284:
	scratch_load_dwordx4 v[2:5], off, s37
	v_mov_b32_e32 v6, 0
	v_mov_b32_e32 v7, v6
	;; [unrolled: 1-line block ×4, first 2 shown]
	v_accvgpr_read_b32 v0, a115
	scratch_store_dwordx4 off, v[6:9], off offset:576
	s_waitcnt vmcnt(1)
	ds_write_b128 v0, v[2:5]
.LBB56_285:
	s_or_b64 exec, exec, s[0:1]
	v_mov_b32_e32 v2, 0
	s_waitcnt lgkmcnt(0)
	; wave barrier
	ds_read_b128 v[16:19], v2 offset:1488
	ds_read_b128 v[12:15], v2 offset:1504
	;; [unrolled: 1-line block ×4, first 2 shown]
	scratch_load_dwordx4 v[20:23], off, off offset:592
	scratch_load_dwordx4 v[40:43], off, off offset:656
	;; [unrolled: 1-line block ×15, first 2 shown]
	v_cmp_lt_u32_e32 vcc, 34, v240
	scratch_load_dwordx4 v[48:51], off, off offset:672
	scratch_load_dwordx4 v[56:59], off, off offset:688
	;; [unrolled: 1-line block ×3, first 2 shown]
	s_waitcnt vmcnt(17) lgkmcnt(3)
	v_mul_f64 v[24:25], v[16:17], v[22:23]
	v_fmac_f64_e32 v[24:25], v[18:19], v[20:21]
	v_add_f64 v[28:29], v[24:25], 0
	scratch_load_dwordx4 v[24:27], off, off offset:608
	v_mul_f64 v[18:19], v[18:19], v[22:23]
	v_fma_f64 v[16:17], v[16:17], v[20:21], -v[18:19]
	v_add_f64 v[16:17], v[16:17], 0
	s_waitcnt vmcnt(0) lgkmcnt(2)
	v_mul_f64 v[30:31], v[12:13], v[26:27]
	v_fmac_f64_e32 v[30:31], v[14:15], v[24:25]
	v_add_f64 v[32:33], v[28:29], v[30:31]
	scratch_load_dwordx4 v[28:31], off, off offset:624
	v_mul_f64 v[14:15], v[14:15], v[26:27]
	v_fma_f64 v[12:13], v[12:13], v[24:25], -v[14:15]
	v_add_f64 v[12:13], v[16:17], v[12:13]
	;; [unrolled: 8-line block ×3, first 2 shown]
	s_waitcnt vmcnt(0) lgkmcnt(0)
	v_mul_f64 v[38:39], v[4:5], v[34:35]
	v_fmac_f64_e32 v[38:39], v[6:7], v[32:33]
	v_add_f64 v[44:45], v[36:37], v[38:39]
	ds_read_b128 v[36:39], v2 offset:1552
	v_mul_f64 v[6:7], v[6:7], v[34:35]
	v_fma_f64 v[4:5], v[4:5], v[32:33], -v[6:7]
	v_add_f64 v[4:5], v[8:9], v[4:5]
	s_waitcnt lgkmcnt(0)
	v_mul_f64 v[46:47], v[36:37], v[42:43]
	v_fmac_f64_e32 v[46:47], v[38:39], v[40:41]
	v_add_f64 v[52:53], v[44:45], v[46:47]
	ds_read_b128 v[44:47], v2 offset:1568
	v_mul_f64 v[6:7], v[38:39], v[42:43]
	v_fma_f64 v[6:7], v[36:37], v[40:41], -v[6:7]
	v_add_f64 v[4:5], v[4:5], v[6:7]
	s_waitcnt lgkmcnt(0)
	;; [unrolled: 8-line block ×17, first 2 shown]
	v_mul_f64 v[6:7], v[168:169], v[172:173]
	v_fma_f64 v[6:7], v[166:167], v[170:171], -v[6:7]
	v_add_f64 v[8:9], v[4:5], v[6:7]
	scratch_load_dwordx4 v[4:7], off, off offset:576
	v_mul_f64 v[174:175], v[166:167], v[172:173]
	v_fmac_f64_e32 v[174:175], v[168:169], v[170:171]
	v_add_f64 v[104:105], v[104:105], v[174:175]
	s_waitcnt vmcnt(0)
	v_add_f64 v[4:5], v[4:5], -v[8:9]
	v_add_f64 v[6:7], v[6:7], -v[104:105]
	scratch_store_dwordx4 off, v[4:7], off offset:576
	s_and_saveexec_b64 s[0:1], vcc
	s_cbranch_execz .LBB56_287
; %bb.286:
	scratch_load_dwordx4 v[6:9], off, s40
	v_mov_b32_e32 v3, v2
	v_mov_b32_e32 v4, v2
	;; [unrolled: 1-line block ×3, first 2 shown]
	v_accvgpr_read_b32 v0, a115
	scratch_store_dwordx4 off, v[2:5], off offset:560
	s_waitcnt vmcnt(1)
	ds_write_b128 v0, v[6:9]
.LBB56_287:
	s_or_b64 exec, exec, s[0:1]
	s_waitcnt lgkmcnt(0)
	; wave barrier
	ds_read_b128 v[16:19], v2 offset:1472
	ds_read_b128 v[12:15], v2 offset:1488
	ds_read_b128 v[8:11], v2 offset:1504
	ds_read_b128 v[4:7], v2 offset:1520
	scratch_load_dwordx4 v[20:23], off, off offset:576
	scratch_load_dwordx4 v[40:43], off, off offset:640
	;; [unrolled: 1-line block ×16, first 2 shown]
	v_cmp_lt_u32_e32 vcc, 33, v240
	scratch_load_dwordx4 v[48:51], off, off offset:656
	scratch_load_dwordx4 v[56:59], off, off offset:672
	;; [unrolled: 1-line block ×3, first 2 shown]
	s_waitcnt vmcnt(18) lgkmcnt(3)
	v_mul_f64 v[24:25], v[16:17], v[22:23]
	v_fmac_f64_e32 v[24:25], v[18:19], v[20:21]
	v_add_f64 v[28:29], v[24:25], 0
	scratch_load_dwordx4 v[24:27], off, off offset:592
	s_waitcnt vmcnt(0) lgkmcnt(2)
	v_mul_f64 v[30:31], v[12:13], v[26:27]
	v_fmac_f64_e32 v[30:31], v[14:15], v[24:25]
	v_add_f64 v[32:33], v[28:29], v[30:31]
	scratch_load_dwordx4 v[28:31], off, off offset:608
	v_mul_f64 v[14:15], v[14:15], v[26:27]
	v_fma_f64 v[12:13], v[12:13], v[24:25], -v[14:15]
	s_waitcnt vmcnt(0) lgkmcnt(1)
	v_mul_f64 v[34:35], v[8:9], v[30:31]
	v_fmac_f64_e32 v[34:35], v[10:11], v[28:29]
	v_add_f64 v[36:37], v[32:33], v[34:35]
	scratch_load_dwordx4 v[32:35], off, off offset:624
	v_mul_f64 v[10:11], v[10:11], v[30:31]
	v_fma_f64 v[8:9], v[8:9], v[28:29], -v[10:11]
	s_waitcnt vmcnt(0) lgkmcnt(0)
	v_mul_f64 v[38:39], v[4:5], v[34:35]
	v_fmac_f64_e32 v[38:39], v[6:7], v[32:33]
	v_add_f64 v[44:45], v[36:37], v[38:39]
	ds_read_b128 v[36:39], v2 offset:1536
	v_mul_f64 v[6:7], v[6:7], v[34:35]
	v_fma_f64 v[4:5], v[4:5], v[32:33], -v[6:7]
	s_waitcnt lgkmcnt(0)
	v_mul_f64 v[46:47], v[36:37], v[42:43]
	v_fmac_f64_e32 v[46:47], v[38:39], v[40:41]
	v_add_f64 v[52:53], v[44:45], v[46:47]
	ds_read_b128 v[44:47], v2 offset:1552
	s_waitcnt lgkmcnt(0)
	v_mul_f64 v[54:55], v[44:45], v[50:51]
	v_fmac_f64_e32 v[54:55], v[46:47], v[48:49]
	v_add_f64 v[60:61], v[52:53], v[54:55]
	ds_read_b128 v[52:55], v2 offset:1568
	;; [unrolled: 5-line block ×17, first 2 shown]
	s_waitcnt lgkmcnt(0)
	v_mul_f64 v[2:3], v[174:175], v[180:181]
	v_fmac_f64_e32 v[2:3], v[176:177], v[178:179]
	v_add_f64 v[120:121], v[120:121], v[2:3]
	v_mul_f64 v[2:3], v[18:19], v[22:23]
	v_fma_f64 v[2:3], v[16:17], v[20:21], -v[2:3]
	v_add_f64 v[2:3], v[2:3], 0
	v_add_f64 v[2:3], v[2:3], v[12:13]
	;; [unrolled: 1-line block ×4, first 2 shown]
	v_mul_f64 v[4:5], v[38:39], v[42:43]
	v_fma_f64 v[4:5], v[36:37], v[40:41], -v[4:5]
	v_add_f64 v[2:3], v[2:3], v[4:5]
	v_mul_f64 v[4:5], v[46:47], v[50:51]
	v_fma_f64 v[4:5], v[44:45], v[48:49], -v[4:5]
	v_add_f64 v[2:3], v[2:3], v[4:5]
	;; [unrolled: 3-line block ×18, first 2 shown]
	scratch_load_dwordx4 v[2:5], off, off offset:560
	s_waitcnt vmcnt(0)
	v_add_f64 v[2:3], v[2:3], -v[6:7]
	v_add_f64 v[4:5], v[4:5], -v[120:121]
	scratch_store_dwordx4 off, v[2:5], off offset:560
	s_and_saveexec_b64 s[0:1], vcc
	s_cbranch_execz .LBB56_289
; %bb.288:
	scratch_load_dwordx4 v[2:5], off, s39
	v_mov_b32_e32 v6, 0
	v_mov_b32_e32 v7, v6
	;; [unrolled: 1-line block ×4, first 2 shown]
	v_accvgpr_read_b32 v0, a115
	scratch_store_dwordx4 off, v[6:9], off offset:544
	s_waitcnt vmcnt(1)
	ds_write_b128 v0, v[2:5]
.LBB56_289:
	s_or_b64 exec, exec, s[0:1]
	v_mov_b32_e32 v2, 0
	s_waitcnt lgkmcnt(0)
	; wave barrier
	ds_read_b128 v[16:19], v2 offset:1456
	ds_read_b128 v[12:15], v2 offset:1472
	;; [unrolled: 1-line block ×4, first 2 shown]
	scratch_load_dwordx4 v[20:23], off, off offset:560
	scratch_load_dwordx4 v[40:43], off, off offset:624
	;; [unrolled: 1-line block ×17, first 2 shown]
	v_cmp_lt_u32_e32 vcc, 32, v240
	scratch_load_dwordx4 v[48:51], off, off offset:640
	scratch_load_dwordx4 v[56:59], off, off offset:656
	scratch_load_dwordx4 v[64:67], off, off offset:672
	s_waitcnt vmcnt(19) lgkmcnt(3)
	v_mul_f64 v[24:25], v[16:17], v[22:23]
	v_fmac_f64_e32 v[24:25], v[18:19], v[20:21]
	v_add_f64 v[28:29], v[24:25], 0
	scratch_load_dwordx4 v[24:27], off, off offset:576
	v_mul_f64 v[18:19], v[18:19], v[22:23]
	v_fma_f64 v[16:17], v[16:17], v[20:21], -v[18:19]
	v_add_f64 v[16:17], v[16:17], 0
	s_waitcnt vmcnt(0) lgkmcnt(2)
	v_mul_f64 v[30:31], v[12:13], v[26:27]
	v_fmac_f64_e32 v[30:31], v[14:15], v[24:25]
	v_add_f64 v[32:33], v[28:29], v[30:31]
	scratch_load_dwordx4 v[28:31], off, off offset:592
	v_mul_f64 v[14:15], v[14:15], v[26:27]
	v_fma_f64 v[12:13], v[12:13], v[24:25], -v[14:15]
	v_add_f64 v[12:13], v[16:17], v[12:13]
	;; [unrolled: 8-line block ×3, first 2 shown]
	s_waitcnt vmcnt(0) lgkmcnt(0)
	v_mul_f64 v[38:39], v[4:5], v[34:35]
	v_fmac_f64_e32 v[38:39], v[6:7], v[32:33]
	v_add_f64 v[44:45], v[36:37], v[38:39]
	ds_read_b128 v[36:39], v2 offset:1520
	v_mul_f64 v[6:7], v[6:7], v[34:35]
	v_fma_f64 v[4:5], v[4:5], v[32:33], -v[6:7]
	v_add_f64 v[4:5], v[8:9], v[4:5]
	s_waitcnt lgkmcnt(0)
	v_mul_f64 v[46:47], v[36:37], v[42:43]
	v_fmac_f64_e32 v[46:47], v[38:39], v[40:41]
	v_add_f64 v[52:53], v[44:45], v[46:47]
	ds_read_b128 v[44:47], v2 offset:1536
	v_mul_f64 v[6:7], v[38:39], v[42:43]
	v_fma_f64 v[6:7], v[36:37], v[40:41], -v[6:7]
	v_add_f64 v[4:5], v[4:5], v[6:7]
	s_waitcnt lgkmcnt(0)
	;; [unrolled: 8-line block ×19, first 2 shown]
	v_mul_f64 v[6:7], v[184:185], v[188:189]
	v_fma_f64 v[6:7], v[182:183], v[186:187], -v[6:7]
	v_add_f64 v[8:9], v[4:5], v[6:7]
	scratch_load_dwordx4 v[4:7], off, off offset:544
	v_mul_f64 v[190:191], v[182:183], v[188:189]
	v_fmac_f64_e32 v[190:191], v[184:185], v[186:187]
	v_add_f64 v[128:129], v[128:129], v[190:191]
	s_waitcnt vmcnt(0)
	v_add_f64 v[4:5], v[4:5], -v[8:9]
	v_add_f64 v[6:7], v[6:7], -v[128:129]
	scratch_store_dwordx4 off, v[4:7], off offset:544
	s_and_saveexec_b64 s[0:1], vcc
	s_cbranch_execz .LBB56_291
; %bb.290:
	scratch_load_dwordx4 v[6:9], off, s69
	v_mov_b32_e32 v3, v2
	v_mov_b32_e32 v4, v2
	;; [unrolled: 1-line block ×3, first 2 shown]
	v_accvgpr_read_b32 v0, a115
	scratch_store_dwordx4 off, v[2:5], off offset:528
	s_waitcnt vmcnt(1)
	ds_write_b128 v0, v[6:9]
.LBB56_291:
	s_or_b64 exec, exec, s[0:1]
	s_waitcnt lgkmcnt(0)
	; wave barrier
	ds_read_b128 v[16:19], v2 offset:1440
	ds_read_b128 v[12:15], v2 offset:1456
	;; [unrolled: 1-line block ×4, first 2 shown]
	scratch_load_dwordx4 v[20:23], off, off offset:544
	scratch_load_dwordx4 v[40:43], off, off offset:608
	scratch_load_dwordx4 v[72:75], off, off offset:672
	scratch_load_dwordx4 v[80:83], off, off offset:688
	scratch_load_dwordx4 v[88:91], off, off offset:704
	scratch_load_dwordx4 v[96:99], off, off offset:720
	scratch_load_dwordx4 v[104:107], off, off offset:736
	scratch_load_dwordx4 v[112:115], off, off offset:752
	scratch_load_dwordx4 v[120:123], off, off offset:768
	scratch_load_dwordx4 v[128:131], off, off offset:784
	scratch_load_dwordx4 v[136:139], off, off offset:800
	scratch_load_dwordx4 v[144:147], off, off offset:816
	scratch_load_dwordx4 v[154:157], off, off offset:832
	scratch_load_dwordx4 v[162:165], off, off offset:848
	scratch_load_dwordx4 v[170:173], off, off offset:864
	scratch_load_dwordx4 v[178:181], off, off offset:880
	scratch_load_dwordx4 v[186:189], off, off offset:896
	scratch_load_dwordx4 v[194:197], off, off offset:912
	v_cmp_lt_u32_e32 vcc, 31, v240
	scratch_load_dwordx4 v[48:51], off, off offset:624
	scratch_load_dwordx4 v[56:59], off, off offset:640
	;; [unrolled: 1-line block ×3, first 2 shown]
	s_waitcnt vmcnt(20) lgkmcnt(3)
	v_mul_f64 v[24:25], v[16:17], v[22:23]
	v_fmac_f64_e32 v[24:25], v[18:19], v[20:21]
	v_add_f64 v[28:29], v[24:25], 0
	scratch_load_dwordx4 v[24:27], off, off offset:560
	s_waitcnt vmcnt(0) lgkmcnt(2)
	v_mul_f64 v[30:31], v[12:13], v[26:27]
	v_fmac_f64_e32 v[30:31], v[14:15], v[24:25]
	v_add_f64 v[32:33], v[28:29], v[30:31]
	scratch_load_dwordx4 v[28:31], off, off offset:576
	v_mul_f64 v[14:15], v[14:15], v[26:27]
	v_fma_f64 v[12:13], v[12:13], v[24:25], -v[14:15]
	s_waitcnt vmcnt(0) lgkmcnt(1)
	v_mul_f64 v[34:35], v[8:9], v[30:31]
	v_fmac_f64_e32 v[34:35], v[10:11], v[28:29]
	v_add_f64 v[36:37], v[32:33], v[34:35]
	scratch_load_dwordx4 v[32:35], off, off offset:592
	v_mul_f64 v[10:11], v[10:11], v[30:31]
	v_fma_f64 v[8:9], v[8:9], v[28:29], -v[10:11]
	s_waitcnt vmcnt(0) lgkmcnt(0)
	v_mul_f64 v[38:39], v[4:5], v[34:35]
	v_fmac_f64_e32 v[38:39], v[6:7], v[32:33]
	v_add_f64 v[44:45], v[36:37], v[38:39]
	ds_read_b128 v[36:39], v2 offset:1504
	v_mul_f64 v[6:7], v[6:7], v[34:35]
	v_fma_f64 v[4:5], v[4:5], v[32:33], -v[6:7]
	s_waitcnt lgkmcnt(0)
	v_mul_f64 v[46:47], v[36:37], v[42:43]
	v_fmac_f64_e32 v[46:47], v[38:39], v[40:41]
	v_add_f64 v[52:53], v[44:45], v[46:47]
	ds_read_b128 v[44:47], v2 offset:1520
	s_waitcnt lgkmcnt(0)
	v_mul_f64 v[54:55], v[44:45], v[50:51]
	v_fmac_f64_e32 v[54:55], v[46:47], v[48:49]
	v_add_f64 v[60:61], v[52:53], v[54:55]
	ds_read_b128 v[52:55], v2 offset:1536
	;; [unrolled: 5-line block ×19, first 2 shown]
	s_waitcnt lgkmcnt(0)
	v_mul_f64 v[2:3], v[190:191], v[196:197]
	v_fmac_f64_e32 v[2:3], v[192:193], v[194:195]
	v_add_f64 v[148:149], v[148:149], v[2:3]
	v_mul_f64 v[2:3], v[18:19], v[22:23]
	v_fma_f64 v[2:3], v[16:17], v[20:21], -v[2:3]
	v_add_f64 v[2:3], v[2:3], 0
	v_add_f64 v[2:3], v[2:3], v[12:13]
	;; [unrolled: 1-line block ×4, first 2 shown]
	v_mul_f64 v[4:5], v[38:39], v[42:43]
	v_fma_f64 v[4:5], v[36:37], v[40:41], -v[4:5]
	v_add_f64 v[2:3], v[2:3], v[4:5]
	v_mul_f64 v[4:5], v[46:47], v[50:51]
	v_fma_f64 v[4:5], v[44:45], v[48:49], -v[4:5]
	v_add_f64 v[2:3], v[2:3], v[4:5]
	;; [unrolled: 3-line block ×20, first 2 shown]
	scratch_load_dwordx4 v[2:5], off, off offset:528
	s_waitcnt vmcnt(0)
	v_add_f64 v[2:3], v[2:3], -v[6:7]
	v_add_f64 v[4:5], v[4:5], -v[148:149]
	scratch_store_dwordx4 off, v[2:5], off offset:528
	s_and_saveexec_b64 s[0:1], vcc
	s_cbranch_execz .LBB56_293
; %bb.292:
	scratch_load_dwordx4 v[2:5], off, s68
	v_mov_b32_e32 v6, 0
	v_mov_b32_e32 v7, v6
	;; [unrolled: 1-line block ×4, first 2 shown]
	v_accvgpr_read_b32 v0, a115
	scratch_store_dwordx4 off, v[6:9], off offset:512
	s_waitcnt vmcnt(1)
	ds_write_b128 v0, v[2:5]
.LBB56_293:
	s_or_b64 exec, exec, s[0:1]
	v_mov_b32_e32 v2, 0
	s_waitcnt lgkmcnt(0)
	; wave barrier
	ds_read_b128 v[16:19], v2 offset:1424
	ds_read_b128 v[12:15], v2 offset:1440
	;; [unrolled: 1-line block ×4, first 2 shown]
	scratch_load_dwordx4 v[20:23], off, off offset:528
	scratch_load_dwordx4 v[40:43], off, off offset:592
	;; [unrolled: 1-line block ×19, first 2 shown]
	v_cmp_lt_u32_e32 vcc, 30, v240
	scratch_load_dwordx4 v[48:51], off, off offset:608
	scratch_load_dwordx4 v[56:59], off, off offset:624
	;; [unrolled: 1-line block ×3, first 2 shown]
	s_waitcnt vmcnt(21) lgkmcnt(3)
	v_mul_f64 v[24:25], v[16:17], v[22:23]
	v_fmac_f64_e32 v[24:25], v[18:19], v[20:21]
	v_add_f64 v[28:29], v[24:25], 0
	scratch_load_dwordx4 v[24:27], off, off offset:544
	v_mul_f64 v[18:19], v[18:19], v[22:23]
	v_fma_f64 v[16:17], v[16:17], v[20:21], -v[18:19]
	v_add_f64 v[16:17], v[16:17], 0
	s_waitcnt vmcnt(0) lgkmcnt(2)
	v_mul_f64 v[30:31], v[12:13], v[26:27]
	v_fmac_f64_e32 v[30:31], v[14:15], v[24:25]
	v_add_f64 v[32:33], v[28:29], v[30:31]
	scratch_load_dwordx4 v[28:31], off, off offset:560
	v_mul_f64 v[14:15], v[14:15], v[26:27]
	v_fma_f64 v[12:13], v[12:13], v[24:25], -v[14:15]
	v_add_f64 v[12:13], v[16:17], v[12:13]
	;; [unrolled: 8-line block ×3, first 2 shown]
	s_waitcnt vmcnt(0) lgkmcnt(0)
	v_mul_f64 v[38:39], v[4:5], v[34:35]
	v_fmac_f64_e32 v[38:39], v[6:7], v[32:33]
	v_add_f64 v[44:45], v[36:37], v[38:39]
	ds_read_b128 v[36:39], v2 offset:1488
	v_mul_f64 v[6:7], v[6:7], v[34:35]
	v_fma_f64 v[4:5], v[4:5], v[32:33], -v[6:7]
	v_add_f64 v[4:5], v[8:9], v[4:5]
	s_waitcnt lgkmcnt(0)
	v_mul_f64 v[46:47], v[36:37], v[42:43]
	v_fmac_f64_e32 v[46:47], v[38:39], v[40:41]
	v_add_f64 v[52:53], v[44:45], v[46:47]
	ds_read_b128 v[44:47], v2 offset:1504
	v_mul_f64 v[6:7], v[38:39], v[42:43]
	v_fma_f64 v[6:7], v[36:37], v[40:41], -v[6:7]
	v_add_f64 v[4:5], v[4:5], v[6:7]
	s_waitcnt lgkmcnt(0)
	;; [unrolled: 8-line block ×21, first 2 shown]
	v_mul_f64 v[6:7], v[200:201], v[204:205]
	v_fma_f64 v[6:7], v[198:199], v[202:203], -v[6:7]
	v_add_f64 v[8:9], v[4:5], v[6:7]
	scratch_load_dwordx4 v[4:7], off, off offset:512
	v_mul_f64 v[206:207], v[198:199], v[204:205]
	v_fmac_f64_e32 v[206:207], v[200:201], v[202:203]
	v_add_f64 v[144:145], v[144:145], v[206:207]
	s_waitcnt vmcnt(0)
	v_add_f64 v[4:5], v[4:5], -v[8:9]
	v_add_f64 v[6:7], v[6:7], -v[144:145]
	scratch_store_dwordx4 off, v[4:7], off offset:512
	s_and_saveexec_b64 s[0:1], vcc
	s_cbranch_execz .LBB56_295
; %bb.294:
	scratch_load_dwordx4 v[6:9], off, s67
	v_mov_b32_e32 v3, v2
	v_mov_b32_e32 v4, v2
	;; [unrolled: 1-line block ×3, first 2 shown]
	v_accvgpr_read_b32 v0, a115
	scratch_store_dwordx4 off, v[2:5], off offset:496
	s_waitcnt vmcnt(1)
	ds_write_b128 v0, v[6:9]
.LBB56_295:
	s_or_b64 exec, exec, s[0:1]
	s_waitcnt lgkmcnt(0)
	; wave barrier
	ds_read_b128 v[16:19], v2 offset:1408
	ds_read_b128 v[12:15], v2 offset:1424
	ds_read_b128 v[8:11], v2 offset:1440
	ds_read_b128 v[4:7], v2 offset:1456
	scratch_load_dwordx4 v[20:23], off, off offset:512
	scratch_load_dwordx4 v[40:43], off, off offset:576
	scratch_load_dwordx4 v[72:75], off, off offset:640
	scratch_load_dwordx4 v[80:83], off, off offset:656
	scratch_load_dwordx4 v[88:91], off, off offset:672
	scratch_load_dwordx4 v[96:99], off, off offset:688
	scratch_load_dwordx4 v[104:107], off, off offset:704
	scratch_load_dwordx4 v[112:115], off, off offset:720
	scratch_load_dwordx4 v[120:123], off, off offset:736
	scratch_load_dwordx4 v[128:131], off, off offset:752
	scratch_load_dwordx4 v[136:139], off, off offset:768
	scratch_load_dwordx4 v[144:147], off, off offset:784
	scratch_load_dwordx4 v[152:155], off, off offset:800
	scratch_load_dwordx4 v[160:163], off, off offset:816
	scratch_load_dwordx4 v[170:173], off, off offset:832
	scratch_load_dwordx4 v[178:181], off, off offset:848
	scratch_load_dwordx4 v[186:189], off, off offset:864
	scratch_load_dwordx4 v[194:197], off, off offset:880
	scratch_load_dwordx4 v[202:205], off, off offset:896
	scratch_load_dwordx4 v[210:213], off, off offset:912
	v_cmp_lt_u32_e32 vcc, 29, v240
	scratch_load_dwordx4 v[48:51], off, off offset:592
	scratch_load_dwordx4 v[56:59], off, off offset:608
	scratch_load_dwordx4 v[64:67], off, off offset:624
	s_waitcnt vmcnt(22) lgkmcnt(3)
	v_mul_f64 v[24:25], v[16:17], v[22:23]
	v_fmac_f64_e32 v[24:25], v[18:19], v[20:21]
	v_add_f64 v[28:29], v[24:25], 0
	scratch_load_dwordx4 v[24:27], off, off offset:528
	s_waitcnt vmcnt(0) lgkmcnt(2)
	v_mul_f64 v[30:31], v[12:13], v[26:27]
	v_fmac_f64_e32 v[30:31], v[14:15], v[24:25]
	v_add_f64 v[32:33], v[28:29], v[30:31]
	scratch_load_dwordx4 v[28:31], off, off offset:544
	v_mul_f64 v[14:15], v[14:15], v[26:27]
	v_fma_f64 v[12:13], v[12:13], v[24:25], -v[14:15]
	s_waitcnt vmcnt(0) lgkmcnt(1)
	v_mul_f64 v[34:35], v[8:9], v[30:31]
	v_fmac_f64_e32 v[34:35], v[10:11], v[28:29]
	v_add_f64 v[36:37], v[32:33], v[34:35]
	scratch_load_dwordx4 v[32:35], off, off offset:560
	v_mul_f64 v[10:11], v[10:11], v[30:31]
	v_fma_f64 v[8:9], v[8:9], v[28:29], -v[10:11]
	s_waitcnt vmcnt(0) lgkmcnt(0)
	v_mul_f64 v[38:39], v[4:5], v[34:35]
	v_fmac_f64_e32 v[38:39], v[6:7], v[32:33]
	v_add_f64 v[44:45], v[36:37], v[38:39]
	ds_read_b128 v[36:39], v2 offset:1472
	v_mul_f64 v[6:7], v[6:7], v[34:35]
	v_fma_f64 v[4:5], v[4:5], v[32:33], -v[6:7]
	s_waitcnt lgkmcnt(0)
	v_mul_f64 v[46:47], v[36:37], v[42:43]
	v_fmac_f64_e32 v[46:47], v[38:39], v[40:41]
	v_add_f64 v[52:53], v[44:45], v[46:47]
	ds_read_b128 v[44:47], v2 offset:1488
	s_waitcnt lgkmcnt(0)
	v_mul_f64 v[54:55], v[44:45], v[50:51]
	v_fmac_f64_e32 v[54:55], v[46:47], v[48:49]
	v_add_f64 v[60:61], v[52:53], v[54:55]
	ds_read_b128 v[52:55], v2 offset:1504
	;; [unrolled: 5-line block ×21, first 2 shown]
	s_waitcnt lgkmcnt(0)
	v_mul_f64 v[2:3], v[206:207], v[212:213]
	v_fmac_f64_e32 v[2:3], v[208:209], v[210:211]
	v_add_f64 v[168:169], v[168:169], v[2:3]
	v_mul_f64 v[2:3], v[18:19], v[22:23]
	v_fma_f64 v[2:3], v[16:17], v[20:21], -v[2:3]
	v_add_f64 v[2:3], v[2:3], 0
	v_add_f64 v[2:3], v[2:3], v[12:13]
	;; [unrolled: 1-line block ×4, first 2 shown]
	v_mul_f64 v[4:5], v[38:39], v[42:43]
	v_fma_f64 v[4:5], v[36:37], v[40:41], -v[4:5]
	v_add_f64 v[2:3], v[2:3], v[4:5]
	v_mul_f64 v[4:5], v[46:47], v[50:51]
	v_fma_f64 v[4:5], v[44:45], v[48:49], -v[4:5]
	v_add_f64 v[2:3], v[2:3], v[4:5]
	;; [unrolled: 3-line block ×22, first 2 shown]
	scratch_load_dwordx4 v[2:5], off, off offset:496
	s_waitcnt vmcnt(0)
	v_add_f64 v[2:3], v[2:3], -v[6:7]
	v_add_f64 v[4:5], v[4:5], -v[168:169]
	scratch_store_dwordx4 off, v[2:5], off offset:496
	s_and_saveexec_b64 s[0:1], vcc
	s_cbranch_execz .LBB56_297
; %bb.296:
	scratch_load_dwordx4 v[2:5], off, s66
	v_mov_b32_e32 v6, 0
	v_mov_b32_e32 v7, v6
	;; [unrolled: 1-line block ×4, first 2 shown]
	v_accvgpr_read_b32 v0, a115
	scratch_store_dwordx4 off, v[6:9], off offset:480
	s_waitcnt vmcnt(1)
	ds_write_b128 v0, v[2:5]
.LBB56_297:
	s_or_b64 exec, exec, s[0:1]
	v_mov_b32_e32 v2, 0
	s_waitcnt lgkmcnt(0)
	; wave barrier
	ds_read_b128 v[16:19], v2 offset:1392
	ds_read_b128 v[12:15], v2 offset:1408
	ds_read_b128 v[8:11], v2 offset:1424
	ds_read_b128 v[4:7], v2 offset:1440
	scratch_load_dwordx4 v[20:23], off, off offset:496
	scratch_load_dwordx4 v[40:43], off, off offset:560
	;; [unrolled: 1-line block ×21, first 2 shown]
	v_cmp_lt_u32_e32 vcc, 28, v240
	scratch_load_dwordx4 v[48:51], off, off offset:576
	scratch_load_dwordx4 v[56:59], off, off offset:592
	scratch_load_dwordx4 v[64:67], off, off offset:608
	s_waitcnt vmcnt(23) lgkmcnt(3)
	v_mul_f64 v[24:25], v[16:17], v[22:23]
	v_fmac_f64_e32 v[24:25], v[18:19], v[20:21]
	v_add_f64 v[28:29], v[24:25], 0
	scratch_load_dwordx4 v[24:27], off, off offset:512
	v_mul_f64 v[18:19], v[18:19], v[22:23]
	v_fma_f64 v[16:17], v[16:17], v[20:21], -v[18:19]
	v_add_f64 v[16:17], v[16:17], 0
	s_waitcnt vmcnt(0) lgkmcnt(2)
	v_mul_f64 v[30:31], v[12:13], v[26:27]
	v_fmac_f64_e32 v[30:31], v[14:15], v[24:25]
	v_add_f64 v[32:33], v[28:29], v[30:31]
	scratch_load_dwordx4 v[28:31], off, off offset:528
	v_mul_f64 v[14:15], v[14:15], v[26:27]
	v_fma_f64 v[12:13], v[12:13], v[24:25], -v[14:15]
	v_add_f64 v[12:13], v[16:17], v[12:13]
	s_waitcnt vmcnt(0) lgkmcnt(1)
	v_mul_f64 v[34:35], v[8:9], v[30:31]
	v_fmac_f64_e32 v[34:35], v[10:11], v[28:29]
	v_add_f64 v[36:37], v[32:33], v[34:35]
	scratch_load_dwordx4 v[32:35], off, off offset:544
	v_mul_f64 v[10:11], v[10:11], v[30:31]
	v_fma_f64 v[8:9], v[8:9], v[28:29], -v[10:11]
	v_add_f64 v[8:9], v[12:13], v[8:9]
	s_waitcnt vmcnt(0) lgkmcnt(0)
	v_mul_f64 v[38:39], v[4:5], v[34:35]
	v_fmac_f64_e32 v[38:39], v[6:7], v[32:33]
	v_add_f64 v[44:45], v[36:37], v[38:39]
	ds_read_b128 v[36:39], v2 offset:1456
	v_mul_f64 v[6:7], v[6:7], v[34:35]
	v_fma_f64 v[4:5], v[4:5], v[32:33], -v[6:7]
	v_add_f64 v[4:5], v[8:9], v[4:5]
	s_waitcnt lgkmcnt(0)
	v_mul_f64 v[46:47], v[36:37], v[42:43]
	v_fmac_f64_e32 v[46:47], v[38:39], v[40:41]
	v_add_f64 v[52:53], v[44:45], v[46:47]
	ds_read_b128 v[44:47], v2 offset:1472
	v_mul_f64 v[6:7], v[38:39], v[42:43]
	v_fma_f64 v[6:7], v[36:37], v[40:41], -v[6:7]
	v_add_f64 v[4:5], v[4:5], v[6:7]
	s_waitcnt lgkmcnt(0)
	;; [unrolled: 8-line block ×23, first 2 shown]
	v_mul_f64 v[6:7], v[216:217], v[220:221]
	v_fma_f64 v[6:7], v[214:215], v[218:219], -v[6:7]
	v_add_f64 v[8:9], v[4:5], v[6:7]
	scratch_load_dwordx4 v[4:7], off, off offset:480
	v_mul_f64 v[222:223], v[214:215], v[220:221]
	v_fmac_f64_e32 v[222:223], v[216:217], v[218:219]
	v_add_f64 v[160:161], v[160:161], v[222:223]
	s_waitcnt vmcnt(0)
	v_add_f64 v[4:5], v[4:5], -v[8:9]
	v_add_f64 v[6:7], v[6:7], -v[160:161]
	scratch_store_dwordx4 off, v[4:7], off offset:480
	s_and_saveexec_b64 s[0:1], vcc
	s_cbranch_execz .LBB56_299
; %bb.298:
	scratch_load_dwordx4 v[6:9], off, s65
	v_mov_b32_e32 v3, v2
	v_mov_b32_e32 v4, v2
	;; [unrolled: 1-line block ×3, first 2 shown]
	v_accvgpr_read_b32 v0, a115
	scratch_store_dwordx4 off, v[2:5], off offset:464
	s_waitcnt vmcnt(1)
	ds_write_b128 v0, v[6:9]
.LBB56_299:
	s_or_b64 exec, exec, s[0:1]
	s_waitcnt lgkmcnt(0)
	; wave barrier
	ds_read_b128 v[16:19], v2 offset:1376
	ds_read_b128 v[12:15], v2 offset:1392
	;; [unrolled: 1-line block ×4, first 2 shown]
	scratch_load_dwordx4 v[20:23], off, off offset:480
	scratch_load_dwordx4 v[40:43], off, off offset:544
	scratch_load_dwordx4 v[72:75], off, off offset:608
	scratch_load_dwordx4 v[80:83], off, off offset:624
	scratch_load_dwordx4 v[88:91], off, off offset:640
	scratch_load_dwordx4 v[96:99], off, off offset:656
	scratch_load_dwordx4 v[104:107], off, off offset:672
	scratch_load_dwordx4 v[112:115], off, off offset:688
	scratch_load_dwordx4 v[120:123], off, off offset:704
	scratch_load_dwordx4 v[128:131], off, off offset:720
	scratch_load_dwordx4 v[136:139], off, off offset:736
	scratch_load_dwordx4 v[144:147], off, off offset:752
	scratch_load_dwordx4 v[152:155], off, off offset:768
	scratch_load_dwordx4 v[160:163], off, off offset:784
	scratch_load_dwordx4 v[168:171], off, off offset:800
	scratch_load_dwordx4 v[178:181], off, off offset:816
	scratch_load_dwordx4 v[186:189], off, off offset:832
	scratch_load_dwordx4 v[194:197], off, off offset:848
	scratch_load_dwordx4 v[202:205], off, off offset:864
	scratch_load_dwordx4 v[210:213], off, off offset:880
	scratch_load_dwordx4 v[218:221], off, off offset:896
	scratch_load_dwordx4 v[226:229], off, off offset:912
	v_cmp_lt_u32_e32 vcc, 27, v240
	scratch_load_dwordx4 v[48:51], off, off offset:560
	scratch_load_dwordx4 v[56:59], off, off offset:576
	;; [unrolled: 1-line block ×3, first 2 shown]
	s_waitcnt vmcnt(24) lgkmcnt(3)
	v_mul_f64 v[24:25], v[16:17], v[22:23]
	v_fmac_f64_e32 v[24:25], v[18:19], v[20:21]
	v_add_f64 v[28:29], v[24:25], 0
	scratch_load_dwordx4 v[24:27], off, off offset:496
	s_waitcnt vmcnt(0) lgkmcnt(2)
	v_mul_f64 v[30:31], v[12:13], v[26:27]
	v_fmac_f64_e32 v[30:31], v[14:15], v[24:25]
	v_add_f64 v[32:33], v[28:29], v[30:31]
	scratch_load_dwordx4 v[28:31], off, off offset:512
	v_mul_f64 v[14:15], v[14:15], v[26:27]
	v_fma_f64 v[12:13], v[12:13], v[24:25], -v[14:15]
	s_waitcnt vmcnt(0) lgkmcnt(1)
	v_mul_f64 v[34:35], v[8:9], v[30:31]
	v_fmac_f64_e32 v[34:35], v[10:11], v[28:29]
	v_add_f64 v[36:37], v[32:33], v[34:35]
	scratch_load_dwordx4 v[32:35], off, off offset:528
	v_mul_f64 v[10:11], v[10:11], v[30:31]
	v_fma_f64 v[8:9], v[8:9], v[28:29], -v[10:11]
	s_waitcnt vmcnt(0) lgkmcnt(0)
	v_mul_f64 v[38:39], v[4:5], v[34:35]
	v_fmac_f64_e32 v[38:39], v[6:7], v[32:33]
	v_add_f64 v[44:45], v[36:37], v[38:39]
	ds_read_b128 v[36:39], v2 offset:1440
	v_mul_f64 v[6:7], v[6:7], v[34:35]
	v_fma_f64 v[4:5], v[4:5], v[32:33], -v[6:7]
	s_waitcnt lgkmcnt(0)
	v_mul_f64 v[46:47], v[36:37], v[42:43]
	v_fmac_f64_e32 v[46:47], v[38:39], v[40:41]
	v_add_f64 v[52:53], v[44:45], v[46:47]
	ds_read_b128 v[44:47], v2 offset:1456
	s_waitcnt lgkmcnt(0)
	v_mul_f64 v[54:55], v[44:45], v[50:51]
	v_fmac_f64_e32 v[54:55], v[46:47], v[48:49]
	v_add_f64 v[60:61], v[52:53], v[54:55]
	ds_read_b128 v[52:55], v2 offset:1472
	;; [unrolled: 5-line block ×23, first 2 shown]
	s_waitcnt lgkmcnt(0)
	v_mul_f64 v[2:3], v[222:223], v[228:229]
	v_fmac_f64_e32 v[2:3], v[224:225], v[226:227]
	v_add_f64 v[176:177], v[176:177], v[2:3]
	v_mul_f64 v[2:3], v[18:19], v[22:23]
	v_fma_f64 v[2:3], v[16:17], v[20:21], -v[2:3]
	v_add_f64 v[2:3], v[2:3], 0
	v_add_f64 v[2:3], v[2:3], v[12:13]
	;; [unrolled: 1-line block ×4, first 2 shown]
	v_mul_f64 v[4:5], v[38:39], v[42:43]
	v_fma_f64 v[4:5], v[36:37], v[40:41], -v[4:5]
	v_add_f64 v[2:3], v[2:3], v[4:5]
	v_mul_f64 v[4:5], v[46:47], v[50:51]
	v_fma_f64 v[4:5], v[44:45], v[48:49], -v[4:5]
	v_add_f64 v[2:3], v[2:3], v[4:5]
	;; [unrolled: 3-line block ×24, first 2 shown]
	scratch_load_dwordx4 v[2:5], off, off offset:464
	s_waitcnt vmcnt(0)
	v_add_f64 v[2:3], v[2:3], -v[6:7]
	v_add_f64 v[4:5], v[4:5], -v[176:177]
	scratch_store_dwordx4 off, v[2:5], off offset:464
	s_and_saveexec_b64 s[0:1], vcc
	s_cbranch_execz .LBB56_301
; %bb.300:
	scratch_load_dwordx4 v[2:5], off, s64
	v_mov_b32_e32 v6, 0
	v_mov_b32_e32 v7, v6
	v_mov_b32_e32 v8, v6
	v_mov_b32_e32 v9, v6
	v_accvgpr_read_b32 v0, a115
	scratch_store_dwordx4 off, v[6:9], off offset:448
	s_waitcnt vmcnt(1)
	ds_write_b128 v0, v[2:5]
.LBB56_301:
	s_or_b64 exec, exec, s[0:1]
	v_mov_b32_e32 v2, 0
	s_waitcnt lgkmcnt(0)
	; wave barrier
	ds_read_b128 v[16:19], v2 offset:1360
	ds_read_b128 v[12:15], v2 offset:1376
	ds_read_b128 v[8:11], v2 offset:1392
	ds_read_b128 v[4:7], v2 offset:1408
	scratch_load_dwordx4 v[20:23], off, off offset:464
	scratch_load_dwordx4 v[40:43], off, off offset:528
	;; [unrolled: 1-line block ×23, first 2 shown]
	v_cmp_lt_u32_e32 vcc, 26, v240
	scratch_load_dwordx4 v[48:51], off, off offset:544
	scratch_load_dwordx4 v[56:59], off, off offset:560
	;; [unrolled: 1-line block ×3, first 2 shown]
	s_waitcnt vmcnt(25) lgkmcnt(3)
	v_mul_f64 v[24:25], v[16:17], v[22:23]
	v_fmac_f64_e32 v[24:25], v[18:19], v[20:21]
	v_add_f64 v[28:29], v[24:25], 0
	scratch_load_dwordx4 v[24:27], off, off offset:480
	v_mul_f64 v[18:19], v[18:19], v[22:23]
	v_fma_f64 v[16:17], v[16:17], v[20:21], -v[18:19]
	v_add_f64 v[16:17], v[16:17], 0
	s_waitcnt vmcnt(0) lgkmcnt(2)
	v_mul_f64 v[30:31], v[12:13], v[26:27]
	v_fmac_f64_e32 v[30:31], v[14:15], v[24:25]
	v_add_f64 v[32:33], v[28:29], v[30:31]
	scratch_load_dwordx4 v[28:31], off, off offset:496
	v_mul_f64 v[14:15], v[14:15], v[26:27]
	v_fma_f64 v[12:13], v[12:13], v[24:25], -v[14:15]
	v_add_f64 v[12:13], v[16:17], v[12:13]
	;; [unrolled: 8-line block ×3, first 2 shown]
	s_waitcnt vmcnt(0) lgkmcnt(0)
	v_mul_f64 v[38:39], v[4:5], v[34:35]
	v_fmac_f64_e32 v[38:39], v[6:7], v[32:33]
	v_add_f64 v[44:45], v[36:37], v[38:39]
	ds_read_b128 v[36:39], v2 offset:1424
	v_mul_f64 v[6:7], v[6:7], v[34:35]
	v_fma_f64 v[4:5], v[4:5], v[32:33], -v[6:7]
	v_add_f64 v[4:5], v[8:9], v[4:5]
	s_waitcnt lgkmcnt(0)
	v_mul_f64 v[46:47], v[36:37], v[42:43]
	v_fmac_f64_e32 v[46:47], v[38:39], v[40:41]
	v_add_f64 v[52:53], v[44:45], v[46:47]
	ds_read_b128 v[44:47], v2 offset:1440
	v_mul_f64 v[6:7], v[38:39], v[42:43]
	v_fma_f64 v[6:7], v[36:37], v[40:41], -v[6:7]
	v_add_f64 v[4:5], v[4:5], v[6:7]
	s_waitcnt lgkmcnt(0)
	;; [unrolled: 8-line block ×25, first 2 shown]
	v_mul_f64 v[6:7], v[232:233], v[236:237]
	v_fma_f64 v[6:7], v[230:231], v[234:235], -v[6:7]
	v_add_f64 v[8:9], v[4:5], v[6:7]
	scratch_load_dwordx4 v[4:7], off, off offset:448
	v_mul_f64 v[238:239], v[230:231], v[236:237]
	v_fmac_f64_e32 v[238:239], v[232:233], v[234:235]
	v_add_f64 v[176:177], v[176:177], v[238:239]
	s_waitcnt vmcnt(0)
	v_add_f64 v[4:5], v[4:5], -v[8:9]
	v_add_f64 v[6:7], v[6:7], -v[176:177]
	scratch_store_dwordx4 off, v[4:7], off offset:448
	s_and_saveexec_b64 s[0:1], vcc
	s_cbranch_execz .LBB56_303
; %bb.302:
	scratch_load_dwordx4 v[6:9], off, s63
	v_mov_b32_e32 v3, v2
	v_mov_b32_e32 v4, v2
	;; [unrolled: 1-line block ×3, first 2 shown]
	v_accvgpr_read_b32 v0, a115
	scratch_store_dwordx4 off, v[2:5], off offset:432
	s_waitcnt vmcnt(1)
	ds_write_b128 v0, v[6:9]
.LBB56_303:
	s_or_b64 exec, exec, s[0:1]
	s_waitcnt lgkmcnt(0)
	; wave barrier
	ds_read_b128 v[16:19], v2 offset:1344
	ds_read_b128 v[12:15], v2 offset:1360
	;; [unrolled: 1-line block ×4, first 2 shown]
	scratch_load_dwordx4 v[20:23], off, off offset:448
	scratch_load_dwordx4 v[40:43], off, off offset:512
	;; [unrolled: 1-line block ×24, first 2 shown]
	v_cmp_lt_u32_e32 vcc, 25, v240
	scratch_load_dwordx4 v[48:51], off, off offset:528
	scratch_load_dwordx4 v[56:59], off, off offset:544
	;; [unrolled: 1-line block ×3, first 2 shown]
	ds_read_b128 v[242:245], v2 offset:1808
	s_waitcnt vmcnt(26) lgkmcnt(4)
	v_mul_f64 v[24:25], v[16:17], v[22:23]
	v_fmac_f64_e32 v[24:25], v[18:19], v[20:21]
	v_add_f64 v[28:29], v[24:25], 0
	scratch_load_dwordx4 v[24:27], off, off offset:464
	s_waitcnt vmcnt(0) lgkmcnt(3)
	v_mul_f64 v[30:31], v[12:13], v[26:27]
	v_fmac_f64_e32 v[30:31], v[14:15], v[24:25]
	v_add_f64 v[32:33], v[28:29], v[30:31]
	scratch_load_dwordx4 v[28:31], off, off offset:480
	v_mul_f64 v[14:15], v[14:15], v[26:27]
	v_fma_f64 v[12:13], v[12:13], v[24:25], -v[14:15]
	s_waitcnt vmcnt(0) lgkmcnt(2)
	v_mul_f64 v[34:35], v[8:9], v[30:31]
	v_fmac_f64_e32 v[34:35], v[10:11], v[28:29]
	v_add_f64 v[36:37], v[32:33], v[34:35]
	scratch_load_dwordx4 v[32:35], off, off offset:496
	v_mul_f64 v[10:11], v[10:11], v[30:31]
	v_fma_f64 v[8:9], v[8:9], v[28:29], -v[10:11]
	s_waitcnt vmcnt(0) lgkmcnt(1)
	v_mul_f64 v[38:39], v[4:5], v[34:35]
	v_fmac_f64_e32 v[38:39], v[6:7], v[32:33]
	v_add_f64 v[44:45], v[36:37], v[38:39]
	ds_read_b128 v[36:39], v2 offset:1408
	v_mul_f64 v[6:7], v[6:7], v[34:35]
	v_fma_f64 v[4:5], v[4:5], v[32:33], -v[6:7]
	s_waitcnt lgkmcnt(0)
	v_mul_f64 v[46:47], v[36:37], v[42:43]
	v_fmac_f64_e32 v[46:47], v[38:39], v[40:41]
	v_add_f64 v[52:53], v[44:45], v[46:47]
	ds_read_b128 v[44:47], v2 offset:1424
	s_waitcnt lgkmcnt(0)
	v_mul_f64 v[54:55], v[44:45], v[50:51]
	v_fmac_f64_e32 v[54:55], v[46:47], v[48:49]
	v_add_f64 v[60:61], v[52:53], v[54:55]
	ds_read_b128 v[52:55], v2 offset:1440
	;; [unrolled: 5-line block ×24, first 2 shown]
	v_mul_f64 v[2:3], v[242:243], v[248:249]
	v_fmac_f64_e32 v[2:3], v[244:245], v[246:247]
	s_waitcnt lgkmcnt(0)
	v_mul_f64 v[238:239], v[230:231], v[236:237]
	v_fmac_f64_e32 v[238:239], v[232:233], v[234:235]
	v_add_f64 v[184:185], v[184:185], v[238:239]
	v_add_f64 v[184:185], v[184:185], v[2:3]
	v_mul_f64 v[2:3], v[18:19], v[22:23]
	v_fma_f64 v[2:3], v[16:17], v[20:21], -v[2:3]
	v_add_f64 v[2:3], v[2:3], 0
	v_add_f64 v[2:3], v[2:3], v[12:13]
	;; [unrolled: 1-line block ×4, first 2 shown]
	v_mul_f64 v[4:5], v[38:39], v[42:43]
	v_fma_f64 v[4:5], v[36:37], v[40:41], -v[4:5]
	v_add_f64 v[2:3], v[2:3], v[4:5]
	v_mul_f64 v[4:5], v[46:47], v[50:51]
	v_fma_f64 v[4:5], v[44:45], v[48:49], -v[4:5]
	v_add_f64 v[2:3], v[2:3], v[4:5]
	;; [unrolled: 3-line block ×26, first 2 shown]
	scratch_load_dwordx4 v[2:5], off, off offset:432
	s_waitcnt vmcnt(0)
	v_add_f64 v[2:3], v[2:3], -v[6:7]
	v_add_f64 v[4:5], v[4:5], -v[184:185]
	scratch_store_dwordx4 off, v[2:5], off offset:432
	s_and_saveexec_b64 s[0:1], vcc
	s_cbranch_execz .LBB56_305
; %bb.304:
	scratch_load_dwordx4 v[2:5], off, s62
	v_mov_b32_e32 v6, 0
	v_mov_b32_e32 v7, v6
	;; [unrolled: 1-line block ×4, first 2 shown]
	v_accvgpr_read_b32 v0, a115
	scratch_store_dwordx4 off, v[6:9], off offset:416
	s_waitcnt vmcnt(1)
	ds_write_b128 v0, v[2:5]
.LBB56_305:
	s_or_b64 exec, exec, s[0:1]
	s_waitcnt lgkmcnt(0)
	; wave barrier
	scratch_load_dwordx4 v[16:19], off, off offset:432
	scratch_load_dwordx4 v[12:15], off, off offset:448
	;; [unrolled: 1-line block ×32, first 2 shown]
	v_mov_b32_e32 v2, 0
	ds_read_b128 v[132:135], v2 offset:1328
	ds_read_b128 v[136:139], v2 offset:1344
	;; [unrolled: 1-line block ×17, first 2 shown]
	v_cmp_lt_u32_e32 vcc, 24, v240
	s_waitcnt vmcnt(31) lgkmcnt(14)
	v_mul_f64 v[200:201], v[132:133], v[18:19]
	s_waitcnt vmcnt(30)
	v_mul_f64 v[202:203], v[136:137], v[14:15]
	v_fmac_f64_e32 v[200:201], v[134:135], v[16:17]
	s_waitcnt vmcnt(29)
	v_mul_f64 v[204:205], v[140:141], v[10:11]
	v_fmac_f64_e32 v[202:203], v[138:139], v[12:13]
	v_add_f64 v[200:201], v[200:201], 0
	s_waitcnt vmcnt(28) lgkmcnt(13)
	v_mul_f64 v[206:207], v[144:145], v[6:7]
	v_fmac_f64_e32 v[204:205], v[142:143], v[8:9]
	v_add_f64 v[200:201], v[200:201], v[202:203]
	s_waitcnt vmcnt(27) lgkmcnt(12)
	;; [unrolled: 4-line block ×12, first 2 shown]
	v_mul_f64 v[228:229], v[188:189], v[62:63]
	v_fmac_f64_e32 v[226:227], v[186:187], v[56:57]
	v_add_f64 v[200:201], v[200:201], v[224:225]
	v_fmac_f64_e32 v[228:229], v[190:191], v[60:61]
	v_add_f64 v[200:201], v[200:201], v[226:227]
	s_waitcnt vmcnt(16) lgkmcnt(1)
	v_mul_f64 v[202:203], v[192:193], v[66:67]
	v_add_f64 v[200:201], v[200:201], v[228:229]
	v_fmac_f64_e32 v[202:203], v[194:195], v[64:65]
	s_waitcnt vmcnt(15) lgkmcnt(0)
	v_mul_f64 v[206:207], v[196:197], v[70:71]
	v_add_f64 v[204:205], v[200:201], v[202:203]
	ds_read_b128 v[200:203], v2 offset:1600
	v_fmac_f64_e32 v[206:207], v[198:199], v[68:69]
	v_add_f64 v[208:209], v[204:205], v[206:207]
	ds_read_b128 v[204:207], v2 offset:1616
	v_mul_f64 v[18:19], v[134:135], v[18:19]
	s_waitcnt vmcnt(14) lgkmcnt(1)
	v_mul_f64 v[210:211], v[200:201], v[74:75]
	v_fmac_f64_e32 v[210:211], v[202:203], v[72:73]
	v_add_f64 v[212:213], v[208:209], v[210:211]
	s_waitcnt vmcnt(13) lgkmcnt(0)
	v_mul_f64 v[214:215], v[204:205], v[78:79]
	ds_read_b128 v[208:211], v2 offset:1632
	v_fmac_f64_e32 v[214:215], v[206:207], v[76:77]
	v_add_f64 v[216:217], v[212:213], v[214:215]
	ds_read_b128 v[212:215], v2 offset:1648
	v_fma_f64 v[244:245], v[132:133], v[16:17], -v[18:19]
	s_waitcnt vmcnt(12) lgkmcnt(1)
	v_mul_f64 v[218:219], v[208:209], v[82:83]
	v_fmac_f64_e32 v[218:219], v[210:211], v[80:81]
	v_add_f64 v[220:221], v[216:217], v[218:219]
	s_waitcnt vmcnt(11) lgkmcnt(0)
	v_mul_f64 v[222:223], v[212:213], v[86:87]
	ds_read_b128 v[216:219], v2 offset:1664
	v_fmac_f64_e32 v[222:223], v[214:215], v[84:85]
	v_add_f64 v[224:225], v[220:221], v[222:223]
	ds_read_b128 v[220:223], v2 offset:1680
	ds_read_b128 v[16:19], v2 offset:1760
	s_waitcnt vmcnt(10) lgkmcnt(2)
	v_mul_f64 v[226:227], v[216:217], v[90:91]
	v_fmac_f64_e32 v[226:227], v[218:219], v[88:89]
	v_add_f64 v[228:229], v[224:225], v[226:227]
	s_waitcnt vmcnt(9) lgkmcnt(1)
	v_mul_f64 v[230:231], v[220:221], v[94:95]
	ds_read_b128 v[224:227], v2 offset:1696
	v_fmac_f64_e32 v[230:231], v[222:223], v[92:93]
	v_add_f64 v[232:233], v[228:229], v[230:231]
	ds_read_b128 v[228:231], v2 offset:1712
	v_mul_f64 v[14:15], v[138:139], v[14:15]
	s_waitcnt vmcnt(8) lgkmcnt(1)
	v_mul_f64 v[234:235], v[224:225], v[98:99]
	v_fmac_f64_e32 v[234:235], v[226:227], v[96:97]
	v_add_f64 v[236:237], v[232:233], v[234:235]
	s_waitcnt vmcnt(7) lgkmcnt(0)
	v_mul_f64 v[238:239], v[228:229], v[102:103]
	ds_read_b128 v[232:235], v2 offset:1728
	v_fmac_f64_e32 v[238:239], v[230:231], v[100:101]
	v_add_f64 v[242:243], v[236:237], v[238:239]
	ds_read_b128 v[236:239], v2 offset:1744
	v_fma_f64 v[136:137], v[136:137], v[12:13], -v[14:15]
	s_waitcnt vmcnt(6) lgkmcnt(1)
	v_mul_f64 v[132:133], v[232:233], v[106:107]
	v_fmac_f64_e32 v[132:133], v[234:235], v[104:105]
	v_add_f64 v[132:133], v[242:243], v[132:133]
	s_waitcnt vmcnt(5) lgkmcnt(0)
	v_mul_f64 v[134:135], v[236:237], v[110:111]
	v_fmac_f64_e32 v[134:135], v[238:239], v[108:109]
	v_add_f64 v[132:133], v[132:133], v[134:135]
	ds_read_b128 v[12:15], v2 offset:1776
	s_waitcnt vmcnt(4)
	v_mul_f64 v[134:135], v[16:17], v[114:115]
	v_fmac_f64_e32 v[134:135], v[18:19], v[112:113]
	v_add_f64 v[138:139], v[132:133], v[134:135]
	ds_read_b128 v[132:135], v2 offset:1792
	v_mul_f64 v[10:11], v[142:143], v[10:11]
	v_fma_f64 v[140:141], v[140:141], v[8:9], -v[10:11]
	ds_read_b128 v[8:11], v2 offset:1808
	s_waitcnt vmcnt(3) lgkmcnt(2)
	v_mul_f64 v[142:143], v[12:13], v[118:119]
	v_fmac_f64_e32 v[142:143], v[14:15], v[116:117]
	v_add_f64 v[138:139], v[138:139], v[142:143]
	s_waitcnt vmcnt(2) lgkmcnt(1)
	v_mul_f64 v[142:143], v[132:133], v[122:123]
	v_fmac_f64_e32 v[142:143], v[134:135], v[120:121]
	v_add_f64 v[138:139], v[138:139], v[142:143]
	;; [unrolled: 4-line block ×3, first 2 shown]
	v_add_f64 v[142:143], v[244:245], 0
	v_add_f64 v[136:137], v[142:143], v[136:137]
	v_mul_f64 v[6:7], v[146:147], v[6:7]
	v_add_f64 v[136:137], v[136:137], v[140:141]
	v_fma_f64 v[4:5], v[144:145], v[4:5], -v[6:7]
	v_mul_f64 v[6:7], v[150:151], v[22:23]
	v_add_f64 v[4:5], v[136:137], v[4:5]
	v_fma_f64 v[6:7], v[148:149], v[20:21], -v[6:7]
	v_add_f64 v[4:5], v[4:5], v[6:7]
	v_mul_f64 v[6:7], v[154:155], v[26:27]
	v_fma_f64 v[6:7], v[152:153], v[24:25], -v[6:7]
	v_add_f64 v[4:5], v[4:5], v[6:7]
	v_mul_f64 v[6:7], v[158:159], v[30:31]
	;; [unrolled: 3-line block ×26, first 2 shown]
	v_fma_f64 v[6:7], v[8:9], v[124:125], -v[6:7]
	v_add_f64 v[4:5], v[4:5], v[6:7]
	s_waitcnt vmcnt(0)
	v_add_f64 v[4:5], v[128:129], -v[4:5]
	v_add_f64 v[6:7], v[130:131], -v[138:139]
	scratch_store_dwordx4 off, v[4:7], off offset:416
	s_and_saveexec_b64 s[0:1], vcc
	s_cbranch_execz .LBB56_307
; %bb.306:
	scratch_load_dwordx4 v[6:9], off, s61
	v_mov_b32_e32 v3, v2
	v_mov_b32_e32 v4, v2
	;; [unrolled: 1-line block ×3, first 2 shown]
	v_accvgpr_read_b32 v0, a115
	scratch_store_dwordx4 off, v[2:5], off offset:400
	s_waitcnt vmcnt(1)
	ds_write_b128 v0, v[6:9]
.LBB56_307:
	s_or_b64 exec, exec, s[0:1]
	s_waitcnt lgkmcnt(0)
	; wave barrier
	scratch_load_dwordx4 v[140:143], off, off offset:416
	scratch_load_dwordx4 v[148:151], off, off offset:432
	;; [unrolled: 1-line block ×16, first 2 shown]
	ds_read_b128 v[188:191], v2 offset:1312
	ds_read_b128 v[184:187], v2 offset:1328
	scratch_load_dwordx4 v[56:59], off, off offset:672
	ds_read_b128 v[192:195], v2 offset:1344
	ds_read_b128 v[68:71], v2 offset:1360
	scratch_load_dwordx4 v[60:63], off, off offset:688
	ds_read_b128 v[88:91], v2 offset:1376
	ds_read_b128 v[84:87], v2 offset:1392
	;; [unrolled: 1-line block ×4, first 2 shown]
	scratch_load_dwordx4 v[64:67], off, off offset:704
	ds_read_b128 v[100:103], v2 offset:1440
	ds_read_b128 v[96:99], v2 offset:1456
	scratch_load_dwordx4 v[72:75], off, off offset:720
	ds_read_b128 v[116:119], v2 offset:1472
	ds_read_b128 v[112:115], v2 offset:1488
	;; [unrolled: 1-line block ×4, first 2 shown]
	scratch_load_dwordx4 v[92:95], off, off offset:736
	ds_read_b128 v[132:135], v2 offset:1536
	ds_read_b128 v[128:131], v2 offset:1552
	;; [unrolled: 1-line block ×3, first 2 shown]
	scratch_load_dwordx4 v[120:123], off, off offset:752
	scratch_load_dwordx4 v[136:139], off, off offset:768
	;; [unrolled: 1-line block ×11, first 2 shown]
	v_cmp_lt_u32_e32 vcc, 23, v240
	s_waitcnt vmcnt(31) lgkmcnt(14)
	v_mul_f64 v[200:201], v[188:189], v[142:143]
	s_waitcnt vmcnt(30)
	v_mul_f64 v[202:203], v[184:185], v[150:151]
	v_fmac_f64_e32 v[200:201], v[190:191], v[140:141]
	s_waitcnt vmcnt(29)
	v_mul_f64 v[204:205], v[192:193], v[154:155]
	v_fmac_f64_e32 v[202:203], v[186:187], v[148:149]
	v_add_f64 v[200:201], v[200:201], 0
	s_waitcnt vmcnt(28) lgkmcnt(13)
	v_mul_f64 v[206:207], v[68:69], v[6:7]
	v_fmac_f64_e32 v[204:205], v[194:195], v[152:153]
	v_add_f64 v[200:201], v[200:201], v[202:203]
	s_waitcnt vmcnt(27) lgkmcnt(12)
	v_mul_f64 v[208:209], v[88:89], v[10:11]
	v_fmac_f64_e32 v[206:207], v[70:71], v[4:5]
	v_add_f64 v[200:201], v[200:201], v[204:205]
	s_waitcnt vmcnt(26) lgkmcnt(11)
	v_mul_f64 v[210:211], v[84:85], v[14:15]
	v_fmac_f64_e32 v[208:209], v[90:91], v[8:9]
	v_add_f64 v[200:201], v[200:201], v[206:207]
	s_waitcnt vmcnt(25) lgkmcnt(10)
	v_mul_f64 v[212:213], v[80:81], v[18:19]
	v_fmac_f64_e32 v[210:211], v[86:87], v[12:13]
	v_add_f64 v[200:201], v[200:201], v[208:209]
	s_waitcnt vmcnt(24) lgkmcnt(9)
	v_mul_f64 v[214:215], v[76:77], v[22:23]
	v_fmac_f64_e32 v[212:213], v[82:83], v[16:17]
	v_add_f64 v[200:201], v[200:201], v[210:211]
	s_waitcnt vmcnt(23) lgkmcnt(8)
	v_mul_f64 v[216:217], v[100:101], v[26:27]
	v_fmac_f64_e32 v[214:215], v[78:79], v[20:21]
	v_add_f64 v[200:201], v[200:201], v[212:213]
	s_waitcnt vmcnt(22) lgkmcnt(7)
	v_mul_f64 v[218:219], v[96:97], v[30:31]
	v_fmac_f64_e32 v[216:217], v[102:103], v[24:25]
	v_add_f64 v[200:201], v[200:201], v[214:215]
	s_waitcnt vmcnt(21) lgkmcnt(6)
	v_mul_f64 v[220:221], v[116:117], v[34:35]
	v_fmac_f64_e32 v[218:219], v[98:99], v[28:29]
	v_add_f64 v[200:201], v[200:201], v[216:217]
	s_waitcnt vmcnt(20) lgkmcnt(5)
	v_mul_f64 v[222:223], v[112:113], v[38:39]
	v_fmac_f64_e32 v[220:221], v[118:119], v[32:33]
	v_add_f64 v[200:201], v[200:201], v[218:219]
	s_waitcnt vmcnt(19) lgkmcnt(4)
	v_mul_f64 v[224:225], v[108:109], v[42:43]
	v_fmac_f64_e32 v[222:223], v[114:115], v[36:37]
	v_add_f64 v[200:201], v[200:201], v[220:221]
	s_waitcnt vmcnt(18) lgkmcnt(3)
	v_mul_f64 v[226:227], v[104:105], v[46:47]
	v_fmac_f64_e32 v[224:225], v[110:111], v[40:41]
	v_add_f64 v[200:201], v[200:201], v[222:223]
	s_waitcnt vmcnt(17) lgkmcnt(2)
	v_mul_f64 v[228:229], v[132:133], v[50:51]
	v_fmac_f64_e32 v[226:227], v[106:107], v[44:45]
	v_add_f64 v[200:201], v[200:201], v[224:225]
	s_waitcnt vmcnt(16) lgkmcnt(1)
	v_mul_f64 v[230:231], v[128:129], v[54:55]
	v_fmac_f64_e32 v[228:229], v[134:135], v[48:49]
	v_add_f64 v[200:201], v[200:201], v[226:227]
	v_add_f64 v[200:201], v[200:201], v[228:229]
	v_fmac_f64_e32 v[230:231], v[130:131], v[52:53]
	v_add_f64 v[204:205], v[200:201], v[230:231]
	ds_read_b128 v[200:203], v2 offset:1584
	s_waitcnt vmcnt(15) lgkmcnt(1)
	v_mul_f64 v[206:207], v[124:125], v[58:59]
	v_fmac_f64_e32 v[206:207], v[126:127], v[56:57]
	v_add_f64 v[208:209], v[204:205], v[206:207]
	ds_read_b128 v[204:207], v2 offset:1600
	s_waitcnt vmcnt(14) lgkmcnt(1)
	v_mul_f64 v[210:211], v[200:201], v[62:63]
	;; [unrolled: 5-line block ×10, first 2 shown]
	v_fmac_f64_e32 v[244:245], v[234:235], v[160:161]
	v_mul_f64 v[142:143], v[190:191], v[142:143]
	v_add_f64 v[244:245], v[242:243], v[244:245]
	v_fma_f64 v[242:243], v[188:189], v[140:141], -v[142:143]
	ds_read_b128 v[140:143], v2 offset:1744
	s_waitcnt vmcnt(5) lgkmcnt(1)
	v_mul_f64 v[188:189], v[236:237], v[166:167]
	v_fmac_f64_e32 v[188:189], v[238:239], v[164:165]
	v_mul_f64 v[150:151], v[186:187], v[150:151]
	v_add_f64 v[188:189], v[244:245], v[188:189]
	v_fma_f64 v[244:245], v[184:185], v[148:149], -v[150:151]
	ds_read_b128 v[148:151], v2 offset:1760
	s_waitcnt vmcnt(4) lgkmcnt(1)
	v_mul_f64 v[184:185], v[140:141], v[170:171]
	v_fmac_f64_e32 v[184:185], v[142:143], v[168:169]
	v_add_f64 v[188:189], v[188:189], v[184:185]
	ds_read_b128 v[184:187], v2 offset:1776
	v_mul_f64 v[154:155], v[194:195], v[154:155]
	s_waitcnt vmcnt(3) lgkmcnt(1)
	v_mul_f64 v[190:191], v[148:149], v[174:175]
	v_fma_f64 v[248:249], v[192:193], v[152:153], -v[154:155]
	ds_read_b128 v[152:155], v2 offset:1792
	v_fmac_f64_e32 v[190:191], v[150:151], v[172:173]
	v_add_f64 v[246:247], v[188:189], v[190:191]
	ds_read_b128 v[188:191], v2 offset:1808
	s_waitcnt vmcnt(2) lgkmcnt(2)
	v_mul_f64 v[192:193], v[184:185], v[178:179]
	v_fmac_f64_e32 v[192:193], v[186:187], v[176:177]
	v_add_f64 v[2:3], v[246:247], v[192:193]
	s_waitcnt vmcnt(1) lgkmcnt(1)
	v_mul_f64 v[192:193], v[152:153], v[182:183]
	v_fmac_f64_e32 v[192:193], v[154:155], v[180:181]
	v_add_f64 v[2:3], v[2:3], v[192:193]
	s_waitcnt vmcnt(0) lgkmcnt(0)
	v_mul_f64 v[192:193], v[188:189], v[198:199]
	v_fmac_f64_e32 v[192:193], v[190:191], v[196:197]
	v_add_f64 v[2:3], v[2:3], v[192:193]
	scratch_load_dwordx4 v[192:195], off, off offset:400
	v_add_f64 v[242:243], v[242:243], 0
	v_add_f64 v[242:243], v[242:243], v[244:245]
	v_mul_f64 v[6:7], v[70:71], v[6:7]
	v_add_f64 v[242:243], v[242:243], v[248:249]
	v_fma_f64 v[4:5], v[68:69], v[4:5], -v[6:7]
	v_mul_f64 v[6:7], v[90:91], v[10:11]
	v_add_f64 v[4:5], v[242:243], v[4:5]
	v_fma_f64 v[6:7], v[88:89], v[8:9], -v[6:7]
	v_add_f64 v[4:5], v[4:5], v[6:7]
	v_mul_f64 v[6:7], v[86:87], v[14:15]
	v_fma_f64 v[6:7], v[84:85], v[12:13], -v[6:7]
	v_add_f64 v[4:5], v[4:5], v[6:7]
	v_mul_f64 v[6:7], v[82:83], v[18:19]
	;; [unrolled: 3-line block ×27, first 2 shown]
	v_fma_f64 v[6:7], v[188:189], v[196:197], -v[6:7]
	v_add_f64 v[4:5], v[4:5], v[6:7]
	s_waitcnt vmcnt(0)
	v_add_f64 v[4:5], v[192:193], -v[4:5]
	v_add_f64 v[6:7], v[194:195], -v[2:3]
	scratch_store_dwordx4 off, v[4:7], off offset:400
	s_and_saveexec_b64 s[0:1], vcc
	s_cbranch_execz .LBB56_309
; %bb.308:
	scratch_load_dwordx4 v[2:5], off, s60
	v_mov_b32_e32 v6, 0
	v_mov_b32_e32 v7, v6
	;; [unrolled: 1-line block ×4, first 2 shown]
	v_accvgpr_read_b32 v0, a115
	scratch_store_dwordx4 off, v[6:9], off offset:384
	s_waitcnt vmcnt(1)
	ds_write_b128 v0, v[2:5]
.LBB56_309:
	s_or_b64 exec, exec, s[0:1]
	s_waitcnt lgkmcnt(0)
	; wave barrier
	scratch_load_dwordx4 v[108:111], off, off offset:400
	scratch_load_dwordx4 v[116:119], off, off offset:416
	;; [unrolled: 1-line block ×33, first 2 shown]
	v_mov_b32_e32 v2, 0
	ds_read_b128 v[220:223], v2 offset:1296
	ds_read_b128 v[224:227], v2 offset:1312
	;; [unrolled: 1-line block ×16, first 2 shown]
	v_cmp_lt_u32_e32 vcc, 22, v240
	s_waitcnt vmcnt(32) lgkmcnt(14)
	v_mul_f64 v[180:181], v[220:221], v[110:111]
	s_waitcnt vmcnt(31)
	v_mul_f64 v[182:183], v[224:225], v[118:119]
	v_fmac_f64_e32 v[180:181], v[222:223], v[108:109]
	s_waitcnt vmcnt(30) lgkmcnt(13)
	v_mul_f64 v[184:185], v[234:235], v[122:123]
	v_fmac_f64_e32 v[182:183], v[226:227], v[116:117]
	v_add_f64 v[180:181], v[180:181], 0
	s_waitcnt vmcnt(29) lgkmcnt(12)
	v_mul_f64 v[186:187], v[242:243], v[126:127]
	v_fmac_f64_e32 v[184:185], v[236:237], v[120:121]
	v_add_f64 v[180:181], v[180:181], v[182:183]
	;; [unrolled: 4-line block ×13, first 2 shown]
	v_fmac_f64_e32 v[208:209], v[142:143], v[40:41]
	v_add_f64 v[180:181], v[180:181], v[206:207]
	v_add_f64 v[184:185], v[180:181], v[208:209]
	ds_read_b128 v[180:183], v2 offset:1552
	s_waitcnt vmcnt(17) lgkmcnt(1)
	v_mul_f64 v[186:187], v[136:137], v[46:47]
	v_fmac_f64_e32 v[186:187], v[138:139], v[44:45]
	v_add_f64 v[188:189], v[184:185], v[186:187]
	ds_read_b128 v[184:187], v2 offset:1568
	s_waitcnt vmcnt(16) lgkmcnt(1)
	v_mul_f64 v[190:191], v[180:181], v[50:51]
	v_fmac_f64_e32 v[190:191], v[182:183], v[48:49]
	v_add_f64 v[192:193], v[188:189], v[190:191]
	ds_read_b128 v[188:191], v2 offset:1584
	s_waitcnt vmcnt(15) lgkmcnt(1)
	v_mul_f64 v[194:195], v[184:185], v[54:55]
	v_fmac_f64_e32 v[194:195], v[186:187], v[52:53]
	v_add_f64 v[196:197], v[192:193], v[194:195]
	ds_read_b128 v[192:195], v2 offset:1600
	s_waitcnt vmcnt(14) lgkmcnt(1)
	v_mul_f64 v[198:199], v[188:189], v[58:59]
	v_fmac_f64_e32 v[198:199], v[190:191], v[56:57]
	v_add_f64 v[200:201], v[196:197], v[198:199]
	ds_read_b128 v[196:199], v2 offset:1616
	s_waitcnt vmcnt(13) lgkmcnt(1)
	v_mul_f64 v[202:203], v[192:193], v[62:63]
	v_fmac_f64_e32 v[202:203], v[194:195], v[60:61]
	v_add_f64 v[204:205], v[200:201], v[202:203]
	ds_read_b128 v[200:203], v2 offset:1632
	s_waitcnt vmcnt(12) lgkmcnt(1)
	v_mul_f64 v[206:207], v[196:197], v[66:67]
	v_fmac_f64_e32 v[206:207], v[198:199], v[64:65]
	v_add_f64 v[208:209], v[204:205], v[206:207]
	ds_read_b128 v[204:207], v2 offset:1648
	s_waitcnt vmcnt(11) lgkmcnt(1)
	v_mul_f64 v[210:211], v[200:201], v[70:71]
	v_fmac_f64_e32 v[210:211], v[202:203], v[68:69]
	v_add_f64 v[212:213], v[208:209], v[210:211]
	ds_read_b128 v[208:211], v2 offset:1664
	s_waitcnt vmcnt(10) lgkmcnt(1)
	v_mul_f64 v[214:215], v[204:205], v[74:75]
	v_fmac_f64_e32 v[214:215], v[206:207], v[72:73]
	v_add_f64 v[216:217], v[212:213], v[214:215]
	ds_read_b128 v[212:215], v2 offset:1680
	s_waitcnt vmcnt(9) lgkmcnt(1)
	v_mul_f64 v[218:219], v[208:209], v[78:79]
	v_fmac_f64_e32 v[218:219], v[210:211], v[76:77]
	v_add_f64 v[228:229], v[216:217], v[218:219]
	ds_read_b128 v[216:219], v2 offset:1696
	s_waitcnt vmcnt(8) lgkmcnt(1)
	v_mul_f64 v[230:231], v[212:213], v[82:83]
	v_fmac_f64_e32 v[230:231], v[214:215], v[80:81]
	v_mul_f64 v[110:111], v[222:223], v[110:111]
	v_add_f64 v[228:229], v[228:229], v[230:231]
	v_fma_f64 v[230:231], v[220:221], v[108:109], -v[110:111]
	ds_read_b128 v[108:111], v2 offset:1712
	s_waitcnt vmcnt(7) lgkmcnt(1)
	v_mul_f64 v[220:221], v[216:217], v[86:87]
	v_mul_f64 v[118:119], v[226:227], v[118:119]
	v_fmac_f64_e32 v[220:221], v[218:219], v[84:85]
	v_fma_f64 v[232:233], v[224:225], v[116:117], -v[118:119]
	ds_read_b128 v[116:119], v2 offset:1728
	s_waitcnt vmcnt(6) lgkmcnt(1)
	v_mul_f64 v[222:223], v[108:109], v[90:91]
	v_add_f64 v[220:221], v[228:229], v[220:221]
	v_fmac_f64_e32 v[222:223], v[110:111], v[88:89]
	v_add_f64 v[224:225], v[220:221], v[222:223]
	ds_read_b128 v[220:223], v2 offset:1744
	v_mul_f64 v[122:123], v[236:237], v[122:123]
	v_fma_f64 v[234:235], v[234:235], v[120:121], -v[122:123]
	ds_read_b128 v[120:123], v2 offset:1760
	s_waitcnt vmcnt(5) lgkmcnt(2)
	v_mul_f64 v[226:227], v[116:117], v[94:95]
	v_fmac_f64_e32 v[226:227], v[118:119], v[92:93]
	v_mul_f64 v[126:127], v[244:245], v[126:127]
	v_add_f64 v[224:225], v[224:225], v[226:227]
	s_waitcnt vmcnt(4) lgkmcnt(1)
	v_mul_f64 v[226:227], v[220:221], v[98:99]
	v_fma_f64 v[236:237], v[242:243], v[124:125], -v[126:127]
	ds_read_b128 v[124:127], v2 offset:1776
	v_fmac_f64_e32 v[226:227], v[222:223], v[96:97]
	v_add_f64 v[228:229], v[224:225], v[226:227]
	s_waitcnt vmcnt(3) lgkmcnt(1)
	v_mul_f64 v[238:239], v[120:121], v[102:103]
	ds_read_b128 v[224:227], v2 offset:1792
	v_fmac_f64_e32 v[238:239], v[122:123], v[100:101]
	v_mul_f64 v[130:131], v[248:249], v[130:131]
	v_add_f64 v[228:229], v[228:229], v[238:239]
	v_fma_f64 v[238:239], v[246:247], v[128:129], -v[130:131]
	ds_read_b128 v[128:131], v2 offset:1808
	s_waitcnt vmcnt(2) lgkmcnt(2)
	v_mul_f64 v[242:243], v[124:125], v[106:107]
	v_fmac_f64_e32 v[242:243], v[126:127], v[104:105]
	v_add_f64 v[228:229], v[228:229], v[242:243]
	s_waitcnt vmcnt(1) lgkmcnt(1)
	v_mul_f64 v[242:243], v[224:225], v[114:115]
	v_fmac_f64_e32 v[242:243], v[226:227], v[112:113]
	v_add_f64 v[228:229], v[228:229], v[242:243]
	;; [unrolled: 4-line block ×3, first 2 shown]
	scratch_load_dwordx4 v[242:245], off, off offset:384
	v_add_f64 v[230:231], v[230:231], 0
	v_add_f64 v[230:231], v[230:231], v[232:233]
	;; [unrolled: 1-line block ×4, first 2 shown]
	v_mul_f64 v[6:7], v[178:179], v[6:7]
	v_add_f64 v[230:231], v[230:231], v[238:239]
	v_fma_f64 v[4:5], v[176:177], v[4:5], -v[6:7]
	v_mul_f64 v[6:7], v[174:175], v[10:11]
	v_add_f64 v[4:5], v[230:231], v[4:5]
	v_fma_f64 v[6:7], v[172:173], v[8:9], -v[6:7]
	v_add_f64 v[4:5], v[4:5], v[6:7]
	v_mul_f64 v[6:7], v[170:171], v[14:15]
	v_fma_f64 v[6:7], v[168:169], v[12:13], -v[6:7]
	v_add_f64 v[4:5], v[4:5], v[6:7]
	v_mul_f64 v[6:7], v[166:167], v[18:19]
	;; [unrolled: 3-line block ×26, first 2 shown]
	v_fma_f64 v[6:7], v[128:129], v[132:133], -v[6:7]
	v_add_f64 v[4:5], v[4:5], v[6:7]
	s_waitcnt vmcnt(0)
	v_add_f64 v[4:5], v[242:243], -v[4:5]
	v_add_f64 v[6:7], v[244:245], -v[228:229]
	scratch_store_dwordx4 off, v[4:7], off offset:384
	s_and_saveexec_b64 s[0:1], vcc
	s_cbranch_execz .LBB56_311
; %bb.310:
	scratch_load_dwordx4 v[6:9], off, s59
	v_mov_b32_e32 v3, v2
	v_mov_b32_e32 v4, v2
	;; [unrolled: 1-line block ×3, first 2 shown]
	v_accvgpr_read_b32 v0, a115
	scratch_store_dwordx4 off, v[2:5], off offset:368
	s_waitcnt vmcnt(1)
	ds_write_b128 v0, v[6:9]
.LBB56_311:
	s_or_b64 exec, exec, s[0:1]
	s_waitcnt lgkmcnt(0)
	; wave barrier
	scratch_load_dwordx4 v[144:147], off, off offset:384
	scratch_load_dwordx4 v[152:155], off, off offset:400
	;; [unrolled: 1-line block ×16, first 2 shown]
	ds_read_b128 v[196:199], v2 offset:1280
	ds_read_b128 v[188:191], v2 offset:1296
	ds_read_b128 v[180:183], v2 offset:1312
	scratch_load_dwordx4 v[48:51], off, off offset:640
	ds_read_b128 v[192:195], v2 offset:1328
	ds_read_b128 v[184:187], v2 offset:1344
	ds_read_b128 v[64:67], v2 offset:1360
	scratch_load_dwordx4 v[52:55], off, off offset:656
	ds_read_b128 v[76:79], v2 offset:1376
	ds_read_b128 v[72:75], v2 offset:1392
	ds_read_b128 v[68:71], v2 offset:1408
	scratch_load_dwordx4 v[56:59], off, off offset:672
	ds_read_b128 v[88:91], v2 offset:1424
	ds_read_b128 v[84:87], v2 offset:1440
	ds_read_b128 v[80:83], v2 offset:1456
	scratch_load_dwordx4 v[60:63], off, off offset:688
	ds_read_b128 v[104:107], v2 offset:1472
	ds_read_b128 v[100:103], v2 offset:1488
	ds_read_b128 v[96:99], v2 offset:1504
	scratch_load_dwordx4 v[92:95], off, off offset:704
	ds_read_b128 v[116:119], v2 offset:1520
	ds_read_b128 v[112:115], v2 offset:1536
	scratch_load_dwordx4 v[108:111], off, off offset:720
	scratch_load_dwordx4 v[120:123], off, off offset:736
	scratch_load_dwordx4 v[124:127], off, off offset:752
	scratch_load_dwordx4 v[128:131], off, off offset:768
	scratch_load_dwordx4 v[132:135], off, off offset:784
	scratch_load_dwordx4 v[136:139], off, off offset:800
	scratch_load_dwordx4 v[140:143], off, off offset:816
	scratch_load_dwordx4 v[148:151], off, off offset:832
	scratch_load_dwordx4 v[164:167], off, off offset:848
	scratch_load_dwordx4 v[172:175], off, off offset:864
	scratch_load_dwordx4 v[176:179], off, off offset:880
	scratch_load_dwordx4 v[200:203], off, off offset:896
	v_cmp_lt_u32_e32 vcc, 21, v240
	s_waitcnt vmcnt(32) lgkmcnt(14)
	v_mul_f64 v[204:205], v[196:197], v[146:147]
	s_waitcnt vmcnt(31)
	v_mul_f64 v[206:207], v[188:189], v[154:155]
	v_fmac_f64_e32 v[204:205], v[198:199], v[144:145]
	s_waitcnt vmcnt(30)
	v_mul_f64 v[208:209], v[180:181], v[158:159]
	v_fmac_f64_e32 v[206:207], v[190:191], v[152:153]
	v_add_f64 v[204:205], v[204:205], 0
	s_waitcnt vmcnt(29) lgkmcnt(13)
	v_mul_f64 v[210:211], v[192:193], v[162:163]
	v_fmac_f64_e32 v[208:209], v[182:183], v[156:157]
	v_add_f64 v[204:205], v[204:205], v[206:207]
	s_waitcnt vmcnt(28) lgkmcnt(12)
	;; [unrolled: 4-line block ×12, first 2 shown]
	v_mul_f64 v[232:233], v[96:97], v[42:43]
	v_fmac_f64_e32 v[230:231], v[102:103], v[36:37]
	v_add_f64 v[204:205], v[204:205], v[228:229]
	v_fmac_f64_e32 v[232:233], v[98:99], v[40:41]
	v_add_f64 v[204:205], v[204:205], v[230:231]
	s_waitcnt vmcnt(17) lgkmcnt(1)
	v_mul_f64 v[206:207], v[116:117], v[46:47]
	v_add_f64 v[204:205], v[204:205], v[232:233]
	v_fmac_f64_e32 v[206:207], v[118:119], v[44:45]
	s_waitcnt vmcnt(16) lgkmcnt(0)
	v_mul_f64 v[210:211], v[112:113], v[50:51]
	v_add_f64 v[208:209], v[204:205], v[206:207]
	ds_read_b128 v[204:207], v2 offset:1552
	v_fmac_f64_e32 v[210:211], v[114:115], v[48:49]
	v_add_f64 v[212:213], v[208:209], v[210:211]
	ds_read_b128 v[208:211], v2 offset:1568
	v_mul_f64 v[146:147], v[198:199], v[146:147]
	s_waitcnt vmcnt(15) lgkmcnt(1)
	v_mul_f64 v[214:215], v[204:205], v[54:55]
	v_fmac_f64_e32 v[214:215], v[206:207], v[52:53]
	v_add_f64 v[216:217], v[212:213], v[214:215]
	s_waitcnt vmcnt(14) lgkmcnt(0)
	v_mul_f64 v[218:219], v[208:209], v[58:59]
	ds_read_b128 v[212:215], v2 offset:1584
	v_fmac_f64_e32 v[218:219], v[210:211], v[56:57]
	v_add_f64 v[220:221], v[216:217], v[218:219]
	ds_read_b128 v[216:219], v2 offset:1600
	v_mul_f64 v[154:155], v[190:191], v[154:155]
	s_waitcnt vmcnt(13) lgkmcnt(1)
	v_mul_f64 v[222:223], v[212:213], v[62:63]
	v_fmac_f64_e32 v[222:223], v[214:215], v[60:61]
	v_add_f64 v[224:225], v[220:221], v[222:223]
	s_waitcnt vmcnt(12) lgkmcnt(0)
	v_mul_f64 v[226:227], v[216:217], v[94:95]
	ds_read_b128 v[220:223], v2 offset:1616
	v_fmac_f64_e32 v[226:227], v[218:219], v[92:93]
	v_add_f64 v[228:229], v[224:225], v[226:227]
	ds_read_b128 v[224:227], v2 offset:1632
	v_fma_f64 v[246:247], v[188:189], v[152:153], -v[154:155]
	s_waitcnt vmcnt(11) lgkmcnt(1)
	v_mul_f64 v[230:231], v[220:221], v[110:111]
	v_fmac_f64_e32 v[230:231], v[222:223], v[108:109]
	v_add_f64 v[232:233], v[228:229], v[230:231]
	s_waitcnt vmcnt(10) lgkmcnt(0)
	v_mul_f64 v[234:235], v[224:225], v[122:123]
	ds_read_b128 v[228:231], v2 offset:1648
	v_fmac_f64_e32 v[234:235], v[226:227], v[120:121]
	v_add_f64 v[236:237], v[232:233], v[234:235]
	ds_read_b128 v[232:235], v2 offset:1664
	ds_read_b128 v[152:155], v2 offset:1712
	s_waitcnt vmcnt(9) lgkmcnt(2)
	v_mul_f64 v[238:239], v[228:229], v[126:127]
	v_fmac_f64_e32 v[238:239], v[230:231], v[124:125]
	v_add_f64 v[242:243], v[236:237], v[238:239]
	s_waitcnt vmcnt(8) lgkmcnt(1)
	v_mul_f64 v[244:245], v[232:233], v[130:131]
	ds_read_b128 v[236:239], v2 offset:1680
	v_fmac_f64_e32 v[244:245], v[234:235], v[128:129]
	v_add_f64 v[242:243], v[242:243], v[244:245]
	v_fma_f64 v[244:245], v[196:197], v[144:145], -v[146:147]
	ds_read_b128 v[144:147], v2 offset:1696
	s_waitcnt vmcnt(7) lgkmcnt(1)
	v_mul_f64 v[196:197], v[236:237], v[134:135]
	v_fmac_f64_e32 v[196:197], v[238:239], v[132:133]
	v_add_f64 v[188:189], v[242:243], v[196:197]
	v_mul_f64 v[158:159], v[182:183], v[158:159]
	s_waitcnt vmcnt(6) lgkmcnt(0)
	v_mul_f64 v[190:191], v[144:145], v[138:139]
	v_fmac_f64_e32 v[190:191], v[146:147], v[136:137]
	v_add_f64 v[196:197], v[188:189], v[190:191]
	ds_read_b128 v[188:191], v2 offset:1728
	v_fma_f64 v[242:243], v[180:181], v[156:157], -v[158:159]
	ds_read_b128 v[156:159], v2 offset:1744
	s_waitcnt vmcnt(5)
	v_mul_f64 v[198:199], v[152:153], v[142:143]
	v_fmac_f64_e32 v[198:199], v[154:155], v[140:141]
	s_waitcnt vmcnt(4) lgkmcnt(1)
	v_mul_f64 v[180:181], v[188:189], v[150:151]
	v_add_f64 v[196:197], v[196:197], v[198:199]
	v_fmac_f64_e32 v[180:181], v[190:191], v[148:149]
	v_mul_f64 v[162:163], v[194:195], v[162:163]
	v_add_f64 v[198:199], v[196:197], v[180:181]
	v_fma_f64 v[196:197], v[192:193], v[160:161], -v[162:163]
	ds_read_b128 v[160:163], v2 offset:1760
	s_waitcnt vmcnt(3) lgkmcnt(1)
	v_mul_f64 v[192:193], v[156:157], v[166:167]
	ds_read_b128 v[180:183], v2 offset:1776
	v_fmac_f64_e32 v[192:193], v[158:159], v[164:165]
	v_mul_f64 v[170:171], v[186:187], v[170:171]
	v_add_f64 v[192:193], v[198:199], v[192:193]
	v_fma_f64 v[198:199], v[184:185], v[168:169], -v[170:171]
	ds_read_b128 v[168:171], v2 offset:1792
	s_waitcnt vmcnt(2) lgkmcnt(2)
	v_mul_f64 v[184:185], v[160:161], v[174:175]
	v_fmac_f64_e32 v[184:185], v[162:163], v[172:173]
	s_waitcnt vmcnt(1) lgkmcnt(1)
	v_mul_f64 v[186:187], v[180:181], v[178:179]
	v_add_f64 v[184:185], v[192:193], v[184:185]
	v_fmac_f64_e32 v[186:187], v[182:183], v[176:177]
	v_add_f64 v[184:185], v[184:185], v[186:187]
	s_waitcnt vmcnt(0) lgkmcnt(0)
	v_mul_f64 v[186:187], v[168:169], v[202:203]
	v_fmac_f64_e32 v[186:187], v[170:171], v[200:201]
	v_add_f64 v[248:249], v[184:185], v[186:187]
	scratch_load_dwordx4 v[184:187], off, off offset:912
	v_add_f64 v[244:245], v[244:245], 0
	v_add_f64 v[244:245], v[244:245], v[246:247]
	;; [unrolled: 1-line block ×3, first 2 shown]
	scratch_load_dwordx4 v[244:247], off, off offset:368
	v_add_f64 v[196:197], v[242:243], v[196:197]
	v_mul_f64 v[6:7], v[66:67], v[6:7]
	v_add_f64 v[196:197], v[196:197], v[198:199]
	v_fma_f64 v[4:5], v[64:65], v[4:5], -v[6:7]
	v_mul_f64 v[6:7], v[78:79], v[10:11]
	v_add_f64 v[4:5], v[196:197], v[4:5]
	v_fma_f64 v[6:7], v[76:77], v[8:9], -v[6:7]
	v_add_f64 v[4:5], v[4:5], v[6:7]
	v_mul_f64 v[6:7], v[74:75], v[14:15]
	v_fma_f64 v[6:7], v[72:73], v[12:13], -v[6:7]
	v_add_f64 v[4:5], v[4:5], v[6:7]
	v_mul_f64 v[6:7], v[70:71], v[18:19]
	;; [unrolled: 3-line block ×24, first 2 shown]
	ds_read_b128 v[192:195], v2 offset:1808
	v_fma_f64 v[6:7], v[160:161], v[172:173], -v[6:7]
	v_add_f64 v[4:5], v[4:5], v[6:7]
	v_mul_f64 v[6:7], v[182:183], v[178:179]
	v_fma_f64 v[6:7], v[180:181], v[176:177], -v[6:7]
	v_add_f64 v[4:5], v[4:5], v[6:7]
	v_mul_f64 v[6:7], v[170:171], v[202:203]
	v_fma_f64 v[6:7], v[168:169], v[200:201], -v[6:7]
	s_waitcnt vmcnt(1) lgkmcnt(0)
	v_mul_f64 v[2:3], v[192:193], v[186:187]
	v_add_f64 v[4:5], v[4:5], v[6:7]
	v_mul_f64 v[6:7], v[194:195], v[186:187]
	v_fmac_f64_e32 v[2:3], v[194:195], v[184:185]
	v_fma_f64 v[6:7], v[192:193], v[184:185], -v[6:7]
	v_add_f64 v[2:3], v[248:249], v[2:3]
	v_add_f64 v[4:5], v[4:5], v[6:7]
	s_waitcnt vmcnt(0)
	v_add_f64 v[4:5], v[244:245], -v[4:5]
	v_add_f64 v[6:7], v[246:247], -v[2:3]
	scratch_store_dwordx4 off, v[4:7], off offset:368
	s_and_saveexec_b64 s[0:1], vcc
	s_cbranch_execz .LBB56_313
; %bb.312:
	scratch_load_dwordx4 v[2:5], off, s58
	v_mov_b32_e32 v6, 0
	v_mov_b32_e32 v7, v6
	;; [unrolled: 1-line block ×4, first 2 shown]
	v_accvgpr_read_b32 v0, a115
	scratch_store_dwordx4 off, v[6:9], off offset:352
	s_waitcnt vmcnt(1)
	ds_write_b128 v0, v[2:5]
.LBB56_313:
	s_or_b64 exec, exec, s[0:1]
	s_waitcnt lgkmcnt(0)
	; wave barrier
	scratch_load_dwordx4 v[184:187], off, off offset:368
	scratch_load_dwordx4 v[188:191], off, off offset:384
	;; [unrolled: 1-line block ×32, first 2 shown]
	v_mov_b32_e32 v2, 0
	ds_read_b128 v[192:195], v2 offset:1264
	ds_read_b128 v[204:207], v2 offset:1280
	;; [unrolled: 1-line block ×16, first 2 shown]
	v_cmp_lt_u32_e32 vcc, 20, v240
	s_waitcnt vmcnt(31) lgkmcnt(14)
	v_mul_f64 v[104:105], v[192:193], v[186:187]
	s_waitcnt vmcnt(30)
	v_mul_f64 v[106:107], v[204:205], v[190:191]
	v_fmac_f64_e32 v[104:105], v[194:195], v[184:185]
	s_waitcnt vmcnt(29) lgkmcnt(13)
	v_mul_f64 v[112:113], v[216:217], v[198:199]
	v_fmac_f64_e32 v[106:107], v[206:207], v[188:189]
	v_add_f64 v[104:105], v[104:105], 0
	s_waitcnt vmcnt(28) lgkmcnt(12)
	v_mul_f64 v[114:115], v[224:225], v[202:203]
	v_fmac_f64_e32 v[112:113], v[218:219], v[196:197]
	v_add_f64 v[104:105], v[104:105], v[106:107]
	;; [unrolled: 4-line block ×10, first 2 shown]
	ds_read_b128 v[152:155], v2 offset:1520
	ds_read_b128 v[156:159], v2 offset:1536
	s_waitcnt vmcnt(19) lgkmcnt(5)
	v_mul_f64 v[164:165], v[124:125], v[26:27]
	v_fmac_f64_e32 v[162:163], v[134:135], v[20:21]
	v_add_f64 v[104:105], v[104:105], v[160:161]
	s_waitcnt vmcnt(18) lgkmcnt(4)
	v_mul_f64 v[166:167], v[120:121], v[30:31]
	v_fmac_f64_e32 v[164:165], v[126:127], v[24:25]
	v_add_f64 v[104:105], v[104:105], v[162:163]
	s_waitcnt vmcnt(17) lgkmcnt(3)
	v_mul_f64 v[168:169], v[116:117], v[34:35]
	v_fmac_f64_e32 v[166:167], v[122:123], v[28:29]
	v_add_f64 v[104:105], v[104:105], v[164:165]
	s_waitcnt vmcnt(16) lgkmcnt(2)
	v_mul_f64 v[170:171], v[108:109], v[38:39]
	v_fmac_f64_e32 v[168:169], v[118:119], v[32:33]
	v_add_f64 v[104:105], v[104:105], v[166:167]
	v_add_f64 v[112:113], v[104:105], v[168:169]
	v_fmac_f64_e32 v[170:171], v[110:111], v[36:37]
	scratch_load_dwordx4 v[104:107], off, off offset:880
	s_waitcnt vmcnt(16) lgkmcnt(1)
	v_mul_f64 v[114:115], v[152:153], v[42:43]
	v_add_f64 v[112:113], v[112:113], v[170:171]
	v_fmac_f64_e32 v[114:115], v[154:155], v[40:41]
	v_add_f64 v[128:129], v[112:113], v[114:115]
	scratch_load_dwordx4 v[112:115], off, off offset:896
	s_waitcnt vmcnt(16) lgkmcnt(0)
	v_mul_f64 v[130:131], v[156:157], v[46:47]
	v_fmac_f64_e32 v[130:131], v[158:159], v[44:45]
	v_add_f64 v[168:169], v[128:129], v[130:131]
	scratch_load_dwordx4 v[128:131], off, off offset:912
	ds_read_b128 v[160:163], v2 offset:1552
	ds_read_b128 v[164:167], v2 offset:1568
	v_mul_f64 v[186:187], v[194:195], v[186:187]
	v_fma_f64 v[250:251], v[192:193], v[184:185], -v[186:187]
	ds_read_b128 v[184:187], v2 offset:1648
	s_waitcnt vmcnt(16) lgkmcnt(2)
	v_mul_f64 v[170:171], v[160:161], v[50:51]
	v_fmac_f64_e32 v[170:171], v[162:163], v[48:49]
	s_waitcnt vmcnt(15) lgkmcnt(1)
	v_mul_f64 v[174:175], v[164:165], v[54:55]
	v_add_f64 v[172:173], v[168:169], v[170:171]
	ds_read_b128 v[168:171], v2 offset:1584
	v_fmac_f64_e32 v[174:175], v[166:167], v[52:53]
	v_add_f64 v[176:177], v[172:173], v[174:175]
	ds_read_b128 v[172:175], v2 offset:1600
	v_mul_f64 v[190:191], v[206:207], v[190:191]
	s_waitcnt vmcnt(14) lgkmcnt(1)
	v_mul_f64 v[178:179], v[168:169], v[58:59]
	v_fmac_f64_e32 v[178:179], v[170:171], v[56:57]
	v_add_f64 v[180:181], v[176:177], v[178:179]
	s_waitcnt vmcnt(13) lgkmcnt(0)
	v_mul_f64 v[182:183], v[172:173], v[62:63]
	ds_read_b128 v[176:179], v2 offset:1616
	v_fmac_f64_e32 v[182:183], v[174:175], v[60:61]
	v_add_f64 v[232:233], v[180:181], v[182:183]
	ds_read_b128 v[180:183], v2 offset:1632
	v_fma_f64 v[252:253], v[204:205], v[188:189], -v[190:191]
	s_waitcnt vmcnt(12) lgkmcnt(1)
	v_mul_f64 v[234:235], v[176:177], v[66:67]
	v_fmac_f64_e32 v[234:235], v[178:179], v[64:65]
	v_add_f64 v[232:233], v[232:233], v[234:235]
	s_waitcnt vmcnt(11) lgkmcnt(0)
	v_mul_f64 v[192:193], v[180:181], v[70:71]
	v_fmac_f64_e32 v[192:193], v[182:183], v[68:69]
	ds_read_b128 v[188:191], v2 offset:1664
	s_waitcnt vmcnt(10)
	v_mul_f64 v[194:195], v[184:185], v[74:75]
	v_add_f64 v[192:193], v[232:233], v[192:193]
	v_fmac_f64_e32 v[194:195], v[186:187], v[72:73]
	v_add_f64 v[204:205], v[192:193], v[194:195]
	ds_read_b128 v[192:195], v2 offset:1680
	v_mul_f64 v[198:199], v[218:219], v[198:199]
	v_fma_f64 v[254:255], v[216:217], v[196:197], -v[198:199]
	ds_read_b128 v[196:199], v2 offset:1696
	s_waitcnt vmcnt(9) lgkmcnt(2)
	v_mul_f64 v[206:207], v[188:189], v[78:79]
	v_fmac_f64_e32 v[206:207], v[190:191], v[76:77]
	v_add_f64 v[204:205], v[204:205], v[206:207]
	s_waitcnt vmcnt(8) lgkmcnt(1)
	v_mul_f64 v[206:207], v[192:193], v[82:83]
	v_fmac_f64_e32 v[206:207], v[194:195], v[80:81]
	v_mul_f64 v[202:203], v[226:227], v[202:203]
	v_add_f64 v[204:205], v[204:205], v[206:207]
	v_fma_f64 v[234:235], v[224:225], v[200:201], -v[202:203]
	ds_read_b128 v[200:203], v2 offset:1712
	s_waitcnt vmcnt(7) lgkmcnt(1)
	v_mul_f64 v[206:207], v[196:197], v[86:87]
	v_fmac_f64_e32 v[206:207], v[198:199], v[84:85]
	v_add_f64 v[216:217], v[204:205], v[206:207]
	ds_read_b128 v[204:207], v2 offset:1728
	v_mul_f64 v[210:211], v[230:231], v[210:211]
	v_fma_f64 v[236:237], v[228:229], v[208:209], -v[210:211]
	ds_read_b128 v[208:211], v2 offset:1744
	s_waitcnt vmcnt(6) lgkmcnt(2)
	v_mul_f64 v[218:219], v[200:201], v[90:91]
	v_fmac_f64_e32 v[218:219], v[202:203], v[88:89]
	v_add_f64 v[216:217], v[216:217], v[218:219]
	s_waitcnt vmcnt(5) lgkmcnt(1)
	v_mul_f64 v[218:219], v[204:205], v[94:95]
	v_fmac_f64_e32 v[218:219], v[206:207], v[92:93]
	v_mul_f64 v[214:215], v[244:245], v[214:215]
	v_fma_f64 v[238:239], v[242:243], v[212:213], -v[214:215]
	ds_read_b128 v[212:215], v2 offset:1760
	v_add_f64 v[216:217], v[216:217], v[218:219]
	s_waitcnt vmcnt(4) lgkmcnt(1)
	v_mul_f64 v[218:219], v[208:209], v[102:103]
	v_fmac_f64_e32 v[218:219], v[210:211], v[100:101]
	v_add_f64 v[224:225], v[216:217], v[218:219]
	ds_read_b128 v[216:219], v2 offset:1776
	v_mul_f64 v[222:223], v[248:249], v[222:223]
	v_fma_f64 v[242:243], v[246:247], v[220:221], -v[222:223]
	ds_read_b128 v[220:223], v2 offset:1792
	s_waitcnt vmcnt(3) lgkmcnt(2)
	v_mul_f64 v[226:227], v[212:213], v[98:99]
	v_fmac_f64_e32 v[226:227], v[214:215], v[96:97]
	v_add_f64 v[224:225], v[224:225], v[226:227]
	s_waitcnt vmcnt(2) lgkmcnt(1)
	v_mul_f64 v[226:227], v[216:217], v[106:107]
	v_fmac_f64_e32 v[226:227], v[218:219], v[104:105]
	v_add_f64 v[224:225], v[224:225], v[226:227]
	;; [unrolled: 4-line block ×3, first 2 shown]
	ds_read_b128 v[224:227], v2 offset:1808
	v_mul_f64 v[6:7], v[150:151], v[6:7]
	v_fma_f64 v[4:5], v[148:149], v[4:5], -v[6:7]
	v_mul_f64 v[6:7], v[146:147], v[10:11]
	v_fma_f64 v[6:7], v[144:145], v[8:9], -v[6:7]
	s_waitcnt vmcnt(0) lgkmcnt(0)
	v_mul_f64 v[230:231], v[224:225], v[130:131]
	v_fmac_f64_e32 v[230:231], v[226:227], v[128:129]
	v_add_f64 v[232:233], v[228:229], v[230:231]
	v_add_f64 v[228:229], v[250:251], 0
	;; [unrolled: 1-line block ×4, first 2 shown]
	scratch_load_dwordx4 v[228:231], off, off offset:352
	v_add_f64 v[234:235], v[244:245], v[234:235]
	v_add_f64 v[234:235], v[234:235], v[236:237]
	;; [unrolled: 1-line block ×6, first 2 shown]
	v_mul_f64 v[6:7], v[142:143], v[14:15]
	v_fma_f64 v[6:7], v[140:141], v[12:13], -v[6:7]
	v_add_f64 v[4:5], v[4:5], v[6:7]
	v_mul_f64 v[6:7], v[138:139], v[18:19]
	v_fma_f64 v[6:7], v[136:137], v[16:17], -v[6:7]
	v_add_f64 v[4:5], v[4:5], v[6:7]
	;; [unrolled: 3-line block ×26, first 2 shown]
	s_waitcnt vmcnt(0)
	v_add_f64 v[4:5], v[228:229], -v[4:5]
	v_add_f64 v[6:7], v[230:231], -v[232:233]
	scratch_store_dwordx4 off, v[4:7], off offset:352
	s_and_saveexec_b64 s[0:1], vcc
	s_cbranch_execz .LBB56_315
; %bb.314:
	scratch_load_dwordx4 v[6:9], off, s57
	v_mov_b32_e32 v3, v2
	v_mov_b32_e32 v4, v2
	;; [unrolled: 1-line block ×3, first 2 shown]
	v_accvgpr_read_b32 v0, a115
	scratch_store_dwordx4 off, v[2:5], off offset:336
	s_waitcnt vmcnt(1)
	ds_write_b128 v0, v[6:9]
.LBB56_315:
	s_or_b64 exec, exec, s[0:1]
	s_waitcnt lgkmcnt(0)
	; wave barrier
	scratch_load_dwordx4 v[140:143], off, off offset:352
	scratch_load_dwordx4 v[144:147], off, off offset:368
	;; [unrolled: 1-line block ×16, first 2 shown]
	ds_read_b128 v[208:211], v2 offset:1248
	ds_read_b128 v[200:203], v2 offset:1264
	;; [unrolled: 1-line block ×3, first 2 shown]
	scratch_load_dwordx4 v[40:43], off, off offset:608
	ds_read_b128 v[204:207], v2 offset:1296
	ds_read_b128 v[192:195], v2 offset:1312
	;; [unrolled: 1-line block ×3, first 2 shown]
	scratch_load_dwordx4 v[44:47], off, off offset:624
	ds_read_b128 v[196:199], v2 offset:1344
	ds_read_b128 v[64:67], v2 offset:1360
	ds_read_b128 v[60:63], v2 offset:1376
	ds_read_b128 v[52:55], v2 offset:1392
	scratch_load_dwordx4 v[48:51], off, off offset:640
	ds_read_b128 v[72:75], v2 offset:1408
	ds_read_b128 v[68:71], v2 offset:1424
	scratch_load_dwordx4 v[56:59], off, off offset:656
	ds_read_b128 v[92:95], v2 offset:1440
	ds_read_b128 v[88:91], v2 offset:1456
	;; [unrolled: 1-line block ×4, first 2 shown]
	scratch_load_dwordx4 v[76:79], off, off offset:672
	scratch_load_dwordx4 v[96:99], off, off offset:688
	;; [unrolled: 1-line block ×12, first 2 shown]
	ds_read_b128 v[168:171], v2 offset:1504
	v_accvgpr_write_b32 a114, v240
	v_cmp_lt_u32_e32 vcc, 19, v240
	s_waitcnt vmcnt(31) lgkmcnt(14)
	v_mul_f64 v[172:173], v[208:209], v[142:143]
	s_waitcnt vmcnt(30)
	v_mul_f64 v[174:175], v[200:201], v[146:147]
	v_fmac_f64_e32 v[172:173], v[210:211], v[140:141]
	s_waitcnt vmcnt(29)
	v_mul_f64 v[176:177], v[188:189], v[150:151]
	v_fmac_f64_e32 v[174:175], v[202:203], v[144:145]
	v_add_f64 v[172:173], v[172:173], 0
	s_waitcnt vmcnt(28) lgkmcnt(13)
	v_mul_f64 v[178:179], v[204:205], v[154:155]
	v_fmac_f64_e32 v[176:177], v[190:191], v[148:149]
	v_add_f64 v[172:173], v[172:173], v[174:175]
	s_waitcnt vmcnt(27) lgkmcnt(12)
	;; [unrolled: 4-line block ×10, first 2 shown]
	v_mul_f64 v[224:225], v[92:93], v[26:27]
	v_fmac_f64_e32 v[222:223], v[70:71], v[20:21]
	v_add_f64 v[172:173], v[172:173], v[220:221]
	ds_read_b128 v[212:215], v2 offset:1520
	s_waitcnt vmcnt(18) lgkmcnt(4)
	v_mul_f64 v[226:227], v[88:89], v[30:31]
	v_fmac_f64_e32 v[224:225], v[94:95], v[24:25]
	v_add_f64 v[172:173], v[172:173], v[222:223]
	ds_read_b128 v[216:219], v2 offset:1536
	ds_read_b128 v[220:223], v2 offset:1552
	s_waitcnt vmcnt(17) lgkmcnt(5)
	v_mul_f64 v[228:229], v[84:85], v[34:35]
	v_fmac_f64_e32 v[226:227], v[90:91], v[28:29]
	v_add_f64 v[172:173], v[172:173], v[224:225]
	s_waitcnt vmcnt(16) lgkmcnt(4)
	v_mul_f64 v[230:231], v[80:81], v[38:39]
	v_fmac_f64_e32 v[228:229], v[86:87], v[32:33]
	v_add_f64 v[172:173], v[172:173], v[226:227]
	v_add_f64 v[176:177], v[172:173], v[228:229]
	v_fmac_f64_e32 v[230:231], v[82:83], v[36:37]
	s_waitcnt vmcnt(15) lgkmcnt(3)
	v_mul_f64 v[178:179], v[168:169], v[42:43]
	v_add_f64 v[176:177], v[176:177], v[230:231]
	v_fmac_f64_e32 v[178:179], v[170:171], v[40:41]
	s_waitcnt vmcnt(14) lgkmcnt(2)
	v_mul_f64 v[182:183], v[212:213], v[46:47]
	;; [unrolled: 4-line block ×3, first 2 shown]
	v_add_f64 v[224:225], v[180:181], v[182:183]
	v_fmac_f64_e32 v[226:227], v[218:219], v[48:49]
	v_add_f64 v[228:229], v[224:225], v[226:227]
	ds_read_b128 v[224:227], v2 offset:1568
	s_waitcnt vmcnt(12) lgkmcnt(1)
	v_mul_f64 v[230:231], v[220:221], v[58:59]
	v_fmac_f64_e32 v[230:231], v[222:223], v[56:57]
	v_add_f64 v[232:233], v[228:229], v[230:231]
	ds_read_b128 v[228:231], v2 offset:1584
	s_waitcnt vmcnt(11) lgkmcnt(1)
	v_mul_f64 v[234:235], v[224:225], v[78:79]
	;; [unrolled: 5-line block ×4, first 2 shown]
	v_fmac_f64_e32 v[244:245], v[234:235], v[100:101]
	v_mul_f64 v[142:143], v[210:211], v[142:143]
	v_add_f64 v[242:243], v[242:243], v[244:245]
	v_fma_f64 v[244:245], v[208:209], v[140:141], -v[142:143]
	ds_read_b128 v[140:143], v2 offset:1632
	s_waitcnt vmcnt(8) lgkmcnt(1)
	v_mul_f64 v[208:209], v[236:237], v[106:107]
	v_fmac_f64_e32 v[208:209], v[238:239], v[104:105]
	v_mul_f64 v[146:147], v[202:203], v[146:147]
	v_add_f64 v[208:209], v[242:243], v[208:209]
	v_fma_f64 v[242:243], v[200:201], v[144:145], -v[146:147]
	ds_read_b128 v[144:147], v2 offset:1648
	s_waitcnt vmcnt(7) lgkmcnt(1)
	v_mul_f64 v[200:201], v[140:141], v[110:111]
	scratch_load_dwordx4 v[172:175], off, off offset:864
	v_fmac_f64_e32 v[200:201], v[142:143], v[108:109]
	v_add_f64 v[208:209], v[208:209], v[200:201]
	ds_read_b128 v[200:203], v2 offset:1664
	v_mul_f64 v[150:151], v[190:191], v[150:151]
	scratch_load_dwordx4 v[176:179], off, off offset:880
	scratch_load_dwordx4 v[180:183], off, off offset:896
	v_fma_f64 v[246:247], v[188:189], v[148:149], -v[150:151]
	ds_read_b128 v[148:151], v2 offset:1680
	s_waitcnt vmcnt(9) lgkmcnt(2)
	v_mul_f64 v[210:211], v[144:145], v[114:115]
	v_fmac_f64_e32 v[210:211], v[146:147], v[112:113]
	s_waitcnt vmcnt(8) lgkmcnt(1)
	v_mul_f64 v[188:189], v[200:201], v[118:119]
	v_add_f64 v[208:209], v[208:209], v[210:211]
	v_fmac_f64_e32 v[188:189], v[202:203], v[116:117]
	v_mul_f64 v[154:155], v[206:207], v[154:155]
	s_waitcnt vmcnt(7) lgkmcnt(0)
	v_mul_f64 v[190:191], v[148:149], v[122:123]
	v_add_f64 v[188:189], v[208:209], v[188:189]
	v_fma_f64 v[248:249], v[204:205], v[152:153], -v[154:155]
	ds_read_b128 v[152:155], v2 offset:1696
	v_fmac_f64_e32 v[190:191], v[150:151], v[120:121]
	v_add_f64 v[204:205], v[188:189], v[190:191]
	ds_read_b128 v[188:191], v2 offset:1712
	v_mul_f64 v[158:159], v[194:195], v[158:159]
	s_waitcnt vmcnt(6) lgkmcnt(1)
	v_mul_f64 v[206:207], v[152:153], v[126:127]
	v_fmac_f64_e32 v[206:207], v[154:155], v[124:125]
	v_fma_f64 v[250:251], v[192:193], v[156:157], -v[158:159]
	s_waitcnt vmcnt(5) lgkmcnt(0)
	v_mul_f64 v[192:193], v[188:189], v[130:131]
	v_add_f64 v[204:205], v[204:205], v[206:207]
	v_fmac_f64_e32 v[192:193], v[190:191], v[128:129]
	v_mul_f64 v[162:163], v[186:187], v[162:163]
	v_fma_f64 v[208:209], v[184:185], v[160:161], -v[162:163]
	v_add_f64 v[184:185], v[204:205], v[192:193]
	scratch_load_dwordx4 v[204:207], off, off offset:912
	v_add_f64 v[244:245], v[244:245], 0
	v_add_f64 v[242:243], v[244:245], v[242:243]
	v_add_f64 v[242:243], v[242:243], v[246:247]
	scratch_load_dwordx4 v[244:247], off, off offset:336
	v_add_f64 v[242:243], v[242:243], v[248:249]
	v_mul_f64 v[166:167], v[198:199], v[166:167]
	v_add_f64 v[242:243], v[242:243], v[250:251]
	v_fma_f64 v[210:211], v[196:197], v[164:165], -v[166:167]
	v_add_f64 v[208:209], v[242:243], v[208:209]
	v_mul_f64 v[6:7], v[66:67], v[6:7]
	v_add_f64 v[208:209], v[208:209], v[210:211]
	v_fma_f64 v[4:5], v[64:65], v[4:5], -v[6:7]
	v_mul_f64 v[6:7], v[62:63], v[10:11]
	v_add_f64 v[4:5], v[208:209], v[4:5]
	v_fma_f64 v[6:7], v[60:61], v[8:9], -v[6:7]
	v_add_f64 v[4:5], v[4:5], v[6:7]
	v_mul_f64 v[6:7], v[54:55], v[14:15]
	v_fma_f64 v[6:7], v[52:53], v[12:13], -v[6:7]
	v_add_f64 v[4:5], v[4:5], v[6:7]
	v_mul_f64 v[6:7], v[74:75], v[18:19]
	;; [unrolled: 3-line block ×12, first 2 shown]
	v_fma_f64 v[6:7], v[224:225], v[76:77], -v[6:7]
	ds_read_b128 v[156:159], v2 offset:1728
	ds_read_b128 v[160:163], v2 offset:1744
	v_add_f64 v[4:5], v[4:5], v[6:7]
	v_mul_f64 v[6:7], v[230:231], v[98:99]
	v_fma_f64 v[6:7], v[228:229], v[96:97], -v[6:7]
	v_add_f64 v[4:5], v[4:5], v[6:7]
	v_mul_f64 v[6:7], v[234:235], v[102:103]
	v_fma_f64 v[6:7], v[232:233], v[100:101], -v[6:7]
	v_add_f64 v[4:5], v[4:5], v[6:7]
	v_mul_f64 v[6:7], v[238:239], v[106:107]
	s_waitcnt vmcnt(6) lgkmcnt(1)
	v_mul_f64 v[186:187], v[156:157], v[138:139]
	v_fma_f64 v[6:7], v[236:237], v[104:105], -v[6:7]
	v_fmac_f64_e32 v[186:187], v[158:159], v[136:137]
	v_add_f64 v[4:5], v[4:5], v[6:7]
	v_mul_f64 v[6:7], v[142:143], v[110:111]
	v_add_f64 v[192:193], v[184:185], v[186:187]
	ds_read_b128 v[184:187], v2 offset:1760
	ds_read_b128 v[164:167], v2 offset:1776
	v_fma_f64 v[6:7], v[140:141], v[108:109], -v[6:7]
	v_add_f64 v[4:5], v[4:5], v[6:7]
	v_mul_f64 v[6:7], v[146:147], v[114:115]
	v_fma_f64 v[6:7], v[144:145], v[112:113], -v[6:7]
	s_waitcnt vmcnt(5) lgkmcnt(2)
	v_mul_f64 v[194:195], v[160:161], v[134:135]
	v_add_f64 v[4:5], v[4:5], v[6:7]
	v_mul_f64 v[6:7], v[202:203], v[118:119]
	v_fmac_f64_e32 v[194:195], v[162:163], v[132:133]
	v_fma_f64 v[6:7], v[200:201], v[116:117], -v[6:7]
	v_add_f64 v[192:193], v[192:193], v[194:195]
	s_waitcnt vmcnt(4) lgkmcnt(1)
	v_mul_f64 v[194:195], v[184:185], v[174:175]
	v_add_f64 v[4:5], v[4:5], v[6:7]
	v_mul_f64 v[6:7], v[150:151], v[122:123]
	v_fmac_f64_e32 v[194:195], v[186:187], v[172:173]
	v_fma_f64 v[6:7], v[148:149], v[120:121], -v[6:7]
	v_add_f64 v[192:193], v[192:193], v[194:195]
	;; [unrolled: 7-line block ×3, first 2 shown]
	ds_read_b128 v[192:195], v2 offset:1792
	v_add_f64 v[4:5], v[4:5], v[6:7]
	v_mul_f64 v[6:7], v[190:191], v[130:131]
	v_fma_f64 v[6:7], v[188:189], v[128:129], -v[6:7]
	v_add_f64 v[4:5], v[4:5], v[6:7]
	v_mul_f64 v[6:7], v[158:159], v[138:139]
	v_fma_f64 v[6:7], v[156:157], v[136:137], -v[6:7]
	v_add_f64 v[4:5], v[4:5], v[6:7]
	v_mul_f64 v[6:7], v[162:163], v[134:135]
	s_waitcnt vmcnt(2) lgkmcnt(0)
	v_mul_f64 v[198:199], v[192:193], v[182:183]
	v_fma_f64 v[6:7], v[160:161], v[132:133], -v[6:7]
	v_fmac_f64_e32 v[198:199], v[194:195], v[180:181]
	v_add_f64 v[4:5], v[4:5], v[6:7]
	v_mul_f64 v[6:7], v[186:187], v[174:175]
	v_add_f64 v[252:253], v[196:197], v[198:199]
	ds_read_b128 v[196:199], v2 offset:1808
	v_fma_f64 v[6:7], v[184:185], v[172:173], -v[6:7]
	v_add_f64 v[4:5], v[4:5], v[6:7]
	v_mul_f64 v[6:7], v[166:167], v[178:179]
	v_fma_f64 v[6:7], v[164:165], v[176:177], -v[6:7]
	v_add_f64 v[4:5], v[4:5], v[6:7]
	v_mul_f64 v[6:7], v[194:195], v[182:183]
	v_fma_f64 v[6:7], v[192:193], v[180:181], -v[6:7]
	s_waitcnt vmcnt(1) lgkmcnt(0)
	v_mul_f64 v[2:3], v[196:197], v[206:207]
	v_add_f64 v[4:5], v[4:5], v[6:7]
	v_mul_f64 v[6:7], v[198:199], v[206:207]
	v_fmac_f64_e32 v[2:3], v[198:199], v[204:205]
	v_fma_f64 v[6:7], v[196:197], v[204:205], -v[6:7]
	v_add_f64 v[2:3], v[252:253], v[2:3]
	v_add_f64 v[4:5], v[4:5], v[6:7]
	s_waitcnt vmcnt(0)
	v_add_f64 v[4:5], v[244:245], -v[4:5]
	v_add_f64 v[6:7], v[246:247], -v[2:3]
	scratch_store_dwordx4 off, v[4:7], off offset:336
	s_and_saveexec_b64 s[0:1], vcc
	s_cbranch_execz .LBB56_317
; %bb.316:
	scratch_load_dwordx4 v[2:5], off, s56
	v_mov_b32_e32 v6, 0
	v_mov_b32_e32 v7, v6
	;; [unrolled: 1-line block ×4, first 2 shown]
	v_accvgpr_read_b32 v0, a115
	scratch_store_dwordx4 off, v[6:9], off offset:320
	s_waitcnt vmcnt(1)
	ds_write_b128 v0, v[2:5]
.LBB56_317:
	s_or_b64 exec, exec, s[0:1]
	s_waitcnt lgkmcnt(0)
	; wave barrier
	scratch_load_dwordx4 v[168:171], off, off offset:336
	scratch_load_dwordx4 v[172:175], off, off offset:352
	;; [unrolled: 1-line block ×32, first 2 shown]
	v_mov_b32_e32 v2, 0
	ds_read_b128 v[176:179], v2 offset:1232
	ds_read_b128 v[188:191], v2 offset:1248
	;; [unrolled: 1-line block ×17, first 2 shown]
	v_accvgpr_read_b32 v0, a114
	v_cmp_lt_u32_e32 vcc, 18, v0
	s_waitcnt vmcnt(31) lgkmcnt(14)
	v_mul_f64 v[104:105], v[176:177], v[170:171]
	s_waitcnt vmcnt(30)
	v_mul_f64 v[106:107], v[188:189], v[174:175]
	v_fmac_f64_e32 v[104:105], v[178:179], v[168:169]
	s_waitcnt vmcnt(29)
	v_mul_f64 v[108:109], v[200:201], v[182:183]
	v_fmac_f64_e32 v[106:107], v[190:191], v[172:173]
	v_add_f64 v[104:105], v[104:105], 0
	s_waitcnt vmcnt(28) lgkmcnt(13)
	v_mul_f64 v[110:111], v[212:213], v[186:187]
	v_fmac_f64_e32 v[108:109], v[202:203], v[180:181]
	v_add_f64 v[104:105], v[104:105], v[106:107]
	s_waitcnt vmcnt(27) lgkmcnt(12)
	;; [unrolled: 4-line block ×12, first 2 shown]
	v_mul_f64 v[156:157], v[112:113], v[26:27]
	v_fmac_f64_e32 v[154:155], v[118:119], v[20:21]
	v_add_f64 v[104:105], v[104:105], v[152:153]
	v_fmac_f64_e32 v[156:157], v[114:115], v[24:25]
	v_add_f64 v[104:105], v[104:105], v[154:155]
	s_waitcnt vmcnt(16) lgkmcnt(1)
	v_mul_f64 v[106:107], v[100:101], v[30:31]
	v_add_f64 v[104:105], v[104:105], v[156:157]
	v_fmac_f64_e32 v[106:107], v[102:103], v[28:29]
	v_add_f64 v[108:109], v[104:105], v[106:107]
	ds_read_b128 v[144:147], v2 offset:1504
	ds_read_b128 v[148:151], v2 offset:1520
	scratch_load_dwordx4 v[104:107], off, off offset:848
	s_waitcnt vmcnt(16) lgkmcnt(2)
	v_mul_f64 v[110:111], v[96:97], v[34:35]
	v_fmac_f64_e32 v[110:111], v[98:99], v[32:33]
	v_add_f64 v[120:121], v[108:109], v[110:111]
	scratch_load_dwordx4 v[108:111], off, off offset:864
	s_waitcnt vmcnt(16) lgkmcnt(1)
	v_mul_f64 v[122:123], v[144:145], v[38:39]
	v_fmac_f64_e32 v[122:123], v[146:147], v[36:37]
	v_add_f64 v[132:133], v[120:121], v[122:123]
	s_waitcnt vmcnt(15) lgkmcnt(0)
	v_mul_f64 v[134:135], v[148:149], v[42:43]
	scratch_load_dwordx4 v[120:123], off, off offset:880
	v_fmac_f64_e32 v[134:135], v[150:151], v[40:41]
	v_add_f64 v[160:161], v[132:133], v[134:135]
	scratch_load_dwordx4 v[132:135], off, off offset:896
	ds_read_b128 v[152:155], v2 offset:1536
	ds_read_b128 v[156:159], v2 offset:1552
	v_mul_f64 v[170:171], v[178:179], v[170:171]
	v_fma_f64 v[250:251], v[176:177], v[168:169], -v[170:171]
	ds_read_b128 v[168:171], v2 offset:1600
	s_waitcnt vmcnt(16) lgkmcnt(2)
	v_mul_f64 v[162:163], v[152:153], v[46:47]
	v_fmac_f64_e32 v[162:163], v[154:155], v[44:45]
	s_waitcnt vmcnt(15) lgkmcnt(1)
	v_mul_f64 v[166:167], v[156:157], v[50:51]
	v_add_f64 v[164:165], v[160:161], v[162:163]
	ds_read_b128 v[160:163], v2 offset:1568
	v_fmac_f64_e32 v[166:167], v[158:159], v[48:49]
	v_add_f64 v[232:233], v[164:165], v[166:167]
	ds_read_b128 v[164:167], v2 offset:1584
	v_mul_f64 v[174:175], v[190:191], v[174:175]
	s_waitcnt vmcnt(14) lgkmcnt(1)
	v_mul_f64 v[234:235], v[160:161], v[54:55]
	v_fmac_f64_e32 v[234:235], v[162:163], v[52:53]
	v_add_f64 v[232:233], v[232:233], v[234:235]
	s_waitcnt vmcnt(13) lgkmcnt(0)
	v_mul_f64 v[176:177], v[164:165], v[58:59]
	v_fmac_f64_e32 v[176:177], v[166:167], v[56:57]
	v_fma_f64 v[252:253], v[188:189], v[172:173], -v[174:175]
	ds_read_b128 v[172:175], v2 offset:1616
	s_waitcnt vmcnt(12)
	v_mul_f64 v[178:179], v[168:169], v[62:63]
	v_add_f64 v[176:177], v[232:233], v[176:177]
	v_fmac_f64_e32 v[178:179], v[170:171], v[60:61]
	v_add_f64 v[188:189], v[176:177], v[178:179]
	ds_read_b128 v[176:179], v2 offset:1632
	v_mul_f64 v[182:183], v[202:203], v[182:183]
	v_fma_f64 v[254:255], v[200:201], v[180:181], -v[182:183]
	ds_read_b128 v[180:183], v2 offset:1648
	s_waitcnt vmcnt(11) lgkmcnt(2)
	v_mul_f64 v[190:191], v[172:173], v[66:67]
	v_fmac_f64_e32 v[190:191], v[174:175], v[64:65]
	v_add_f64 v[188:189], v[188:189], v[190:191]
	s_waitcnt vmcnt(10) lgkmcnt(1)
	v_mul_f64 v[190:191], v[176:177], v[70:71]
	v_fmac_f64_e32 v[190:191], v[178:179], v[68:69]
	v_mul_f64 v[186:187], v[214:215], v[186:187]
	v_fma_f64 v[240:241], v[212:213], v[184:185], -v[186:187]
	ds_read_b128 v[184:187], v2 offset:1664
	v_add_f64 v[188:189], v[188:189], v[190:191]
	s_waitcnt vmcnt(9) lgkmcnt(1)
	v_mul_f64 v[190:191], v[180:181], v[74:75]
	v_fmac_f64_e32 v[190:191], v[182:183], v[72:73]
	v_add_f64 v[200:201], v[188:189], v[190:191]
	ds_read_b128 v[188:191], v2 offset:1680
	v_mul_f64 v[194:195], v[222:223], v[194:195]
	v_fma_f64 v[232:233], v[220:221], v[192:193], -v[194:195]
	ds_read_b128 v[192:195], v2 offset:1696
	s_waitcnt vmcnt(8) lgkmcnt(2)
	v_mul_f64 v[202:203], v[184:185], v[78:79]
	v_fmac_f64_e32 v[202:203], v[186:187], v[76:77]
	v_add_f64 v[200:201], v[200:201], v[202:203]
	s_waitcnt vmcnt(7) lgkmcnt(1)
	v_mul_f64 v[202:203], v[188:189], v[82:83]
	v_fmac_f64_e32 v[202:203], v[190:191], v[80:81]
	v_mul_f64 v[198:199], v[226:227], v[198:199]
	v_add_f64 v[200:201], v[200:201], v[202:203]
	v_fma_f64 v[234:235], v[224:225], v[196:197], -v[198:199]
	ds_read_b128 v[196:199], v2 offset:1712
	s_waitcnt vmcnt(6) lgkmcnt(1)
	v_mul_f64 v[202:203], v[192:193], v[86:87]
	v_fmac_f64_e32 v[202:203], v[194:195], v[84:85]
	v_add_f64 v[212:213], v[200:201], v[202:203]
	ds_read_b128 v[200:203], v2 offset:1728
	v_mul_f64 v[206:207], v[230:231], v[206:207]
	v_fma_f64 v[236:237], v[228:229], v[204:205], -v[206:207]
	ds_read_b128 v[204:207], v2 offset:1744
	s_waitcnt vmcnt(5) lgkmcnt(2)
	v_mul_f64 v[214:215], v[196:197], v[94:95]
	v_fmac_f64_e32 v[214:215], v[198:199], v[92:93]
	v_add_f64 v[212:213], v[212:213], v[214:215]
	s_waitcnt vmcnt(4) lgkmcnt(1)
	v_mul_f64 v[214:215], v[200:201], v[90:91]
	v_fmac_f64_e32 v[214:215], v[202:203], v[88:89]
	v_mul_f64 v[210:211], v[244:245], v[210:211]
	v_fma_f64 v[238:239], v[242:243], v[208:209], -v[210:211]
	ds_read_b128 v[208:211], v2 offset:1760
	v_add_f64 v[212:213], v[212:213], v[214:215]
	s_waitcnt vmcnt(3) lgkmcnt(1)
	v_mul_f64 v[214:215], v[204:205], v[106:107]
	v_fmac_f64_e32 v[214:215], v[206:207], v[104:105]
	v_add_f64 v[220:221], v[212:213], v[214:215]
	ds_read_b128 v[212:215], v2 offset:1776
	v_mul_f64 v[218:219], v[248:249], v[218:219]
	v_fma_f64 v[242:243], v[246:247], v[216:217], -v[218:219]
	ds_read_b128 v[216:219], v2 offset:1792
	ds_read_b128 v[224:227], v2 offset:1808
	s_waitcnt vmcnt(2) lgkmcnt(3)
	v_mul_f64 v[222:223], v[208:209], v[110:111]
	v_fmac_f64_e32 v[222:223], v[210:211], v[108:109]
	v_add_f64 v[220:221], v[220:221], v[222:223]
	s_waitcnt vmcnt(1) lgkmcnt(2)
	v_mul_f64 v[222:223], v[212:213], v[122:123]
	v_fmac_f64_e32 v[222:223], v[214:215], v[120:121]
	v_add_f64 v[220:221], v[220:221], v[222:223]
	;; [unrolled: 4-line block ×3, first 2 shown]
	scratch_load_dwordx4 v[220:223], off, off offset:912
	v_mul_f64 v[6:7], v[142:143], v[6:7]
	v_fma_f64 v[4:5], v[140:141], v[4:5], -v[6:7]
	v_mul_f64 v[6:7], v[138:139], v[10:11]
	v_fma_f64 v[6:7], v[136:137], v[8:9], -v[6:7]
	s_waitcnt vmcnt(0) lgkmcnt(0)
	v_mul_f64 v[230:231], v[224:225], v[222:223]
	v_fmac_f64_e32 v[230:231], v[226:227], v[220:221]
	v_add_f64 v[246:247], v[228:229], v[230:231]
	v_add_f64 v[228:229], v[250:251], 0
	;; [unrolled: 1-line block ×6, first 2 shown]
	scratch_load_dwordx4 v[228:231], off, off offset:320
	v_add_f64 v[232:233], v[244:245], v[234:235]
	v_add_f64 v[232:233], v[232:233], v[236:237]
	v_add_f64 v[232:233], v[232:233], v[238:239]
	v_add_f64 v[232:233], v[232:233], v[242:243]
	v_add_f64 v[4:5], v[232:233], v[4:5]
	v_add_f64 v[4:5], v[4:5], v[6:7]
	v_mul_f64 v[6:7], v[130:131], v[14:15]
	v_fma_f64 v[6:7], v[128:129], v[12:13], -v[6:7]
	v_add_f64 v[4:5], v[4:5], v[6:7]
	v_mul_f64 v[6:7], v[126:127], v[18:19]
	v_fma_f64 v[6:7], v[124:125], v[16:17], -v[6:7]
	v_add_f64 v[4:5], v[4:5], v[6:7]
	;; [unrolled: 3-line block ×26, first 2 shown]
	s_waitcnt vmcnt(0)
	v_add_f64 v[4:5], v[228:229], -v[4:5]
	v_add_f64 v[6:7], v[230:231], -v[246:247]
	scratch_store_dwordx4 off, v[4:7], off offset:320
	s_and_saveexec_b64 s[0:1], vcc
	s_cbranch_execz .LBB56_319
; %bb.318:
	scratch_load_dwordx4 v[6:9], off, s55
	v_mov_b32_e32 v3, v2
	v_mov_b32_e32 v4, v2
	;; [unrolled: 1-line block ×3, first 2 shown]
	v_accvgpr_read_b32 v0, a115
	scratch_store_dwordx4 off, v[2:5], off offset:304
	s_waitcnt vmcnt(1)
	ds_write_b128 v0, v[6:9]
.LBB56_319:
	s_or_b64 exec, exec, s[0:1]
	s_waitcnt lgkmcnt(0)
	; wave barrier
	scratch_load_dwordx4 v[168:171], off, off offset:320
	scratch_load_dwordx4 v[172:175], off, off offset:336
	;; [unrolled: 1-line block ×16, first 2 shown]
	ds_read_b128 v[232:235], v2 offset:1216
	ds_read_b128 v[176:179], v2 offset:1232
	scratch_load_dwordx4 v[32:35], off, off offset:576
	ds_read_b128 v[236:239], v2 offset:1248
	ds_read_b128 v[188:191], v2 offset:1264
	;; [unrolled: 1-line block ×5, first 2 shown]
	scratch_load_dwordx4 v[36:39], off, off offset:592
	ds_read_b128 v[224:227], v2 offset:1328
	ds_read_b128 v[220:223], v2 offset:1344
	;; [unrolled: 1-line block ×3, first 2 shown]
	scratch_load_dwordx4 v[40:43], off, off offset:608
	ds_read_b128 v[64:67], v2 offset:1376
	ds_read_b128 v[60:63], v2 offset:1392
	;; [unrolled: 1-line block ×4, first 2 shown]
	scratch_load_dwordx4 v[48:51], off, off offset:624
	ds_read_b128 v[80:83], v2 offset:1440
	ds_read_b128 v[72:75], v2 offset:1456
	;; [unrolled: 1-line block ×3, first 2 shown]
	scratch_load_dwordx4 v[76:79], off, off offset:640
	scratch_load_dwordx4 v[84:87], off, off offset:656
	;; [unrolled: 1-line block ×12, first 2 shown]
	v_accvgpr_read_b32 v0, a114
	v_cmp_lt_u32_e32 vcc, 17, v0
	s_waitcnt vmcnt(31) lgkmcnt(14)
	v_mul_f64 v[128:129], v[232:233], v[170:171]
	s_waitcnt vmcnt(30)
	v_mul_f64 v[130:131], v[176:177], v[174:175]
	v_fmac_f64_e32 v[128:129], v[234:235], v[168:169]
	s_waitcnt vmcnt(29)
	v_mul_f64 v[132:133], v[236:237], v[182:183]
	v_fmac_f64_e32 v[130:131], v[178:179], v[172:173]
	v_add_f64 v[128:129], v[128:129], 0
	s_waitcnt vmcnt(28) lgkmcnt(13)
	v_mul_f64 v[134:135], v[188:189], v[186:187]
	v_fmac_f64_e32 v[132:133], v[238:239], v[180:181]
	v_add_f64 v[128:129], v[128:129], v[130:131]
	s_waitcnt vmcnt(27) lgkmcnt(12)
	;; [unrolled: 4-line block ×13, first 2 shown]
	v_mul_f64 v[158:159], v[72:73], v[30:31]
	v_fmac_f64_e32 v[156:157], v[82:83], v[24:25]
	v_add_f64 v[128:129], v[128:129], v[154:155]
	v_add_f64 v[128:129], v[128:129], v[156:157]
	v_fmac_f64_e32 v[158:159], v[74:75], v[28:29]
	v_add_f64 v[132:133], v[128:129], v[158:159]
	ds_read_b128 v[144:147], v2 offset:1488
	ds_read_b128 v[148:151], v2 offset:1504
	scratch_load_dwordx4 v[128:131], off, off offset:832
	s_waitcnt vmcnt(16) lgkmcnt(2)
	v_mul_f64 v[134:135], v[68:69], v[34:35]
	v_fmac_f64_e32 v[134:135], v[70:71], v[32:33]
	s_waitcnt vmcnt(15) lgkmcnt(1)
	v_mul_f64 v[138:139], v[144:145], v[38:39]
	v_add_f64 v[136:137], v[132:133], v[134:135]
	scratch_load_dwordx4 v[132:135], off, off offset:848
	v_fmac_f64_e32 v[138:139], v[146:147], v[36:37]
	v_add_f64 v[140:141], v[136:137], v[138:139]
	s_waitcnt vmcnt(15) lgkmcnt(0)
	v_mul_f64 v[142:143], v[148:149], v[42:43]
	scratch_load_dwordx4 v[136:139], off, off offset:864
	v_fmac_f64_e32 v[142:143], v[150:151], v[40:41]
	v_add_f64 v[160:161], v[140:141], v[142:143]
	scratch_load_dwordx4 v[140:143], off, off offset:880
	ds_read_b128 v[152:155], v2 offset:1520
	ds_read_b128 v[156:159], v2 offset:1536
	v_mul_f64 v[170:171], v[234:235], v[170:171]
	v_fma_f64 v[246:247], v[232:233], v[168:169], -v[170:171]
	ds_read_b128 v[168:171], v2 offset:1584
	s_waitcnt vmcnt(16) lgkmcnt(2)
	v_mul_f64 v[162:163], v[152:153], v[50:51]
	v_fmac_f64_e32 v[162:163], v[154:155], v[48:49]
	s_waitcnt vmcnt(15) lgkmcnt(1)
	v_mul_f64 v[166:167], v[156:157], v[78:79]
	v_add_f64 v[164:165], v[160:161], v[162:163]
	ds_read_b128 v[160:163], v2 offset:1552
	v_fmac_f64_e32 v[166:167], v[158:159], v[76:77]
	v_add_f64 v[240:241], v[164:165], v[166:167]
	ds_read_b128 v[164:167], v2 offset:1568
	v_mul_f64 v[174:175], v[178:179], v[174:175]
	s_waitcnt vmcnt(14) lgkmcnt(1)
	v_mul_f64 v[242:243], v[160:161], v[86:87]
	v_fmac_f64_e32 v[242:243], v[162:163], v[84:85]
	v_add_f64 v[240:241], v[240:241], v[242:243]
	s_waitcnt vmcnt(13) lgkmcnt(0)
	v_mul_f64 v[232:233], v[164:165], v[90:91]
	v_fmac_f64_e32 v[232:233], v[166:167], v[88:89]
	v_add_f64 v[232:233], v[240:241], v[232:233]
	v_fma_f64 v[240:241], v[176:177], v[172:173], -v[174:175]
	ds_read_b128 v[172:175], v2 offset:1600
	s_waitcnt vmcnt(12)
	v_mul_f64 v[176:177], v[168:169], v[94:95]
	v_fmac_f64_e32 v[176:177], v[170:171], v[92:93]
	v_add_f64 v[232:233], v[232:233], v[176:177]
	ds_read_b128 v[176:179], v2 offset:1616
	v_mul_f64 v[182:183], v[238:239], v[182:183]
	v_fma_f64 v[236:237], v[236:237], v[180:181], -v[182:183]
	ds_read_b128 v[180:183], v2 offset:1632
	s_waitcnt vmcnt(11) lgkmcnt(2)
	v_mul_f64 v[234:235], v[172:173], v[98:99]
	v_fmac_f64_e32 v[234:235], v[174:175], v[96:97]
	v_add_f64 v[232:233], v[232:233], v[234:235]
	s_waitcnt vmcnt(10) lgkmcnt(1)
	v_mul_f64 v[234:235], v[176:177], v[102:103]
	v_fmac_f64_e32 v[234:235], v[178:179], v[100:101]
	v_mul_f64 v[186:187], v[190:191], v[186:187]
	s_waitcnt vmcnt(9) lgkmcnt(0)
	v_mul_f64 v[190:191], v[180:181], v[106:107]
	v_fma_f64 v[238:239], v[188:189], v[184:185], -v[186:187]
	ds_read_b128 v[184:187], v2 offset:1648
	v_add_f64 v[188:189], v[232:233], v[234:235]
	v_fmac_f64_e32 v[190:191], v[182:183], v[104:105]
	v_add_f64 v[232:233], v[188:189], v[190:191]
	ds_read_b128 v[188:191], v2 offset:1664
	v_mul_f64 v[194:195], v[230:231], v[194:195]
	v_fma_f64 v[248:249], v[228:229], v[192:193], -v[194:195]
	ds_read_b128 v[192:195], v2 offset:1680
	s_waitcnt vmcnt(8) lgkmcnt(2)
	v_mul_f64 v[234:235], v[184:185], v[110:111]
	v_fmac_f64_e32 v[234:235], v[186:187], v[108:109]
	s_waitcnt vmcnt(7) lgkmcnt(1)
	v_mul_f64 v[228:229], v[188:189], v[114:115]
	v_mul_f64 v[198:199], v[202:203], v[198:199]
	v_add_f64 v[232:233], v[232:233], v[234:235]
	v_fmac_f64_e32 v[228:229], v[190:191], v[112:113]
	v_fma_f64 v[250:251], v[200:201], v[196:197], -v[198:199]
	ds_read_b128 v[196:199], v2 offset:1696
	s_waitcnt vmcnt(6) lgkmcnt(1)
	v_mul_f64 v[200:201], v[192:193], v[118:119]
	v_add_f64 v[228:229], v[232:233], v[228:229]
	v_fmac_f64_e32 v[200:201], v[194:195], v[116:117]
	v_add_f64 v[228:229], v[228:229], v[200:201]
	ds_read_b128 v[200:203], v2 offset:1712
	v_mul_f64 v[206:207], v[214:215], v[206:207]
	v_add_f64 v[246:247], v[246:247], 0
	v_fma_f64 v[252:253], v[212:213], v[204:205], -v[206:207]
	ds_read_b128 v[204:207], v2 offset:1728
	v_add_f64 v[240:241], v[246:247], v[240:241]
	v_add_f64 v[236:237], v[240:241], v[236:237]
	;; [unrolled: 1-line block ×3, first 2 shown]
	s_waitcnt vmcnt(5) lgkmcnt(2)
	v_mul_f64 v[230:231], v[196:197], v[126:127]
	v_add_f64 v[236:237], v[236:237], v[248:249]
	v_fmac_f64_e32 v[230:231], v[198:199], v[124:125]
	s_waitcnt vmcnt(4) lgkmcnt(1)
	v_mul_f64 v[212:213], v[200:201], v[122:123]
	v_add_f64 v[236:237], v[236:237], v[250:251]
	v_add_f64 v[228:229], v[228:229], v[230:231]
	v_fmac_f64_e32 v[212:213], v[202:203], v[120:121]
	v_mul_f64 v[210:211], v[226:227], v[210:211]
	v_add_f64 v[246:247], v[236:237], v[252:253]
	scratch_load_dwordx4 v[236:239], off, off offset:304
	s_waitcnt vmcnt(4) lgkmcnt(0)
	v_mul_f64 v[214:215], v[204:205], v[130:131]
	v_fma_f64 v[242:243], v[224:225], v[208:209], -v[210:211]
	ds_read_b128 v[208:211], v2 offset:1744
	v_add_f64 v[212:213], v[228:229], v[212:213]
	v_fmac_f64_e32 v[214:215], v[206:207], v[128:129]
	v_add_f64 v[224:225], v[212:213], v[214:215]
	ds_read_b128 v[212:215], v2 offset:1760
	v_mul_f64 v[218:219], v[222:223], v[218:219]
	v_fma_f64 v[244:245], v[220:221], v[216:217], -v[218:219]
	ds_read_b128 v[216:219], v2 offset:1776
	s_waitcnt vmcnt(3) lgkmcnt(2)
	v_mul_f64 v[220:221], v[208:209], v[134:135]
	v_fmac_f64_e32 v[220:221], v[210:211], v[132:133]
	s_waitcnt vmcnt(2) lgkmcnt(1)
	v_mul_f64 v[222:223], v[212:213], v[138:139]
	v_add_f64 v[220:221], v[224:225], v[220:221]
	v_fmac_f64_e32 v[222:223], v[214:215], v[136:137]
	v_add_f64 v[220:221], v[220:221], v[222:223]
	ds_read_b128 v[224:227], v2 offset:1792
	scratch_load_dwordx4 v[232:235], off, off offset:912
	s_waitcnt vmcnt(2) lgkmcnt(1)
	v_mul_f64 v[222:223], v[216:217], v[142:143]
	v_fmac_f64_e32 v[222:223], v[218:219], v[140:141]
	v_add_f64 v[228:229], v[220:221], v[222:223]
	scratch_load_dwordx4 v[220:223], off, off offset:896
	v_add_f64 v[240:241], v[246:247], v[242:243]
	v_mul_f64 v[6:7], v[46:47], v[6:7]
	v_add_f64 v[240:241], v[240:241], v[244:245]
	v_fma_f64 v[4:5], v[44:45], v[4:5], -v[6:7]
	v_mul_f64 v[6:7], v[66:67], v[10:11]
	v_add_f64 v[4:5], v[240:241], v[4:5]
	v_fma_f64 v[6:7], v[64:65], v[8:9], -v[6:7]
	v_add_f64 v[4:5], v[4:5], v[6:7]
	v_mul_f64 v[6:7], v[62:63], v[14:15]
	v_fma_f64 v[6:7], v[60:61], v[12:13], -v[6:7]
	v_add_f64 v[4:5], v[4:5], v[6:7]
	v_mul_f64 v[6:7], v[58:59], v[18:19]
	;; [unrolled: 3-line block ×24, first 2 shown]
	v_fma_f64 v[6:7], v[212:213], v[136:137], -v[6:7]
	s_waitcnt vmcnt(0) lgkmcnt(0)
	v_mul_f64 v[230:231], v[224:225], v[222:223]
	v_fmac_f64_e32 v[230:231], v[226:227], v[220:221]
	v_add_f64 v[254:255], v[228:229], v[230:231]
	ds_read_b128 v[228:231], v2 offset:1808
	v_add_f64 v[4:5], v[4:5], v[6:7]
	v_mul_f64 v[6:7], v[218:219], v[142:143]
	v_fma_f64 v[6:7], v[216:217], v[140:141], -v[6:7]
	v_add_f64 v[4:5], v[4:5], v[6:7]
	v_mul_f64 v[6:7], v[226:227], v[222:223]
	v_fma_f64 v[6:7], v[224:225], v[220:221], -v[6:7]
	s_waitcnt lgkmcnt(0)
	v_mul_f64 v[2:3], v[228:229], v[234:235]
	v_add_f64 v[4:5], v[4:5], v[6:7]
	v_mul_f64 v[6:7], v[230:231], v[234:235]
	v_fmac_f64_e32 v[2:3], v[230:231], v[232:233]
	v_fma_f64 v[6:7], v[228:229], v[232:233], -v[6:7]
	v_add_f64 v[2:3], v[254:255], v[2:3]
	v_add_f64 v[4:5], v[4:5], v[6:7]
	v_add_f64 v[4:5], v[236:237], -v[4:5]
	v_add_f64 v[6:7], v[238:239], -v[2:3]
	scratch_store_dwordx4 off, v[4:7], off offset:304
	s_and_saveexec_b64 s[0:1], vcc
	s_cbranch_execz .LBB56_321
; %bb.320:
	scratch_load_dwordx4 v[2:5], off, s54
	v_mov_b32_e32 v6, 0
	v_mov_b32_e32 v7, v6
	;; [unrolled: 1-line block ×4, first 2 shown]
	v_accvgpr_read_b32 v0, a115
	scratch_store_dwordx4 off, v[6:9], off offset:288
	s_waitcnt vmcnt(1)
	ds_write_b128 v0, v[2:5]
.LBB56_321:
	s_or_b64 exec, exec, s[0:1]
	s_waitcnt lgkmcnt(0)
	; wave barrier
	scratch_load_dwordx4 v[80:83], off, off offset:304
	scratch_load_dwordx4 v[84:87], off, off offset:320
	scratch_load_dwordx4 v[88:91], off, off offset:336
	scratch_load_dwordx4 v[92:95], off, off offset:352
	scratch_load_dwordx4 v[96:99], off, off offset:368
	scratch_load_dwordx4 v[100:103], off, off offset:384
	scratch_load_dwordx4 v[104:107], off, off offset:400
	scratch_load_dwordx4 v[108:111], off, off offset:416
	scratch_load_dwordx4 v[112:115], off, off offset:432
	scratch_load_dwordx4 v[116:119], off, off offset:448
	scratch_load_dwordx4 v[120:123], off, off offset:464
	scratch_load_dwordx4 v[234:237], off, off offset:480
	scratch_load_dwordx4 v[8:11], off, off offset:496
	scratch_load_dwordx4 v[12:15], off, off offset:512
	scratch_load_dwordx4 v[16:19], off, off offset:528
	scratch_load_dwordx4 v[20:23], off, off offset:544
	scratch_load_dwordx4 v[24:27], off, off offset:560
	scratch_load_dwordx4 v[28:31], off, off offset:576
	scratch_load_dwordx4 v[32:35], off, off offset:592
	scratch_load_dwordx4 v[36:39], off, off offset:608
	scratch_load_dwordx4 v[40:43], off, off offset:624
	scratch_load_dwordx4 v[44:47], off, off offset:640
	scratch_load_dwordx4 v[48:51], off, off offset:656
	scratch_load_dwordx4 v[52:55], off, off offset:672
	scratch_load_dwordx4 v[56:59], off, off offset:688
	scratch_load_dwordx4 v[60:63], off, off offset:704
	scratch_load_dwordx4 v[64:67], off, off offset:720
	scratch_load_dwordx4 v[68:71], off, off offset:736
	scratch_load_dwordx4 v[72:75], off, off offset:752
	scratch_load_dwordx4 v[76:79], off, off offset:768
	scratch_load_dwordx4 v[124:127], off, off offset:784
	v_mov_b32_e32 v2, 0
	ds_read_b128 v[196:199], v2 offset:1200
	ds_read_b128 v[200:203], v2 offset:1216
	;; [unrolled: 1-line block ×20, first 2 shown]
	s_waitcnt vmcnt(30) lgkmcnt(14)
	v_mul_f64 v[140:141], v[196:197], v[82:83]
	s_waitcnt vmcnt(29)
	v_mul_f64 v[142:143], v[200:201], v[86:87]
	v_fmac_f64_e32 v[140:141], v[198:199], v[80:81]
	s_waitcnt vmcnt(28)
	v_mul_f64 v[152:153], v[204:205], v[90:91]
	v_fmac_f64_e32 v[142:143], v[202:203], v[84:85]
	v_add_f64 v[140:141], v[140:141], 0
	s_waitcnt vmcnt(27)
	v_mul_f64 v[154:155], v[208:209], v[94:95]
	v_fmac_f64_e32 v[152:153], v[206:207], v[88:89]
	v_add_f64 v[140:141], v[140:141], v[142:143]
	;; [unrolled: 4-line block ×4, first 2 shown]
	s_waitcnt vmcnt(24) lgkmcnt(13)
	v_mul_f64 v[164:165], v[220:221], v[106:107]
	v_fmac_f64_e32 v[162:163], v[218:219], v[100:101]
	v_add_f64 v[140:141], v[140:141], v[160:161]
	s_waitcnt vmcnt(23) lgkmcnt(12)
	v_mul_f64 v[166:167], v[224:225], v[110:111]
	v_fmac_f64_e32 v[164:165], v[222:223], v[104:105]
	v_add_f64 v[140:141], v[140:141], v[162:163]
	s_waitcnt vmcnt(22) lgkmcnt(11)
	v_mul_f64 v[168:169], v[228:229], v[114:115]
	v_fmac_f64_e32 v[166:167], v[226:227], v[108:109]
	v_add_f64 v[140:141], v[140:141], v[164:165]
	s_waitcnt vmcnt(21) lgkmcnt(10)
	v_mul_f64 v[170:171], v[242:243], v[118:119]
	v_fmac_f64_e32 v[168:169], v[230:231], v[112:113]
	v_add_f64 v[140:141], v[140:141], v[166:167]
	s_waitcnt vmcnt(20) lgkmcnt(9)
	v_mul_f64 v[172:173], v[246:247], v[122:123]
	v_fmac_f64_e32 v[170:171], v[244:245], v[116:117]
	v_add_f64 v[140:141], v[140:141], v[168:169]
	s_waitcnt vmcnt(19) lgkmcnt(8)
	v_mul_f64 v[174:175], v[156:157], v[236:237]
	v_fmac_f64_e32 v[172:173], v[248:249], v[120:121]
	v_add_f64 v[140:141], v[140:141], v[170:171]
	s_waitcnt vmcnt(18) lgkmcnt(7)
	v_mul_f64 v[176:177], v[148:149], v[10:11]
	v_fmac_f64_e32 v[174:175], v[158:159], v[234:235]
	v_add_f64 v[140:141], v[140:141], v[172:173]
	s_waitcnt vmcnt(17) lgkmcnt(6)
	v_mul_f64 v[178:179], v[144:145], v[14:15]
	v_fmac_f64_e32 v[176:177], v[150:151], v[8:9]
	v_add_f64 v[140:141], v[140:141], v[174:175]
	v_fmac_f64_e32 v[178:179], v[146:147], v[12:13]
	v_add_f64 v[140:141], v[140:141], v[176:177]
	v_add_f64 v[140:141], v[140:141], v[178:179]
	ds_read_b128 v[176:179], v2 offset:1472
	s_waitcnt vmcnt(16) lgkmcnt(6)
	v_mul_f64 v[180:181], v[136:137], v[18:19]
	s_waitcnt vmcnt(15) lgkmcnt(5)
	v_mul_f64 v[182:183], v[132:133], v[22:23]
	v_fmac_f64_e32 v[180:181], v[138:139], v[16:17]
	v_add_f64 v[152:153], v[140:141], v[180:181]
	v_fmac_f64_e32 v[182:183], v[134:135], v[20:21]
	scratch_load_dwordx4 v[140:143], off, off offset:800
	s_waitcnt vmcnt(15) lgkmcnt(4)
	v_mul_f64 v[154:155], v[128:129], v[26:27]
	v_add_f64 v[152:153], v[152:153], v[182:183]
	v_fmac_f64_e32 v[154:155], v[130:131], v[24:25]
	v_add_f64 v[160:161], v[152:153], v[154:155]
	ds_read_b128 v[180:183], v2 offset:1488
	s_waitcnt vmcnt(14) lgkmcnt(1)
	v_mul_f64 v[162:163], v[176:177], v[30:31]
	scratch_load_dwordx4 v[152:155], off, off offset:816
	v_fmac_f64_e32 v[162:163], v[178:179], v[28:29]
	v_add_f64 v[164:165], v[160:161], v[162:163]
	scratch_load_dwordx4 v[160:163], off, off offset:832
	s_waitcnt vmcnt(15) lgkmcnt(0)
	v_mul_f64 v[166:167], v[180:181], v[34:35]
	v_fmac_f64_e32 v[166:167], v[182:183], v[32:33]
	v_add_f64 v[168:169], v[164:165], v[166:167]
	s_waitcnt vmcnt(14)
	v_mul_f64 v[170:171], v[184:185], v[38:39]
	scratch_load_dwordx4 v[164:167], off, off offset:848
	v_fmac_f64_e32 v[170:171], v[186:187], v[36:37]
	v_add_f64 v[168:169], v[168:169], v[170:171]
	s_waitcnt vmcnt(14)
	v_mul_f64 v[170:171], v[188:189], v[42:43]
	scratch_load_dwordx4 v[172:175], off, off offset:864
	v_fmac_f64_e32 v[170:171], v[190:191], v[40:41]
	v_add_f64 v[232:233], v[168:169], v[170:171]
	scratch_load_dwordx4 v[168:171], off, off offset:880
	v_mul_f64 v[82:83], v[198:199], v[82:83]
	v_fma_f64 v[240:241], v[196:197], v[80:81], -v[82:83]
	ds_read_b128 v[196:199], v2 offset:1552
	s_waitcnt vmcnt(15)
	v_mul_f64 v[80:81], v[192:193], v[46:47]
	v_fmac_f64_e32 v[80:81], v[194:195], v[44:45]
	v_add_f64 v[232:233], v[232:233], v[80:81]
	v_mul_f64 v[80:81], v[202:203], v[86:87]
	v_fma_f64 v[250:251], v[200:201], v[84:85], -v[80:81]
	scratch_load_dwordx4 v[80:83], off, off offset:896
	ds_read_b128 v[84:87], v2 offset:1568
	v_mul_f64 v[90:91], v[206:207], v[90:91]
	v_fma_f64 v[252:253], v[204:205], v[88:89], -v[90:91]
	ds_read_b128 v[88:91], v2 offset:1584
	s_waitcnt vmcnt(15) lgkmcnt(2)
	v_mul_f64 v[200:201], v[196:197], v[50:51]
	v_fmac_f64_e32 v[200:201], v[198:199], v[48:49]
	s_waitcnt vmcnt(14) lgkmcnt(1)
	v_mul_f64 v[202:203], v[84:85], v[54:55]
	v_add_f64 v[200:201], v[232:233], v[200:201]
	v_fmac_f64_e32 v[202:203], v[86:87], v[52:53]
	v_mul_f64 v[94:95], v[210:211], v[94:95]
	v_fma_f64 v[254:255], v[208:209], v[92:93], -v[94:95]
	ds_read_b128 v[92:95], v2 offset:1600
	v_add_f64 v[200:201], v[200:201], v[202:203]
	s_waitcnt vmcnt(13) lgkmcnt(1)
	v_mul_f64 v[202:203], v[88:89], v[58:59]
	v_fmac_f64_e32 v[202:203], v[90:91], v[56:57]
	v_add_f64 v[204:205], v[200:201], v[202:203]
	ds_read_b128 v[200:203], v2 offset:1616
	v_mul_f64 v[98:99], v[214:215], v[98:99]
	v_fma_f64 v[232:233], v[212:213], v[96:97], -v[98:99]
	ds_read_b128 v[96:99], v2 offset:1632
	s_waitcnt vmcnt(12) lgkmcnt(2)
	v_mul_f64 v[206:207], v[92:93], v[62:63]
	v_fmac_f64_e32 v[206:207], v[94:95], v[60:61]
	v_add_f64 v[204:205], v[204:205], v[206:207]
	s_waitcnt vmcnt(11) lgkmcnt(1)
	v_mul_f64 v[206:207], v[200:201], v[66:67]
	v_fmac_f64_e32 v[206:207], v[202:203], v[64:65]
	v_mul_f64 v[102:103], v[218:219], v[102:103]
	v_add_f64 v[204:205], v[204:205], v[206:207]
	v_fma_f64 v[4:5], v[216:217], v[100:101], -v[102:103]
	ds_read_b128 v[100:103], v2 offset:1648
	s_waitcnt vmcnt(10) lgkmcnt(1)
	v_mul_f64 v[206:207], v[96:97], v[70:71]
	v_fmac_f64_e32 v[206:207], v[98:99], v[68:69]
	v_add_f64 v[208:209], v[204:205], v[206:207]
	ds_read_b128 v[204:207], v2 offset:1664
	v_mul_f64 v[106:107], v[222:223], v[106:107]
	v_fma_f64 v[0:1], v[220:221], v[104:105], -v[106:107]
	ds_read_b128 v[104:107], v2 offset:1680
	s_waitcnt vmcnt(9) lgkmcnt(2)
	v_mul_f64 v[210:211], v[100:101], v[74:75]
	v_fmac_f64_e32 v[210:211], v[102:103], v[72:73]
	v_add_f64 v[208:209], v[208:209], v[210:211]
	s_waitcnt vmcnt(8) lgkmcnt(1)
	v_mul_f64 v[210:211], v[204:205], v[78:79]
	v_fmac_f64_e32 v[210:211], v[206:207], v[76:77]
	v_mul_f64 v[6:7], v[226:227], v[110:111]
	v_fma_f64 v[6:7], v[224:225], v[108:109], -v[6:7]
	ds_read_b128 v[108:111], v2 offset:1696
	v_add_f64 v[208:209], v[208:209], v[210:211]
	s_waitcnt vmcnt(7) lgkmcnt(1)
	v_mul_f64 v[210:211], v[104:105], v[126:127]
	v_fmac_f64_e32 v[210:211], v[106:107], v[124:125]
	v_mul_f64 v[114:115], v[230:231], v[114:115]
	v_add_f64 v[212:213], v[208:209], v[210:211]
	ds_read_b128 v[208:211], v2 offset:1712
	v_fma_f64 v[112:113], v[228:229], v[112:113], -v[114:115]
	v_accvgpr_write_b32 a117, v113
	v_accvgpr_write_b32 a116, v112
	ds_read_b128 v[112:115], v2 offset:1728
	s_waitcnt vmcnt(6) lgkmcnt(2)
	v_mul_f64 v[214:215], v[108:109], v[142:143]
	v_fmac_f64_e32 v[214:215], v[110:111], v[140:141]
	v_add_f64 v[212:213], v[212:213], v[214:215]
	s_waitcnt vmcnt(5) lgkmcnt(1)
	v_mul_f64 v[214:215], v[208:209], v[154:155]
	v_fmac_f64_e32 v[214:215], v[210:211], v[152:153]
	v_mul_f64 v[118:119], v[244:245], v[118:119]
	v_add_f64 v[212:213], v[212:213], v[214:215]
	v_fma_f64 v[238:239], v[242:243], v[116:117], -v[118:119]
	ds_read_b128 v[116:119], v2 offset:1744
	s_waitcnt vmcnt(4) lgkmcnt(1)
	v_mul_f64 v[214:215], v[112:113], v[162:163]
	v_fmac_f64_e32 v[214:215], v[114:115], v[160:161]
	v_add_f64 v[216:217], v[212:213], v[214:215]
	ds_read_b128 v[212:215], v2 offset:1760
	v_mul_f64 v[122:123], v[248:249], v[122:123]
	v_fma_f64 v[242:243], v[246:247], v[120:121], -v[122:123]
	ds_read_b128 v[120:123], v2 offset:1776
	s_waitcnt vmcnt(3) lgkmcnt(2)
	v_mul_f64 v[218:219], v[116:117], v[166:167]
	v_fmac_f64_e32 v[218:219], v[118:119], v[164:165]
	v_add_f64 v[216:217], v[216:217], v[218:219]
	s_waitcnt vmcnt(2) lgkmcnt(1)
	v_mul_f64 v[218:219], v[212:213], v[174:175]
	v_fmac_f64_e32 v[218:219], v[214:215], v[172:173]
	v_add_f64 v[216:217], v[216:217], v[218:219]
	;; [unrolled: 4-line block ×3, first 2 shown]
	ds_read_b128 v[216:219], v2 offset:1792
	ds_read_b128 v[224:227], v2 offset:1808
	s_waitcnt vmcnt(0) lgkmcnt(1)
	v_mul_f64 v[222:223], v[216:217], v[82:83]
	v_fmac_f64_e32 v[222:223], v[218:219], v[80:81]
	v_add_f64 v[228:229], v[220:221], v[222:223]
	scratch_load_dwordx4 v[220:223], off, off offset:912
	s_waitcnt vmcnt(0) lgkmcnt(0)
	v_mul_f64 v[230:231], v[224:225], v[222:223]
	v_fmac_f64_e32 v[230:231], v[226:227], v[220:221]
	v_add_f64 v[246:247], v[228:229], v[230:231]
	v_add_f64 v[228:229], v[240:241], 0
	;; [unrolled: 1-line block ×7, first 2 shown]
	scratch_load_dwordx4 v[228:231], off, off offset:288
	v_add_f64 v[244:245], v[4:5], v[0:1]
	v_accvgpr_read_b32 v4, a116
	v_add_f64 v[0:1], v[244:245], v[6:7]
	v_accvgpr_read_b32 v5, a117
	v_add_f64 v[0:1], v[0:1], v[4:5]
	v_add_f64 v[0:1], v[0:1], v[238:239]
	v_mul_f64 v[4:5], v[158:159], v[236:237]
	v_add_f64 v[0:1], v[0:1], v[242:243]
	v_fma_f64 v[4:5], v[156:157], v[234:235], -v[4:5]
	v_add_f64 v[0:1], v[0:1], v[4:5]
	v_mul_f64 v[4:5], v[150:151], v[10:11]
	v_fma_f64 v[4:5], v[148:149], v[8:9], -v[4:5]
	v_add_f64 v[0:1], v[0:1], v[4:5]
	v_mul_f64 v[4:5], v[146:147], v[14:15]
	;; [unrolled: 3-line block ×27, first 2 shown]
	v_fma_f64 v[4:5], v[224:225], v[220:221], -v[4:5]
	v_add_f64 v[0:1], v[0:1], v[4:5]
	s_waitcnt vmcnt(0)
	v_add_f64 v[4:5], v[228:229], -v[0:1]
	v_accvgpr_read_b32 v0, a114
	v_add_f64 v[6:7], v[230:231], -v[246:247]
	v_cmp_lt_u32_e32 vcc, 16, v0
	scratch_store_dwordx4 off, v[4:7], off offset:288
	s_and_saveexec_b64 s[0:1], vcc
	s_cbranch_execz .LBB56_323
; %bb.322:
	scratch_load_dwordx4 v[6:9], off, s53
	v_mov_b32_e32 v3, v2
	v_mov_b32_e32 v4, v2
	;; [unrolled: 1-line block ×3, first 2 shown]
	v_accvgpr_read_b32 v0, a115
	scratch_store_dwordx4 off, v[2:5], off offset:272
	s_waitcnt vmcnt(1)
	ds_write_b128 v0, v[6:9]
.LBB56_323:
	s_or_b64 exec, exec, s[0:1]
	s_waitcnt lgkmcnt(0)
	; wave barrier
	scratch_load_dwordx4 v[132:135], off, off offset:288
	scratch_load_dwordx4 v[160:163], off, off offset:304
	;; [unrolled: 1-line block ×16, first 2 shown]
	ds_read_b128 v[156:159], v2 offset:1184
	ds_read_b128 v[172:175], v2 offset:1200
	scratch_load_dwordx4 v[24:27], off, off offset:544
	ds_read_b128 v[232:235], v2 offset:1216
	ds_read_b128 v[228:231], v2 offset:1232
	scratch_load_dwordx4 v[28:31], off, off offset:560
	ds_read_b128 v[236:239], v2 offset:1248
	ds_read_b128 v[184:187], v2 offset:1264
	;; [unrolled: 1-line block ×5, first 2 shown]
	scratch_load_dwordx4 v[32:35], off, off offset:576
	ds_read_b128 v[220:223], v2 offset:1328
	ds_read_b128 v[216:219], v2 offset:1344
	;; [unrolled: 1-line block ×3, first 2 shown]
	scratch_load_dwordx4 v[36:39], off, off offset:592
	ds_read_b128 v[64:67], v2 offset:1376
	ds_read_b128 v[60:63], v2 offset:1392
	;; [unrolled: 1-line block ×5, first 2 shown]
	scratch_load_dwordx4 v[52:55], off, off offset:608
	scratch_load_dwordx4 v[68:71], off, off offset:624
	;; [unrolled: 1-line block ×11, first 2 shown]
	ds_read_b128 v[144:147], v2 offset:1488
	ds_read_b128 v[148:151], v2 offset:1504
	;; [unrolled: 1-line block ×3, first 2 shown]
	s_waitcnt vmcnt(30) lgkmcnt(14)
	v_mul_f64 v[0:1], v[156:157], v[134:135]
	s_waitcnt vmcnt(29)
	v_mul_f64 v[108:109], v[172:173], v[162:163]
	v_fmac_f64_e32 v[0:1], v[158:159], v[132:133]
	s_waitcnt vmcnt(28)
	v_mul_f64 v[110:111], v[232:233], v[166:167]
	v_fmac_f64_e32 v[108:109], v[174:175], v[160:161]
	v_add_f64 v[0:1], v[0:1], 0
	s_waitcnt vmcnt(27)
	v_mul_f64 v[112:113], v[228:229], v[170:171]
	v_fmac_f64_e32 v[110:111], v[234:235], v[164:165]
	v_add_f64 v[0:1], v[0:1], v[108:109]
	;; [unrolled: 4-line block ×4, first 2 shown]
	s_waitcnt vmcnt(24) lgkmcnt(13)
	v_mul_f64 v[118:119], v[224:225], v[190:191]
	v_fmac_f64_e32 v[116:117], v[186:187], v[180:181]
	v_add_f64 v[0:1], v[0:1], v[114:115]
	s_waitcnt vmcnt(23) lgkmcnt(12)
	v_mul_f64 v[120:121], v[196:197], v[194:195]
	v_fmac_f64_e32 v[118:119], v[226:227], v[188:189]
	v_add_f64 v[0:1], v[0:1], v[116:117]
	;; [unrolled: 4-line block ×9, first 2 shown]
	v_fmac_f64_e32 v[138:139], v[58:59], v[16:17]
	v_add_f64 v[0:1], v[0:1], v[136:137]
	v_add_f64 v[0:1], v[0:1], v[138:139]
	ds_read_b128 v[136:139], v2 offset:1456
	s_waitcnt vmcnt(15) lgkmcnt(5)
	v_mul_f64 v[140:141], v[48:49], v[22:23]
	v_fmac_f64_e32 v[140:141], v[50:51], v[20:21]
	s_waitcnt vmcnt(14) lgkmcnt(4)
	v_mul_f64 v[112:113], v[44:45], v[26:27]
	scratch_load_dwordx4 v[108:111], off, off offset:784
	v_add_f64 v[0:1], v[0:1], v[140:141]
	v_fmac_f64_e32 v[112:113], v[46:47], v[24:25]
	v_add_f64 v[0:1], v[0:1], v[112:113]
	scratch_load_dwordx4 v[112:115], off, off offset:800
	ds_read_b128 v[140:143], v2 offset:1472
	s_waitcnt vmcnt(15) lgkmcnt(1)
	v_mul_f64 v[116:117], v[136:137], v[30:31]
	v_fmac_f64_e32 v[116:117], v[138:139], v[28:29]
	v_add_f64 v[0:1], v[0:1], v[116:117]
	scratch_load_dwordx4 v[116:119], off, off offset:816
	s_waitcnt vmcnt(15) lgkmcnt(0)
	v_mul_f64 v[120:121], v[140:141], v[34:35]
	v_fmac_f64_e32 v[120:121], v[142:143], v[32:33]
	s_waitcnt vmcnt(14)
	v_mul_f64 v[124:125], v[144:145], v[38:39]
	v_add_f64 v[0:1], v[0:1], v[120:121]
	scratch_load_dwordx4 v[120:123], off, off offset:832
	v_fmac_f64_e32 v[124:125], v[146:147], v[36:37]
	v_add_f64 v[0:1], v[0:1], v[124:125]
	s_waitcnt vmcnt(14)
	v_mul_f64 v[124:125], v[148:149], v[54:55]
	scratch_load_dwordx4 v[128:131], off, off offset:848
	v_fmac_f64_e32 v[124:125], v[150:151], v[52:53]
	v_add_f64 v[0:1], v[0:1], v[124:125]
	scratch_load_dwordx4 v[124:127], off, off offset:864
	v_mul_f64 v[134:135], v[158:159], v[134:135]
	v_fma_f64 v[240:241], v[156:157], v[132:133], -v[134:135]
	ds_read_b128 v[156:159], v2 offset:1536
	s_waitcnt vmcnt(15)
	v_mul_f64 v[132:133], v[152:153], v[70:71]
	v_fmac_f64_e32 v[132:133], v[154:155], v[68:69]
	v_add_f64 v[0:1], v[0:1], v[132:133]
	v_mul_f64 v[132:133], v[174:175], v[162:163]
	v_fma_f64 v[246:247], v[172:173], v[160:161], -v[132:133]
	scratch_load_dwordx4 v[132:135], off, off offset:880
	ds_read_b128 v[160:163], v2 offset:1552
	v_mul_f64 v[166:167], v[234:235], v[166:167]
	v_fma_f64 v[248:249], v[232:233], v[164:165], -v[166:167]
	ds_read_b128 v[164:167], v2 offset:1568
	s_waitcnt vmcnt(15) lgkmcnt(2)
	v_mul_f64 v[172:173], v[156:157], v[74:75]
	v_fmac_f64_e32 v[172:173], v[158:159], v[72:73]
	v_add_f64 v[0:1], v[0:1], v[172:173]
	s_waitcnt vmcnt(14) lgkmcnt(1)
	v_mul_f64 v[172:173], v[160:161], v[78:79]
	v_fmac_f64_e32 v[172:173], v[162:163], v[76:77]
	v_mul_f64 v[170:171], v[230:231], v[170:171]
	v_fma_f64 v[250:251], v[228:229], v[168:169], -v[170:171]
	ds_read_b128 v[168:171], v2 offset:1584
	v_add_f64 v[0:1], v[0:1], v[172:173]
	s_waitcnt vmcnt(13) lgkmcnt(1)
	v_mul_f64 v[172:173], v[164:165], v[82:83]
	v_fmac_f64_e32 v[172:173], v[166:167], v[80:81]
	v_add_f64 v[0:1], v[0:1], v[172:173]
	ds_read_b128 v[172:175], v2 offset:1600
	v_mul_f64 v[178:179], v[238:239], v[178:179]
	v_fma_f64 v[236:237], v[236:237], v[176:177], -v[178:179]
	ds_read_b128 v[176:179], v2 offset:1616
	s_waitcnt vmcnt(12) lgkmcnt(2)
	v_mul_f64 v[228:229], v[168:169], v[86:87]
	v_fmac_f64_e32 v[228:229], v[170:171], v[84:85]
	v_add_f64 v[0:1], v[0:1], v[228:229]
	s_waitcnt vmcnt(11) lgkmcnt(1)
	v_mul_f64 v[228:229], v[172:173], v[90:91]
	v_mul_f64 v[182:183], v[186:187], v[182:183]
	v_fmac_f64_e32 v[228:229], v[174:175], v[88:89]
	v_fma_f64 v[238:239], v[184:185], v[180:181], -v[182:183]
	ds_read_b128 v[180:183], v2 offset:1632
	s_waitcnt vmcnt(10) lgkmcnt(1)
	v_mul_f64 v[184:185], v[176:177], v[94:95]
	v_add_f64 v[0:1], v[0:1], v[228:229]
	v_fmac_f64_e32 v[184:185], v[178:179], v[92:93]
	v_add_f64 v[0:1], v[0:1], v[184:185]
	ds_read_b128 v[184:187], v2 offset:1648
	v_mul_f64 v[190:191], v[226:227], v[190:191]
	v_fma_f64 v[252:253], v[224:225], v[188:189], -v[190:191]
	ds_read_b128 v[188:191], v2 offset:1664
	s_waitcnt vmcnt(9) lgkmcnt(2)
	v_mul_f64 v[228:229], v[180:181], v[98:99]
	v_fmac_f64_e32 v[228:229], v[182:183], v[96:97]
	s_waitcnt vmcnt(8) lgkmcnt(1)
	v_mul_f64 v[224:225], v[184:185], v[102:103]
	v_mul_f64 v[194:195], v[198:199], v[194:195]
	v_add_f64 v[0:1], v[0:1], v[228:229]
	v_fmac_f64_e32 v[224:225], v[186:187], v[100:101]
	v_fma_f64 v[254:255], v[196:197], v[192:193], -v[194:195]
	s_waitcnt vmcnt(7) lgkmcnt(0)
	v_mul_f64 v[196:197], v[188:189], v[106:107]
	ds_read_b128 v[192:195], v2 offset:1680
	v_add_f64 v[0:1], v[0:1], v[224:225]
	v_fmac_f64_e32 v[196:197], v[190:191], v[104:105]
	v_add_f64 v[0:1], v[0:1], v[196:197]
	ds_read_b128 v[196:199], v2 offset:1696
	v_mul_f64 v[202:203], v[210:211], v[202:203]
	v_fma_f64 v[242:243], v[208:209], v[200:201], -v[202:203]
	ds_read_b128 v[200:203], v2 offset:1712
	s_waitcnt vmcnt(6) lgkmcnt(2)
	v_mul_f64 v[224:225], v[192:193], v[110:111]
	v_fmac_f64_e32 v[224:225], v[194:195], v[108:109]
	s_waitcnt vmcnt(5) lgkmcnt(1)
	v_mul_f64 v[208:209], v[196:197], v[114:115]
	v_add_f64 v[0:1], v[0:1], v[224:225]
	v_fmac_f64_e32 v[208:209], v[198:199], v[112:113]
	v_add_f64 v[208:209], v[0:1], v[208:209]
	v_mul_f64 v[0:1], v[222:223], v[206:207]
	v_fma_f64 v[0:1], v[220:221], v[204:205], -v[0:1]
	ds_read_b128 v[204:207], v2 offset:1728
	s_waitcnt vmcnt(4) lgkmcnt(1)
	v_mul_f64 v[210:211], v[200:201], v[118:119]
	v_fmac_f64_e32 v[210:211], v[202:203], v[116:117]
	v_add_f64 v[220:221], v[208:209], v[210:211]
	ds_read_b128 v[208:211], v2 offset:1744
	v_mul_f64 v[214:215], v[218:219], v[214:215]
	v_fma_f64 v[244:245], v[216:217], v[212:213], -v[214:215]
	ds_read_b128 v[212:215], v2 offset:1760
	s_waitcnt vmcnt(3) lgkmcnt(2)
	v_mul_f64 v[216:217], v[204:205], v[122:123]
	v_fmac_f64_e32 v[216:217], v[206:207], v[120:121]
	s_waitcnt vmcnt(2) lgkmcnt(1)
	v_mul_f64 v[218:219], v[208:209], v[130:131]
	v_add_f64 v[216:217], v[220:221], v[216:217]
	v_fmac_f64_e32 v[218:219], v[210:211], v[128:129]
	v_add_f64 v[216:217], v[216:217], v[218:219]
	s_waitcnt vmcnt(1) lgkmcnt(0)
	v_mul_f64 v[218:219], v[212:213], v[126:127]
	v_fmac_f64_e32 v[218:219], v[214:215], v[124:125]
	v_add_f64 v[220:221], v[216:217], v[218:219]
	ds_read_b128 v[216:219], v2 offset:1776
	ds_read_b128 v[224:227], v2 offset:1792
	scratch_load_dwordx4 v[232:235], off, off offset:912
	v_accvgpr_write_b32 a117, v1
	v_accvgpr_write_b32 a116, v0
	s_waitcnt vmcnt(1) lgkmcnt(1)
	v_mul_f64 v[222:223], v[216:217], v[134:135]
	v_fmac_f64_e32 v[222:223], v[218:219], v[132:133]
	v_add_f64 v[228:229], v[220:221], v[222:223]
	scratch_load_dwordx4 v[220:223], off, off offset:896
	v_mul_f64 v[6:7], v[42:43], v[6:7]
	v_fma_f64 v[4:5], v[40:41], v[4:5], -v[6:7]
	s_waitcnt vmcnt(0) lgkmcnt(0)
	v_mul_f64 v[230:231], v[224:225], v[222:223]
	v_fmac_f64_e32 v[230:231], v[226:227], v[220:221]
	v_add_f64 v[0:1], v[228:229], v[230:231]
	ds_read_b128 v[228:231], v2 offset:1808
	s_waitcnt lgkmcnt(0)
	v_mul_f64 v[2:3], v[228:229], v[234:235]
	v_fmac_f64_e32 v[2:3], v[230:231], v[232:233]
	v_add_f64 v[2:3], v[0:1], v[2:3]
	v_add_f64 v[0:1], v[240:241], 0
	;; [unrolled: 1-line block ×7, first 2 shown]
	scratch_load_dwordx4 v[236:239], off, off offset:272
	v_add_f64 v[0:1], v[0:1], v[252:253]
	v_add_f64 v[0:1], v[0:1], v[254:255]
	;; [unrolled: 1-line block ×3, first 2 shown]
	v_accvgpr_read_b32 v0, a116
	v_accvgpr_read_b32 v1, a117
	v_add_f64 v[0:1], v[246:247], v[0:1]
	v_add_f64 v[0:1], v[0:1], v[244:245]
	;; [unrolled: 1-line block ×3, first 2 shown]
	v_mul_f64 v[4:5], v[66:67], v[10:11]
	v_fma_f64 v[4:5], v[64:65], v[8:9], -v[4:5]
	v_add_f64 v[0:1], v[0:1], v[4:5]
	v_mul_f64 v[4:5], v[62:63], v[14:15]
	v_fma_f64 v[4:5], v[60:61], v[12:13], -v[4:5]
	v_add_f64 v[0:1], v[0:1], v[4:5]
	;; [unrolled: 3-line block ×28, first 2 shown]
	s_waitcnt vmcnt(0)
	v_add_f64 v[4:5], v[236:237], -v[0:1]
	v_accvgpr_read_b32 v0, a114
	v_add_f64 v[6:7], v[238:239], -v[2:3]
	v_cmp_lt_u32_e32 vcc, 15, v0
	scratch_store_dwordx4 off, v[4:7], off offset:272
	s_and_saveexec_b64 s[0:1], vcc
	s_cbranch_execz .LBB56_325
; %bb.324:
	scratch_load_dwordx4 v[2:5], off, s52
	v_mov_b32_e32 v6, 0
	v_mov_b32_e32 v7, v6
	;; [unrolled: 1-line block ×4, first 2 shown]
	v_accvgpr_read_b32 v0, a115
	scratch_store_dwordx4 off, v[6:9], off offset:256
	s_waitcnt vmcnt(1)
	ds_write_b128 v0, v[2:5]
.LBB56_325:
	s_or_b64 exec, exec, s[0:1]
	s_waitcnt lgkmcnt(0)
	; wave barrier
	scratch_load_dwordx4 v[112:115], off, off offset:272
	scratch_load_dwordx4 v[116:119], off, off offset:288
	;; [unrolled: 1-line block ×30, first 2 shown]
	v_mov_b32_e32 v2, 0
	ds_read_b128 v[144:147], v2 offset:1168
	ds_read_b128 v[156:159], v2 offset:1184
	;; [unrolled: 1-line block ×20, first 2 shown]
	s_waitcnt vmcnt(29) lgkmcnt(14)
	v_mul_f64 v[0:1], v[144:145], v[114:115]
	s_waitcnt vmcnt(28)
	v_mul_f64 v[88:89], v[156:157], v[118:119]
	v_fmac_f64_e32 v[0:1], v[146:147], v[112:113]
	s_waitcnt vmcnt(27)
	v_mul_f64 v[90:91], v[168:169], v[122:123]
	v_fmac_f64_e32 v[88:89], v[158:159], v[116:117]
	v_add_f64 v[0:1], v[0:1], 0
	s_waitcnt vmcnt(26)
	v_mul_f64 v[92:93], v[180:181], v[154:155]
	v_fmac_f64_e32 v[90:91], v[170:171], v[120:121]
	v_add_f64 v[0:1], v[0:1], v[88:89]
	;; [unrolled: 4-line block ×4, first 2 shown]
	s_waitcnt vmcnt(23) lgkmcnt(13)
	v_mul_f64 v[98:99], v[212:213], v[174:175]
	v_fmac_f64_e32 v[96:97], v[206:207], v[164:165]
	v_add_f64 v[0:1], v[0:1], v[94:95]
	s_waitcnt vmcnt(22) lgkmcnt(12)
	v_mul_f64 v[100:101], v[216:217], v[178:179]
	v_fmac_f64_e32 v[98:99], v[214:215], v[172:173]
	v_add_f64 v[0:1], v[0:1], v[96:97]
	s_waitcnt vmcnt(21) lgkmcnt(11)
	v_mul_f64 v[102:103], v[220:221], v[186:187]
	v_fmac_f64_e32 v[100:101], v[218:219], v[176:177]
	v_add_f64 v[0:1], v[0:1], v[98:99]
	s_waitcnt vmcnt(20) lgkmcnt(10)
	v_mul_f64 v[104:105], v[224:225], v[190:191]
	v_fmac_f64_e32 v[102:103], v[222:223], v[184:185]
	v_add_f64 v[0:1], v[0:1], v[100:101]
	s_waitcnt vmcnt(19) lgkmcnt(9)
	v_mul_f64 v[106:107], v[228:229], v[198:199]
	v_fmac_f64_e32 v[104:105], v[226:227], v[188:189]
	v_add_f64 v[0:1], v[0:1], v[102:103]
	s_waitcnt vmcnt(18) lgkmcnt(8)
	v_mul_f64 v[108:109], v[242:243], v[202:203]
	v_fmac_f64_e32 v[106:107], v[230:231], v[196:197]
	v_add_f64 v[0:1], v[0:1], v[104:105]
	s_waitcnt vmcnt(17) lgkmcnt(7)
	v_mul_f64 v[110:111], v[246:247], v[210:211]
	v_fmac_f64_e32 v[108:109], v[244:245], v[200:201]
	v_add_f64 v[0:1], v[0:1], v[106:107]
	s_waitcnt vmcnt(16) lgkmcnt(6)
	v_mul_f64 v[124:125], v[84:85], v[6:7]
	v_fmac_f64_e32 v[110:111], v[248:249], v[208:209]
	v_add_f64 v[0:1], v[0:1], v[108:109]
	s_waitcnt vmcnt(15) lgkmcnt(5)
	v_mul_f64 v[126:127], v[80:81], v[10:11]
	v_fmac_f64_e32 v[124:125], v[86:87], v[4:5]
	v_add_f64 v[0:1], v[0:1], v[110:111]
	v_fmac_f64_e32 v[126:127], v[82:83], v[8:9]
	v_add_f64 v[0:1], v[0:1], v[124:125]
	scratch_load_dwordx4 v[88:91], off, off offset:752
	s_waitcnt vmcnt(15) lgkmcnt(4)
	v_mul_f64 v[128:129], v[76:77], v[236:237]
	v_add_f64 v[0:1], v[0:1], v[126:127]
	ds_read_b128 v[124:127], v2 offset:1440
	v_fmac_f64_e32 v[128:129], v[78:79], v[234:235]
	v_add_f64 v[0:1], v[0:1], v[128:129]
	ds_read_b128 v[128:131], v2 offset:1456
	s_waitcnt vmcnt(14) lgkmcnt(5)
	v_mul_f64 v[92:93], v[72:73], v[18:19]
	v_fmac_f64_e32 v[92:93], v[74:75], v[16:17]
	v_add_f64 v[0:1], v[0:1], v[92:93]
	s_waitcnt vmcnt(13) lgkmcnt(1)
	v_mul_f64 v[96:97], v[124:125], v[22:23]
	scratch_load_dwordx4 v[92:95], off, off offset:768
	v_fmac_f64_e32 v[96:97], v[126:127], v[20:21]
	v_add_f64 v[0:1], v[0:1], v[96:97]
	s_waitcnt vmcnt(13) lgkmcnt(0)
	v_mul_f64 v[100:101], v[128:129], v[26:27]
	scratch_load_dwordx4 v[96:99], off, off offset:784
	v_fmac_f64_e32 v[100:101], v[130:131], v[24:25]
	v_add_f64 v[0:1], v[0:1], v[100:101]
	scratch_load_dwordx4 v[100:103], off, off offset:800
	s_waitcnt vmcnt(14)
	v_mul_f64 v[104:105], v[132:133], v[30:31]
	v_fmac_f64_e32 v[104:105], v[134:135], v[28:29]
	v_add_f64 v[0:1], v[0:1], v[104:105]
	s_waitcnt vmcnt(13)
	v_mul_f64 v[104:105], v[136:137], v[34:35]
	v_fmac_f64_e32 v[104:105], v[138:139], v[32:33]
	v_add_f64 v[0:1], v[0:1], v[104:105]
	scratch_load_dwordx4 v[104:107], off, off offset:816
	s_waitcnt vmcnt(13)
	v_mul_f64 v[108:109], v[140:141], v[38:39]
	v_fmac_f64_e32 v[108:109], v[142:143], v[36:37]
	v_add_f64 v[0:1], v[0:1], v[108:109]
	scratch_load_dwordx4 v[108:111], off, off offset:832
	v_mul_f64 v[114:115], v[146:147], v[114:115]
	v_fma_f64 v[240:241], v[144:145], v[112:113], -v[114:115]
	v_mul_f64 v[112:113], v[158:159], v[118:119]
	ds_read_b128 v[148:151], v2 offset:1520
	ds_read_b128 v[144:147], v2 offset:1536
	v_fma_f64 v[250:251], v[156:157], v[116:117], -v[112:113]
	scratch_load_dwordx4 v[116:119], off, off offset:848
	scratch_load_dwordx4 v[112:115], off, off offset:864
	v_mul_f64 v[122:123], v[170:171], v[122:123]
	v_fma_f64 v[252:253], v[168:169], v[120:121], -v[122:123]
	scratch_load_dwordx4 v[120:123], off, off offset:880
	s_waitcnt vmcnt(16) lgkmcnt(1)
	v_mul_f64 v[156:157], v[148:149], v[42:43]
	v_fmac_f64_e32 v[156:157], v[150:151], v[40:41]
	v_mul_f64 v[154:155], v[182:183], v[154:155]
	v_add_f64 v[0:1], v[0:1], v[156:157]
	v_fma_f64 v[254:255], v[180:181], v[152:153], -v[154:155]
	ds_read_b128 v[152:155], v2 offset:1552
	s_waitcnt vmcnt(15) lgkmcnt(1)
	v_mul_f64 v[156:157], v[144:145], v[46:47]
	v_fmac_f64_e32 v[156:157], v[146:147], v[44:45]
	v_add_f64 v[0:1], v[0:1], v[156:157]
	ds_read_b128 v[156:159], v2 offset:1568
	v_mul_f64 v[162:163], v[194:195], v[162:163]
	v_fma_f64 v[232:233], v[192:193], v[160:161], -v[162:163]
	ds_read_b128 v[160:163], v2 offset:1584
	s_waitcnt vmcnt(14) lgkmcnt(2)
	v_mul_f64 v[168:169], v[152:153], v[50:51]
	v_fmac_f64_e32 v[168:169], v[154:155], v[48:49]
	v_mul_f64 v[166:167], v[206:207], v[166:167]
	v_add_f64 v[0:1], v[0:1], v[168:169]
	s_waitcnt vmcnt(13) lgkmcnt(1)
	v_mul_f64 v[168:169], v[156:157], v[54:55]
	v_fma_f64 v[12:13], v[204:205], v[164:165], -v[166:167]
	ds_read_b128 v[164:167], v2 offset:1600
	v_accvgpr_write_b32 a119, v7
	v_fmac_f64_e32 v[168:169], v[158:159], v[52:53]
	v_accvgpr_write_b32 a118, v6
	v_accvgpr_write_b32 a117, v5
	v_accvgpr_write_b32 a116, v4
	v_add_f64 v[0:1], v[0:1], v[168:169]
	s_waitcnt vmcnt(12) lgkmcnt(1)
	v_mul_f64 v[6:7], v[160:161], v[58:59]
	ds_read_b128 v[168:171], v2 offset:1616
	v_fmac_f64_e32 v[6:7], v[162:163], v[56:57]
	v_accvgpr_write_b32 a123, v11
	v_add_f64 v[0:1], v[0:1], v[6:7]
	v_mul_f64 v[6:7], v[214:215], v[174:175]
	v_accvgpr_write_b32 a122, v10
	v_accvgpr_write_b32 a121, v9
	;; [unrolled: 1-line block ×3, first 2 shown]
	v_fma_f64 v[8:9], v[212:213], v[172:173], -v[6:7]
	s_waitcnt vmcnt(11) lgkmcnt(1)
	v_mul_f64 v[6:7], v[164:165], v[62:63]
	v_fmac_f64_e32 v[6:7], v[166:167], v[60:61]
	ds_read_b128 v[172:175], v2 offset:1632
	v_add_f64 v[0:1], v[0:1], v[6:7]
	s_waitcnt vmcnt(10) lgkmcnt(1)
	v_mul_f64 v[6:7], v[168:169], v[66:67]
	v_fmac_f64_e32 v[6:7], v[170:171], v[64:65]
	v_add_f64 v[0:1], v[0:1], v[6:7]
	v_mul_f64 v[6:7], v[218:219], v[178:179]
	v_fma_f64 v[10:11], v[216:217], v[176:177], -v[6:7]
	ds_read_b128 v[176:179], v2 offset:1648
	ds_read_b128 v[180:183], v2 offset:1664
	s_waitcnt vmcnt(9) lgkmcnt(2)
	v_mul_f64 v[6:7], v[172:173], v[70:71]
	v_fmac_f64_e32 v[6:7], v[174:175], v[68:69]
	v_add_f64 v[0:1], v[0:1], v[6:7]
	s_waitcnt vmcnt(8) lgkmcnt(1)
	v_mul_f64 v[6:7], v[176:177], v[90:91]
	v_fmac_f64_e32 v[6:7], v[178:179], v[88:89]
	v_add_f64 v[0:1], v[0:1], v[6:7]
	v_mul_f64 v[6:7], v[222:223], v[186:187]
	v_fma_f64 v[4:5], v[220:221], v[184:185], -v[6:7]
	ds_read_b128 v[184:187], v2 offset:1680
	v_mul_f64 v[6:7], v[226:227], v[190:191]
	v_fma_f64 v[6:7], v[224:225], v[188:189], -v[6:7]
	ds_read_b128 v[188:191], v2 offset:1696
	s_waitcnt vmcnt(7) lgkmcnt(2)
	v_mul_f64 v[14:15], v[180:181], v[94:95]
	v_fmac_f64_e32 v[14:15], v[182:183], v[92:93]
	v_add_f64 v[0:1], v[0:1], v[14:15]
	s_waitcnt vmcnt(6) lgkmcnt(1)
	v_mul_f64 v[14:15], v[184:185], v[98:99]
	v_fmac_f64_e32 v[14:15], v[186:187], v[96:97]
	v_add_f64 v[0:1], v[0:1], v[14:15]
	s_waitcnt vmcnt(5) lgkmcnt(0)
	v_mul_f64 v[14:15], v[188:189], v[102:103]
	ds_read_b128 v[192:195], v2 offset:1712
	v_fmac_f64_e32 v[14:15], v[190:191], v[100:101]
	v_add_f64 v[14:15], v[0:1], v[14:15]
	v_mul_f64 v[0:1], v[230:231], v[198:199]
	v_fma_f64 v[0:1], v[228:229], v[196:197], -v[0:1]
	ds_read_b128 v[196:199], v2 offset:1728
	v_mul_f64 v[202:203], v[244:245], v[202:203]
	s_waitcnt vmcnt(4) lgkmcnt(1)
	v_mul_f64 v[204:205], v[192:193], v[106:107]
	v_fma_f64 v[238:239], v[242:243], v[200:201], -v[202:203]
	ds_read_b128 v[200:203], v2 offset:1744
	v_fmac_f64_e32 v[204:205], v[194:195], v[104:105]
	v_add_f64 v[14:15], v[14:15], v[204:205]
	ds_read_b128 v[204:207], v2 offset:1760
	s_waitcnt vmcnt(3) lgkmcnt(2)
	v_mul_f64 v[212:213], v[196:197], v[110:111]
	v_mul_f64 v[210:211], v[248:249], v[210:211]
	v_fmac_f64_e32 v[212:213], v[198:199], v[108:109]
	v_fma_f64 v[242:243], v[246:247], v[208:209], -v[210:211]
	ds_read_b128 v[208:211], v2 offset:1776
	ds_read_b128 v[216:219], v2 offset:1792
	v_add_f64 v[14:15], v[14:15], v[212:213]
	s_waitcnt vmcnt(2) lgkmcnt(3)
	v_mul_f64 v[212:213], v[200:201], v[118:119]
	v_fmac_f64_e32 v[212:213], v[202:203], v[116:117]
	v_add_f64 v[14:15], v[14:15], v[212:213]
	s_waitcnt vmcnt(1) lgkmcnt(2)
	v_mul_f64 v[212:213], v[204:205], v[114:115]
	v_fmac_f64_e32 v[212:213], v[206:207], v[112:113]
	;; [unrolled: 4-line block ×3, first 2 shown]
	v_add_f64 v[14:15], v[14:15], v[212:213]
	scratch_load_dwordx4 v[212:215], off, off offset:896
	ds_read_b128 v[224:227], v2 offset:1808
	s_waitcnt vmcnt(0) lgkmcnt(1)
	v_mul_f64 v[220:221], v[216:217], v[214:215]
	v_fmac_f64_e32 v[220:221], v[218:219], v[212:213]
	v_add_f64 v[14:15], v[14:15], v[220:221]
	scratch_load_dwordx4 v[220:223], off, off offset:912
	s_waitcnt vmcnt(0) lgkmcnt(0)
	v_mul_f64 v[228:229], v[224:225], v[222:223]
	v_fmac_f64_e32 v[228:229], v[226:227], v[220:221]
	v_add_f64 v[246:247], v[14:15], v[228:229]
	scratch_load_dwordx4 v[228:231], off, off offset:256
	v_add_f64 v[14:15], v[240:241], 0
	v_add_f64 v[14:15], v[14:15], v[250:251]
	;; [unrolled: 1-line block ×10, first 2 shown]
	v_accvgpr_read_b32 v6, a116
	v_accvgpr_read_b32 v8, a118
	;; [unrolled: 1-line block ×3, first 2 shown]
	v_add_f64 v[0:1], v[4:5], v[0:1]
	v_accvgpr_read_b32 v7, a117
	v_mul_f64 v[4:5], v[86:87], v[8:9]
	v_add_f64 v[0:1], v[0:1], v[238:239]
	v_fma_f64 v[4:5], v[84:85], v[6:7], -v[4:5]
	v_accvgpr_read_b32 v6, a120
	v_add_f64 v[0:1], v[0:1], v[242:243]
	v_accvgpr_read_b32 v8, a122
	v_accvgpr_read_b32 v9, a123
	v_add_f64 v[0:1], v[0:1], v[4:5]
	v_accvgpr_read_b32 v7, a121
	v_mul_f64 v[4:5], v[82:83], v[8:9]
	v_fma_f64 v[4:5], v[80:81], v[6:7], -v[4:5]
	v_add_f64 v[0:1], v[0:1], v[4:5]
	v_mul_f64 v[4:5], v[78:79], v[236:237]
	v_fma_f64 v[4:5], v[76:77], v[234:235], -v[4:5]
	v_add_f64 v[0:1], v[0:1], v[4:5]
	;; [unrolled: 3-line block ×27, first 2 shown]
	s_waitcnt vmcnt(0)
	v_add_f64 v[4:5], v[228:229], -v[0:1]
	v_accvgpr_read_b32 v0, a114
	v_add_f64 v[6:7], v[230:231], -v[246:247]
	v_cmp_lt_u32_e32 vcc, 14, v0
	scratch_store_dwordx4 off, v[4:7], off offset:256
	s_and_saveexec_b64 s[0:1], vcc
	s_cbranch_execz .LBB56_327
; %bb.326:
	scratch_load_dwordx4 v[6:9], off, s51
	v_mov_b32_e32 v3, v2
	v_mov_b32_e32 v4, v2
	;; [unrolled: 1-line block ×3, first 2 shown]
	v_accvgpr_read_b32 v0, a115
	scratch_store_dwordx4 off, v[2:5], off offset:240
	s_waitcnt vmcnt(1)
	ds_write_b128 v0, v[6:9]
.LBB56_327:
	s_or_b64 exec, exec, s[0:1]
	s_waitcnt lgkmcnt(0)
	; wave barrier
	scratch_load_dwordx4 v[88:91], off, off offset:256
	scratch_load_dwordx4 v[92:95], off, off offset:272
	;; [unrolled: 1-line block ×17, first 2 shown]
	ds_read_b128 v[212:215], v2 offset:1152
	ds_read_b128 v[204:207], v2 offset:1168
	;; [unrolled: 1-line block ×3, first 2 shown]
	scratch_load_dwordx4 v[20:23], off, off offset:528
	ds_read_b128 v[216:219], v2 offset:1200
	ds_read_b128 v[208:211], v2 offset:1216
	;; [unrolled: 1-line block ×5, first 2 shown]
	scratch_load_dwordx4 v[24:27], off, off offset:544
	ds_read_b128 v[180:183], v2 offset:1280
	ds_read_b128 v[160:163], v2 offset:1296
	;; [unrolled: 1-line block ×3, first 2 shown]
	scratch_load_dwordx4 v[28:31], off, off offset:560
	ds_read_b128 v[172:175], v2 offset:1328
	ds_read_b128 v[148:151], v2 offset:1344
	;; [unrolled: 1-line block ×5, first 2 shown]
	scratch_load_dwordx4 v[36:39], off, off offset:576
	ds_read_b128 v[48:51], v2 offset:1408
	scratch_load_dwordx4 v[52:55], off, off offset:592
	scratch_load_dwordx4 v[56:59], off, off offset:608
	;; [unrolled: 1-line block ×9, first 2 shown]
	ds_read_b128 v[140:143], v2 offset:1424
	ds_read_b128 v[232:235], v2 offset:1488
	;; [unrolled: 1-line block ×3, first 2 shown]
	s_waitcnt vmcnt(29) lgkmcnt(14)
	v_mul_f64 v[0:1], v[212:213], v[90:91]
	s_waitcnt vmcnt(28)
	v_mul_f64 v[152:153], v[204:205], v[94:95]
	v_fmac_f64_e32 v[0:1], v[214:215], v[88:89]
	s_waitcnt vmcnt(27)
	v_mul_f64 v[154:155], v[196:197], v[98:99]
	v_fmac_f64_e32 v[152:153], v[206:207], v[92:93]
	v_add_f64 v[0:1], v[0:1], 0
	s_waitcnt vmcnt(26)
	v_mul_f64 v[164:165], v[216:217], v[102:103]
	v_fmac_f64_e32 v[154:155], v[198:199], v[96:97]
	v_add_f64 v[0:1], v[0:1], v[152:153]
	;; [unrolled: 4-line block ×4, first 2 shown]
	s_waitcnt vmcnt(23) lgkmcnt(13)
	v_mul_f64 v[170:171], v[184:185], v[114:115]
	v_fmac_f64_e32 v[168:169], v[202:203], v[108:109]
	v_add_f64 v[0:1], v[0:1], v[166:167]
	s_waitcnt vmcnt(22) lgkmcnt(12)
	v_mul_f64 v[176:177], v[156:157], v[118:119]
	v_fmac_f64_e32 v[170:171], v[186:187], v[112:113]
	v_add_f64 v[0:1], v[0:1], v[168:169]
	;; [unrolled: 4-line block ×10, first 2 shown]
	v_fmac_f64_e32 v[224:225], v[34:35], v[12:13]
	v_add_f64 v[0:1], v[0:1], v[222:223]
	ds_read_b128 v[220:223], v2 offset:1440
	v_add_f64 v[0:1], v[0:1], v[224:225]
	ds_read_b128 v[224:227], v2 offset:1456
	s_waitcnt vmcnt(13) lgkmcnt(5)
	v_mul_f64 v[164:165], v[48:49], v[18:19]
	scratch_load_dwordx4 v[152:155], off, off offset:736
	v_fmac_f64_e32 v[164:165], v[50:51], v[16:17]
	s_waitcnt vmcnt(13) lgkmcnt(4)
	v_mul_f64 v[168:169], v[140:141], v[22:23]
	v_add_f64 v[0:1], v[0:1], v[164:165]
	v_fmac_f64_e32 v[168:169], v[142:143], v[20:21]
	scratch_load_dwordx4 v[164:167], off, off offset:752
	v_add_f64 v[0:1], v[0:1], v[168:169]
	s_waitcnt vmcnt(13) lgkmcnt(1)
	v_mul_f64 v[176:177], v[220:221], v[26:27]
	scratch_load_dwordx4 v[168:171], off, off offset:768
	v_fmac_f64_e32 v[176:177], v[222:223], v[24:25]
	s_waitcnt vmcnt(13) lgkmcnt(0)
	v_mul_f64 v[188:189], v[224:225], v[30:31]
	v_add_f64 v[0:1], v[0:1], v[176:177]
	scratch_load_dwordx4 v[176:179], off, off offset:784
	v_fmac_f64_e32 v[188:189], v[226:227], v[28:29]
	v_add_f64 v[0:1], v[0:1], v[188:189]
	s_waitcnt vmcnt(13)
	v_mul_f64 v[188:189], v[228:229], v[38:39]
	v_fmac_f64_e32 v[188:189], v[230:231], v[36:37]
	v_add_f64 v[0:1], v[0:1], v[188:189]
	scratch_load_dwordx4 v[188:191], off, off offset:800
	s_waitcnt vmcnt(13)
	v_mul_f64 v[192:193], v[232:233], v[54:55]
	v_fmac_f64_e32 v[192:193], v[234:235], v[52:53]
	v_mul_f64 v[90:91], v[214:215], v[90:91]
	v_add_f64 v[0:1], v[0:1], v[192:193]
	scratch_load_dwordx4 v[192:195], off, off offset:816
	v_fma_f64 v[240:241], v[212:213], v[88:89], -v[90:91]
	v_mul_f64 v[88:89], v[206:207], v[94:95]
	ds_read_b128 v[236:239], v2 offset:1504
	ds_read_b128 v[212:215], v2 offset:1520
	v_fma_f64 v[246:247], v[204:205], v[92:93], -v[88:89]
	scratch_load_dwordx4 v[92:95], off, off offset:832
	scratch_load_dwordx4 v[88:91], off, off offset:848
	v_mul_f64 v[98:99], v[198:199], v[98:99]
	v_fma_f64 v[248:249], v[196:197], v[96:97], -v[98:99]
	scratch_load_dwordx4 v[96:99], off, off offset:864
	s_waitcnt vmcnt(16) lgkmcnt(1)
	v_mul_f64 v[204:205], v[236:237], v[58:59]
	v_mul_f64 v[102:103], v[218:219], v[102:103]
	v_fmac_f64_e32 v[204:205], v[238:239], v[56:57]
	v_fma_f64 v[216:217], v[216:217], v[100:101], -v[102:103]
	ds_read_b128 v[100:103], v2 offset:1536
	s_waitcnt vmcnt(15) lgkmcnt(1)
	v_mul_f64 v[196:197], v[212:213], v[62:63]
	v_add_f64 v[0:1], v[0:1], v[204:205]
	v_fmac_f64_e32 v[196:197], v[214:215], v[60:61]
	v_add_f64 v[0:1], v[0:1], v[196:197]
	ds_read_b128 v[196:199], v2 offset:1552
	v_mul_f64 v[106:107], v[210:211], v[106:107]
	v_fma_f64 v[218:219], v[208:209], v[104:105], -v[106:107]
	ds_read_b128 v[104:107], v2 offset:1568
	s_waitcnt vmcnt(14) lgkmcnt(2)
	v_mul_f64 v[204:205], v[100:101], v[66:67]
	v_fmac_f64_e32 v[204:205], v[102:103], v[64:65]
	v_add_f64 v[0:1], v[0:1], v[204:205]
	s_waitcnt vmcnt(13) lgkmcnt(1)
	v_mul_f64 v[204:205], v[196:197], v[70:71]
	v_mul_f64 v[110:111], v[202:203], v[110:111]
	v_fmac_f64_e32 v[204:205], v[198:199], v[68:69]
	v_fma_f64 v[250:251], v[200:201], v[108:109], -v[110:111]
	ds_read_b128 v[108:111], v2 offset:1584
	s_waitcnt vmcnt(12) lgkmcnt(1)
	v_mul_f64 v[200:201], v[104:105], v[74:75]
	v_add_f64 v[0:1], v[0:1], v[204:205]
	v_fmac_f64_e32 v[200:201], v[106:107], v[72:73]
	v_add_f64 v[0:1], v[0:1], v[200:201]
	ds_read_b128 v[200:203], v2 offset:1600
	v_mul_f64 v[114:115], v[186:187], v[114:115]
	v_fma_f64 v[252:253], v[184:185], v[112:113], -v[114:115]
	ds_read_b128 v[112:115], v2 offset:1616
	s_waitcnt vmcnt(11) lgkmcnt(2)
	v_mul_f64 v[184:185], v[108:109], v[78:79]
	v_fmac_f64_e32 v[184:185], v[110:111], v[76:77]
	v_add_f64 v[0:1], v[0:1], v[184:185]
	s_waitcnt vmcnt(10) lgkmcnt(1)
	v_mul_f64 v[184:185], v[200:201], v[82:83]
	v_mul_f64 v[118:119], v[158:159], v[118:119]
	v_fmac_f64_e32 v[184:185], v[202:203], v[80:81]
	v_fma_f64 v[254:255], v[156:157], v[116:117], -v[118:119]
	s_waitcnt vmcnt(9) lgkmcnt(0)
	v_mul_f64 v[156:157], v[112:113], v[86:87]
	v_add_f64 v[0:1], v[0:1], v[184:185]
	ds_read_b128 v[116:119], v2 offset:1632
	v_fmac_f64_e32 v[156:157], v[114:115], v[84:85]
	v_add_f64 v[0:1], v[0:1], v[156:157]
	ds_read_b128 v[156:159], v2 offset:1648
	v_mul_f64 v[122:123], v[182:183], v[122:123]
	v_fma_f64 v[242:243], v[180:181], v[120:121], -v[122:123]
	ds_read_b128 v[120:123], v2 offset:1664
	v_accvgpr_write_b32 a119, v7
	v_mul_f64 v[126:127], v[162:163], v[126:127]
	v_accvgpr_write_b32 a118, v6
	v_accvgpr_write_b32 a117, v5
	;; [unrolled: 1-line block ×3, first 2 shown]
	v_fma_f64 v[4:5], v[160:161], v[124:125], -v[126:127]
	ds_read_b128 v[124:127], v2 offset:1680
	s_waitcnt vmcnt(8) lgkmcnt(3)
	v_mul_f64 v[184:185], v[116:117], v[154:155]
	v_fmac_f64_e32 v[184:185], v[118:119], v[152:153]
	s_waitcnt vmcnt(7) lgkmcnt(2)
	v_mul_f64 v[180:181], v[156:157], v[166:167]
	v_add_f64 v[0:1], v[0:1], v[184:185]
	v_fmac_f64_e32 v[180:181], v[158:159], v[164:165]
	s_waitcnt vmcnt(6) lgkmcnt(1)
	v_mul_f64 v[6:7], v[120:121], v[170:171]
	ds_read_b128 v[160:163], v2 offset:1696
	v_add_f64 v[0:1], v[0:1], v[180:181]
	v_fmac_f64_e32 v[6:7], v[122:123], v[168:169]
	v_add_f64 v[0:1], v[0:1], v[6:7]
	s_waitcnt vmcnt(5) lgkmcnt(1)
	v_mul_f64 v[6:7], v[124:125], v[178:179]
	v_fmac_f64_e32 v[6:7], v[126:127], v[176:177]
	v_add_f64 v[0:1], v[0:1], v[6:7]
	v_mul_f64 v[6:7], v[146:147], v[130:131]
	v_fma_f64 v[6:7], v[144:145], v[128:129], -v[6:7]
	ds_read_b128 v[128:131], v2 offset:1712
	s_waitcnt vmcnt(4) lgkmcnt(1)
	v_mul_f64 v[144:145], v[160:161], v[190:191]
	v_fmac_f64_e32 v[144:145], v[162:163], v[188:189]
	v_add_f64 v[180:181], v[0:1], v[144:145]
	v_mul_f64 v[0:1], v[174:175], v[134:135]
	v_fma_f64 v[0:1], v[172:173], v[132:133], -v[0:1]
	ds_read_b128 v[132:135], v2 offset:1728
	ds_read_b128 v[144:147], v2 offset:1744
	v_mul_f64 v[138:139], v[150:151], v[138:139]
	v_fma_f64 v[244:245], v[148:149], v[136:137], -v[138:139]
	ds_read_b128 v[136:139], v2 offset:1760
	s_waitcnt vmcnt(3) lgkmcnt(3)
	v_mul_f64 v[172:173], v[128:129], v[194:195]
	v_fmac_f64_e32 v[172:173], v[130:131], v[192:193]
	s_waitcnt vmcnt(2) lgkmcnt(2)
	v_mul_f64 v[148:149], v[132:133], v[94:95]
	v_add_f64 v[172:173], v[180:181], v[172:173]
	v_fmac_f64_e32 v[148:149], v[134:135], v[92:93]
	s_waitcnt vmcnt(1) lgkmcnt(1)
	v_mul_f64 v[150:151], v[144:145], v[90:91]
	v_add_f64 v[148:149], v[172:173], v[148:149]
	v_fmac_f64_e32 v[150:151], v[146:147], v[88:89]
	v_add_f64 v[148:149], v[148:149], v[150:151]
	ds_read_b128 v[172:175], v2 offset:1776
	scratch_load_dwordx4 v[208:211], off, off offset:912
	s_waitcnt vmcnt(1) lgkmcnt(1)
	v_mul_f64 v[150:151], v[136:137], v[98:99]
	v_fmac_f64_e32 v[150:151], v[138:139], v[96:97]
	v_add_f64 v[180:181], v[148:149], v[150:151]
	scratch_load_dwordx4 v[148:151], off, off offset:880
	ds_read_b128 v[184:187], v2 offset:1792
	v_accvgpr_write_b32 a121, v1
	v_accvgpr_write_b32 a120, v0
	s_waitcnt vmcnt(0) lgkmcnt(1)
	v_mul_f64 v[182:183], v[172:173], v[150:151]
	v_fmac_f64_e32 v[182:183], v[174:175], v[148:149]
	v_add_f64 v[204:205], v[180:181], v[182:183]
	scratch_load_dwordx4 v[180:183], off, off offset:896
	s_waitcnt vmcnt(0) lgkmcnt(0)
	v_mul_f64 v[206:207], v[184:185], v[182:183]
	v_fmac_f64_e32 v[206:207], v[186:187], v[180:181]
	v_add_f64 v[0:1], v[204:205], v[206:207]
	ds_read_b128 v[204:207], v2 offset:1808
	s_waitcnt lgkmcnt(0)
	v_mul_f64 v[2:3], v[204:205], v[210:211]
	v_fmac_f64_e32 v[2:3], v[206:207], v[208:209]
	v_add_f64 v[2:3], v[0:1], v[2:3]
	v_add_f64 v[0:1], v[240:241], 0
	v_add_f64 v[0:1], v[0:1], v[246:247]
	v_add_f64 v[0:1], v[0:1], v[248:249]
	v_add_f64 v[0:1], v[0:1], v[216:217]
	v_add_f64 v[0:1], v[0:1], v[218:219]
	scratch_load_dwordx4 v[216:219], off, off offset:240
	v_add_f64 v[0:1], v[0:1], v[250:251]
	v_add_f64 v[0:1], v[0:1], v[252:253]
	;; [unrolled: 1-line block ×6, first 2 shown]
	v_accvgpr_read_b32 v0, a120
	v_accvgpr_read_b32 v243, a119
	;; [unrolled: 1-line block ×4, first 2 shown]
	v_add_f64 v[0:1], v[246:247], v[0:1]
	v_accvgpr_read_b32 v241, a117
	v_accvgpr_read_b32 v240, a116
	v_mul_f64 v[4:5], v[46:47], v[242:243]
	v_add_f64 v[0:1], v[0:1], v[244:245]
	v_fma_f64 v[4:5], v[44:45], v[240:241], -v[4:5]
	v_add_f64 v[0:1], v[0:1], v[4:5]
	v_mul_f64 v[4:5], v[42:43], v[10:11]
	v_fma_f64 v[4:5], v[40:41], v[8:9], -v[4:5]
	v_add_f64 v[0:1], v[0:1], v[4:5]
	v_mul_f64 v[4:5], v[34:35], v[14:15]
	;; [unrolled: 3-line block ×28, first 2 shown]
	v_fma_f64 v[4:5], v[204:205], v[208:209], -v[4:5]
	v_add_f64 v[0:1], v[0:1], v[4:5]
	s_waitcnt vmcnt(0)
	v_add_f64 v[4:5], v[216:217], -v[0:1]
	v_accvgpr_read_b32 v0, a114
	v_add_f64 v[6:7], v[218:219], -v[2:3]
	v_cmp_lt_u32_e32 vcc, 13, v0
	scratch_store_dwordx4 off, v[4:7], off offset:240
	s_and_saveexec_b64 s[0:1], vcc
	s_cbranch_execz .LBB56_329
; %bb.328:
	scratch_load_dwordx4 v[2:5], off, s50
	v_mov_b32_e32 v6, 0
	v_mov_b32_e32 v7, v6
	;; [unrolled: 1-line block ×4, first 2 shown]
	v_accvgpr_read_b32 v0, a115
	scratch_store_dwordx4 off, v[6:9], off offset:224
	s_waitcnt vmcnt(1)
	ds_write_b128 v0, v[2:5]
.LBB56_329:
	s_or_b64 exec, exec, s[0:1]
	s_waitcnt lgkmcnt(0)
	; wave barrier
	scratch_load_dwordx4 v[96:99], off, off offset:240
	scratch_load_dwordx4 v[100:103], off, off offset:256
	;; [unrolled: 1-line block ×30, first 2 shown]
	v_mov_b32_e32 v2, 0
	ds_read_b128 v[136:139], v2 offset:1136
	ds_read_b128 v[144:147], v2 offset:1152
	;; [unrolled: 1-line block ×20, first 2 shown]
	s_waitcnt vmcnt(29) lgkmcnt(14)
	v_mul_f64 v[0:1], v[136:137], v[98:99]
	s_waitcnt vmcnt(28)
	v_mul_f64 v[72:73], v[144:145], v[102:103]
	v_fmac_f64_e32 v[0:1], v[138:139], v[96:97]
	s_waitcnt vmcnt(27)
	v_mul_f64 v[74:75], v[148:149], v[106:107]
	v_fmac_f64_e32 v[72:73], v[146:147], v[100:101]
	v_add_f64 v[0:1], v[0:1], 0
	s_waitcnt vmcnt(26)
	v_mul_f64 v[76:77], v[164:165], v[110:111]
	v_fmac_f64_e32 v[74:75], v[150:151], v[104:105]
	v_add_f64 v[0:1], v[0:1], v[72:73]
	;; [unrolled: 4-line block ×4, first 2 shown]
	s_waitcnt vmcnt(23) lgkmcnt(13)
	v_mul_f64 v[82:83], v[200:201], v[158:159]
	v_fmac_f64_e32 v[80:81], v[190:191], v[152:153]
	v_add_f64 v[0:1], v[0:1], v[78:79]
	s_waitcnt vmcnt(22) lgkmcnt(12)
	v_mul_f64 v[84:85], v[208:209], v[162:163]
	v_fmac_f64_e32 v[82:83], v[202:203], v[156:157]
	v_add_f64 v[0:1], v[0:1], v[80:81]
	;; [unrolled: 4-line block ×9, first 2 shown]
	s_waitcnt vmcnt(14) lgkmcnt(4)
	v_mul_f64 v[120:121], v[68:69], v[6:7]
	v_fmac_f64_e32 v[118:119], v[248:249], v[204:205]
	v_accvgpr_write_b32 a119, v7
	v_add_f64 v[0:1], v[0:1], v[116:117]
	v_fmac_f64_e32 v[120:121], v[70:71], v[4:5]
	v_accvgpr_write_b32 a118, v6
	v_accvgpr_write_b32 a117, v5
	;; [unrolled: 1-line block ×3, first 2 shown]
	v_add_f64 v[0:1], v[0:1], v[118:119]
	ds_read_b128 v[116:119], v2 offset:1408
	s_waitcnt vmcnt(13)
	v_mov_b64_e32 v[4:5], v[8:9]
	v_mov_b64_e32 v[6:7], v[10:11]
	s_waitcnt lgkmcnt(4)
	v_mul_f64 v[76:77], v[64:65], v[6:7]
	scratch_load_dwordx4 v[72:75], off, off offset:720
	v_add_f64 v[0:1], v[0:1], v[120:121]
	v_fmac_f64_e32 v[76:77], v[66:67], v[4:5]
	s_waitcnt vmcnt(13)
	v_mov_b64_e32 v[4:5], v[12:13]
	v_add_f64 v[0:1], v[0:1], v[76:77]
	v_mov_b64_e32 v[6:7], v[14:15]
	scratch_load_dwordx4 v[76:79], off, off offset:736
	ds_read_b128 v[120:123], v2 offset:1424
	s_waitcnt lgkmcnt(1)
	v_mul_f64 v[80:81], v[116:117], v[6:7]
	v_fmac_f64_e32 v[80:81], v[118:119], v[4:5]
	v_add_f64 v[0:1], v[0:1], v[80:81]
	scratch_load_dwordx4 v[80:83], off, off offset:752
	s_waitcnt vmcnt(14) lgkmcnt(0)
	v_mul_f64 v[84:85], v[120:121], v[236:237]
	v_fmac_f64_e32 v[84:85], v[122:123], v[234:235]
	s_waitcnt vmcnt(13)
	v_mul_f64 v[88:89], v[124:125], v[22:23]
	v_add_f64 v[0:1], v[0:1], v[84:85]
	v_fmac_f64_e32 v[88:89], v[126:127], v[20:21]
	scratch_load_dwordx4 v[84:87], off, off offset:768
	v_add_f64 v[0:1], v[0:1], v[88:89]
	s_waitcnt vmcnt(13)
	v_mul_f64 v[88:89], v[128:129], v[26:27]
	v_fmac_f64_e32 v[88:89], v[130:131], v[24:25]
	v_add_f64 v[0:1], v[0:1], v[88:89]
	scratch_load_dwordx4 v[88:91], off, off offset:784
	s_waitcnt vmcnt(13)
	v_mul_f64 v[92:93], v[132:133], v[30:31]
	v_fmac_f64_e32 v[92:93], v[134:135], v[28:29]
	v_add_f64 v[0:1], v[0:1], v[92:93]
	scratch_load_dwordx4 v[92:95], off, off offset:800
	v_mul_f64 v[98:99], v[138:139], v[98:99]
	v_fma_f64 v[240:241], v[136:137], v[96:97], -v[98:99]
	v_mul_f64 v[96:97], v[146:147], v[102:103]
	ds_read_b128 v[140:143], v2 offset:1488
	ds_read_b128 v[136:139], v2 offset:1504
	v_fma_f64 v[250:251], v[144:145], v[100:101], -v[96:97]
	scratch_load_dwordx4 v[100:103], off, off offset:816
	scratch_load_dwordx4 v[96:99], off, off offset:832
	s_waitcnt vmcnt(15) lgkmcnt(1)
	v_mul_f64 v[144:145], v[140:141], v[34:35]
	v_fmac_f64_e32 v[144:145], v[142:143], v[32:33]
	v_mul_f64 v[106:107], v[150:151], v[106:107]
	v_add_f64 v[0:1], v[0:1], v[144:145]
	s_waitcnt vmcnt(14) lgkmcnt(0)
	v_mul_f64 v[144:145], v[136:137], v[38:39]
	v_fma_f64 v[252:253], v[148:149], v[104:105], -v[106:107]
	v_mul_f64 v[104:105], v[166:167], v[110:111]
	v_fmac_f64_e32 v[144:145], v[138:139], v[36:37]
	v_fma_f64 v[254:255], v[164:165], v[108:109], -v[104:105]
	scratch_load_dwordx4 v[104:107], off, off offset:848
	v_add_f64 v[0:1], v[0:1], v[144:145]
	ds_read_b128 v[144:147], v2 offset:1520
	ds_read_b128 v[148:151], v2 offset:1536
	v_mul_f64 v[108:109], v[178:179], v[114:115]
	v_fma_f64 v[232:233], v[176:177], v[112:113], -v[108:109]
	scratch_load_dwordx4 v[108:111], off, off offset:864
	s_waitcnt vmcnt(15) lgkmcnt(1)
	v_mul_f64 v[112:113], v[144:145], v[42:43]
	v_fmac_f64_e32 v[112:113], v[146:147], v[40:41]
	v_add_f64 v[0:1], v[0:1], v[112:113]
	v_mul_f64 v[112:113], v[190:191], v[154:155]
	v_fma_f64 v[16:17], v[188:189], v[152:153], -v[112:113]
	scratch_load_dwordx4 v[112:115], off, off offset:880
	ds_read_b128 v[152:155], v2 offset:1552
	s_waitcnt vmcnt(15) lgkmcnt(1)
	v_mul_f64 v[6:7], v[148:149], v[46:47]
	v_fmac_f64_e32 v[6:7], v[150:151], v[44:45]
	v_accvgpr_write_b32 a127, v15
	v_add_f64 v[0:1], v[0:1], v[6:7]
	v_mul_f64 v[6:7], v[202:203], v[158:159]
	v_accvgpr_write_b32 a126, v14
	v_accvgpr_write_b32 a125, v13
	;; [unrolled: 1-line block ×3, first 2 shown]
	v_fma_f64 v[12:13], v[200:201], v[156:157], -v[6:7]
	ds_read_b128 v[156:159], v2 offset:1568
	s_waitcnt vmcnt(14) lgkmcnt(1)
	v_mul_f64 v[6:7], v[152:153], v[50:51]
	v_fmac_f64_e32 v[6:7], v[154:155], v[48:49]
	v_accvgpr_write_b32 a123, v11
	v_add_f64 v[0:1], v[0:1], v[6:7]
	v_mul_f64 v[6:7], v[210:211], v[162:163]
	v_accvgpr_write_b32 a122, v10
	v_accvgpr_write_b32 a121, v9
	;; [unrolled: 1-line block ×3, first 2 shown]
	v_fma_f64 v[10:11], v[208:209], v[160:161], -v[6:7]
	ds_read_b128 v[160:163], v2 offset:1584
	ds_read_b128 v[164:167], v2 offset:1600
	s_waitcnt vmcnt(13) lgkmcnt(2)
	v_mul_f64 v[6:7], v[156:157], v[54:55]
	v_fmac_f64_e32 v[6:7], v[158:159], v[52:53]
	v_add_f64 v[0:1], v[0:1], v[6:7]
	s_waitcnt vmcnt(12) lgkmcnt(1)
	v_mul_f64 v[6:7], v[160:161], v[62:63]
	v_fmac_f64_e32 v[6:7], v[162:163], v[60:61]
	v_add_f64 v[0:1], v[0:1], v[6:7]
	v_mul_f64 v[6:7], v[214:215], v[170:171]
	v_fma_f64 v[8:9], v[212:213], v[168:169], -v[6:7]
	s_waitcnt vmcnt(11) lgkmcnt(0)
	v_mul_f64 v[6:7], v[164:165], v[58:59]
	v_fmac_f64_e32 v[6:7], v[166:167], v[56:57]
	ds_read_b128 v[168:171], v2 offset:1616
	v_add_f64 v[0:1], v[0:1], v[6:7]
	v_mul_f64 v[6:7], v[218:219], v[174:175]
	v_fma_f64 v[14:15], v[216:217], v[172:173], -v[6:7]
	ds_read_b128 v[172:175], v2 offset:1632
	s_waitcnt vmcnt(10) lgkmcnt(1)
	v_mul_f64 v[6:7], v[168:169], v[74:75]
	ds_read_b128 v[176:179], v2 offset:1648
	v_fmac_f64_e32 v[6:7], v[170:171], v[72:73]
	v_add_f64 v[0:1], v[0:1], v[6:7]
	s_waitcnt vmcnt(9) lgkmcnt(1)
	v_mul_f64 v[6:7], v[172:173], v[78:79]
	v_fmac_f64_e32 v[6:7], v[174:175], v[76:77]
	v_add_f64 v[0:1], v[0:1], v[6:7]
	v_mul_f64 v[6:7], v[222:223], v[182:183]
	v_fma_f64 v[4:5], v[220:221], v[180:181], -v[6:7]
	ds_read_b128 v[180:183], v2 offset:1664
	s_waitcnt vmcnt(8) lgkmcnt(1)
	v_mul_f64 v[6:7], v[176:177], v[82:83]
	v_fmac_f64_e32 v[6:7], v[178:179], v[80:81]
	v_add_f64 v[0:1], v[0:1], v[6:7]
	v_mul_f64 v[6:7], v[226:227], v[186:187]
	v_fma_f64 v[6:7], v[224:225], v[184:185], -v[6:7]
	ds_read_b128 v[184:187], v2 offset:1680
	ds_read_b128 v[188:191], v2 offset:1696
	s_waitcnt vmcnt(7) lgkmcnt(2)
	v_mul_f64 v[18:19], v[180:181], v[86:87]
	v_fmac_f64_e32 v[18:19], v[182:183], v[84:85]
	v_add_f64 v[0:1], v[0:1], v[18:19]
	s_waitcnt vmcnt(6) lgkmcnt(1)
	v_mul_f64 v[18:19], v[184:185], v[90:91]
	v_fmac_f64_e32 v[18:19], v[186:187], v[88:89]
	v_add_f64 v[18:19], v[0:1], v[18:19]
	v_mul_f64 v[0:1], v[230:231], v[194:195]
	v_fma_f64 v[0:1], v[228:229], v[192:193], -v[0:1]
	ds_read_b128 v[192:195], v2 offset:1712
	s_waitcnt vmcnt(5) lgkmcnt(1)
	v_mul_f64 v[200:201], v[188:189], v[94:95]
	v_fmac_f64_e32 v[200:201], v[190:191], v[92:93]
	v_mul_f64 v[198:199], v[244:245], v[198:199]
	v_fma_f64 v[238:239], v[242:243], v[196:197], -v[198:199]
	ds_read_b128 v[196:199], v2 offset:1728
	v_add_f64 v[18:19], v[18:19], v[200:201]
	s_waitcnt vmcnt(4) lgkmcnt(1)
	v_mul_f64 v[200:201], v[192:193], v[102:103]
	v_fmac_f64_e32 v[200:201], v[194:195], v[100:101]
	v_add_f64 v[18:19], v[18:19], v[200:201]
	ds_read_b128 v[200:203], v2 offset:1744
	v_mul_f64 v[206:207], v[248:249], v[206:207]
	v_fma_f64 v[242:243], v[246:247], v[204:205], -v[206:207]
	ds_read_b128 v[204:207], v2 offset:1760
	s_waitcnt vmcnt(3) lgkmcnt(2)
	v_mul_f64 v[208:209], v[196:197], v[98:99]
	v_fmac_f64_e32 v[208:209], v[198:199], v[96:97]
	v_add_f64 v[18:19], v[18:19], v[208:209]
	s_waitcnt vmcnt(2) lgkmcnt(1)
	v_mul_f64 v[208:209], v[200:201], v[106:107]
	v_fmac_f64_e32 v[208:209], v[202:203], v[104:105]
	v_add_f64 v[18:19], v[18:19], v[208:209]
	s_waitcnt vmcnt(1) lgkmcnt(0)
	v_mul_f64 v[208:209], v[204:205], v[110:111]
	v_fmac_f64_e32 v[208:209], v[206:207], v[108:109]
	v_add_f64 v[18:19], v[18:19], v[208:209]
	ds_read_b128 v[208:211], v2 offset:1776
	ds_read_b128 v[216:219], v2 offset:1792
	;; [unrolled: 1-line block ×3, first 2 shown]
	s_waitcnt vmcnt(0) lgkmcnt(2)
	v_mul_f64 v[212:213], v[208:209], v[114:115]
	v_fmac_f64_e32 v[212:213], v[210:211], v[112:113]
	v_add_f64 v[18:19], v[18:19], v[212:213]
	scratch_load_dwordx4 v[212:215], off, off offset:896
	s_waitcnt vmcnt(0) lgkmcnt(1)
	v_mul_f64 v[220:221], v[216:217], v[214:215]
	v_fmac_f64_e32 v[220:221], v[218:219], v[212:213]
	v_add_f64 v[18:19], v[18:19], v[220:221]
	scratch_load_dwordx4 v[220:223], off, off offset:912
	;; [unrolled: 5-line block ×3, first 2 shown]
	v_add_f64 v[18:19], v[240:241], 0
	v_add_f64 v[18:19], v[18:19], v[250:251]
	;; [unrolled: 1-line block ×12, first 2 shown]
	v_accvgpr_read_b32 v6, a116
	v_accvgpr_read_b32 v8, a118
	;; [unrolled: 1-line block ×3, first 2 shown]
	v_add_f64 v[0:1], v[4:5], v[0:1]
	v_accvgpr_read_b32 v7, a117
	v_mul_f64 v[4:5], v[70:71], v[8:9]
	v_add_f64 v[0:1], v[0:1], v[238:239]
	v_fma_f64 v[4:5], v[68:69], v[6:7], -v[4:5]
	v_accvgpr_read_b32 v6, a120
	v_add_f64 v[0:1], v[0:1], v[242:243]
	v_accvgpr_read_b32 v8, a122
	v_accvgpr_read_b32 v9, a123
	v_add_f64 v[0:1], v[0:1], v[4:5]
	v_accvgpr_read_b32 v7, a121
	v_mul_f64 v[4:5], v[66:67], v[8:9]
	v_fma_f64 v[4:5], v[64:65], v[6:7], -v[4:5]
	v_accvgpr_read_b32 v6, a124
	v_accvgpr_read_b32 v8, a126
	;; [unrolled: 1-line block ×3, first 2 shown]
	v_add_f64 v[0:1], v[0:1], v[4:5]
	v_accvgpr_read_b32 v7, a125
	v_mul_f64 v[4:5], v[118:119], v[8:9]
	v_fma_f64 v[4:5], v[116:117], v[6:7], -v[4:5]
	v_add_f64 v[0:1], v[0:1], v[4:5]
	v_mul_f64 v[4:5], v[122:123], v[236:237]
	v_fma_f64 v[4:5], v[120:121], v[234:235], -v[4:5]
	v_add_f64 v[0:1], v[0:1], v[4:5]
	;; [unrolled: 3-line block ×26, first 2 shown]
	s_waitcnt vmcnt(0)
	v_add_f64 v[4:5], v[228:229], -v[0:1]
	v_accvgpr_read_b32 v0, a114
	v_add_f64 v[6:7], v[230:231], -v[246:247]
	v_cmp_lt_u32_e32 vcc, 12, v0
	scratch_store_dwordx4 off, v[4:7], off offset:224
	s_and_saveexec_b64 s[0:1], vcc
	s_cbranch_execz .LBB56_331
; %bb.330:
	scratch_load_dwordx4 v[6:9], off, s49
	v_mov_b32_e32 v3, v2
	v_mov_b32_e32 v4, v2
	;; [unrolled: 1-line block ×3, first 2 shown]
	v_accvgpr_read_b32 v0, a115
	scratch_store_dwordx4 off, v[2:5], off offset:208
	s_waitcnt vmcnt(1)
	ds_write_b128 v0, v[6:9]
.LBB56_331:
	s_or_b64 exec, exec, s[0:1]
	s_waitcnt lgkmcnt(0)
	; wave barrier
	scratch_load_dwordx4 v[72:75], off, off offset:224
	scratch_load_dwordx4 v[76:79], off, off offset:240
	;; [unrolled: 1-line block ×17, first 2 shown]
	ds_read_b128 v[176:179], v2 offset:1120
	ds_read_b128 v[192:195], v2 offset:1136
	ds_read_b128 v[188:191], v2 offset:1152
	scratch_load_dwordx4 v[20:23], off, off offset:496
	ds_read_b128 v[236:239], v2 offset:1168
	ds_read_b128 v[232:235], v2 offset:1184
	;; [unrolled: 1-line block ×5, first 2 shown]
	scratch_load_dwordx4 v[168:171], off, off offset:512
	ds_read_b128 v[224:227], v2 offset:1248
	ds_read_b128 v[212:215], v2 offset:1264
	;; [unrolled: 1-line block ×3, first 2 shown]
	scratch_load_dwordx4 v[12:15], off, off offset:528
	ds_read_b128 v[216:219], v2 offset:1296
	ds_read_b128 v[204:207], v2 offset:1312
	;; [unrolled: 1-line block ×5, first 2 shown]
	scratch_load_dwordx4 v[28:31], off, off offset:544
	ds_read_b128 v[32:35], v2 offset:1376
	scratch_load_dwordx4 v[36:39], off, off offset:560
	scratch_load_dwordx4 v[40:43], off, off offset:576
	;; [unrolled: 1-line block ×9, first 2 shown]
	ds_read_b128 v[132:135], v2 offset:1392
	s_waitcnt lgkmcnt(2)
	v_accvgpr_write_b32 a123, v19
	v_accvgpr_write_b32 a122, v18
	;; [unrolled: 1-line block ×4, first 2 shown]
	ds_read_b128 v[172:175], v2 offset:1456
	s_waitcnt vmcnt(29)
	v_mul_f64 v[0:1], v[176:177], v[74:75]
	s_waitcnt vmcnt(28)
	v_mul_f64 v[136:137], v[192:193], v[78:79]
	v_fmac_f64_e32 v[0:1], v[178:179], v[72:73]
	s_waitcnt vmcnt(27)
	v_mul_f64 v[138:139], v[188:189], v[82:83]
	v_fmac_f64_e32 v[136:137], v[194:195], v[76:77]
	v_add_f64 v[0:1], v[0:1], 0
	s_waitcnt vmcnt(26)
	v_mul_f64 v[140:141], v[236:237], v[86:87]
	v_fmac_f64_e32 v[138:139], v[190:191], v[80:81]
	v_add_f64 v[0:1], v[0:1], v[136:137]
	;; [unrolled: 4-line block ×14, first 2 shown]
	v_fmac_f64_e32 v[164:165], v[18:19], v[4:5]
	v_add_f64 v[0:1], v[0:1], v[162:163]
	s_waitcnt vmcnt(13) lgkmcnt(2)
	v_mul_f64 v[140:141], v[32:33], v[26:27]
	scratch_load_dwordx4 v[136:139], off, off offset:704
	v_add_f64 v[0:1], v[0:1], v[164:165]
	v_fmac_f64_e32 v[140:141], v[34:35], v[24:25]
	v_add_f64 v[0:1], v[0:1], v[140:141]
	ds_read_b128 v[160:163], v2 offset:1408
	scratch_load_dwordx4 v[140:143], off, off offset:720
	ds_read_b128 v[164:167], v2 offset:1424
	s_waitcnt vmcnt(13)
	v_mov_b64_e32 v[16:17], v[168:169]
	v_mov_b64_e32 v[18:19], v[170:171]
	ds_read_b128 v[168:171], v2 offset:1440
	s_waitcnt lgkmcnt(4)
	v_mul_f64 v[144:145], v[132:133], v[22:23]
	v_fmac_f64_e32 v[144:145], v[134:135], v[20:21]
	s_waitcnt lgkmcnt(2)
	v_mul_f64 v[148:149], v[160:161], v[18:19]
	v_add_f64 v[0:1], v[0:1], v[144:145]
	v_fmac_f64_e32 v[148:149], v[162:163], v[16:17]
	s_waitcnt vmcnt(12) lgkmcnt(1)
	v_mul_f64 v[152:153], v[164:165], v[14:15]
	scratch_load_dwordx4 v[144:147], off, off offset:736
	v_add_f64 v[0:1], v[0:1], v[148:149]
	v_fmac_f64_e32 v[152:153], v[166:167], v[12:13]
	scratch_load_dwordx4 v[148:151], off, off offset:752
	v_add_f64 v[0:1], v[0:1], v[152:153]
	s_waitcnt vmcnt(13) lgkmcnt(0)
	v_mul_f64 v[152:153], v[168:169], v[30:31]
	v_fmac_f64_e32 v[152:153], v[170:171], v[28:29]
	v_add_f64 v[0:1], v[0:1], v[152:153]
	scratch_load_dwordx4 v[152:155], off, off offset:768
	s_waitcnt vmcnt(13)
	v_mul_f64 v[156:157], v[172:173], v[38:39]
	v_fmac_f64_e32 v[156:157], v[174:175], v[36:37]
	v_mul_f64 v[74:75], v[178:179], v[74:75]
	v_add_f64 v[0:1], v[0:1], v[156:157]
	scratch_load_dwordx4 v[156:159], off, off offset:784
	v_fma_f64 v[240:241], v[176:177], v[72:73], -v[74:75]
	v_mul_f64 v[72:73], v[194:195], v[78:79]
	ds_read_b128 v[180:183], v2 offset:1472
	ds_read_b128 v[176:179], v2 offset:1488
	v_fma_f64 v[246:247], v[192:193], v[76:77], -v[72:73]
	scratch_load_dwordx4 v[76:79], off, off offset:800
	scratch_load_dwordx4 v[72:75], off, off offset:816
	v_mul_f64 v[82:83], v[190:191], v[82:83]
	v_fma_f64 v[248:249], v[188:189], v[80:81], -v[82:83]
	v_mul_f64 v[80:81], v[238:239], v[86:87]
	v_fma_f64 v[236:237], v[236:237], v[84:85], -v[80:81]
	scratch_load_dwordx4 v[80:83], off, off offset:832
	ds_read_b128 v[188:191], v2 offset:1504
	v_mul_f64 v[84:85], v[234:235], v[90:91]
	s_waitcnt vmcnt(16) lgkmcnt(2)
	v_mul_f64 v[192:193], v[180:181], v[42:43]
	v_fma_f64 v[238:239], v[232:233], v[88:89], -v[84:85]
	scratch_load_dwordx4 v[84:87], off, off offset:848
	v_fmac_f64_e32 v[192:193], v[182:183], v[40:41]
	v_add_f64 v[0:1], v[0:1], v[192:193]
	s_waitcnt vmcnt(16) lgkmcnt(1)
	v_mul_f64 v[192:193], v[176:177], v[46:47]
	v_fmac_f64_e32 v[192:193], v[178:179], v[44:45]
	v_add_f64 v[0:1], v[0:1], v[192:193]
	ds_read_b128 v[192:195], v2 offset:1520
	s_waitcnt vmcnt(15) lgkmcnt(1)
	v_mul_f64 v[88:89], v[188:189], v[50:51]
	v_fmac_f64_e32 v[88:89], v[190:191], v[48:49]
	v_add_f64 v[0:1], v[0:1], v[88:89]
	v_mul_f64 v[88:89], v[230:231], v[94:95]
	v_fma_f64 v[250:251], v[228:229], v[92:93], -v[88:89]
	scratch_load_dwordx4 v[88:91], off, off offset:864
	scratch_load_dwordx4 v[232:235], off, off offset:912
	ds_read_b128 v[92:95], v2 offset:1536
	v_mul_f64 v[98:99], v[222:223], v[98:99]
	v_fma_f64 v[252:253], v[220:221], v[96:97], -v[98:99]
	ds_read_b128 v[96:99], v2 offset:1552
	v_mul_f64 v[102:103], v[210:211], v[102:103]
	s_waitcnt vmcnt(16) lgkmcnt(2)
	v_mul_f64 v[228:229], v[192:193], v[54:55]
	v_fma_f64 v[254:255], v[208:209], v[100:101], -v[102:103]
	ds_read_b128 v[100:103], v2 offset:1568
	ds_read_b128 v[208:211], v2 offset:1584
	v_fmac_f64_e32 v[228:229], v[194:195], v[52:53]
	s_waitcnt vmcnt(15) lgkmcnt(3)
	v_mul_f64 v[220:221], v[92:93], v[58:59]
	v_add_f64 v[0:1], v[0:1], v[228:229]
	v_fmac_f64_e32 v[220:221], v[94:95], v[56:57]
	v_mul_f64 v[106:107], v[226:227], v[106:107]
	v_add_f64 v[0:1], v[0:1], v[220:221]
	s_waitcnt vmcnt(14) lgkmcnt(2)
	v_mul_f64 v[220:221], v[96:97], v[62:63]
	v_fma_f64 v[242:243], v[224:225], v[104:105], -v[106:107]
	ds_read_b128 v[104:107], v2 offset:1600
	v_fmac_f64_e32 v[220:221], v[98:99], v[60:61]
	v_mul_f64 v[110:111], v[214:215], v[110:111]
	v_add_f64 v[0:1], v[0:1], v[220:221]
	s_waitcnt vmcnt(13) lgkmcnt(2)
	v_mul_f64 v[220:221], v[100:101], v[70:71]
	v_fma_f64 v[8:9], v[212:213], v[108:109], -v[110:111]
	ds_read_b128 v[108:111], v2 offset:1616
	v_fmac_f64_e32 v[220:221], v[102:103], v[68:69]
	v_accvgpr_write_b32 a119, v7
	v_add_f64 v[0:1], v[0:1], v[220:221]
	s_waitcnt vmcnt(12) lgkmcnt(2)
	v_mul_f64 v[220:221], v[208:209], v[66:67]
	v_accvgpr_write_b32 a118, v6
	v_accvgpr_write_b32 a117, v5
	;; [unrolled: 1-line block ×3, first 2 shown]
	v_fmac_f64_e32 v[220:221], v[210:211], v[64:65]
	s_waitcnt vmcnt(11) lgkmcnt(1)
	v_mul_f64 v[6:7], v[104:105], v[138:139]
	v_add_f64 v[0:1], v[0:1], v[220:221]
	v_fmac_f64_e32 v[6:7], v[106:107], v[136:137]
	v_add_f64 v[0:1], v[0:1], v[6:7]
	s_waitcnt vmcnt(10) lgkmcnt(0)
	v_mul_f64 v[6:7], v[108:109], v[142:143]
	v_fmac_f64_e32 v[6:7], v[110:111], v[140:141]
	ds_read_b128 v[212:215], v2 offset:1632
	v_add_f64 v[0:1], v[0:1], v[6:7]
	v_mul_f64 v[6:7], v[202:203], v[114:115]
	v_fma_f64 v[6:7], v[200:201], v[112:113], -v[6:7]
	ds_read_b128 v[112:115], v2 offset:1648
	v_mul_f64 v[118:119], v[218:219], v[118:119]
	v_fma_f64 v[4:5], v[216:217], v[116:117], -v[118:119]
	ds_read_b128 v[116:119], v2 offset:1664
	s_waitcnt vmcnt(9) lgkmcnt(2)
	v_mul_f64 v[200:201], v[212:213], v[146:147]
	v_fmac_f64_e32 v[200:201], v[214:215], v[144:145]
	s_waitcnt vmcnt(8) lgkmcnt(1)
	v_mul_f64 v[10:11], v[112:113], v[150:151]
	v_add_f64 v[0:1], v[0:1], v[200:201]
	v_fmac_f64_e32 v[10:11], v[114:115], v[148:149]
	v_add_f64 v[0:1], v[0:1], v[10:11]
	ds_read_b128 v[200:203], v2 offset:1680
	s_waitcnt vmcnt(7) lgkmcnt(1)
	v_mul_f64 v[10:11], v[116:117], v[154:155]
	v_fmac_f64_e32 v[10:11], v[118:119], v[152:153]
	v_add_f64 v[10:11], v[0:1], v[10:11]
	v_mul_f64 v[0:1], v[206:207], v[122:123]
	v_fma_f64 v[0:1], v[204:205], v[120:121], -v[0:1]
	ds_read_b128 v[120:123], v2 offset:1696
	v_mul_f64 v[126:127], v[198:199], v[126:127]
	v_fma_f64 v[124:125], v[196:197], v[124:125], -v[126:127]
	s_waitcnt vmcnt(6) lgkmcnt(1)
	v_mul_f64 v[204:205], v[200:201], v[158:159]
	v_accvgpr_write_b32 a124, v124
	v_fmac_f64_e32 v[204:205], v[202:203], v[156:157]
	v_accvgpr_write_b32 a125, v125
	ds_read_b128 v[124:127], v2 offset:1712
	s_waitcnt vmcnt(5) lgkmcnt(1)
	v_mul_f64 v[196:197], v[120:121], v[78:79]
	v_add_f64 v[10:11], v[10:11], v[204:205]
	v_fmac_f64_e32 v[196:197], v[122:123], v[76:77]
	v_add_f64 v[10:11], v[10:11], v[196:197]
	ds_read_b128 v[196:199], v2 offset:1728
	v_mul_f64 v[130:131], v[186:187], v[130:131]
	v_fma_f64 v[244:245], v[184:185], v[128:129], -v[130:131]
	ds_read_b128 v[128:131], v2 offset:1744
	s_waitcnt vmcnt(4) lgkmcnt(2)
	v_mul_f64 v[184:185], v[124:125], v[74:75]
	v_fmac_f64_e32 v[184:185], v[126:127], v[72:73]
	v_add_f64 v[10:11], v[10:11], v[184:185]
	s_waitcnt vmcnt(3) lgkmcnt(1)
	v_mul_f64 v[184:185], v[196:197], v[82:83]
	v_fmac_f64_e32 v[184:185], v[198:199], v[80:81]
	v_add_f64 v[10:11], v[10:11], v[184:185]
	;; [unrolled: 4-line block ×3, first 2 shown]
	ds_read_b128 v[184:187], v2 offset:1760
	ds_read_b128 v[216:219], v2 offset:1776
	;; [unrolled: 1-line block ×3, first 2 shown]
	s_waitcnt vmcnt(1) lgkmcnt(2)
	v_mul_f64 v[204:205], v[184:185], v[90:91]
	v_fmac_f64_e32 v[204:205], v[186:187], v[88:89]
	v_add_f64 v[10:11], v[10:11], v[204:205]
	scratch_load_dwordx4 v[204:207], off, off offset:880
	s_waitcnt vmcnt(0) lgkmcnt(1)
	v_mul_f64 v[220:221], v[216:217], v[206:207]
	v_fmac_f64_e32 v[220:221], v[218:219], v[204:205]
	v_add_f64 v[10:11], v[10:11], v[220:221]
	scratch_load_dwordx4 v[220:223], off, off offset:896
	s_waitcnt vmcnt(0) lgkmcnt(0)
	v_mul_f64 v[228:229], v[224:225], v[222:223]
	v_fmac_f64_e32 v[228:229], v[226:227], v[220:221]
	v_add_f64 v[10:11], v[10:11], v[228:229]
	ds_read_b128 v[228:231], v2 offset:1808
	s_waitcnt lgkmcnt(0)
	v_mul_f64 v[2:3], v[228:229], v[234:235]
	v_fmac_f64_e32 v[2:3], v[230:231], v[232:233]
	v_add_f64 v[2:3], v[10:11], v[2:3]
	v_add_f64 v[10:11], v[240:241], 0
	;; [unrolled: 1-line block ×6, first 2 shown]
	scratch_load_dwordx4 v[236:239], off, off offset:208
	v_add_f64 v[10:11], v[10:11], v[250:251]
	v_add_f64 v[10:11], v[10:11], v[252:253]
	;; [unrolled: 1-line block ×8, first 2 shown]
	v_accvgpr_read_b32 v0, a124
	v_accvgpr_read_b32 v6, a116
	;; [unrolled: 1-line block ×7, first 2 shown]
	v_add_f64 v[0:1], v[246:247], v[0:1]
	v_accvgpr_read_b32 v7, a117
	v_accvgpr_read_b32 v241, a121
	;; [unrolled: 1-line block ×3, first 2 shown]
	v_mul_f64 v[4:5], v[242:243], v[8:9]
	v_add_f64 v[0:1], v[0:1], v[244:245]
	v_fma_f64 v[4:5], v[240:241], v[6:7], -v[4:5]
	v_add_f64 v[0:1], v[0:1], v[4:5]
	v_mul_f64 v[4:5], v[34:35], v[26:27]
	v_fma_f64 v[4:5], v[32:33], v[24:25], -v[4:5]
	v_add_f64 v[0:1], v[0:1], v[4:5]
	v_mul_f64 v[4:5], v[134:135], v[22:23]
	;; [unrolled: 3-line block ×28, first 2 shown]
	v_fma_f64 v[4:5], v[228:229], v[232:233], -v[4:5]
	v_add_f64 v[0:1], v[0:1], v[4:5]
	s_waitcnt vmcnt(0)
	v_add_f64 v[4:5], v[236:237], -v[0:1]
	v_accvgpr_read_b32 v0, a114
	v_add_f64 v[6:7], v[238:239], -v[2:3]
	v_cmp_lt_u32_e32 vcc, 11, v0
	scratch_store_dwordx4 off, v[4:7], off offset:208
	s_and_saveexec_b64 s[0:1], vcc
	s_cbranch_execz .LBB56_333
; %bb.332:
	scratch_load_dwordx4 v[2:5], off, s48
	v_mov_b32_e32 v6, 0
	v_mov_b32_e32 v7, v6
	;; [unrolled: 1-line block ×4, first 2 shown]
	v_accvgpr_read_b32 v0, a115
	scratch_store_dwordx4 off, v[6:9], off offset:192
	s_waitcnt vmcnt(1)
	ds_write_b128 v0, v[2:5]
.LBB56_333:
	s_or_b64 exec, exec, s[0:1]
	s_waitcnt lgkmcnt(0)
	; wave barrier
	scratch_load_dwordx4 v[80:83], off, off offset:208
	scratch_load_dwordx4 v[84:87], off, off offset:224
	;; [unrolled: 1-line block ×29, first 2 shown]
	v_mov_b32_e32 v2, 0
	ds_read_b128 v[132:135], v2 offset:1104
	ds_read_b128 v[136:139], v2 offset:1120
	;; [unrolled: 1-line block ×22, first 2 shown]
	s_waitcnt vmcnt(28) lgkmcnt(14)
	v_mul_f64 v[0:1], v[132:133], v[82:83]
	s_waitcnt vmcnt(27)
	v_mul_f64 v[56:57], v[136:137], v[86:87]
	v_fmac_f64_e32 v[0:1], v[134:135], v[80:81]
	s_waitcnt vmcnt(26)
	v_mul_f64 v[58:59], v[140:141], v[90:91]
	v_fmac_f64_e32 v[56:57], v[138:139], v[84:85]
	v_add_f64 v[0:1], v[0:1], 0
	s_waitcnt vmcnt(25)
	v_mul_f64 v[60:61], v[148:149], v[94:95]
	v_fmac_f64_e32 v[58:59], v[142:143], v[88:89]
	v_add_f64 v[0:1], v[0:1], v[56:57]
	;; [unrolled: 4-line block ×6, first 2 shown]
	s_waitcnt vmcnt(20) lgkmcnt(13)
	v_mul_f64 v[70:71], v[204:205], v[154:155]
	v_fmac_f64_e32 v[68:69], v[198:199], v[144:145]
	v_add_f64 v[0:1], v[0:1], v[66:67]
	s_waitcnt vmcnt(19) lgkmcnt(12)
	v_mul_f64 v[72:73], v[208:209], v[158:159]
	v_fmac_f64_e32 v[70:71], v[206:207], v[152:153]
	v_add_f64 v[0:1], v[0:1], v[68:69]
	;; [unrolled: 4-line block ×8, first 2 shown]
	v_fmac_f64_e32 v[112:113], v[244:245], v[192:193]
	v_add_f64 v[0:1], v[0:1], v[110:111]
	s_waitcnt vmcnt(12) lgkmcnt(5)
	v_mul_f64 v[60:61], v[246:247], v[202:203]
	scratch_load_dwordx4 v[56:59], off, off offset:672
	ds_read_b128 v[108:111], v2 offset:1392
	v_add_f64 v[0:1], v[0:1], v[112:113]
	v_fmac_f64_e32 v[60:61], v[248:249], v[200:201]
	v_add_f64 v[0:1], v[0:1], v[60:61]
	s_waitcnt vmcnt(12) lgkmcnt(5)
	v_mul_f64 v[64:65], v[52:53], v[6:7]
	scratch_load_dwordx4 v[60:63], off, off offset:688
	v_accvgpr_write_b32 a119, v7
	v_fmac_f64_e32 v[64:65], v[54:55], v[4:5]
	v_accvgpr_write_b32 a118, v6
	v_accvgpr_write_b32 a117, v5
	;; [unrolled: 1-line block ×3, first 2 shown]
	ds_read_b128 v[112:115], v2 offset:1408
	s_waitcnt vmcnt(12)
	v_mov_b64_e32 v[4:5], v[8:9]
	v_mov_b64_e32 v[6:7], v[10:11]
	s_waitcnt lgkmcnt(1)
	v_mul_f64 v[68:69], v[108:109], v[6:7]
	v_fmac_f64_e32 v[68:69], v[110:111], v[4:5]
	s_waitcnt vmcnt(11)
	v_mov_b64_e32 v[4:5], v[12:13]
	v_add_f64 v[0:1], v[0:1], v[64:65]
	v_mov_b64_e32 v[6:7], v[14:15]
	scratch_load_dwordx4 v[64:67], off, off offset:704
	v_add_f64 v[0:1], v[0:1], v[68:69]
	s_waitcnt lgkmcnt(0)
	v_mul_f64 v[68:69], v[112:113], v[6:7]
	v_fmac_f64_e32 v[68:69], v[114:115], v[4:5]
	s_waitcnt vmcnt(11)
	v_mov_b64_e32 v[4:5], v[16:17]
	v_add_f64 v[0:1], v[0:1], v[68:69]
	scratch_load_dwordx4 v[68:71], off, off offset:720
	v_mov_b64_e32 v[6:7], v[18:19]
	v_mul_f64 v[76:77], v[116:117], v[6:7]
	scratch_load_dwordx4 v[72:75], off, off offset:736
	v_fmac_f64_e32 v[76:77], v[118:119], v[4:5]
	v_add_f64 v[0:1], v[0:1], v[76:77]
	s_waitcnt vmcnt(12)
	v_mul_f64 v[76:77], v[120:121], v[236:237]
	v_fmac_f64_e32 v[76:77], v[122:123], v[234:235]
	v_add_f64 v[0:1], v[0:1], v[76:77]
	scratch_load_dwordx4 v[76:79], off, off offset:752
	v_mul_f64 v[82:83], v[134:135], v[82:83]
	v_fma_f64 v[240:241], v[132:133], v[80:81], -v[82:83]
	scratch_load_dwordx4 v[80:83], off, off offset:768
	v_mul_f64 v[86:87], v[138:139], v[86:87]
	v_fma_f64 v[250:251], v[136:137], v[84:85], -v[86:87]
	scratch_load_dwordx4 v[84:87], off, off offset:784
	v_mul_f64 v[90:91], v[142:143], v[90:91]
	s_waitcnt vmcnt(14)
	v_mul_f64 v[132:133], v[124:125], v[26:27]
	v_fma_f64 v[252:253], v[140:141], v[88:89], -v[90:91]
	scratch_load_dwordx4 v[88:91], off, off offset:800
	v_fmac_f64_e32 v[132:133], v[126:127], v[24:25]
	s_waitcnt vmcnt(14)
	v_mul_f64 v[136:137], v[128:129], v[30:31]
	v_mul_f64 v[94:95], v[150:151], v[94:95]
	v_add_f64 v[0:1], v[0:1], v[132:133]
	v_fmac_f64_e32 v[136:137], v[130:131], v[28:29]
	v_fma_f64 v[254:255], v[148:149], v[92:93], -v[94:95]
	v_mul_f64 v[92:93], v[162:163], v[98:99]
	ds_read_b128 v[132:135], v2 offset:1488
	v_add_f64 v[0:1], v[0:1], v[136:137]
	ds_read_b128 v[136:139], v2 offset:1504
	v_fma_f64 v[232:233], v[160:161], v[96:97], -v[92:93]
	scratch_load_dwordx4 v[96:99], off, off offset:816
	scratch_load_dwordx4 v[92:95], off, off offset:832
	v_mul_f64 v[102:103], v[174:175], v[102:103]
	v_fma_f64 v[20:21], v[172:173], v[100:101], -v[102:103]
	scratch_load_dwordx4 v[100:103], off, off offset:848
	v_accvgpr_write_b32 a131, v19
	v_mul_f64 v[6:7], v[186:187], v[106:107]
	v_accvgpr_write_b32 a130, v18
	v_accvgpr_write_b32 a129, v17
	;; [unrolled: 1-line block ×3, first 2 shown]
	v_fma_f64 v[16:17], v[184:185], v[104:105], -v[6:7]
	scratch_load_dwordx4 v[104:107], off, off offset:864
	s_waitcnt vmcnt(17) lgkmcnt(1)
	v_mul_f64 v[140:141], v[132:133], v[34:35]
	v_fmac_f64_e32 v[140:141], v[134:135], v[32:33]
	v_add_f64 v[0:1], v[0:1], v[140:141]
	ds_read_b128 v[140:143], v2 offset:1520
	v_accvgpr_write_b32 a127, v15
	v_mul_f64 v[6:7], v[198:199], v[146:147]
	v_accvgpr_write_b32 a126, v14
	v_accvgpr_write_b32 a125, v13
	;; [unrolled: 1-line block ×3, first 2 shown]
	v_fma_f64 v[12:13], v[196:197], v[144:145], -v[6:7]
	ds_read_b128 v[144:147], v2 offset:1536
	s_waitcnt vmcnt(16) lgkmcnt(2)
	v_mul_f64 v[148:149], v[136:137], v[38:39]
	v_fmac_f64_e32 v[148:149], v[138:139], v[36:37]
	v_add_f64 v[0:1], v[0:1], v[148:149]
	s_waitcnt vmcnt(15) lgkmcnt(1)
	v_mul_f64 v[6:7], v[140:141], v[42:43]
	ds_read_b128 v[148:151], v2 offset:1552
	v_fmac_f64_e32 v[6:7], v[142:143], v[40:41]
	v_add_f64 v[0:1], v[0:1], v[6:7]
	s_waitcnt vmcnt(14) lgkmcnt(1)
	v_mul_f64 v[6:7], v[144:145], v[46:47]
	v_fmac_f64_e32 v[6:7], v[146:147], v[44:45]
	v_accvgpr_write_b32 a123, v11
	v_add_f64 v[0:1], v[0:1], v[6:7]
	v_mul_f64 v[6:7], v[206:207], v[154:155]
	v_accvgpr_write_b32 a122, v10
	v_accvgpr_write_b32 a121, v9
	;; [unrolled: 1-line block ×3, first 2 shown]
	v_fma_f64 v[10:11], v[204:205], v[152:153], -v[6:7]
	ds_read_b128 v[152:155], v2 offset:1568
	s_waitcnt vmcnt(13) lgkmcnt(1)
	v_mul_f64 v[6:7], v[148:149], v[50:51]
	v_fmac_f64_e32 v[6:7], v[150:151], v[48:49]
	v_add_f64 v[0:1], v[0:1], v[6:7]
	v_mul_f64 v[6:7], v[210:211], v[158:159]
	v_fma_f64 v[14:15], v[208:209], v[156:157], -v[6:7]
	ds_read_b128 v[156:159], v2 offset:1584
	ds_read_b128 v[160:163], v2 offset:1600
	s_waitcnt vmcnt(12) lgkmcnt(2)
	v_mul_f64 v[6:7], v[152:153], v[58:59]
	v_fmac_f64_e32 v[6:7], v[154:155], v[56:57]
	v_add_f64 v[0:1], v[0:1], v[6:7]
	s_waitcnt vmcnt(11) lgkmcnt(1)
	v_mul_f64 v[6:7], v[156:157], v[62:63]
	v_fmac_f64_e32 v[6:7], v[158:159], v[60:61]
	v_add_f64 v[0:1], v[0:1], v[6:7]
	v_mul_f64 v[6:7], v[214:215], v[166:167]
	v_fma_f64 v[8:9], v[212:213], v[164:165], -v[6:7]
	ds_read_b128 v[164:167], v2 offset:1616
	v_mul_f64 v[18:19], v[218:219], v[170:171]
	v_fma_f64 v[18:19], v[216:217], v[168:169], -v[18:19]
	ds_read_b128 v[168:171], v2 offset:1632
	s_waitcnt vmcnt(10) lgkmcnt(2)
	v_mul_f64 v[6:7], v[160:161], v[66:67]
	v_fmac_f64_e32 v[6:7], v[162:163], v[64:65]
	v_add_f64 v[0:1], v[0:1], v[6:7]
	s_waitcnt vmcnt(9) lgkmcnt(1)
	v_mul_f64 v[6:7], v[164:165], v[70:71]
	ds_read_b128 v[172:175], v2 offset:1648
	v_fmac_f64_e32 v[6:7], v[166:167], v[68:69]
	v_add_f64 v[0:1], v[0:1], v[6:7]
	s_waitcnt vmcnt(8) lgkmcnt(1)
	v_mul_f64 v[6:7], v[168:169], v[74:75]
	v_fmac_f64_e32 v[6:7], v[170:171], v[72:73]
	v_add_f64 v[0:1], v[0:1], v[6:7]
	v_mul_f64 v[6:7], v[222:223], v[178:179]
	v_fma_f64 v[4:5], v[220:221], v[176:177], -v[6:7]
	ds_read_b128 v[176:179], v2 offset:1664
	s_waitcnt vmcnt(7) lgkmcnt(1)
	v_mul_f64 v[6:7], v[172:173], v[78:79]
	v_fmac_f64_e32 v[6:7], v[174:175], v[76:77]
	v_add_f64 v[0:1], v[0:1], v[6:7]
	v_mul_f64 v[6:7], v[226:227], v[182:183]
	v_fma_f64 v[6:7], v[224:225], v[180:181], -v[6:7]
	ds_read_b128 v[180:183], v2 offset:1680
	ds_read_b128 v[184:187], v2 offset:1696
	s_waitcnt vmcnt(6) lgkmcnt(2)
	v_mul_f64 v[22:23], v[176:177], v[82:83]
	v_fmac_f64_e32 v[22:23], v[178:179], v[80:81]
	v_add_f64 v[0:1], v[0:1], v[22:23]
	s_waitcnt vmcnt(5) lgkmcnt(1)
	v_mul_f64 v[22:23], v[180:181], v[86:87]
	v_fmac_f64_e32 v[22:23], v[182:183], v[84:85]
	v_add_f64 v[22:23], v[0:1], v[22:23]
	v_mul_f64 v[0:1], v[230:231], v[190:191]
	v_fma_f64 v[0:1], v[228:229], v[188:189], -v[0:1]
	ds_read_b128 v[188:191], v2 offset:1712
	s_waitcnt vmcnt(4) lgkmcnt(1)
	v_mul_f64 v[196:197], v[184:185], v[90:91]
	v_fmac_f64_e32 v[196:197], v[186:187], v[88:89]
	v_mul_f64 v[194:195], v[244:245], v[194:195]
	v_fma_f64 v[238:239], v[242:243], v[192:193], -v[194:195]
	ds_read_b128 v[192:195], v2 offset:1728
	v_add_f64 v[22:23], v[22:23], v[196:197]
	s_waitcnt vmcnt(3) lgkmcnt(1)
	v_mul_f64 v[196:197], v[188:189], v[98:99]
	v_fmac_f64_e32 v[196:197], v[190:191], v[96:97]
	v_add_f64 v[22:23], v[22:23], v[196:197]
	ds_read_b128 v[196:199], v2 offset:1744
	v_mul_f64 v[202:203], v[248:249], v[202:203]
	v_fma_f64 v[242:243], v[246:247], v[200:201], -v[202:203]
	ds_read_b128 v[200:203], v2 offset:1760
	s_waitcnt vmcnt(2) lgkmcnt(2)
	v_mul_f64 v[204:205], v[192:193], v[94:95]
	v_fmac_f64_e32 v[204:205], v[194:195], v[92:93]
	v_add_f64 v[22:23], v[22:23], v[204:205]
	s_waitcnt vmcnt(1) lgkmcnt(1)
	v_mul_f64 v[204:205], v[196:197], v[102:103]
	v_fmac_f64_e32 v[204:205], v[198:199], v[100:101]
	v_add_f64 v[22:23], v[22:23], v[204:205]
	;; [unrolled: 4-line block ×3, first 2 shown]
	scratch_load_dwordx4 v[204:207], off, off offset:880
	ds_read_b128 v[208:211], v2 offset:1776
	ds_read_b128 v[216:219], v2 offset:1792
	;; [unrolled: 1-line block ×3, first 2 shown]
	s_waitcnt vmcnt(0) lgkmcnt(2)
	v_mul_f64 v[212:213], v[208:209], v[206:207]
	v_fmac_f64_e32 v[212:213], v[210:211], v[204:205]
	v_add_f64 v[22:23], v[22:23], v[212:213]
	scratch_load_dwordx4 v[212:215], off, off offset:896
	s_waitcnt vmcnt(0) lgkmcnt(1)
	v_mul_f64 v[220:221], v[216:217], v[214:215]
	v_fmac_f64_e32 v[220:221], v[218:219], v[212:213]
	v_add_f64 v[22:23], v[22:23], v[220:221]
	scratch_load_dwordx4 v[220:223], off, off offset:912
	;; [unrolled: 5-line block ×3, first 2 shown]
	v_add_f64 v[22:23], v[240:241], 0
	v_add_f64 v[22:23], v[22:23], v[250:251]
	;; [unrolled: 1-line block ×14, first 2 shown]
	v_accvgpr_read_b32 v6, a116
	v_accvgpr_read_b32 v8, a118
	;; [unrolled: 1-line block ×3, first 2 shown]
	v_add_f64 v[0:1], v[4:5], v[0:1]
	v_accvgpr_read_b32 v7, a117
	v_mul_f64 v[4:5], v[54:55], v[8:9]
	v_add_f64 v[0:1], v[0:1], v[238:239]
	v_fma_f64 v[4:5], v[52:53], v[6:7], -v[4:5]
	v_accvgpr_read_b32 v6, a120
	v_add_f64 v[0:1], v[0:1], v[242:243]
	v_accvgpr_read_b32 v8, a122
	v_accvgpr_read_b32 v9, a123
	v_add_f64 v[0:1], v[0:1], v[4:5]
	v_accvgpr_read_b32 v7, a121
	v_mul_f64 v[4:5], v[110:111], v[8:9]
	v_fma_f64 v[4:5], v[108:109], v[6:7], -v[4:5]
	v_accvgpr_read_b32 v6, a124
	v_accvgpr_read_b32 v8, a126
	;; [unrolled: 1-line block ×3, first 2 shown]
	v_add_f64 v[0:1], v[0:1], v[4:5]
	v_accvgpr_read_b32 v7, a125
	v_mul_f64 v[4:5], v[114:115], v[8:9]
	v_fma_f64 v[4:5], v[112:113], v[6:7], -v[4:5]
	v_accvgpr_read_b32 v6, a128
	v_accvgpr_read_b32 v8, a130
	;; [unrolled: 1-line block ×3, first 2 shown]
	v_add_f64 v[0:1], v[0:1], v[4:5]
	v_accvgpr_read_b32 v7, a129
	v_mul_f64 v[4:5], v[118:119], v[8:9]
	v_fma_f64 v[4:5], v[116:117], v[6:7], -v[4:5]
	v_add_f64 v[0:1], v[0:1], v[4:5]
	v_mul_f64 v[4:5], v[122:123], v[236:237]
	v_fma_f64 v[4:5], v[120:121], v[234:235], -v[4:5]
	v_add_f64 v[0:1], v[0:1], v[4:5]
	;; [unrolled: 3-line block ×25, first 2 shown]
	s_waitcnt vmcnt(0)
	v_add_f64 v[4:5], v[228:229], -v[0:1]
	v_accvgpr_read_b32 v0, a114
	v_add_f64 v[6:7], v[230:231], -v[246:247]
	v_cmp_lt_u32_e32 vcc, 10, v0
	scratch_store_dwordx4 off, v[4:7], off offset:192
	s_and_saveexec_b64 s[0:1], vcc
	s_cbranch_execz .LBB56_335
; %bb.334:
	scratch_load_dwordx4 v[6:9], off, s47
	v_mov_b32_e32 v3, v2
	v_mov_b32_e32 v4, v2
	;; [unrolled: 1-line block ×3, first 2 shown]
	v_accvgpr_read_b32 v0, a115
	scratch_store_dwordx4 off, v[2:5], off offset:176
	s_waitcnt vmcnt(1)
	ds_write_b128 v0, v[6:9]
.LBB56_335:
	s_or_b64 exec, exec, s[0:1]
	s_waitcnt lgkmcnt(0)
	; wave barrier
	scratch_load_dwordx4 v[80:83], off, off offset:192
	scratch_load_dwordx4 v[84:87], off, off offset:208
	;; [unrolled: 1-line block ×17, first 2 shown]
	ds_read_b128 v[136:139], v2 offset:1088
	ds_read_b128 v[132:135], v2 offset:1104
	scratch_load_dwordx4 v[4:7], off, off offset:464
	ds_read_b128 v[236:239], v2 offset:1120
	ds_read_b128 v[228:231], v2 offset:1136
	;; [unrolled: 1-line block ×5, first 2 shown]
	scratch_load_dwordx4 v[8:11], off, off offset:480
	ds_read_b128 v[232:235], v2 offset:1200
	ds_read_b128 v[216:219], v2 offset:1216
	;; [unrolled: 1-line block ×3, first 2 shown]
	scratch_load_dwordx4 v[12:15], off, off offset:496
	ds_read_b128 v[220:223], v2 offset:1248
	ds_read_b128 v[172:175], v2 offset:1264
	;; [unrolled: 1-line block ×5, first 2 shown]
	scratch_load_dwordx4 v[16:19], off, off offset:512
	ds_read_b128 v[208:211], v2 offset:1328
	ds_read_b128 v[204:207], v2 offset:1344
	;; [unrolled: 1-line block ×3, first 2 shown]
	scratch_load_dwordx4 v[24:27], off, off offset:528
	scratch_load_dwordx4 v[28:31], off, off offset:544
	;; [unrolled: 1-line block ×8, first 2 shown]
	ds_read_b128 v[116:119], v2 offset:1408
	ds_read_b128 v[120:123], v2 offset:1424
	;; [unrolled: 1-line block ×4, first 2 shown]
	s_waitcnt vmcnt(28) lgkmcnt(14)
	v_mul_f64 v[0:1], v[136:137], v[82:83]
	s_waitcnt vmcnt(27)
	v_mul_f64 v[56:57], v[132:133], v[86:87]
	v_fmac_f64_e32 v[0:1], v[138:139], v[80:81]
	s_waitcnt vmcnt(26)
	v_mul_f64 v[58:59], v[236:237], v[90:91]
	v_fmac_f64_e32 v[56:57], v[134:135], v[84:85]
	v_add_f64 v[0:1], v[0:1], 0
	s_waitcnt vmcnt(25)
	v_mul_f64 v[60:61], v[228:229], v[94:95]
	v_fmac_f64_e32 v[58:59], v[238:239], v[88:89]
	v_add_f64 v[0:1], v[0:1], v[56:57]
	;; [unrolled: 4-line block ×6, first 2 shown]
	s_waitcnt vmcnt(20) lgkmcnt(13)
	v_mul_f64 v[70:71], v[216:217], v[154:155]
	v_fmac_f64_e32 v[68:69], v[234:235], v[144:145]
	v_add_f64 v[0:1], v[0:1], v[66:67]
	s_waitcnt vmcnt(19) lgkmcnt(12)
	v_mul_f64 v[72:73], v[160:161], v[158:159]
	v_fmac_f64_e32 v[70:71], v[218:219], v[152:153]
	v_add_f64 v[0:1], v[0:1], v[68:69]
	s_waitcnt vmcnt(18) lgkmcnt(11)
	v_mul_f64 v[74:75], v[220:221], v[166:167]
	v_fmac_f64_e32 v[72:73], v[162:163], v[156:157]
	v_add_f64 v[0:1], v[0:1], v[70:71]
	s_waitcnt vmcnt(17) lgkmcnt(10)
	v_mul_f64 v[76:77], v[172:173], v[170:171]
	v_fmac_f64_e32 v[74:75], v[222:223], v[164:165]
	v_add_f64 v[0:1], v[0:1], v[72:73]
	s_waitcnt vmcnt(16) lgkmcnt(9)
	v_mul_f64 v[78:79], v[212:213], v[178:179]
	v_fmac_f64_e32 v[76:77], v[174:175], v[168:169]
	v_add_f64 v[0:1], v[0:1], v[74:75]
	s_waitcnt vmcnt(15) lgkmcnt(8)
	v_mul_f64 v[108:109], v[184:185], v[182:183]
	v_fmac_f64_e32 v[78:79], v[214:215], v[176:177]
	v_add_f64 v[0:1], v[0:1], v[76:77]
	s_waitcnt vmcnt(14) lgkmcnt(7)
	v_mul_f64 v[110:111], v[196:197], v[190:191]
	v_fmac_f64_e32 v[108:109], v[186:187], v[180:181]
	v_add_f64 v[0:1], v[0:1], v[78:79]
	v_fmac_f64_e32 v[110:111], v[198:199], v[188:189]
	v_add_f64 v[0:1], v[0:1], v[108:109]
	s_waitcnt vmcnt(13) lgkmcnt(6)
	v_mul_f64 v[112:113], v[208:209], v[194:195]
	v_add_f64 v[0:1], v[0:1], v[110:111]
	scratch_load_dwordx4 v[56:59], off, off offset:656
	scratch_load_dwordx4 v[60:63], off, off offset:672
	ds_read_b128 v[108:111], v2 offset:1376
	s_waitcnt vmcnt(14) lgkmcnt(6)
	v_mul_f64 v[114:115], v[204:205], v[202:203]
	v_fmac_f64_e32 v[112:113], v[210:211], v[192:193]
	v_add_f64 v[0:1], v[0:1], v[112:113]
	v_fmac_f64_e32 v[114:115], v[206:207], v[200:201]
	s_waitcnt vmcnt(13) lgkmcnt(5)
	v_mul_f64 v[64:65], v[20:21], v[6:7]
	v_accvgpr_write_b32 a119, v7
	v_add_f64 v[0:1], v[0:1], v[114:115]
	v_fmac_f64_e32 v[64:65], v[22:23], v[4:5]
	v_accvgpr_write_b32 a118, v6
	v_accvgpr_write_b32 a117, v5
	;; [unrolled: 1-line block ×3, first 2 shown]
	ds_read_b128 v[112:115], v2 offset:1392
	s_waitcnt vmcnt(12)
	v_mov_b64_e32 v[4:5], v[8:9]
	v_mov_b64_e32 v[6:7], v[10:11]
	s_waitcnt lgkmcnt(1)
	v_mul_f64 v[68:69], v[108:109], v[6:7]
	v_fmac_f64_e32 v[68:69], v[110:111], v[4:5]
	s_waitcnt vmcnt(11)
	v_mov_b64_e32 v[4:5], v[12:13]
	v_add_f64 v[0:1], v[0:1], v[64:65]
	v_mov_b64_e32 v[6:7], v[14:15]
	v_add_f64 v[0:1], v[0:1], v[68:69]
	s_waitcnt lgkmcnt(0)
	v_mul_f64 v[68:69], v[112:113], v[6:7]
	scratch_load_dwordx4 v[64:67], off, off offset:688
	v_fmac_f64_e32 v[68:69], v[114:115], v[4:5]
	v_add_f64 v[0:1], v[0:1], v[68:69]
	scratch_load_dwordx4 v[68:71], off, off offset:704
	scratch_load_dwordx4 v[72:75], off, off offset:720
	s_waitcnt vmcnt(13)
	v_mul_f64 v[76:77], v[116:117], v[18:19]
	v_fmac_f64_e32 v[76:77], v[118:119], v[16:17]
	v_add_f64 v[0:1], v[0:1], v[76:77]
	s_waitcnt vmcnt(12)
	v_mul_f64 v[76:77], v[120:121], v[26:27]
	v_fmac_f64_e32 v[76:77], v[122:123], v[24:25]
	v_add_f64 v[0:1], v[0:1], v[76:77]
	scratch_load_dwordx4 v[76:79], off, off offset:736
	v_mul_f64 v[82:83], v[138:139], v[82:83]
	v_fma_f64 v[240:241], v[136:137], v[80:81], -v[82:83]
	scratch_load_dwordx4 v[80:83], off, off offset:752
	v_mul_f64 v[86:87], v[134:135], v[86:87]
	v_fma_f64 v[246:247], v[132:133], v[84:85], -v[86:87]
	scratch_load_dwordx4 v[84:87], off, off offset:768
	s_waitcnt vmcnt(14)
	v_mul_f64 v[136:137], v[124:125], v[30:31]
	v_mul_f64 v[90:91], v[238:239], v[90:91]
	v_fmac_f64_e32 v[136:137], v[126:127], v[28:29]
	v_fma_f64 v[236:237], v[236:237], v[88:89], -v[90:91]
	scratch_load_dwordx4 v[88:91], off, off offset:784
	v_add_f64 v[0:1], v[0:1], v[136:137]
	s_waitcnt vmcnt(14)
	v_mul_f64 v[136:137], v[128:129], v[34:35]
	v_mul_f64 v[94:95], v[230:231], v[94:95]
	v_fmac_f64_e32 v[136:137], v[130:131], v[32:33]
	v_fma_f64 v[238:239], v[228:229], v[92:93], -v[94:95]
	v_mul_f64 v[92:93], v[226:227], v[98:99]
	ds_read_b128 v[132:135], v2 offset:1472
	v_add_f64 v[0:1], v[0:1], v[136:137]
	ds_read_b128 v[136:139], v2 offset:1488
	v_fma_f64 v[248:249], v[224:225], v[96:97], -v[92:93]
	scratch_load_dwordx4 v[96:99], off, off offset:800
	scratch_load_dwordx4 v[92:95], off, off offset:816
	v_mul_f64 v[102:103], v[150:151], v[102:103]
	v_fma_f64 v[250:251], v[148:149], v[100:101], -v[102:103]
	scratch_load_dwordx4 v[100:103], off, off offset:832
	v_mul_f64 v[106:107], v[142:143], v[106:107]
	v_fma_f64 v[252:253], v[140:141], v[104:105], -v[106:107]
	v_mul_f64 v[104:105], v[234:235], v[146:147]
	v_fma_f64 v[254:255], v[232:233], v[144:145], -v[104:105]
	scratch_load_dwordx4 v[104:107], off, off offset:848
	ds_read_b128 v[140:143], v2 offset:1504
	ds_read_b128 v[144:147], v2 offset:1520
	s_waitcnt vmcnt(17) lgkmcnt(3)
	v_mul_f64 v[228:229], v[132:133], v[38:39]
	v_fmac_f64_e32 v[228:229], v[134:135], v[36:37]
	s_waitcnt vmcnt(16) lgkmcnt(2)
	v_mul_f64 v[224:225], v[136:137], v[42:43]
	v_add_f64 v[0:1], v[0:1], v[228:229]
	v_fmac_f64_e32 v[224:225], v[138:139], v[40:41]
	s_waitcnt vmcnt(15) lgkmcnt(1)
	v_mul_f64 v[148:149], v[140:141], v[46:47]
	v_add_f64 v[0:1], v[0:1], v[224:225]
	v_fmac_f64_e32 v[148:149], v[142:143], v[44:45]
	v_add_f64 v[0:1], v[0:1], v[148:149]
	ds_read_b128 v[148:151], v2 offset:1536
	v_mul_f64 v[154:155], v[218:219], v[154:155]
	v_fma_f64 v[242:243], v[216:217], v[152:153], -v[154:155]
	ds_read_b128 v[152:155], v2 offset:1552
	v_accvgpr_write_b32 a127, v15
	v_mul_f64 v[158:159], v[162:163], v[158:159]
	v_accvgpr_write_b32 a126, v14
	v_accvgpr_write_b32 a125, v13
	;; [unrolled: 1-line block ×3, first 2 shown]
	v_fma_f64 v[12:13], v[160:161], v[156:157], -v[158:159]
	ds_read_b128 v[156:159], v2 offset:1568
	ds_read_b128 v[160:163], v2 offset:1584
	s_waitcnt vmcnt(14) lgkmcnt(4)
	v_mul_f64 v[224:225], v[144:145], v[50:51]
	v_fmac_f64_e32 v[224:225], v[146:147], v[48:49]
	s_waitcnt vmcnt(13) lgkmcnt(3)
	v_mul_f64 v[216:217], v[148:149], v[54:55]
	v_add_f64 v[0:1], v[0:1], v[224:225]
	v_fmac_f64_e32 v[216:217], v[150:151], v[52:53]
	s_waitcnt vmcnt(12) lgkmcnt(2)
	v_mul_f64 v[6:7], v[152:153], v[58:59]
	v_add_f64 v[0:1], v[0:1], v[216:217]
	v_fmac_f64_e32 v[6:7], v[154:155], v[56:57]
	v_add_f64 v[0:1], v[0:1], v[6:7]
	s_waitcnt vmcnt(11) lgkmcnt(1)
	v_mul_f64 v[6:7], v[156:157], v[62:63]
	v_fmac_f64_e32 v[6:7], v[158:159], v[60:61]
	v_accvgpr_write_b32 a123, v11
	v_add_f64 v[0:1], v[0:1], v[6:7]
	v_mul_f64 v[6:7], v[222:223], v[166:167]
	v_accvgpr_write_b32 a122, v10
	v_accvgpr_write_b32 a121, v9
	;; [unrolled: 1-line block ×3, first 2 shown]
	v_fma_f64 v[8:9], v[220:221], v[164:165], -v[6:7]
	ds_read_b128 v[164:167], v2 offset:1600
	v_mul_f64 v[170:171], v[174:175], v[170:171]
	v_fma_f64 v[6:7], v[172:173], v[168:169], -v[170:171]
	ds_read_b128 v[168:171], v2 offset:1616
	s_waitcnt vmcnt(10) lgkmcnt(2)
	v_mul_f64 v[216:217], v[160:161], v[66:67]
	v_fmac_f64_e32 v[216:217], v[162:163], v[64:65]
	s_waitcnt vmcnt(9) lgkmcnt(1)
	v_mul_f64 v[10:11], v[164:165], v[70:71]
	v_add_f64 v[0:1], v[0:1], v[216:217]
	v_fmac_f64_e32 v[10:11], v[166:167], v[68:69]
	v_add_f64 v[0:1], v[0:1], v[10:11]
	s_waitcnt vmcnt(8) lgkmcnt(0)
	v_mul_f64 v[10:11], v[168:169], v[74:75]
	v_fmac_f64_e32 v[10:11], v[170:171], v[72:73]
	ds_read_b128 v[172:175], v2 offset:1632
	v_add_f64 v[0:1], v[0:1], v[10:11]
	v_mul_f64 v[10:11], v[214:215], v[178:179]
	v_fma_f64 v[10:11], v[212:213], v[176:177], -v[10:11]
	ds_read_b128 v[176:179], v2 offset:1648
	v_mul_f64 v[182:183], v[186:187], v[182:183]
	v_fma_f64 v[4:5], v[184:185], v[180:181], -v[182:183]
	ds_read_b128 v[180:183], v2 offset:1664
	ds_read_b128 v[184:187], v2 offset:1680
	s_waitcnt vmcnt(7) lgkmcnt(3)
	v_mul_f64 v[212:213], v[172:173], v[78:79]
	v_fmac_f64_e32 v[212:213], v[174:175], v[76:77]
	s_waitcnt vmcnt(6) lgkmcnt(2)
	v_mul_f64 v[14:15], v[176:177], v[82:83]
	v_add_f64 v[0:1], v[0:1], v[212:213]
	v_fmac_f64_e32 v[14:15], v[178:179], v[80:81]
	v_add_f64 v[0:1], v[0:1], v[14:15]
	s_waitcnt vmcnt(5) lgkmcnt(1)
	v_mul_f64 v[14:15], v[180:181], v[86:87]
	v_fmac_f64_e32 v[14:15], v[182:183], v[84:85]
	v_add_f64 v[14:15], v[0:1], v[14:15]
	v_mul_f64 v[0:1], v[198:199], v[190:191]
	v_fma_f64 v[0:1], v[196:197], v[188:189], -v[0:1]
	ds_read_b128 v[188:191], v2 offset:1696
	v_mul_f64 v[194:195], v[210:211], v[194:195]
	s_waitcnt vmcnt(4) lgkmcnt(1)
	v_mul_f64 v[196:197], v[184:185], v[90:91]
	v_fma_f64 v[192:193], v[208:209], v[192:193], -v[194:195]
	v_fmac_f64_e32 v[196:197], v[186:187], v[88:89]
	v_accvgpr_write_b32 a128, v192
	v_accvgpr_write_b32 a129, v193
	ds_read_b128 v[192:195], v2 offset:1712
	v_add_f64 v[14:15], v[14:15], v[196:197]
	s_waitcnt vmcnt(3) lgkmcnt(1)
	v_mul_f64 v[196:197], v[188:189], v[98:99]
	v_fmac_f64_e32 v[196:197], v[190:191], v[96:97]
	v_add_f64 v[14:15], v[14:15], v[196:197]
	ds_read_b128 v[196:199], v2 offset:1728
	v_mul_f64 v[202:203], v[206:207], v[202:203]
	v_fma_f64 v[244:245], v[204:205], v[200:201], -v[202:203]
	ds_read_b128 v[200:203], v2 offset:1744
	s_waitcnt vmcnt(2) lgkmcnt(2)
	v_mul_f64 v[204:205], v[192:193], v[94:95]
	v_fmac_f64_e32 v[204:205], v[194:195], v[92:93]
	v_add_f64 v[14:15], v[14:15], v[204:205]
	s_waitcnt vmcnt(1) lgkmcnt(1)
	v_mul_f64 v[204:205], v[196:197], v[102:103]
	v_fmac_f64_e32 v[204:205], v[198:199], v[100:101]
	v_add_f64 v[14:15], v[14:15], v[204:205]
	;; [unrolled: 4-line block ×3, first 2 shown]
	scratch_load_dwordx4 v[204:207], off, off offset:864
	scratch_load_dwordx4 v[232:235], off, off offset:912
	ds_read_b128 v[208:211], v2 offset:1760
	ds_read_b128 v[216:219], v2 offset:1776
	;; [unrolled: 1-line block ×3, first 2 shown]
	s_waitcnt vmcnt(1) lgkmcnt(2)
	v_mul_f64 v[212:213], v[208:209], v[206:207]
	v_fmac_f64_e32 v[212:213], v[210:211], v[204:205]
	v_add_f64 v[14:15], v[14:15], v[212:213]
	scratch_load_dwordx4 v[212:215], off, off offset:880
	s_waitcnt vmcnt(0) lgkmcnt(1)
	v_mul_f64 v[220:221], v[216:217], v[214:215]
	v_fmac_f64_e32 v[220:221], v[218:219], v[212:213]
	v_add_f64 v[14:15], v[14:15], v[220:221]
	scratch_load_dwordx4 v[220:223], off, off offset:896
	s_waitcnt vmcnt(0) lgkmcnt(0)
	v_mul_f64 v[228:229], v[224:225], v[222:223]
	v_fmac_f64_e32 v[228:229], v[226:227], v[220:221]
	v_add_f64 v[14:15], v[14:15], v[228:229]
	ds_read_b128 v[228:231], v2 offset:1808
	s_waitcnt lgkmcnt(0)
	v_mul_f64 v[2:3], v[228:229], v[234:235]
	v_fmac_f64_e32 v[2:3], v[230:231], v[232:233]
	v_add_f64 v[2:3], v[14:15], v[2:3]
	v_add_f64 v[14:15], v[240:241], 0
	;; [unrolled: 1-line block ×5, first 2 shown]
	scratch_load_dwordx4 v[236:239], off, off offset:176
	v_add_f64 v[14:15], v[14:15], v[248:249]
	v_add_f64 v[14:15], v[14:15], v[250:251]
	;; [unrolled: 1-line block ×10, first 2 shown]
	v_accvgpr_read_b32 v6, a116
	v_add_f64 v[246:247], v[4:5], v[0:1]
	v_accvgpr_read_b32 v0, a128
	v_accvgpr_read_b32 v8, a118
	;; [unrolled: 1-line block ×5, first 2 shown]
	v_mul_f64 v[4:5], v[22:23], v[8:9]
	v_add_f64 v[0:1], v[246:247], v[0:1]
	v_fma_f64 v[4:5], v[20:21], v[6:7], -v[4:5]
	v_accvgpr_read_b32 v6, a120
	v_add_f64 v[0:1], v[0:1], v[244:245]
	v_accvgpr_read_b32 v8, a122
	v_accvgpr_read_b32 v9, a123
	v_add_f64 v[0:1], v[0:1], v[4:5]
	v_accvgpr_read_b32 v7, a121
	v_mul_f64 v[4:5], v[110:111], v[8:9]
	v_fma_f64 v[4:5], v[108:109], v[6:7], -v[4:5]
	v_accvgpr_read_b32 v6, a124
	v_accvgpr_read_b32 v8, a126
	;; [unrolled: 1-line block ×3, first 2 shown]
	v_add_f64 v[0:1], v[0:1], v[4:5]
	v_accvgpr_read_b32 v7, a125
	v_mul_f64 v[4:5], v[114:115], v[8:9]
	v_fma_f64 v[4:5], v[112:113], v[6:7], -v[4:5]
	v_add_f64 v[0:1], v[0:1], v[4:5]
	v_mul_f64 v[4:5], v[118:119], v[18:19]
	v_fma_f64 v[4:5], v[116:117], v[16:17], -v[4:5]
	v_add_f64 v[0:1], v[0:1], v[4:5]
	;; [unrolled: 3-line block ×27, first 2 shown]
	s_waitcnt vmcnt(0)
	v_add_f64 v[4:5], v[236:237], -v[0:1]
	v_accvgpr_read_b32 v0, a114
	v_add_f64 v[6:7], v[238:239], -v[2:3]
	v_cmp_lt_u32_e32 vcc, 9, v0
	scratch_store_dwordx4 off, v[4:7], off offset:176
	s_and_saveexec_b64 s[0:1], vcc
	s_cbranch_execz .LBB56_337
; %bb.336:
	scratch_load_dwordx4 v[2:5], off, s46
	v_mov_b32_e32 v6, 0
	v_mov_b32_e32 v7, v6
	;; [unrolled: 1-line block ×4, first 2 shown]
	v_accvgpr_read_b32 v0, a115
	scratch_store_dwordx4 off, v[6:9], off offset:160
	s_waitcnt vmcnt(1)
	ds_write_b128 v0, v[2:5]
.LBB56_337:
	s_or_b64 exec, exec, s[0:1]
	s_waitcnt lgkmcnt(0)
	; wave barrier
	scratch_load_dwordx4 v[68:71], off, off offset:176
	scratch_load_dwordx4 v[72:75], off, off offset:192
	;; [unrolled: 1-line block ×28, first 2 shown]
	v_mov_b32_e32 v2, 0
	ds_read_b128 v[124:127], v2 offset:1072
	ds_read_b128 v[128:131], v2 offset:1088
	;; [unrolled: 1-line block ×23, first 2 shown]
	s_waitcnt vmcnt(27) lgkmcnt(14)
	v_mul_f64 v[0:1], v[124:125], v[70:71]
	s_waitcnt vmcnt(26)
	v_mul_f64 v[40:41], v[128:129], v[74:75]
	v_fmac_f64_e32 v[0:1], v[126:127], v[68:69]
	s_waitcnt vmcnt(25)
	v_mul_f64 v[42:43], v[132:133], v[78:79]
	v_fmac_f64_e32 v[40:41], v[130:131], v[72:73]
	v_add_f64 v[0:1], v[0:1], 0
	s_waitcnt vmcnt(24)
	v_mul_f64 v[44:45], v[136:137], v[82:83]
	v_fmac_f64_e32 v[42:43], v[134:135], v[76:77]
	v_add_f64 v[0:1], v[0:1], v[40:41]
	s_waitcnt vmcnt(23)
	v_mul_f64 v[46:47], v[140:141], v[86:87]
	v_fmac_f64_e32 v[44:45], v[138:139], v[80:81]
	v_add_f64 v[0:1], v[0:1], v[42:43]
	s_waitcnt vmcnt(22)
	v_mul_f64 v[48:49], v[156:157], v[90:91]
	v_fmac_f64_e32 v[46:47], v[142:143], v[84:85]
	v_add_f64 v[0:1], v[0:1], v[44:45]
	s_waitcnt vmcnt(21)
	v_mul_f64 v[50:51], v[168:169], v[94:95]
	v_fmac_f64_e32 v[48:49], v[158:159], v[88:89]
	v_add_f64 v[0:1], v[0:1], v[46:47]
	s_waitcnt vmcnt(20)
	v_mul_f64 v[52:53], v[180:181], v[98:99]
	v_fmac_f64_e32 v[50:51], v[170:171], v[92:93]
	v_add_f64 v[0:1], v[0:1], v[48:49]
	s_waitcnt vmcnt(19)
	v_mul_f64 v[54:55], v[192:193], v[114:115]
	v_fmac_f64_e32 v[52:53], v[182:183], v[96:97]
	v_add_f64 v[0:1], v[0:1], v[50:51]
	s_waitcnt vmcnt(18) lgkmcnt(13)
	v_mul_f64 v[56:57], v[200:201], v[146:147]
	v_fmac_f64_e32 v[54:55], v[194:195], v[112:113]
	v_add_f64 v[0:1], v[0:1], v[52:53]
	s_waitcnt vmcnt(17) lgkmcnt(12)
	v_mul_f64 v[58:59], v[204:205], v[150:151]
	v_fmac_f64_e32 v[56:57], v[202:203], v[144:145]
	v_add_f64 v[0:1], v[0:1], v[54:55]
	s_waitcnt vmcnt(16) lgkmcnt(11)
	v_mul_f64 v[60:61], v[208:209], v[154:155]
	v_fmac_f64_e32 v[58:59], v[206:207], v[148:149]
	v_add_f64 v[0:1], v[0:1], v[56:57]
	s_waitcnt vmcnt(15) lgkmcnt(10)
	v_mul_f64 v[62:63], v[212:213], v[162:163]
	v_fmac_f64_e32 v[60:61], v[210:211], v[152:153]
	v_add_f64 v[0:1], v[0:1], v[58:59]
	s_waitcnt vmcnt(14) lgkmcnt(9)
	v_mul_f64 v[64:65], v[216:217], v[166:167]
	v_fmac_f64_e32 v[62:63], v[214:215], v[160:161]
	v_add_f64 v[0:1], v[0:1], v[60:61]
	s_waitcnt vmcnt(13) lgkmcnt(8)
	v_mul_f64 v[66:67], v[220:221], v[174:175]
	v_fmac_f64_e32 v[64:65], v[218:219], v[164:165]
	v_add_f64 v[0:1], v[0:1], v[62:63]
	s_waitcnt vmcnt(12) lgkmcnt(7)
	v_mul_f64 v[100:101], v[224:225], v[178:179]
	v_fmac_f64_e32 v[66:67], v[222:223], v[172:173]
	v_add_f64 v[0:1], v[0:1], v[64:65]
	scratch_load_dwordx4 v[40:43], off, off offset:624
	scratch_load_dwordx4 v[44:47], off, off offset:640
	s_waitcnt vmcnt(13) lgkmcnt(6)
	v_mul_f64 v[102:103], v[228:229], v[186:187]
	v_fmac_f64_e32 v[100:101], v[226:227], v[176:177]
	v_add_f64 v[0:1], v[0:1], v[66:67]
	v_add_f64 v[0:1], v[0:1], v[100:101]
	v_fmac_f64_e32 v[102:103], v[230:231], v[184:185]
	v_add_f64 v[0:1], v[0:1], v[102:103]
	ds_read_b128 v[100:103], v2 offset:1376
	s_waitcnt vmcnt(12) lgkmcnt(6)
	v_mul_f64 v[48:49], v[242:243], v[190:191]
	v_fmac_f64_e32 v[48:49], v[244:245], v[188:189]
	v_add_f64 v[0:1], v[0:1], v[48:49]
	s_waitcnt vmcnt(11) lgkmcnt(5)
	v_mul_f64 v[48:49], v[246:247], v[198:199]
	v_fmac_f64_e32 v[48:49], v[248:249], v[196:197]
	v_add_f64 v[0:1], v[0:1], v[48:49]
	scratch_load_dwordx4 v[48:51], off, off offset:656
	scratch_load_dwordx4 v[52:55], off, off offset:672
	s_waitcnt vmcnt(12) lgkmcnt(0)
	v_mul_f64 v[56:57], v[100:101], v[6:7]
	v_accvgpr_write_b32 a119, v7
	v_fmac_f64_e32 v[56:57], v[102:103], v[4:5]
	v_accvgpr_write_b32 a118, v6
	v_accvgpr_write_b32 a117, v5
	;; [unrolled: 1-line block ×3, first 2 shown]
	s_waitcnt vmcnt(11)
	v_mov_b64_e32 v[4:5], v[8:9]
	v_mov_b64_e32 v[6:7], v[10:11]
	v_add_f64 v[0:1], v[0:1], v[56:57]
	v_mul_f64 v[56:57], v[104:105], v[6:7]
	v_fmac_f64_e32 v[56:57], v[106:107], v[4:5]
	v_add_f64 v[0:1], v[0:1], v[56:57]
	scratch_load_dwordx4 v[56:59], off, off offset:688
	s_waitcnt vmcnt(11)
	v_mov_b64_e32 v[4:5], v[12:13]
	v_mov_b64_e32 v[6:7], v[14:15]
	v_mul_f64 v[60:61], v[108:109], v[6:7]
	v_fmac_f64_e32 v[60:61], v[110:111], v[4:5]
	s_waitcnt vmcnt(10)
	v_mov_b64_e32 v[4:5], v[16:17]
	v_mov_b64_e32 v[6:7], v[18:19]
	v_add_f64 v[0:1], v[0:1], v[60:61]
	scratch_load_dwordx4 v[60:63], off, off offset:704
	v_mul_f64 v[64:65], v[116:117], v[6:7]
	v_fmac_f64_e32 v[64:65], v[118:119], v[4:5]
	v_add_f64 v[0:1], v[0:1], v[64:65]
	scratch_load_dwordx4 v[64:67], off, off offset:720
	v_mul_f64 v[70:71], v[126:127], v[70:71]
	s_waitcnt vmcnt(11)
	v_mov_b64_e32 v[4:5], v[20:21]
	v_fma_f64 v[240:241], v[124:125], v[68:69], -v[70:71]
	v_mov_b64_e32 v[6:7], v[22:23]
	scratch_load_dwordx4 v[68:71], off, off offset:736
	v_mul_f64 v[124:125], v[120:121], v[6:7]
	v_mul_f64 v[74:75], v[130:131], v[74:75]
	v_fmac_f64_e32 v[124:125], v[122:123], v[4:5]
	v_fma_f64 v[250:251], v[128:129], v[72:73], -v[74:75]
	scratch_load_dwordx4 v[72:75], off, off offset:752
	v_mul_f64 v[78:79], v[134:135], v[78:79]
	v_add_f64 v[0:1], v[0:1], v[124:125]
	ds_read_b128 v[124:127], v2 offset:1456
	ds_read_b128 v[128:131], v2 offset:1472
	v_fma_f64 v[252:253], v[132:133], v[76:77], -v[78:79]
	v_mul_f64 v[76:77], v[138:139], v[82:83]
	v_fma_f64 v[254:255], v[136:137], v[80:81], -v[76:77]
	scratch_load_dwordx4 v[76:79], off, off offset:768
	s_waitcnt vmcnt(13) lgkmcnt(1)
	v_mul_f64 v[132:133], v[124:125], v[236:237]
	v_fmac_f64_e32 v[132:133], v[126:127], v[234:235]
	v_add_f64 v[0:1], v[0:1], v[132:133]
	s_waitcnt vmcnt(12) lgkmcnt(0)
	v_mul_f64 v[132:133], v[128:129], v[30:31]
	scratch_load_dwordx4 v[80:83], off, off offset:784
	v_fmac_f64_e32 v[132:133], v[130:131], v[28:29]
	v_mul_f64 v[86:87], v[142:143], v[86:87]
	v_add_f64 v[0:1], v[0:1], v[132:133]
	v_fma_f64 v[232:233], v[140:141], v[84:85], -v[86:87]
	ds_read_b128 v[132:135], v2 offset:1488
	v_mul_f64 v[84:85], v[158:159], v[90:91]
	v_fma_f64 v[24:25], v[156:157], v[88:89], -v[84:85]
	scratch_load_dwordx4 v[88:91], off, off offset:800
	scratch_load_dwordx4 v[84:87], off, off offset:816
	v_accvgpr_write_b32 a135, v23
	v_mul_f64 v[6:7], v[170:171], v[94:95]
	v_accvgpr_write_b32 a134, v22
	v_accvgpr_write_b32 a133, v21
	;; [unrolled: 1-line block ×3, first 2 shown]
	v_fma_f64 v[20:21], v[168:169], v[92:93], -v[6:7]
	s_waitcnt vmcnt(14) lgkmcnt(0)
	v_mul_f64 v[6:7], v[132:133], v[34:35]
	v_fmac_f64_e32 v[6:7], v[134:135], v[32:33]
	v_accvgpr_write_b32 a131, v19
	v_add_f64 v[0:1], v[0:1], v[6:7]
	v_mul_f64 v[6:7], v[182:183], v[98:99]
	v_accvgpr_write_b32 a130, v18
	v_accvgpr_write_b32 a129, v17
	;; [unrolled: 1-line block ×3, first 2 shown]
	ds_read_b128 v[136:139], v2 offset:1504
	v_fma_f64 v[16:17], v[180:181], v[96:97], -v[6:7]
	scratch_load_dwordx4 v[96:99], off, off offset:832
	scratch_load_dwordx4 v[92:95], off, off offset:848
	v_accvgpr_write_b32 a127, v15
	v_mul_f64 v[6:7], v[194:195], v[114:115]
	v_accvgpr_write_b32 a126, v14
	v_accvgpr_write_b32 a125, v13
	;; [unrolled: 1-line block ×3, first 2 shown]
	v_fma_f64 v[12:13], v[192:193], v[112:113], -v[6:7]
	scratch_load_dwordx4 v[112:115], off, off offset:864
	ds_read_b128 v[140:143], v2 offset:1520
	s_waitcnt vmcnt(16) lgkmcnt(1)
	v_mul_f64 v[6:7], v[136:137], v[38:39]
	v_fmac_f64_e32 v[6:7], v[138:139], v[36:37]
	v_add_f64 v[0:1], v[0:1], v[6:7]
	v_mul_f64 v[6:7], v[202:203], v[146:147]
	v_fma_f64 v[14:15], v[200:201], v[144:145], -v[6:7]
	ds_read_b128 v[144:147], v2 offset:1536
	s_waitcnt vmcnt(15) lgkmcnt(1)
	v_mul_f64 v[6:7], v[140:141], v[42:43]
	v_fmac_f64_e32 v[6:7], v[142:143], v[40:41]
	v_accvgpr_write_b32 a123, v11
	v_add_f64 v[0:1], v[0:1], v[6:7]
	v_mul_f64 v[6:7], v[206:207], v[150:151]
	v_accvgpr_write_b32 a122, v10
	v_accvgpr_write_b32 a121, v9
	;; [unrolled: 1-line block ×3, first 2 shown]
	v_fma_f64 v[10:11], v[204:205], v[148:149], -v[6:7]
	ds_read_b128 v[148:151], v2 offset:1552
	v_mul_f64 v[18:19], v[210:211], v[154:155]
	v_fma_f64 v[18:19], v[208:209], v[152:153], -v[18:19]
	ds_read_b128 v[152:155], v2 offset:1568
	s_waitcnt vmcnt(14) lgkmcnt(2)
	v_mul_f64 v[6:7], v[144:145], v[46:47]
	v_fmac_f64_e32 v[6:7], v[146:147], v[44:45]
	v_add_f64 v[0:1], v[0:1], v[6:7]
	s_waitcnt vmcnt(13) lgkmcnt(1)
	v_mul_f64 v[6:7], v[148:149], v[50:51]
	ds_read_b128 v[156:159], v2 offset:1584
	v_fmac_f64_e32 v[6:7], v[150:151], v[48:49]
	v_add_f64 v[0:1], v[0:1], v[6:7]
	s_waitcnt vmcnt(12) lgkmcnt(1)
	v_mul_f64 v[6:7], v[152:153], v[54:55]
	v_fmac_f64_e32 v[6:7], v[154:155], v[52:53]
	v_add_f64 v[0:1], v[0:1], v[6:7]
	v_mul_f64 v[6:7], v[214:215], v[162:163]
	v_fma_f64 v[8:9], v[212:213], v[160:161], -v[6:7]
	ds_read_b128 v[160:163], v2 offset:1600
	s_waitcnt vmcnt(11) lgkmcnt(1)
	v_mul_f64 v[6:7], v[156:157], v[58:59]
	v_fmac_f64_e32 v[6:7], v[158:159], v[56:57]
	v_add_f64 v[0:1], v[0:1], v[6:7]
	v_mul_f64 v[6:7], v[218:219], v[166:167]
	v_fma_f64 v[22:23], v[216:217], v[164:165], -v[6:7]
	ds_read_b128 v[164:167], v2 offset:1616
	ds_read_b128 v[168:171], v2 offset:1632
	s_waitcnt vmcnt(10) lgkmcnt(2)
	v_mul_f64 v[6:7], v[160:161], v[62:63]
	v_fmac_f64_e32 v[6:7], v[162:163], v[60:61]
	v_add_f64 v[0:1], v[0:1], v[6:7]
	s_waitcnt vmcnt(9) lgkmcnt(1)
	v_mul_f64 v[6:7], v[164:165], v[66:67]
	v_fmac_f64_e32 v[6:7], v[166:167], v[64:65]
	v_add_f64 v[0:1], v[0:1], v[6:7]
	v_mul_f64 v[6:7], v[222:223], v[174:175]
	v_fma_f64 v[4:5], v[220:221], v[172:173], -v[6:7]
	ds_read_b128 v[172:175], v2 offset:1648
	v_mul_f64 v[6:7], v[226:227], v[178:179]
	v_fma_f64 v[6:7], v[224:225], v[176:177], -v[6:7]
	ds_read_b128 v[176:179], v2 offset:1664
	s_waitcnt vmcnt(8) lgkmcnt(2)
	v_mul_f64 v[26:27], v[168:169], v[70:71]
	v_fmac_f64_e32 v[26:27], v[170:171], v[68:69]
	v_add_f64 v[0:1], v[0:1], v[26:27]
	s_waitcnt vmcnt(7) lgkmcnt(1)
	v_mul_f64 v[26:27], v[172:173], v[74:75]
	v_fmac_f64_e32 v[26:27], v[174:175], v[72:73]
	v_add_f64 v[0:1], v[0:1], v[26:27]
	s_waitcnt vmcnt(6) lgkmcnt(0)
	v_mul_f64 v[26:27], v[176:177], v[78:79]
	v_fmac_f64_e32 v[26:27], v[178:179], v[76:77]
	ds_read_b128 v[180:183], v2 offset:1680
	v_add_f64 v[26:27], v[0:1], v[26:27]
	v_mul_f64 v[0:1], v[230:231], v[186:187]
	v_fma_f64 v[0:1], v[228:229], v[184:185], -v[0:1]
	ds_read_b128 v[184:187], v2 offset:1696
	s_waitcnt vmcnt(5) lgkmcnt(1)
	v_mul_f64 v[192:193], v[180:181], v[82:83]
	v_fmac_f64_e32 v[192:193], v[182:183], v[80:81]
	v_mul_f64 v[190:191], v[244:245], v[190:191]
	v_add_f64 v[26:27], v[26:27], v[192:193]
	v_fma_f64 v[238:239], v[242:243], v[188:189], -v[190:191]
	ds_read_b128 v[188:191], v2 offset:1712
	s_waitcnt vmcnt(4) lgkmcnt(1)
	v_mul_f64 v[192:193], v[184:185], v[90:91]
	v_fmac_f64_e32 v[192:193], v[186:187], v[88:89]
	v_add_f64 v[26:27], v[26:27], v[192:193]
	ds_read_b128 v[192:195], v2 offset:1728
	v_mul_f64 v[198:199], v[248:249], v[198:199]
	v_fma_f64 v[242:243], v[246:247], v[196:197], -v[198:199]
	ds_read_b128 v[196:199], v2 offset:1744
	ds_read_b128 v[208:211], v2 offset:1776
	s_waitcnt vmcnt(3) lgkmcnt(3)
	v_mul_f64 v[200:201], v[188:189], v[86:87]
	v_fmac_f64_e32 v[200:201], v[190:191], v[84:85]
	v_add_f64 v[26:27], v[26:27], v[200:201]
	s_waitcnt vmcnt(2) lgkmcnt(2)
	v_mul_f64 v[200:201], v[192:193], v[98:99]
	v_fmac_f64_e32 v[200:201], v[194:195], v[96:97]
	v_add_f64 v[26:27], v[26:27], v[200:201]
	;; [unrolled: 4-line block ×3, first 2 shown]
	ds_read_b128 v[200:203], v2 offset:1760
	ds_read_b128 v[216:219], v2 offset:1792
	ds_read_b128 v[224:227], v2 offset:1808
	s_waitcnt vmcnt(0) lgkmcnt(2)
	v_mul_f64 v[204:205], v[200:201], v[114:115]
	v_fmac_f64_e32 v[204:205], v[202:203], v[112:113]
	v_add_f64 v[26:27], v[26:27], v[204:205]
	scratch_load_dwordx4 v[204:207], off, off offset:880
	s_waitcnt vmcnt(0)
	v_mul_f64 v[212:213], v[208:209], v[206:207]
	v_fmac_f64_e32 v[212:213], v[210:211], v[204:205]
	v_add_f64 v[26:27], v[26:27], v[212:213]
	scratch_load_dwordx4 v[212:215], off, off offset:896
	s_waitcnt vmcnt(0) lgkmcnt(1)
	v_mul_f64 v[220:221], v[216:217], v[214:215]
	v_fmac_f64_e32 v[220:221], v[218:219], v[212:213]
	v_add_f64 v[26:27], v[26:27], v[220:221]
	scratch_load_dwordx4 v[220:223], off, off offset:912
	s_waitcnt vmcnt(0) lgkmcnt(0)
	v_mul_f64 v[228:229], v[224:225], v[222:223]
	v_fmac_f64_e32 v[228:229], v[226:227], v[220:221]
	v_add_f64 v[246:247], v[26:27], v[228:229]
	scratch_load_dwordx4 v[228:231], off, off offset:160
	v_add_f64 v[26:27], v[240:241], 0
	v_add_f64 v[26:27], v[26:27], v[250:251]
	;; [unrolled: 1-line block ×16, first 2 shown]
	v_accvgpr_read_b32 v6, a116
	v_accvgpr_read_b32 v8, a118
	;; [unrolled: 1-line block ×3, first 2 shown]
	v_add_f64 v[0:1], v[4:5], v[0:1]
	v_accvgpr_read_b32 v7, a117
	v_mul_f64 v[4:5], v[102:103], v[8:9]
	v_add_f64 v[0:1], v[0:1], v[238:239]
	v_fma_f64 v[4:5], v[100:101], v[6:7], -v[4:5]
	v_accvgpr_read_b32 v6, a120
	v_add_f64 v[0:1], v[0:1], v[242:243]
	v_accvgpr_read_b32 v8, a122
	v_accvgpr_read_b32 v9, a123
	v_add_f64 v[0:1], v[0:1], v[4:5]
	v_accvgpr_read_b32 v7, a121
	v_mul_f64 v[4:5], v[106:107], v[8:9]
	v_fma_f64 v[4:5], v[104:105], v[6:7], -v[4:5]
	v_accvgpr_read_b32 v6, a124
	v_accvgpr_read_b32 v8, a126
	v_accvgpr_read_b32 v9, a127
	v_add_f64 v[0:1], v[0:1], v[4:5]
	v_accvgpr_read_b32 v7, a125
	v_mul_f64 v[4:5], v[110:111], v[8:9]
	v_fma_f64 v[4:5], v[108:109], v[6:7], -v[4:5]
	v_accvgpr_read_b32 v6, a128
	;; [unrolled: 7-line block ×3, first 2 shown]
	v_accvgpr_read_b32 v8, a134
	v_accvgpr_read_b32 v9, a135
	v_add_f64 v[0:1], v[0:1], v[4:5]
	v_accvgpr_read_b32 v7, a133
	v_mul_f64 v[4:5], v[122:123], v[8:9]
	v_fma_f64 v[4:5], v[120:121], v[6:7], -v[4:5]
	v_add_f64 v[0:1], v[0:1], v[4:5]
	v_mul_f64 v[4:5], v[126:127], v[236:237]
	v_fma_f64 v[4:5], v[124:125], v[234:235], -v[4:5]
	v_add_f64 v[0:1], v[0:1], v[4:5]
	;; [unrolled: 3-line block ×24, first 2 shown]
	s_waitcnt vmcnt(0)
	v_add_f64 v[4:5], v[228:229], -v[0:1]
	v_accvgpr_read_b32 v0, a114
	v_add_f64 v[6:7], v[230:231], -v[246:247]
	v_cmp_lt_u32_e32 vcc, 8, v0
	scratch_store_dwordx4 off, v[4:7], off offset:160
	s_and_saveexec_b64 s[0:1], vcc
	s_cbranch_execz .LBB56_339
; %bb.338:
	scratch_load_dwordx4 v[6:9], off, s45
	v_mov_b32_e32 v3, v2
	v_mov_b32_e32 v4, v2
	;; [unrolled: 1-line block ×3, first 2 shown]
	v_accvgpr_read_b32 v0, a115
	scratch_store_dwordx4 off, v[2:5], off offset:144
	s_waitcnt vmcnt(1)
	ds_write_b128 v0, v[6:9]
.LBB56_339:
	s_or_b64 exec, exec, s[0:1]
	s_waitcnt lgkmcnt(0)
	; wave barrier
	scratch_load_dwordx4 v[40:43], off, off offset:160
	scratch_load_dwordx4 v[44:47], off, off offset:176
	;; [unrolled: 1-line block ×18, first 2 shown]
	ds_read_b128 v[164:167], v2 offset:1056
	ds_read_b128 v[232:235], v2 offset:1072
	;; [unrolled: 1-line block ×6, first 2 shown]
	scratch_load_dwordx4 v[140:143], off, off offset:448
	ds_read_b128 v[224:227], v2 offset:1152
	ds_read_b128 v[212:215], v2 offset:1168
	;; [unrolled: 1-line block ×3, first 2 shown]
	scratch_load_dwordx4 v[4:7], off, off offset:464
	ds_read_b128 v[228:231], v2 offset:1200
	ds_read_b128 v[216:219], v2 offset:1216
	;; [unrolled: 1-line block ×5, first 2 shown]
	scratch_load_dwordx4 v[8:11], off, off offset:480
	ds_read_b128 v[208:211], v2 offset:1280
	ds_read_b128 v[196:199], v2 offset:1296
	;; [unrolled: 1-line block ×3, first 2 shown]
	scratch_load_dwordx4 v[12:15], off, off offset:496
	ds_read_b128 v[200:203], v2 offset:1328
	scratch_load_dwordx4 v[16:19], off, off offset:512
	scratch_load_dwordx4 v[20:23], off, off offset:528
	;; [unrolled: 1-line block ×7, first 2 shown]
	ds_read_b128 v[236:239], v2 offset:1344
	ds_read_b128 v[156:159], v2 offset:1408
	;; [unrolled: 1-line block ×4, first 2 shown]
	s_waitcnt vmcnt(28) lgkmcnt(14)
	v_mul_f64 v[0:1], v[164:165], v[42:43]
	s_waitcnt vmcnt(27)
	v_mul_f64 v[108:109], v[232:233], v[46:47]
	v_fmac_f64_e32 v[0:1], v[166:167], v[40:41]
	s_waitcnt vmcnt(26)
	v_mul_f64 v[110:111], v[168:169], v[50:51]
	v_fmac_f64_e32 v[108:109], v[234:235], v[44:45]
	v_add_f64 v[0:1], v[0:1], 0
	s_waitcnt vmcnt(25)
	v_mul_f64 v[116:117], v[220:221], v[54:55]
	v_fmac_f64_e32 v[110:111], v[170:171], v[48:49]
	v_add_f64 v[0:1], v[0:1], v[108:109]
	;; [unrolled: 4-line block ×6, first 2 shown]
	s_waitcnt vmcnt(20) lgkmcnt(13)
	v_mul_f64 v[126:127], v[180:181], v[78:79]
	v_fmac_f64_e32 v[124:125], v[214:215], v[68:69]
	v_add_f64 v[0:1], v[0:1], v[122:123]
	s_waitcnt vmcnt(19) lgkmcnt(12)
	v_mul_f64 v[128:129], v[228:229], v[82:83]
	v_fmac_f64_e32 v[126:127], v[182:183], v[76:77]
	v_add_f64 v[0:1], v[0:1], v[124:125]
	;; [unrolled: 4-line block ×9, first 2 shown]
	v_add_f64 v[0:1], v[0:1], v[148:149]
	v_fmac_f64_e32 v[150:151], v[186:187], v[112:113]
	s_waitcnt vmcnt(11) lgkmcnt(4)
	v_mul_f64 v[116:117], v[200:201], v[138:139]
	v_add_f64 v[0:1], v[0:1], v[150:151]
	v_fmac_f64_e32 v[116:117], v[202:203], v[136:137]
	v_add_f64 v[0:1], v[0:1], v[116:117]
	ds_read_b128 v[144:147], v2 offset:1360
	s_waitcnt vmcnt(10) lgkmcnt(4)
	v_mul_f64 v[116:117], v[236:237], v[142:143]
	scratch_load_dwordx4 v[108:111], off, off offset:624
	v_fmac_f64_e32 v[116:117], v[238:239], v[140:141]
	v_add_f64 v[0:1], v[0:1], v[116:117]
	scratch_load_dwordx4 v[116:119], off, off offset:640
	ds_read_b128 v[148:151], v2 offset:1376
	scratch_load_dwordx4 v[120:123], off, off offset:656
	s_waitcnt vmcnt(12) lgkmcnt(1)
	v_mul_f64 v[124:125], v[144:145], v[6:7]
	v_fmac_f64_e32 v[124:125], v[146:147], v[4:5]
	v_add_f64 v[0:1], v[0:1], v[124:125]
	s_waitcnt vmcnt(11) lgkmcnt(0)
	v_mul_f64 v[124:125], v[148:149], v[10:11]
	v_fmac_f64_e32 v[124:125], v[150:151], v[8:9]
	s_waitcnt vmcnt(10)
	v_mul_f64 v[128:129], v[152:153], v[14:15]
	v_add_f64 v[0:1], v[0:1], v[124:125]
	scratch_load_dwordx4 v[124:127], off, off offset:672
	v_fmac_f64_e32 v[128:129], v[154:155], v[12:13]
	v_add_f64 v[0:1], v[0:1], v[128:129]
	scratch_load_dwordx4 v[128:131], off, off offset:688
	s_waitcnt vmcnt(11)
	v_mul_f64 v[132:133], v[156:157], v[18:19]
	v_fmac_f64_e32 v[132:133], v[158:159], v[16:17]
	v_add_f64 v[0:1], v[0:1], v[132:133]
	scratch_load_dwordx4 v[132:135], off, off offset:704
	v_mul_f64 v[42:43], v[166:167], v[42:43]
	v_fma_f64 v[240:241], v[164:165], v[40:41], -v[42:43]
	scratch_load_dwordx4 v[40:43], off, off offset:720
	v_mul_f64 v[46:47], v[234:235], v[46:47]
	v_fma_f64 v[246:247], v[232:233], v[44:45], -v[46:47]
	;; [unrolled: 3-line block ×3, first 2 shown]
	v_mul_f64 v[48:49], v[222:223], v[54:55]
	v_fma_f64 v[250:251], v[220:221], v[52:53], -v[48:49]
	scratch_load_dwordx4 v[48:51], off, off offset:752
	scratch_load_dwordx4 v[52:55], off, off offset:768
	s_waitcnt vmcnt(15)
	v_mul_f64 v[164:165], v[160:161], v[22:23]
	v_fmac_f64_e32 v[164:165], v[162:163], v[20:21]
	v_add_f64 v[0:1], v[0:1], v[164:165]
	ds_read_b128 v[164:167], v2 offset:1440
	ds_read_b128 v[168:171], v2 offset:1456
	v_mul_f64 v[58:59], v[174:175], v[58:59]
	v_fma_f64 v[252:253], v[172:173], v[56:57], -v[58:59]
	ds_read_b128 v[172:175], v2 offset:1472
	v_mul_f64 v[56:57], v[178:179], v[62:63]
	v_fma_f64 v[254:255], v[176:177], v[60:61], -v[56:57]
	scratch_load_dwordx4 v[60:63], off, off offset:784
	scratch_load_dwordx4 v[56:59], off, off offset:800
	s_waitcnt vmcnt(16) lgkmcnt(2)
	v_mul_f64 v[232:233], v[164:165], v[34:35]
	v_fmac_f64_e32 v[232:233], v[166:167], v[32:33]
	s_waitcnt vmcnt(15) lgkmcnt(1)
	v_mul_f64 v[220:221], v[168:169], v[38:39]
	v_mul_f64 v[66:67], v[226:227], v[66:67]
	v_add_f64 v[0:1], v[0:1], v[232:233]
	v_fmac_f64_e32 v[220:221], v[170:171], v[36:37]
	v_fma_f64 v[242:243], v[224:225], v[64:65], -v[66:67]
	s_waitcnt vmcnt(14) lgkmcnt(0)
	v_mul_f64 v[64:65], v[172:173], v[30:31]
	v_add_f64 v[0:1], v[0:1], v[220:221]
	v_fmac_f64_e32 v[64:65], v[174:175], v[28:29]
	v_accvgpr_write_b32 a143, v23
	v_add_f64 v[0:1], v[0:1], v[64:65]
	v_mul_f64 v[64:65], v[214:215], v[70:71]
	v_accvgpr_write_b32 a142, v22
	v_accvgpr_write_b32 a141, v21
	;; [unrolled: 1-line block ×3, first 2 shown]
	ds_read_b128 v[176:179], v2 offset:1488
	v_fma_f64 v[20:21], v[212:213], v[68:69], -v[64:65]
	scratch_load_dwordx4 v[68:71], off, off offset:816
	scratch_load_dwordx4 v[64:67], off, off offset:832
	v_accvgpr_write_b32 a127, v7
	v_accvgpr_write_b32 a126, v6
	;; [unrolled: 1-line block ×5, first 2 shown]
	v_mul_f64 v[6:7], v[182:183], v[78:79]
	v_accvgpr_write_b32 a138, v18
	v_accvgpr_write_b32 a137, v17
	v_accvgpr_write_b32 a136, v16
	v_fma_f64 v[16:17], v[180:181], v[76:77], -v[6:7]
	s_waitcnt vmcnt(15) lgkmcnt(0)
	v_mul_f64 v[76:77], v[176:177], v[26:27]
	v_fmac_f64_e32 v[76:77], v[178:179], v[24:25]
	v_accvgpr_write_b32 a135, v15
	v_add_f64 v[0:1], v[0:1], v[76:77]
	v_mul_f64 v[76:77], v[230:231], v[82:83]
	v_accvgpr_write_b32 a134, v14
	v_accvgpr_write_b32 a133, v13
	;; [unrolled: 1-line block ×3, first 2 shown]
	v_fma_f64 v[12:13], v[228:229], v[80:81], -v[76:77]
	scratch_load_dwordx4 v[76:79], off, off offset:848
	scratch_load_dwordx4 v[232:235], off, off offset:912
	ds_read_b128 v[180:183], v2 offset:1504
	ds_read_b128 v[80:83], v2 offset:1520
	v_accvgpr_write_b32 a131, v11
	v_accvgpr_write_b32 a130, v10
	;; [unrolled: 1-line block ×4, first 2 shown]
	s_waitcnt vmcnt(16) lgkmcnt(1)
	v_mul_f64 v[10:11], v[180:181], v[74:75]
	v_fmac_f64_e32 v[10:11], v[182:183], v[72:73]
	v_add_f64 v[0:1], v[0:1], v[10:11]
	v_mul_f64 v[10:11], v[218:219], v[86:87]
	v_fma_f64 v[10:11], v[216:217], v[84:85], -v[10:11]
	ds_read_b128 v[84:87], v2 offset:1536
	v_mul_f64 v[90:91], v[190:191], v[90:91]
	v_fma_f64 v[8:9], v[188:189], v[88:89], -v[90:91]
	ds_read_b128 v[88:91], v2 offset:1552
	s_waitcnt vmcnt(15) lgkmcnt(2)
	v_mul_f64 v[212:213], v[80:81], v[110:111]
	v_fmac_f64_e32 v[212:213], v[82:83], v[108:109]
	s_waitcnt vmcnt(14) lgkmcnt(1)
	v_mul_f64 v[14:15], v[84:85], v[118:119]
	v_add_f64 v[0:1], v[0:1], v[212:213]
	v_fmac_f64_e32 v[14:15], v[86:87], v[116:117]
	v_add_f64 v[0:1], v[0:1], v[14:15]
	s_waitcnt vmcnt(13) lgkmcnt(0)
	v_mul_f64 v[14:15], v[88:89], v[122:123]
	v_fmac_f64_e32 v[14:15], v[90:91], v[120:121]
	ds_read_b128 v[188:191], v2 offset:1568
	v_add_f64 v[0:1], v[0:1], v[14:15]
	v_mul_f64 v[14:15], v[206:207], v[94:95]
	v_fma_f64 v[14:15], v[204:205], v[92:93], -v[14:15]
	ds_read_b128 v[92:95], v2 offset:1584
	v_mul_f64 v[98:99], v[194:195], v[98:99]
	v_fma_f64 v[6:7], v[192:193], v[96:97], -v[98:99]
	ds_read_b128 v[96:99], v2 offset:1600
	ds_read_b128 v[192:195], v2 offset:1616
	s_waitcnt vmcnt(12) lgkmcnt(3)
	v_mul_f64 v[204:205], v[188:189], v[126:127]
	v_fmac_f64_e32 v[204:205], v[190:191], v[124:125]
	s_waitcnt vmcnt(11) lgkmcnt(2)
	v_mul_f64 v[18:19], v[92:93], v[130:131]
	v_add_f64 v[0:1], v[0:1], v[204:205]
	v_fmac_f64_e32 v[18:19], v[94:95], v[128:129]
	v_add_f64 v[0:1], v[0:1], v[18:19]
	s_waitcnt vmcnt(10) lgkmcnt(1)
	v_mul_f64 v[18:19], v[96:97], v[134:135]
	v_fmac_f64_e32 v[18:19], v[98:99], v[132:133]
	v_add_f64 v[0:1], v[0:1], v[18:19]
	v_mul_f64 v[18:19], v[210:211], v[102:103]
	v_fma_f64 v[18:19], v[208:209], v[100:101], -v[18:19]
	ds_read_b128 v[100:103], v2 offset:1632
	v_mul_f64 v[106:107], v[198:199], v[106:107]
	v_fma_f64 v[4:5], v[196:197], v[104:105], -v[106:107]
	ds_read_b128 v[104:107], v2 offset:1648
	s_waitcnt vmcnt(9) lgkmcnt(2)
	v_mul_f64 v[204:205], v[192:193], v[42:43]
	v_fmac_f64_e32 v[204:205], v[194:195], v[40:41]
	s_waitcnt vmcnt(8) lgkmcnt(1)
	v_mul_f64 v[22:23], v[100:101], v[46:47]
	v_add_f64 v[0:1], v[0:1], v[204:205]
	v_fmac_f64_e32 v[22:23], v[102:103], v[44:45]
	v_add_f64 v[0:1], v[0:1], v[22:23]
	s_waitcnt vmcnt(7) lgkmcnt(0)
	v_mul_f64 v[22:23], v[104:105], v[50:51]
	ds_read_b128 v[196:199], v2 offset:1664
	v_fmac_f64_e32 v[22:23], v[106:107], v[48:49]
	v_add_f64 v[0:1], v[0:1], v[22:23]
	v_mul_f64 v[22:23], v[186:187], v[114:115]
	v_fma_f64 v[22:23], v[184:185], v[112:113], -v[22:23]
	ds_read_b128 v[112:115], v2 offset:1680
	s_waitcnt vmcnt(6) lgkmcnt(1)
	v_mul_f64 v[184:185], v[196:197], v[54:55]
	v_fmac_f64_e32 v[184:185], v[198:199], v[52:53]
	v_add_f64 v[184:185], v[0:1], v[184:185]
	v_mul_f64 v[0:1], v[202:203], v[138:139]
	v_fma_f64 v[0:1], v[200:201], v[136:137], -v[0:1]
	ds_read_b128 v[136:139], v2 offset:1696
	s_waitcnt vmcnt(5) lgkmcnt(1)
	v_mul_f64 v[186:187], v[112:113], v[62:63]
	v_fmac_f64_e32 v[186:187], v[114:115], v[60:61]
	v_add_f64 v[200:201], v[184:185], v[186:187]
	ds_read_b128 v[184:187], v2 offset:1712
	v_mul_f64 v[142:143], v[238:239], v[142:143]
	v_fma_f64 v[244:245], v[236:237], v[140:141], -v[142:143]
	ds_read_b128 v[140:143], v2 offset:1728
	ds_read_b128 v[208:211], v2 offset:1760
	s_waitcnt vmcnt(4) lgkmcnt(3)
	v_mul_f64 v[202:203], v[136:137], v[58:59]
	v_fmac_f64_e32 v[202:203], v[138:139], v[56:57]
	v_add_f64 v[200:201], v[200:201], v[202:203]
	s_waitcnt vmcnt(3) lgkmcnt(2)
	v_mul_f64 v[202:203], v[184:185], v[70:71]
	v_fmac_f64_e32 v[202:203], v[186:187], v[68:69]
	v_add_f64 v[200:201], v[200:201], v[202:203]
	;; [unrolled: 4-line block ×3, first 2 shown]
	ds_read_b128 v[200:203], v2 offset:1744
	ds_read_b128 v[216:219], v2 offset:1776
	;; [unrolled: 1-line block ×3, first 2 shown]
	s_waitcnt vmcnt(1) lgkmcnt(2)
	v_mul_f64 v[206:207], v[200:201], v[78:79]
	v_fmac_f64_e32 v[206:207], v[202:203], v[76:77]
	v_add_f64 v[212:213], v[204:205], v[206:207]
	scratch_load_dwordx4 v[204:207], off, off offset:864
	s_waitcnt vmcnt(0)
	v_mul_f64 v[214:215], v[208:209], v[206:207]
	v_fmac_f64_e32 v[214:215], v[210:211], v[204:205]
	v_add_f64 v[220:221], v[212:213], v[214:215]
	scratch_load_dwordx4 v[212:215], off, off offset:880
	s_waitcnt vmcnt(0) lgkmcnt(1)
	v_mul_f64 v[222:223], v[216:217], v[214:215]
	v_fmac_f64_e32 v[222:223], v[218:219], v[212:213]
	v_add_f64 v[228:229], v[220:221], v[222:223]
	scratch_load_dwordx4 v[220:223], off, off offset:896
	s_waitcnt vmcnt(0) lgkmcnt(0)
	v_mul_f64 v[230:231], v[224:225], v[222:223]
	v_fmac_f64_e32 v[230:231], v[226:227], v[220:221]
	v_add_f64 v[236:237], v[228:229], v[230:231]
	ds_read_b128 v[228:231], v2 offset:1808
	s_waitcnt lgkmcnt(0)
	v_mul_f64 v[2:3], v[228:229], v[234:235]
	v_fmac_f64_e32 v[2:3], v[230:231], v[232:233]
	v_add_f64 v[2:3], v[236:237], v[2:3]
	v_add_f64 v[236:237], v[240:241], 0
	;; [unrolled: 1-line block ×9, first 2 shown]
	scratch_load_dwordx4 v[236:239], off, off offset:144
	v_add_f64 v[16:17], v[20:21], v[16:17]
	v_add_f64 v[12:13], v[16:17], v[12:13]
	;; [unrolled: 1-line block ×8, first 2 shown]
	v_accvgpr_read_b32 v6, a124
	v_accvgpr_read_b32 v8, a126
	;; [unrolled: 1-line block ×3, first 2 shown]
	v_add_f64 v[246:247], v[4:5], v[22:23]
	v_accvgpr_read_b32 v7, a125
	v_mul_f64 v[4:5], v[146:147], v[8:9]
	v_add_f64 v[0:1], v[246:247], v[0:1]
	v_fma_f64 v[4:5], v[144:145], v[6:7], -v[4:5]
	v_accvgpr_read_b32 v6, a128
	v_add_f64 v[0:1], v[0:1], v[244:245]
	v_accvgpr_read_b32 v8, a130
	v_accvgpr_read_b32 v9, a131
	v_add_f64 v[0:1], v[0:1], v[4:5]
	v_accvgpr_read_b32 v7, a129
	v_mul_f64 v[4:5], v[150:151], v[8:9]
	v_fma_f64 v[4:5], v[148:149], v[6:7], -v[4:5]
	v_accvgpr_read_b32 v6, a132
	v_accvgpr_read_b32 v8, a134
	v_accvgpr_read_b32 v9, a135
	v_add_f64 v[0:1], v[0:1], v[4:5]
	v_accvgpr_read_b32 v7, a133
	v_mul_f64 v[4:5], v[154:155], v[8:9]
	v_fma_f64 v[4:5], v[152:153], v[6:7], -v[4:5]
	v_accvgpr_read_b32 v6, a136
	;; [unrolled: 7-line block ×3, first 2 shown]
	v_accvgpr_read_b32 v8, a142
	v_accvgpr_read_b32 v9, a143
	v_add_f64 v[0:1], v[0:1], v[4:5]
	v_accvgpr_read_b32 v7, a141
	v_mul_f64 v[4:5], v[162:163], v[8:9]
	v_fma_f64 v[4:5], v[160:161], v[6:7], -v[4:5]
	v_add_f64 v[0:1], v[0:1], v[4:5]
	v_mul_f64 v[4:5], v[166:167], v[34:35]
	v_fma_f64 v[4:5], v[164:165], v[32:33], -v[4:5]
	v_add_f64 v[0:1], v[0:1], v[4:5]
	;; [unrolled: 3-line block ×25, first 2 shown]
	s_waitcnt vmcnt(0)
	v_add_f64 v[4:5], v[236:237], -v[0:1]
	v_accvgpr_read_b32 v0, a114
	v_add_f64 v[6:7], v[238:239], -v[2:3]
	v_cmp_lt_u32_e32 vcc, 7, v0
	scratch_store_dwordx4 off, v[4:7], off offset:144
	s_and_saveexec_b64 s[0:1], vcc
	s_cbranch_execz .LBB56_341
; %bb.340:
	scratch_load_dwordx4 v[2:5], off, s44
	v_mov_b32_e32 v6, 0
	v_mov_b32_e32 v7, v6
	;; [unrolled: 1-line block ×4, first 2 shown]
	v_accvgpr_read_b32 v0, a115
	scratch_store_dwordx4 off, v[6:9], off offset:128
	s_waitcnt vmcnt(1)
	ds_write_b128 v0, v[2:5]
.LBB56_341:
	s_or_b64 exec, exec, s[0:1]
	s_waitcnt lgkmcnt(0)
	; wave barrier
	scratch_load_dwordx4 v[56:59], off, off offset:144
	scratch_load_dwordx4 v[60:63], off, off offset:160
	;; [unrolled: 1-line block ×28, first 2 shown]
	v_mov_b32_e32 v2, 0
	ds_read_b128 v[116:119], v2 offset:1040
	ds_read_b128 v[120:123], v2 offset:1056
	;; [unrolled: 1-line block ×22, first 2 shown]
	s_waitcnt vmcnt(27) lgkmcnt(14)
	v_mul_f64 v[0:1], v[116:117], v[58:59]
	s_waitcnt vmcnt(26)
	v_mul_f64 v[32:33], v[120:121], v[62:63]
	v_fmac_f64_e32 v[0:1], v[118:119], v[56:57]
	s_waitcnt vmcnt(25)
	v_mul_f64 v[34:35], v[124:125], v[66:67]
	v_fmac_f64_e32 v[32:33], v[122:123], v[60:61]
	v_add_f64 v[0:1], v[0:1], 0
	v_fmac_f64_e32 v[34:35], v[126:127], v[64:65]
	v_add_f64 v[0:1], v[0:1], v[32:33]
	v_add_f64 v[0:1], v[0:1], v[34:35]
	scratch_load_dwordx4 v[32:35], off, off offset:592
	s_waitcnt vmcnt(25)
	v_mul_f64 v[36:37], v[128:129], v[70:71]
	s_waitcnt vmcnt(24)
	v_mul_f64 v[38:39], v[132:133], v[74:75]
	v_fmac_f64_e32 v[36:37], v[130:131], v[68:69]
	s_waitcnt vmcnt(23)
	v_mul_f64 v[40:41], v[140:141], v[78:79]
	v_fmac_f64_e32 v[38:39], v[134:135], v[72:73]
	v_add_f64 v[0:1], v[0:1], v[36:37]
	s_waitcnt vmcnt(22)
	v_mul_f64 v[42:43], v[152:153], v[82:83]
	v_fmac_f64_e32 v[40:41], v[142:143], v[76:77]
	v_add_f64 v[0:1], v[0:1], v[38:39]
	;; [unrolled: 4-line block ×3, first 2 shown]
	s_waitcnt vmcnt(20) lgkmcnt(13)
	v_mul_f64 v[46:47], v[176:177], v[94:95]
	v_fmac_f64_e32 v[44:45], v[166:167], v[84:85]
	v_add_f64 v[0:1], v[0:1], v[42:43]
	s_waitcnt vmcnt(19) lgkmcnt(12)
	v_mul_f64 v[48:49], v[188:189], v[98:99]
	v_fmac_f64_e32 v[46:47], v[178:179], v[92:93]
	v_add_f64 v[0:1], v[0:1], v[44:45]
	;; [unrolled: 4-line block ×9, first 2 shown]
	v_add_f64 v[0:1], v[0:1], v[104:105]
	v_fmac_f64_e32 v[106:107], v[222:223], v[168:169]
	s_waitcnt vmcnt(11) lgkmcnt(4)
	v_mul_f64 v[40:41], v[224:225], v[174:175]
	v_add_f64 v[0:1], v[0:1], v[106:107]
	v_fmac_f64_e32 v[40:41], v[226:227], v[172:173]
	scratch_load_dwordx4 v[36:39], off, off offset:608
	v_add_f64 v[0:1], v[0:1], v[40:41]
	s_waitcnt vmcnt(11) lgkmcnt(3)
	v_mul_f64 v[40:41], v[228:229], v[182:183]
	v_fmac_f64_e32 v[40:41], v[230:231], v[180:181]
	s_waitcnt vmcnt(10) lgkmcnt(2)
	v_mul_f64 v[44:45], v[242:243], v[186:187]
	v_add_f64 v[0:1], v[0:1], v[40:41]
	v_fmac_f64_e32 v[44:45], v[244:245], v[184:185]
	scratch_load_dwordx4 v[40:43], off, off offset:624
	ds_read_b128 v[88:91], v2 offset:1376
	v_add_f64 v[0:1], v[0:1], v[44:45]
	s_waitcnt vmcnt(10) lgkmcnt(2)
	v_mul_f64 v[44:45], v[246:247], v[194:195]
	v_fmac_f64_e32 v[44:45], v[248:249], v[192:193]
	v_add_f64 v[0:1], v[0:1], v[44:45]
	scratch_load_dwordx4 v[44:47], off, off offset:640
	ds_read_b128 v[104:107], v2 offset:1392
	s_waitcnt vmcnt(10) lgkmcnt(1)
	v_mul_f64 v[48:49], v[88:89], v[6:7]
	v_accvgpr_write_b32 a119, v7
	v_fmac_f64_e32 v[48:49], v[90:91], v[4:5]
	v_accvgpr_write_b32 a118, v6
	v_accvgpr_write_b32 a117, v5
	;; [unrolled: 1-line block ×3, first 2 shown]
	s_waitcnt vmcnt(9)
	v_mov_b64_e32 v[4:5], v[8:9]
	v_add_f64 v[0:1], v[0:1], v[48:49]
	scratch_load_dwordx4 v[48:51], off, off offset:656
	v_mov_b64_e32 v[6:7], v[10:11]
	s_waitcnt lgkmcnt(0)
	v_mul_f64 v[52:53], v[104:105], v[6:7]
	v_fmac_f64_e32 v[52:53], v[106:107], v[4:5]
	v_add_f64 v[0:1], v[0:1], v[52:53]
	scratch_load_dwordx4 v[52:55], off, off offset:672
	v_mul_f64 v[58:59], v[118:119], v[58:59]
	s_waitcnt vmcnt(10)
	v_mov_b64_e32 v[4:5], v[12:13]
	v_fma_f64 v[240:241], v[116:117], v[56:57], -v[58:59]
	scratch_load_dwordx4 v[56:59], off, off offset:688
	v_mov_b64_e32 v[6:7], v[14:15]
	v_mul_f64 v[112:113], v[108:109], v[6:7]
	v_fmac_f64_e32 v[112:113], v[110:111], v[4:5]
	v_add_f64 v[0:1], v[0:1], v[112:113]
	ds_read_b128 v[112:115], v2 offset:1424
	ds_read_b128 v[116:119], v2 offset:1440
	v_mul_f64 v[62:63], v[122:123], v[62:63]
	v_fma_f64 v[250:251], v[120:121], v[60:61], -v[62:63]
	scratch_load_dwordx4 v[60:63], off, off offset:704
	s_waitcnt vmcnt(11)
	v_mov_b64_e32 v[4:5], v[16:17]
	v_mul_f64 v[66:67], v[126:127], v[66:67]
	v_mov_b64_e32 v[6:7], v[18:19]
	v_fma_f64 v[252:253], v[124:125], v[64:65], -v[66:67]
	scratch_load_dwordx4 v[64:67], off, off offset:720
	s_waitcnt lgkmcnt(1)
	v_mul_f64 v[120:121], v[112:113], v[6:7]
	v_fmac_f64_e32 v[120:121], v[114:115], v[4:5]
	s_waitcnt vmcnt(11)
	v_mov_b64_e32 v[4:5], v[20:21]
	v_mov_b64_e32 v[6:7], v[22:23]
	v_add_f64 v[0:1], v[0:1], v[120:121]
	s_waitcnt lgkmcnt(0)
	v_mul_f64 v[120:121], v[116:117], v[6:7]
	v_fmac_f64_e32 v[120:121], v[118:119], v[4:5]
	v_mul_f64 v[70:71], v[130:131], v[70:71]
	v_add_f64 v[0:1], v[0:1], v[120:121]
	v_fma_f64 v[254:255], v[128:129], v[68:69], -v[70:71]
	scratch_load_dwordx4 v[68:71], off, off offset:736
	ds_read_b128 v[120:123], v2 offset:1456
	ds_read_b128 v[124:127], v2 offset:1472
	v_mul_f64 v[74:75], v[134:135], v[74:75]
	v_accvgpr_write_b32 a123, v11
	v_fma_f64 v[232:233], v[132:133], v[72:73], -v[74:75]
	scratch_load_dwordx4 v[72:75], off, off offset:752
	v_accvgpr_write_b32 a122, v10
	v_accvgpr_write_b32 a121, v9
	;; [unrolled: 1-line block ×3, first 2 shown]
	v_mul_f64 v[78:79], v[142:143], v[78:79]
	s_waitcnt vmcnt(12)
	v_mov_b64_e32 v[8:9], v[24:25]
	v_fma_f64 v[28:29], v[140:141], v[76:77], -v[78:79]
	v_mov_b64_e32 v[10:11], v[26:27]
	scratch_load_dwordx4 v[76:79], off, off offset:768
	s_waitcnt lgkmcnt(1)
	v_mul_f64 v[6:7], v[120:121], v[10:11]
	v_fmac_f64_e32 v[6:7], v[122:123], v[8:9]
	v_accvgpr_write_b32 a139, v27
	v_add_f64 v[0:1], v[0:1], v[6:7]
	v_mul_f64 v[6:7], v[154:155], v[82:83]
	v_accvgpr_write_b32 a138, v26
	v_accvgpr_write_b32 a137, v25
	;; [unrolled: 1-line block ×3, first 2 shown]
	v_fma_f64 v[24:25], v[152:153], v[80:81], -v[6:7]
	s_waitcnt vmcnt(12) lgkmcnt(0)
	v_mul_f64 v[6:7], v[124:125], v[236:237]
	v_fmac_f64_e32 v[6:7], v[126:127], v[234:235]
	scratch_load_dwordx4 v[80:83], off, off offset:784
	v_accvgpr_write_b32 a135, v23
	v_add_f64 v[0:1], v[0:1], v[6:7]
	v_mul_f64 v[6:7], v[166:167], v[86:87]
	v_accvgpr_write_b32 a134, v22
	v_accvgpr_write_b32 a133, v21
	;; [unrolled: 1-line block ×3, first 2 shown]
	v_fma_f64 v[20:21], v[164:165], v[84:85], -v[6:7]
	scratch_load_dwordx4 v[84:87], off, off offset:800
	ds_read_b128 v[132:135], v2 offset:1488
	ds_read_b128 v[128:131], v2 offset:1504
	v_accvgpr_write_b32 a131, v19
	v_mul_f64 v[6:7], v[178:179], v[94:95]
	v_accvgpr_write_b32 a127, v15
	v_accvgpr_write_b32 a130, v18
	;; [unrolled: 1-line block ×4, first 2 shown]
	v_fma_f64 v[16:17], v[176:177], v[92:93], -v[6:7]
	v_mul_f64 v[6:7], v[190:191], v[98:99]
	v_accvgpr_write_b32 a126, v14
	v_accvgpr_write_b32 a125, v13
	;; [unrolled: 1-line block ×3, first 2 shown]
	v_fma_f64 v[14:15], v[188:189], v[96:97], -v[6:7]
	scratch_load_dwordx4 v[96:99], off, off offset:816
	scratch_load_dwordx4 v[92:95], off, off offset:832
	s_waitcnt vmcnt(15) lgkmcnt(1)
	v_mul_f64 v[6:7], v[132:133], v[34:35]
	v_fmac_f64_e32 v[6:7], v[134:135], v[32:33]
	v_add_f64 v[0:1], v[0:1], v[6:7]
	v_mul_f64 v[6:7], v[198:199], v[102:103]
	v_fma_f64 v[12:13], v[196:197], v[100:101], -v[6:7]
	scratch_load_dwordx4 v[100:103], off, off offset:848
	v_mul_f64 v[6:7], v[202:203], v[138:139]
	v_fma_f64 v[18:19], v[200:201], v[136:137], -v[6:7]
	ds_read_b128 v[136:139], v2 offset:1520
	ds_read_b128 v[140:143], v2 offset:1536
	s_waitcnt vmcnt(15) lgkmcnt(2)
	v_mul_f64 v[6:7], v[128:129], v[38:39]
	v_fmac_f64_e32 v[6:7], v[130:131], v[36:37]
	v_add_f64 v[0:1], v[0:1], v[6:7]
	s_waitcnt vmcnt(14) lgkmcnt(1)
	v_mul_f64 v[6:7], v[136:137], v[42:43]
	v_fmac_f64_e32 v[6:7], v[138:139], v[40:41]
	v_add_f64 v[0:1], v[0:1], v[6:7]
	v_mul_f64 v[6:7], v[206:207], v[146:147]
	v_fma_f64 v[10:11], v[204:205], v[144:145], -v[6:7]
	ds_read_b128 v[144:147], v2 offset:1552
	s_waitcnt vmcnt(13) lgkmcnt(1)
	v_mul_f64 v[6:7], v[140:141], v[46:47]
	v_fmac_f64_e32 v[6:7], v[142:143], v[44:45]
	v_add_f64 v[0:1], v[0:1], v[6:7]
	v_mul_f64 v[6:7], v[210:211], v[150:151]
	v_fma_f64 v[22:23], v[208:209], v[148:149], -v[6:7]
	ds_read_b128 v[148:151], v2 offset:1568
	s_waitcnt vmcnt(12) lgkmcnt(1)
	v_mul_f64 v[6:7], v[144:145], v[50:51]
	ds_read_b128 v[152:155], v2 offset:1584
	v_fmac_f64_e32 v[6:7], v[146:147], v[48:49]
	v_add_f64 v[0:1], v[0:1], v[6:7]
	v_mul_f64 v[6:7], v[214:215], v[158:159]
	v_fma_f64 v[8:9], v[212:213], v[156:157], -v[6:7]
	s_waitcnt vmcnt(11) lgkmcnt(1)
	v_mul_f64 v[6:7], v[148:149], v[54:55]
	v_fmac_f64_e32 v[6:7], v[150:151], v[52:53]
	ds_read_b128 v[156:159], v2 offset:1600
	v_add_f64 v[0:1], v[0:1], v[6:7]
	s_waitcnt vmcnt(10) lgkmcnt(1)
	v_mul_f64 v[6:7], v[152:153], v[58:59]
	v_fmac_f64_e32 v[6:7], v[154:155], v[56:57]
	v_add_f64 v[0:1], v[0:1], v[6:7]
	v_mul_f64 v[6:7], v[218:219], v[162:163]
	v_fma_f64 v[26:27], v[216:217], v[160:161], -v[6:7]
	ds_read_b128 v[160:163], v2 offset:1616
	ds_read_b128 v[164:167], v2 offset:1632
	s_waitcnt vmcnt(9) lgkmcnt(2)
	v_mul_f64 v[6:7], v[156:157], v[62:63]
	v_fmac_f64_e32 v[6:7], v[158:159], v[60:61]
	v_add_f64 v[0:1], v[0:1], v[6:7]
	s_waitcnt vmcnt(8) lgkmcnt(1)
	v_mul_f64 v[6:7], v[160:161], v[66:67]
	v_fmac_f64_e32 v[6:7], v[162:163], v[64:65]
	v_add_f64 v[0:1], v[0:1], v[6:7]
	v_mul_f64 v[6:7], v[222:223], v[170:171]
	v_fma_f64 v[4:5], v[220:221], v[168:169], -v[6:7]
	ds_read_b128 v[168:171], v2 offset:1648
	v_mul_f64 v[6:7], v[226:227], v[174:175]
	v_fma_f64 v[6:7], v[224:225], v[172:173], -v[6:7]
	ds_read_b128 v[172:175], v2 offset:1664
	s_waitcnt vmcnt(7) lgkmcnt(2)
	v_mul_f64 v[30:31], v[164:165], v[70:71]
	v_fmac_f64_e32 v[30:31], v[166:167], v[68:69]
	v_add_f64 v[0:1], v[0:1], v[30:31]
	s_waitcnt vmcnt(6) lgkmcnt(1)
	v_mul_f64 v[30:31], v[168:169], v[74:75]
	v_fmac_f64_e32 v[30:31], v[170:171], v[72:73]
	v_add_f64 v[0:1], v[0:1], v[30:31]
	s_waitcnt vmcnt(5) lgkmcnt(0)
	v_mul_f64 v[30:31], v[172:173], v[78:79]
	ds_read_b128 v[176:179], v2 offset:1680
	v_fmac_f64_e32 v[30:31], v[174:175], v[76:77]
	v_add_f64 v[30:31], v[0:1], v[30:31]
	v_mul_f64 v[0:1], v[230:231], v[182:183]
	v_fma_f64 v[0:1], v[228:229], v[180:181], -v[0:1]
	ds_read_b128 v[180:183], v2 offset:1696
	v_mul_f64 v[186:187], v[244:245], v[186:187]
	s_waitcnt vmcnt(4) lgkmcnt(1)
	v_mul_f64 v[188:189], v[176:177], v[82:83]
	v_fma_f64 v[238:239], v[242:243], v[184:185], -v[186:187]
	ds_read_b128 v[184:187], v2 offset:1712
	v_fmac_f64_e32 v[188:189], v[178:179], v[80:81]
	v_add_f64 v[30:31], v[30:31], v[188:189]
	ds_read_b128 v[188:191], v2 offset:1728
	s_waitcnt vmcnt(3) lgkmcnt(2)
	v_mul_f64 v[196:197], v[180:181], v[86:87]
	v_mul_f64 v[194:195], v[248:249], v[194:195]
	v_fmac_f64_e32 v[196:197], v[182:183], v[84:85]
	v_fma_f64 v[242:243], v[246:247], v[192:193], -v[194:195]
	ds_read_b128 v[192:195], v2 offset:1744
	ds_read_b128 v[200:203], v2 offset:1760
	v_add_f64 v[30:31], v[30:31], v[196:197]
	s_waitcnt vmcnt(2) lgkmcnt(3)
	v_mul_f64 v[196:197], v[184:185], v[98:99]
	v_fmac_f64_e32 v[196:197], v[186:187], v[96:97]
	v_add_f64 v[30:31], v[30:31], v[196:197]
	s_waitcnt vmcnt(1) lgkmcnt(2)
	v_mul_f64 v[196:197], v[188:189], v[94:95]
	v_fmac_f64_e32 v[196:197], v[190:191], v[92:93]
	;; [unrolled: 4-line block ×3, first 2 shown]
	v_add_f64 v[30:31], v[30:31], v[196:197]
	scratch_load_dwordx4 v[196:199], off, off offset:864
	ds_read_b128 v[208:211], v2 offset:1776
	ds_read_b128 v[216:219], v2 offset:1792
	;; [unrolled: 1-line block ×3, first 2 shown]
	s_waitcnt vmcnt(0) lgkmcnt(3)
	v_mul_f64 v[204:205], v[200:201], v[198:199]
	v_fmac_f64_e32 v[204:205], v[202:203], v[196:197]
	v_add_f64 v[30:31], v[30:31], v[204:205]
	scratch_load_dwordx4 v[204:207], off, off offset:880
	s_waitcnt vmcnt(0) lgkmcnt(2)
	v_mul_f64 v[212:213], v[208:209], v[206:207]
	v_fmac_f64_e32 v[212:213], v[210:211], v[204:205]
	v_add_f64 v[30:31], v[30:31], v[212:213]
	scratch_load_dwordx4 v[212:215], off, off offset:896
	;; [unrolled: 5-line block ×3, first 2 shown]
	s_waitcnt vmcnt(0) lgkmcnt(0)
	v_mul_f64 v[228:229], v[224:225], v[222:223]
	v_fmac_f64_e32 v[228:229], v[226:227], v[220:221]
	v_add_f64 v[246:247], v[30:31], v[228:229]
	v_add_f64 v[30:31], v[240:241], 0
	;; [unrolled: 1-line block ×3, first 2 shown]
	scratch_load_dwordx4 v[228:231], off, off offset:128
	v_add_f64 v[30:31], v[30:31], v[252:253]
	v_add_f64 v[30:31], v[30:31], v[254:255]
	;; [unrolled: 1-line block ×16, first 2 shown]
	v_accvgpr_read_b32 v6, a116
	v_accvgpr_read_b32 v8, a118
	;; [unrolled: 1-line block ×3, first 2 shown]
	v_add_f64 v[0:1], v[4:5], v[0:1]
	v_accvgpr_read_b32 v7, a117
	v_mul_f64 v[4:5], v[90:91], v[8:9]
	v_add_f64 v[0:1], v[0:1], v[238:239]
	v_fma_f64 v[4:5], v[88:89], v[6:7], -v[4:5]
	v_accvgpr_read_b32 v6, a120
	v_add_f64 v[0:1], v[0:1], v[242:243]
	v_accvgpr_read_b32 v8, a122
	v_accvgpr_read_b32 v9, a123
	v_add_f64 v[0:1], v[0:1], v[4:5]
	v_accvgpr_read_b32 v7, a121
	v_mul_f64 v[4:5], v[106:107], v[8:9]
	v_fma_f64 v[4:5], v[104:105], v[6:7], -v[4:5]
	v_accvgpr_read_b32 v6, a124
	v_accvgpr_read_b32 v8, a126
	v_accvgpr_read_b32 v9, a127
	v_add_f64 v[0:1], v[0:1], v[4:5]
	v_accvgpr_read_b32 v7, a125
	v_mul_f64 v[4:5], v[110:111], v[8:9]
	v_fma_f64 v[4:5], v[108:109], v[6:7], -v[4:5]
	v_accvgpr_read_b32 v6, a128
	;; [unrolled: 7-line block ×4, first 2 shown]
	v_accvgpr_read_b32 v8, a138
	v_accvgpr_read_b32 v9, a139
	v_add_f64 v[0:1], v[0:1], v[4:5]
	v_accvgpr_read_b32 v7, a137
	v_mul_f64 v[4:5], v[122:123], v[8:9]
	v_fma_f64 v[4:5], v[120:121], v[6:7], -v[4:5]
	v_add_f64 v[0:1], v[0:1], v[4:5]
	v_mul_f64 v[4:5], v[126:127], v[236:237]
	v_fma_f64 v[4:5], v[124:125], v[234:235], -v[4:5]
	v_add_f64 v[0:1], v[0:1], v[4:5]
	;; [unrolled: 3-line block ×23, first 2 shown]
	s_waitcnt vmcnt(0)
	v_add_f64 v[4:5], v[228:229], -v[0:1]
	v_accvgpr_read_b32 v0, a114
	v_add_f64 v[6:7], v[230:231], -v[246:247]
	v_cmp_lt_u32_e32 vcc, 6, v0
	scratch_store_dwordx4 off, v[4:7], off offset:128
	s_and_saveexec_b64 s[0:1], vcc
	s_cbranch_execz .LBB56_343
; %bb.342:
	scratch_load_dwordx4 v[6:9], off, s43
	v_mov_b32_e32 v3, v2
	v_mov_b32_e32 v4, v2
	;; [unrolled: 1-line block ×3, first 2 shown]
	v_accvgpr_read_b32 v0, a115
	scratch_store_dwordx4 off, v[2:5], off offset:112
	s_waitcnt vmcnt(1)
	ds_write_b128 v0, v[6:9]
.LBB56_343:
	s_or_b64 exec, exec, s[0:1]
	s_waitcnt lgkmcnt(0)
	; wave barrier
	scratch_load_dwordx4 v[56:59], off, off offset:128
	scratch_load_dwordx4 v[60:63], off, off offset:144
	;; [unrolled: 1-line block ×18, first 2 shown]
	ds_read_b128 v[116:119], v2 offset:1024
	ds_read_b128 v[220:223], v2 offset:1040
	;; [unrolled: 1-line block ×6, first 2 shown]
	scratch_load_dwordx4 v[180:183], off, off offset:416
	ds_read_b128 v[204:207], v2 offset:1120
	ds_read_b128 v[132:135], v2 offset:1136
	scratch_load_dwordx4 v[184:187], off, off offset:432
	ds_read_b128 v[224:227], v2 offset:1152
	ds_read_b128 v[216:219], v2 offset:1168
	;; [unrolled: 1-line block ×5, first 2 shown]
	scratch_load_dwordx4 v[192:195], off, off offset:448
	ds_read_b128 v[200:203], v2 offset:1232
	ds_read_b128 v[164:167], v2 offset:1248
	scratch_load_dwordx4 v[4:7], off, off offset:464
	ds_read_b128 v[212:215], v2 offset:1264
	ds_read_b128 v[188:191], v2 offset:1280
	;; [unrolled: 1-line block ×3, first 2 shown]
	scratch_load_dwordx4 v[8:11], off, off offset:480
	scratch_load_dwordx4 v[12:15], off, off offset:496
	;; [unrolled: 1-line block ×6, first 2 shown]
	ds_read_b128 v[228:231], v2 offset:1312
	ds_read_b128 v[232:235], v2 offset:1328
	;; [unrolled: 1-line block ×4, first 2 shown]
	s_waitcnt vmcnt(27) lgkmcnt(14)
	v_mul_f64 v[0:1], v[116:117], v[58:59]
	s_waitcnt vmcnt(26)
	v_mul_f64 v[32:33], v[220:221], v[62:63]
	v_fmac_f64_e32 v[0:1], v[118:119], v[56:57]
	s_waitcnt vmcnt(25)
	v_mul_f64 v[34:35], v[208:209], v[66:67]
	v_fmac_f64_e32 v[32:33], v[222:223], v[60:61]
	v_add_f64 v[0:1], v[0:1], 0
	v_fmac_f64_e32 v[34:35], v[210:211], v[64:65]
	v_add_f64 v[0:1], v[0:1], v[32:33]
	v_add_f64 v[0:1], v[0:1], v[34:35]
	scratch_load_dwordx4 v[32:35], off, off offset:576
	s_waitcnt vmcnt(25)
	v_mul_f64 v[36:37], v[120:121], v[70:71]
	s_waitcnt vmcnt(24)
	v_mul_f64 v[38:39], v[128:129], v[74:75]
	v_fmac_f64_e32 v[36:37], v[122:123], v[68:69]
	s_waitcnt vmcnt(23)
	v_mul_f64 v[40:41], v[124:125], v[78:79]
	v_fmac_f64_e32 v[38:39], v[130:131], v[72:73]
	v_add_f64 v[0:1], v[0:1], v[36:37]
	s_waitcnt vmcnt(22)
	v_mul_f64 v[42:43], v[204:205], v[82:83]
	v_fmac_f64_e32 v[40:41], v[126:127], v[76:77]
	v_add_f64 v[0:1], v[0:1], v[38:39]
	;; [unrolled: 4-line block ×3, first 2 shown]
	s_waitcnt vmcnt(20) lgkmcnt(13)
	v_mul_f64 v[46:47], v[224:225], v[94:95]
	v_fmac_f64_e32 v[44:45], v[134:135], v[84:85]
	v_add_f64 v[0:1], v[0:1], v[42:43]
	s_waitcnt vmcnt(19) lgkmcnt(12)
	v_mul_f64 v[48:49], v[216:217], v[98:99]
	v_fmac_f64_e32 v[46:47], v[226:227], v[92:93]
	v_add_f64 v[0:1], v[0:1], v[44:45]
	;; [unrolled: 4-line block ×9, first 2 shown]
	v_fmac_f64_e32 v[106:107], v[190:191], v[168:169]
	v_add_f64 v[0:1], v[0:1], v[104:105]
	s_waitcnt vmcnt(11) lgkmcnt(4)
	v_mul_f64 v[40:41], v[176:177], v[174:175]
	v_add_f64 v[0:1], v[0:1], v[106:107]
	v_fmac_f64_e32 v[40:41], v[178:179], v[172:173]
	scratch_load_dwordx4 v[36:39], off, off offset:592
	v_add_f64 v[0:1], v[0:1], v[40:41]
	s_waitcnt vmcnt(11) lgkmcnt(3)
	v_mul_f64 v[40:41], v[228:229], v[182:183]
	v_fmac_f64_e32 v[40:41], v[230:231], v[180:181]
	v_add_f64 v[0:1], v[0:1], v[40:41]
	scratch_load_dwordx4 v[40:43], off, off offset:608
	ds_read_b128 v[88:91], v2 offset:1360
	s_waitcnt vmcnt(11) lgkmcnt(3)
	v_mul_f64 v[44:45], v[232:233], v[186:187]
	v_fmac_f64_e32 v[44:45], v[234:235], v[184:185]
	v_add_f64 v[0:1], v[0:1], v[44:45]
	s_waitcnt vmcnt(10) lgkmcnt(2)
	v_mul_f64 v[44:45], v[236:237], v[194:195]
	v_fmac_f64_e32 v[44:45], v[238:239], v[192:193]
	s_waitcnt vmcnt(9) lgkmcnt(0)
	v_mul_f64 v[48:49], v[88:89], v[6:7]
	ds_read_b128 v[104:107], v2 offset:1376
	v_add_f64 v[0:1], v[0:1], v[44:45]
	scratch_load_dwordx4 v[44:47], off, off offset:624
	v_fmac_f64_e32 v[48:49], v[90:91], v[4:5]
	v_accvgpr_write_b32 a119, v7
	v_add_f64 v[0:1], v[0:1], v[48:49]
	scratch_load_dwordx4 v[48:51], off, off offset:640
	v_accvgpr_write_b32 a118, v6
	v_accvgpr_write_b32 a117, v5
	;; [unrolled: 1-line block ×3, first 2 shown]
	s_waitcnt vmcnt(10)
	v_mov_b64_e32 v[4:5], v[8:9]
	v_mov_b64_e32 v[6:7], v[10:11]
	s_waitcnt lgkmcnt(0)
	v_mul_f64 v[52:53], v[104:105], v[6:7]
	v_fmac_f64_e32 v[52:53], v[106:107], v[4:5]
	v_add_f64 v[0:1], v[0:1], v[52:53]
	scratch_load_dwordx4 v[52:55], off, off offset:656
	v_mul_f64 v[58:59], v[118:119], v[58:59]
	v_fma_f64 v[240:241], v[116:117], v[56:57], -v[58:59]
	scratch_load_dwordx4 v[56:59], off, off offset:672
	v_mul_f64 v[62:63], v[222:223], v[62:63]
	v_fma_f64 v[246:247], v[220:221], v[60:61], -v[62:63]
	scratch_load_dwordx4 v[60:63], off, off offset:688
	s_waitcnt vmcnt(12)
	v_mov_b64_e32 v[4:5], v[12:13]
	v_mul_f64 v[66:67], v[210:211], v[66:67]
	v_mov_b64_e32 v[6:7], v[14:15]
	v_fma_f64 v[248:249], v[208:209], v[64:65], -v[66:67]
	scratch_load_dwordx4 v[64:67], off, off offset:704
	v_mul_f64 v[112:113], v[108:109], v[6:7]
	v_fmac_f64_e32 v[112:113], v[110:111], v[4:5]
	v_add_f64 v[0:1], v[0:1], v[112:113]
	ds_read_b128 v[112:115], v2 offset:1408
	ds_read_b128 v[116:119], v2 offset:1424
	s_waitcnt vmcnt(12)
	v_mov_b64_e32 v[4:5], v[16:17]
	v_mul_f64 v[70:71], v[122:123], v[70:71]
	v_mov_b64_e32 v[6:7], v[18:19]
	v_fma_f64 v[250:251], v[120:121], v[68:69], -v[70:71]
	scratch_load_dwordx4 v[68:71], off, off offset:720
	v_mul_f64 v[74:75], v[130:131], v[74:75]
	s_waitcnt lgkmcnt(1)
	v_mul_f64 v[220:221], v[112:113], v[6:7]
	v_fma_f64 v[252:253], v[128:129], v[72:73], -v[74:75]
	scratch_load_dwordx4 v[72:75], off, off offset:736
	v_fmac_f64_e32 v[220:221], v[114:115], v[4:5]
	s_waitcnt vmcnt(13)
	v_mov_b64_e32 v[4:5], v[20:21]
	ds_read_b128 v[120:123], v2 offset:1440
	v_mul_f64 v[78:79], v[126:127], v[78:79]
	v_mov_b64_e32 v[6:7], v[22:23]
	v_fma_f64 v[254:255], v[124:125], v[76:77], -v[78:79]
	scratch_load_dwordx4 v[76:79], off, off offset:752
	s_waitcnt lgkmcnt(1)
	v_mul_f64 v[208:209], v[116:117], v[6:7]
	ds_read_b128 v[124:127], v2 offset:1456
	v_fmac_f64_e32 v[208:209], v[118:119], v[4:5]
	s_waitcnt vmcnt(13)
	v_mov_b64_e32 v[4:5], v[24:25]
	v_mul_f64 v[82:83], v[206:207], v[82:83]
	v_mov_b64_e32 v[6:7], v[26:27]
	v_fma_f64 v[242:243], v[204:205], v[80:81], -v[82:83]
	scratch_load_dwordx4 v[80:83], off, off offset:768
	v_add_f64 v[0:1], v[0:1], v[220:221]
	s_waitcnt lgkmcnt(1)
	v_mul_f64 v[128:129], v[120:121], v[6:7]
	v_add_f64 v[0:1], v[0:1], v[208:209]
	v_fmac_f64_e32 v[128:129], v[122:123], v[4:5]
	v_add_f64 v[0:1], v[0:1], v[128:129]
	s_waitcnt vmcnt(13) lgkmcnt(0)
	v_mul_f64 v[128:129], v[124:125], v[30:31]
	v_accvgpr_write_b32 a139, v27
	v_fmac_f64_e32 v[128:129], v[126:127], v[28:29]
	v_mul_f64 v[86:87], v[134:135], v[86:87]
	v_accvgpr_write_b32 a138, v26
	v_accvgpr_write_b32 a137, v25
	;; [unrolled: 1-line block ×3, first 2 shown]
	v_add_f64 v[0:1], v[0:1], v[128:129]
	v_fma_f64 v[24:25], v[132:133], v[84:85], -v[86:87]
	scratch_load_dwordx4 v[84:87], off, off offset:784
	ds_read_b128 v[132:135], v2 offset:1472
	ds_read_b128 v[128:131], v2 offset:1488
	v_accvgpr_write_b32 a135, v23
	v_mul_f64 v[6:7], v[226:227], v[94:95]
	v_accvgpr_write_b32 a131, v19
	v_accvgpr_write_b32 a134, v22
	;; [unrolled: 1-line block ×4, first 2 shown]
	v_fma_f64 v[20:21], v[224:225], v[92:93], -v[6:7]
	v_mul_f64 v[92:93], v[218:219], v[98:99]
	v_accvgpr_write_b32 a123, v11
	v_accvgpr_write_b32 a130, v18
	;; [unrolled: 1-line block ×4, first 2 shown]
	v_fma_f64 v[16:17], v[216:217], v[96:97], -v[92:93]
	scratch_load_dwordx4 v[96:99], off, off offset:800
	scratch_load_dwordx4 v[92:95], off, off offset:816
	v_accvgpr_write_b32 a122, v10
	v_accvgpr_write_b32 a121, v9
	;; [unrolled: 1-line block ×3, first 2 shown]
	s_waitcnt vmcnt(15) lgkmcnt(1)
	v_mul_f64 v[10:11], v[132:133], v[34:35]
	v_fmac_f64_e32 v[10:11], v[134:135], v[32:33]
	v_accvgpr_write_b32 a127, v15
	v_add_f64 v[0:1], v[0:1], v[10:11]
	v_mul_f64 v[10:11], v[198:199], v[102:103]
	v_accvgpr_write_b32 a126, v14
	v_accvgpr_write_b32 a125, v13
	;; [unrolled: 1-line block ×3, first 2 shown]
	v_fma_f64 v[12:13], v[196:197], v[100:101], -v[10:11]
	scratch_load_dwordx4 v[100:103], off, off offset:832
	v_mul_f64 v[138:139], v[142:143], v[138:139]
	v_fma_f64 v[10:11], v[140:141], v[136:137], -v[138:139]
	ds_read_b128 v[136:139], v2 offset:1504
	ds_read_b128 v[140:143], v2 offset:1520
	s_waitcnt vmcnt(15) lgkmcnt(2)
	v_mul_f64 v[14:15], v[128:129], v[38:39]
	v_fmac_f64_e32 v[14:15], v[130:131], v[36:37]
	v_add_f64 v[0:1], v[0:1], v[14:15]
	s_waitcnt vmcnt(14) lgkmcnt(1)
	v_mul_f64 v[14:15], v[136:137], v[42:43]
	v_fmac_f64_e32 v[14:15], v[138:139], v[40:41]
	v_add_f64 v[0:1], v[0:1], v[14:15]
	v_mul_f64 v[14:15], v[154:155], v[146:147]
	v_fma_f64 v[14:15], v[152:153], v[144:145], -v[14:15]
	ds_read_b128 v[144:147], v2 offset:1536
	s_waitcnt vmcnt(13) lgkmcnt(1)
	v_mul_f64 v[152:153], v[140:141], v[46:47]
	v_mul_f64 v[150:151], v[202:203], v[150:151]
	v_fmac_f64_e32 v[152:153], v[142:143], v[44:45]
	v_fma_f64 v[8:9], v[200:201], v[148:149], -v[150:151]
	ds_read_b128 v[148:151], v2 offset:1552
	s_waitcnt vmcnt(12) lgkmcnt(1)
	v_mul_f64 v[18:19], v[144:145], v[50:51]
	v_add_f64 v[0:1], v[0:1], v[152:153]
	v_fmac_f64_e32 v[18:19], v[146:147], v[48:49]
	v_add_f64 v[0:1], v[0:1], v[18:19]
	ds_read_b128 v[152:155], v2 offset:1568
	v_mul_f64 v[18:19], v[166:167], v[158:159]
	v_fma_f64 v[18:19], v[164:165], v[156:157], -v[18:19]
	ds_read_b128 v[156:159], v2 offset:1584
	v_mul_f64 v[162:163], v[214:215], v[162:163]
	s_waitcnt vmcnt(11) lgkmcnt(2)
	v_mul_f64 v[164:165], v[148:149], v[54:55]
	v_fma_f64 v[6:7], v[212:213], v[160:161], -v[162:163]
	ds_read_b128 v[160:163], v2 offset:1600
	v_fmac_f64_e32 v[164:165], v[150:151], v[52:53]
	v_add_f64 v[0:1], v[0:1], v[164:165]
	s_waitcnt vmcnt(10) lgkmcnt(2)
	v_mul_f64 v[164:165], v[152:153], v[58:59]
	v_fmac_f64_e32 v[164:165], v[154:155], v[56:57]
	s_waitcnt vmcnt(9) lgkmcnt(1)
	v_mul_f64 v[22:23], v[156:157], v[62:63]
	v_add_f64 v[0:1], v[0:1], v[164:165]
	v_fmac_f64_e32 v[22:23], v[158:159], v[60:61]
	v_add_f64 v[0:1], v[0:1], v[22:23]
	ds_read_b128 v[164:167], v2 offset:1616
	s_waitcnt vmcnt(8) lgkmcnt(1)
	v_mul_f64 v[22:23], v[160:161], v[66:67]
	v_fmac_f64_e32 v[22:23], v[162:163], v[64:65]
	v_add_f64 v[0:1], v[0:1], v[22:23]
	v_mul_f64 v[22:23], v[190:191], v[170:171]
	v_fma_f64 v[22:23], v[188:189], v[168:169], -v[22:23]
	ds_read_b128 v[168:171], v2 offset:1632
	v_mul_f64 v[174:175], v[178:179], v[174:175]
	v_fma_f64 v[4:5], v[176:177], v[172:173], -v[174:175]
	ds_read_b128 v[172:175], v2 offset:1648
	s_waitcnt vmcnt(7) lgkmcnt(2)
	v_mul_f64 v[188:189], v[164:165], v[70:71]
	v_fmac_f64_e32 v[188:189], v[166:167], v[68:69]
	s_waitcnt vmcnt(6) lgkmcnt(1)
	v_mul_f64 v[26:27], v[168:169], v[74:75]
	ds_read_b128 v[176:179], v2 offset:1664
	v_add_f64 v[0:1], v[0:1], v[188:189]
	v_fmac_f64_e32 v[26:27], v[170:171], v[72:73]
	v_add_f64 v[0:1], v[0:1], v[26:27]
	s_waitcnt vmcnt(5) lgkmcnt(1)
	v_mul_f64 v[26:27], v[172:173], v[78:79]
	v_fmac_f64_e32 v[26:27], v[174:175], v[76:77]
	v_add_f64 v[0:1], v[0:1], v[26:27]
	v_mul_f64 v[26:27], v[230:231], v[182:183]
	v_fma_f64 v[26:27], v[228:229], v[180:181], -v[26:27]
	ds_read_b128 v[180:183], v2 offset:1680
	s_waitcnt vmcnt(4) lgkmcnt(1)
	v_mul_f64 v[188:189], v[176:177], v[82:83]
	v_fmac_f64_e32 v[188:189], v[178:179], v[80:81]
	v_add_f64 v[196:197], v[0:1], v[188:189]
	v_mul_f64 v[0:1], v[234:235], v[186:187]
	v_fma_f64 v[0:1], v[232:233], v[184:185], -v[0:1]
	ds_read_b128 v[184:187], v2 offset:1696
	ds_read_b128 v[188:191], v2 offset:1712
	s_waitcnt vmcnt(3) lgkmcnt(2)
	v_mul_f64 v[198:199], v[180:181], v[86:87]
	v_mul_f64 v[194:195], v[238:239], v[194:195]
	v_fmac_f64_e32 v[198:199], v[182:183], v[84:85]
	v_fma_f64 v[244:245], v[236:237], v[192:193], -v[194:195]
	ds_read_b128 v[192:195], v2 offset:1728
	ds_read_b128 v[200:203], v2 offset:1744
	v_add_f64 v[196:197], v[196:197], v[198:199]
	s_waitcnt vmcnt(2) lgkmcnt(3)
	v_mul_f64 v[198:199], v[184:185], v[98:99]
	v_fmac_f64_e32 v[198:199], v[186:187], v[96:97]
	v_add_f64 v[196:197], v[196:197], v[198:199]
	s_waitcnt vmcnt(1) lgkmcnt(2)
	v_mul_f64 v[198:199], v[188:189], v[94:95]
	v_fmac_f64_e32 v[198:199], v[190:191], v[92:93]
	v_add_f64 v[196:197], v[196:197], v[198:199]
	scratch_load_dwordx4 v[232:235], off, off offset:912
	s_waitcnt vmcnt(1) lgkmcnt(1)
	v_mul_f64 v[198:199], v[192:193], v[102:103]
	v_fmac_f64_e32 v[198:199], v[194:195], v[100:101]
	v_add_f64 v[204:205], v[196:197], v[198:199]
	scratch_load_dwordx4 v[196:199], off, off offset:848
	ds_read_b128 v[208:211], v2 offset:1760
	ds_read_b128 v[216:219], v2 offset:1776
	;; [unrolled: 1-line block ×3, first 2 shown]
	s_waitcnt vmcnt(0) lgkmcnt(3)
	v_mul_f64 v[206:207], v[200:201], v[198:199]
	v_fmac_f64_e32 v[206:207], v[202:203], v[196:197]
	v_add_f64 v[212:213], v[204:205], v[206:207]
	scratch_load_dwordx4 v[204:207], off, off offset:864
	s_waitcnt vmcnt(0) lgkmcnt(2)
	v_mul_f64 v[214:215], v[208:209], v[206:207]
	v_fmac_f64_e32 v[214:215], v[210:211], v[204:205]
	v_add_f64 v[220:221], v[212:213], v[214:215]
	scratch_load_dwordx4 v[212:215], off, off offset:880
	;; [unrolled: 5-line block ×3, first 2 shown]
	s_waitcnt vmcnt(0) lgkmcnt(0)
	v_mul_f64 v[230:231], v[224:225], v[222:223]
	v_fmac_f64_e32 v[230:231], v[226:227], v[220:221]
	v_add_f64 v[236:237], v[228:229], v[230:231]
	ds_read_b128 v[228:231], v2 offset:1808
	s_waitcnt lgkmcnt(0)
	v_mul_f64 v[2:3], v[228:229], v[234:235]
	v_fmac_f64_e32 v[2:3], v[230:231], v[232:233]
	v_add_f64 v[2:3], v[236:237], v[2:3]
	v_add_f64 v[236:237], v[240:241], 0
	;; [unrolled: 1-line block ×9, first 2 shown]
	scratch_load_dwordx4 v[236:239], off, off offset:112
	v_add_f64 v[20:21], v[24:25], v[20:21]
	v_add_f64 v[16:17], v[20:21], v[16:17]
	;; [unrolled: 1-line block ×10, first 2 shown]
	v_accvgpr_read_b32 v6, a116
	v_accvgpr_read_b32 v8, a118
	v_accvgpr_read_b32 v9, a119
	v_add_f64 v[246:247], v[4:5], v[26:27]
	v_accvgpr_read_b32 v7, a117
	v_mul_f64 v[4:5], v[90:91], v[8:9]
	v_add_f64 v[0:1], v[246:247], v[0:1]
	v_fma_f64 v[4:5], v[88:89], v[6:7], -v[4:5]
	v_accvgpr_read_b32 v6, a120
	v_add_f64 v[0:1], v[0:1], v[244:245]
	v_accvgpr_read_b32 v8, a122
	v_accvgpr_read_b32 v9, a123
	v_add_f64 v[0:1], v[0:1], v[4:5]
	v_accvgpr_read_b32 v7, a121
	v_mul_f64 v[4:5], v[106:107], v[8:9]
	v_fma_f64 v[4:5], v[104:105], v[6:7], -v[4:5]
	v_accvgpr_read_b32 v6, a124
	v_accvgpr_read_b32 v8, a126
	v_accvgpr_read_b32 v9, a127
	v_add_f64 v[0:1], v[0:1], v[4:5]
	v_accvgpr_read_b32 v7, a125
	v_mul_f64 v[4:5], v[110:111], v[8:9]
	v_fma_f64 v[4:5], v[108:109], v[6:7], -v[4:5]
	v_accvgpr_read_b32 v6, a128
	;; [unrolled: 7-line block ×4, first 2 shown]
	v_accvgpr_read_b32 v8, a138
	v_accvgpr_read_b32 v9, a139
	v_add_f64 v[0:1], v[0:1], v[4:5]
	v_accvgpr_read_b32 v7, a137
	v_mul_f64 v[4:5], v[122:123], v[8:9]
	v_fma_f64 v[4:5], v[120:121], v[6:7], -v[4:5]
	v_add_f64 v[0:1], v[0:1], v[4:5]
	v_mul_f64 v[4:5], v[126:127], v[30:31]
	v_fma_f64 v[4:5], v[124:125], v[28:29], -v[4:5]
	v_add_f64 v[0:1], v[0:1], v[4:5]
	;; [unrolled: 3-line block ×24, first 2 shown]
	s_waitcnt vmcnt(0)
	v_add_f64 v[4:5], v[236:237], -v[0:1]
	v_accvgpr_read_b32 v0, a114
	v_add_f64 v[6:7], v[238:239], -v[2:3]
	v_cmp_lt_u32_e32 vcc, 5, v0
	scratch_store_dwordx4 off, v[4:7], off offset:112
	s_and_saveexec_b64 s[0:1], vcc
	s_cbranch_execz .LBB56_345
; %bb.344:
	scratch_load_dwordx4 v[2:5], off, s42
	v_mov_b32_e32 v6, 0
	v_mov_b32_e32 v7, v6
	;; [unrolled: 1-line block ×4, first 2 shown]
	v_accvgpr_read_b32 v0, a115
	scratch_store_dwordx4 off, v[6:9], off offset:96
	s_waitcnt vmcnt(1)
	ds_write_b128 v0, v[2:5]
.LBB56_345:
	s_or_b64 exec, exec, s[0:1]
	s_waitcnt lgkmcnt(0)
	; wave barrier
	scratch_load_dwordx4 v[48:51], off, off offset:112
	scratch_load_dwordx4 v[52:55], off, off offset:128
	scratch_load_dwordx4 v[56:59], off, off offset:144
	scratch_load_dwordx4 v[60:63], off, off offset:160
	scratch_load_dwordx4 v[64:67], off, off offset:176
	scratch_load_dwordx4 v[68:71], off, off offset:192
	scratch_load_dwordx4 v[72:75], off, off offset:208
	scratch_load_dwordx4 v[76:79], off, off offset:224
	scratch_load_dwordx4 v[80:83], off, off offset:240
	scratch_load_dwordx4 v[84:87], off, off offset:256
	scratch_load_dwordx4 v[92:95], off, off offset:272
	scratch_load_dwordx4 v[100:103], off, off offset:288
	scratch_load_dwordx4 v[108:111], off, off offset:304
	scratch_load_dwordx4 v[136:139], off, off offset:320
	scratch_load_dwordx4 v[140:143], off, off offset:336
	scratch_load_dwordx4 v[144:147], off, off offset:352
	scratch_load_dwordx4 v[152:155], off, off offset:368
	scratch_load_dwordx4 v[156:159], off, off offset:384
	scratch_load_dwordx4 v[164:167], off, off offset:400
	scratch_load_dwordx4 v[168:171], off, off offset:416
	scratch_load_dwordx4 v[176:179], off, off offset:432
	scratch_load_dwordx4 v[180:183], off, off offset:448
	scratch_load_dwordx4 v[188:191], off, off offset:464
	scratch_load_dwordx4 v[4:7], off, off offset:480
	scratch_load_dwordx4 v[8:11], off, off offset:496
	scratch_load_dwordx4 v[12:15], off, off offset:512
	scratch_load_dwordx4 v[16:19], off, off offset:528
	scratch_load_dwordx4 v[20:23], off, off offset:544
	v_mov_b32_e32 v2, 0
	ds_read_b128 v[104:107], v2 offset:1008
	ds_read_b128 v[112:115], v2 offset:1024
	ds_read_b128 v[116:119], v2 offset:1040
	ds_read_b128 v[120:123], v2 offset:1056
	ds_read_b128 v[124:127], v2 offset:1072
	ds_read_b128 v[128:131], v2 offset:1088
	ds_read_b128 v[132:135], v2 offset:1104
	ds_read_b128 v[148:151], v2 offset:1120
	ds_read_b128 v[160:163], v2 offset:1136
	ds_read_b128 v[172:175], v2 offset:1152
	ds_read_b128 v[184:187], v2 offset:1168
	ds_read_b128 v[192:195], v2 offset:1184
	ds_read_b128 v[196:199], v2 offset:1200
	ds_read_b128 v[200:203], v2 offset:1216
	ds_read_b128 v[204:207], v2 offset:1232
	ds_read_b128 v[208:211], v2 offset:1248
	ds_read_b128 v[212:215], v2 offset:1264
	ds_read_b128 v[216:219], v2 offset:1280
	scratch_load_dwordx4 a[116:119], off, off offset:560
	scratch_load_dwordx4 a[120:123], off, off offset:576
	ds_read_b128 v[220:223], v2 offset:1296
	ds_read_b128 v[224:227], v2 offset:1312
	;; [unrolled: 1-line block ×4, first 2 shown]
	scratch_load_dwordx4 v[234:237], off, off offset:592
	ds_read_b128 v[246:249], v2 offset:1360
	s_waitcnt vmcnt(30) lgkmcnt(14)
	v_mul_f64 v[0:1], v[104:105], v[50:51]
	s_waitcnt vmcnt(29)
	v_mul_f64 v[24:25], v[112:113], v[54:55]
	v_fmac_f64_e32 v[0:1], v[106:107], v[48:49]
	s_waitcnt vmcnt(28)
	v_mul_f64 v[26:27], v[116:117], v[58:59]
	v_fmac_f64_e32 v[24:25], v[114:115], v[52:53]
	v_add_f64 v[0:1], v[0:1], 0
	s_waitcnt vmcnt(27)
	v_mul_f64 v[28:29], v[120:121], v[62:63]
	v_fmac_f64_e32 v[26:27], v[118:119], v[56:57]
	v_add_f64 v[0:1], v[0:1], v[24:25]
	;; [unrolled: 4-line block ×7, first 2 shown]
	s_waitcnt vmcnt(21) lgkmcnt(13)
	v_mul_f64 v[40:41], v[172:173], v[86:87]
	v_fmac_f64_e32 v[38:39], v[162:163], v[80:81]
	v_add_f64 v[0:1], v[0:1], v[36:37]
	s_waitcnt vmcnt(20) lgkmcnt(12)
	v_mul_f64 v[42:43], v[184:185], v[94:95]
	v_fmac_f64_e32 v[40:41], v[174:175], v[84:85]
	v_add_f64 v[0:1], v[0:1], v[38:39]
	;; [unrolled: 4-line block ×8, first 2 shown]
	v_add_f64 v[0:1], v[0:1], v[96:97]
	v_fmac_f64_e32 v[98:99], v[214:215], v[152:153]
	s_waitcnt vmcnt(13) lgkmcnt(5)
	v_mul_f64 v[32:33], v[216:217], v[158:159]
	v_add_f64 v[0:1], v[0:1], v[98:99]
	v_fmac_f64_e32 v[32:33], v[218:219], v[156:157]
	v_add_f64 v[0:1], v[0:1], v[32:33]
	s_waitcnt vmcnt(12) lgkmcnt(4)
	v_mul_f64 v[32:33], v[220:221], v[166:167]
	v_fmac_f64_e32 v[32:33], v[222:223], v[164:165]
	s_waitcnt vmcnt(11) lgkmcnt(3)
	v_mul_f64 v[36:37], v[224:225], v[170:171]
	v_add_f64 v[0:1], v[0:1], v[32:33]
	v_fmac_f64_e32 v[36:37], v[226:227], v[168:169]
	v_add_f64 v[0:1], v[0:1], v[36:37]
	s_waitcnt vmcnt(10) lgkmcnt(2)
	v_mul_f64 v[36:37], v[228:229], v[178:179]
	v_fmac_f64_e32 v[36:37], v[230:231], v[176:177]
	v_add_f64 v[0:1], v[0:1], v[36:37]
	scratch_load_dwordx4 v[36:39], off, off offset:608
	s_waitcnt vmcnt(10) lgkmcnt(1)
	v_mul_f64 v[40:41], v[242:243], v[182:183]
	v_fmac_f64_e32 v[40:41], v[244:245], v[180:181]
	v_add_f64 v[0:1], v[0:1], v[40:41]
	scratch_load_dwordx4 v[40:43], off, off offset:624
	ds_read_b128 v[88:91], v2 offset:1376
	s_waitcnt vmcnt(10) lgkmcnt(1)
	v_mul_f64 v[44:45], v[246:247], v[190:191]
	v_fmac_f64_e32 v[44:45], v[248:249], v[188:189]
	v_add_f64 v[0:1], v[0:1], v[44:45]
	scratch_load_dwordx4 v[44:47], off, off offset:640
	v_mul_f64 v[50:51], v[106:107], v[50:51]
	v_fma_f64 v[240:241], v[104:105], v[48:49], -v[50:51]
	scratch_load_dwordx4 v[48:51], off, off offset:656
	s_waitcnt vmcnt(11) lgkmcnt(0)
	v_mul_f64 v[96:97], v[88:89], v[6:7]
	v_mul_f64 v[54:55], v[114:115], v[54:55]
	v_fmac_f64_e32 v[96:97], v[90:91], v[4:5]
	v_fma_f64 v[250:251], v[112:113], v[52:53], -v[54:55]
	scratch_load_dwordx4 v[52:55], off, off offset:672
	v_add_f64 v[0:1], v[0:1], v[96:97]
	ds_read_b128 v[96:99], v2 offset:1392
	ds_read_b128 v[104:107], v2 offset:1408
	v_accvgpr_write_b32 a127, v7
	v_accvgpr_write_b32 a126, v6
	;; [unrolled: 1-line block ×4, first 2 shown]
	s_waitcnt vmcnt(11)
	v_mov_b64_e32 v[4:5], v[8:9]
	v_mov_b64_e32 v[6:7], v[10:11]
	v_mul_f64 v[58:59], v[118:119], v[58:59]
	s_waitcnt lgkmcnt(1)
	v_mul_f64 v[112:113], v[96:97], v[6:7]
	v_fma_f64 v[252:253], v[116:117], v[56:57], -v[58:59]
	scratch_load_dwordx4 v[56:59], off, off offset:688
	v_fmac_f64_e32 v[112:113], v[98:99], v[4:5]
	s_waitcnt vmcnt(11)
	v_mov_b64_e32 v[4:5], v[12:13]
	v_mul_f64 v[62:63], v[122:123], v[62:63]
	v_mov_b64_e32 v[6:7], v[14:15]
	v_fma_f64 v[254:255], v[120:121], v[60:61], -v[62:63]
	scratch_load_dwordx4 v[60:63], off, off offset:704
	v_add_f64 v[0:1], v[0:1], v[112:113]
	s_waitcnt lgkmcnt(0)
	v_mul_f64 v[112:113], v[104:105], v[6:7]
	v_fmac_f64_e32 v[112:113], v[106:107], v[4:5]
	v_mul_f64 v[66:67], v[126:127], v[66:67]
	v_add_f64 v[0:1], v[0:1], v[112:113]
	ds_read_b128 v[112:115], v2 offset:1424
	ds_read_b128 v[116:119], v2 offset:1440
	v_fma_f64 v[232:233], v[124:125], v[64:65], -v[66:67]
	scratch_load_dwordx4 v[64:67], off, off offset:720
	v_accvgpr_write_b32 a131, v11
	v_accvgpr_write_b32 a130, v10
	;; [unrolled: 1-line block ×4, first 2 shown]
	s_waitcnt vmcnt(12)
	v_mov_b64_e32 v[8:9], v[16:17]
	v_mov_b64_e32 v[10:11], v[18:19]
	v_mul_f64 v[70:71], v[130:131], v[70:71]
	s_waitcnt lgkmcnt(1)
	v_mul_f64 v[6:7], v[112:113], v[10:11]
	v_fma_f64 v[32:33], v[128:129], v[68:69], -v[70:71]
	scratch_load_dwordx4 v[68:71], off, off offset:736
	v_fmac_f64_e32 v[6:7], v[114:115], v[8:9]
	v_add_f64 v[0:1], v[0:1], v[6:7]
	v_mul_f64 v[6:7], v[134:135], v[74:75]
	v_fma_f64 v[28:29], v[132:133], v[72:73], -v[6:7]
	s_waitcnt vmcnt(12)
	v_mov_b64_e32 v[8:9], v[20:21]
	scratch_load_dwordx4 v[72:75], off, off offset:752
	v_mov_b64_e32 v[10:11], v[22:23]
	s_waitcnt lgkmcnt(0)
	v_mul_f64 v[6:7], v[116:117], v[10:11]
	v_fmac_f64_e32 v[6:7], v[118:119], v[8:9]
	v_add_f64 v[0:1], v[0:1], v[6:7]
	v_mul_f64 v[6:7], v[150:151], v[78:79]
	v_fma_f64 v[24:25], v[148:149], v[76:77], -v[6:7]
	scratch_load_dwordx4 v[76:79], off, off offset:768
	ds_read_b128 v[124:127], v2 offset:1456
	ds_read_b128 v[120:123], v2 offset:1472
	v_accvgpr_write_b32 a143, v23
	v_mul_f64 v[6:7], v[162:163], v[82:83]
	v_accvgpr_write_b32 a139, v19
	v_accvgpr_write_b32 a142, v22
	;; [unrolled: 1-line block ×4, first 2 shown]
	v_fma_f64 v[20:21], v[160:161], v[80:81], -v[6:7]
	v_mul_f64 v[6:7], v[174:175], v[86:87]
	s_waitcnt vmcnt(13)
	v_accvgpr_read_b32 v8, a116
	v_accvgpr_write_b32 a138, v18
	v_accvgpr_write_b32 a137, v17
	;; [unrolled: 1-line block ×3, first 2 shown]
	v_fma_f64 v[16:17], v[172:173], v[84:85], -v[6:7]
	scratch_load_dwordx4 v[84:87], off, off offset:784
	scratch_load_dwordx4 v[80:83], off, off offset:800
	v_accvgpr_read_b32 v10, a118
	v_accvgpr_read_b32 v11, a119
	;; [unrolled: 1-line block ×3, first 2 shown]
	s_waitcnt lgkmcnt(1)
	v_mul_f64 v[6:7], v[124:125], v[10:11]
	v_fmac_f64_e32 v[6:7], v[126:127], v[8:9]
	s_waitcnt vmcnt(14)
	v_accvgpr_read_b32 v8, a120
	v_accvgpr_read_b32 v10, a122
	;; [unrolled: 1-line block ×3, first 2 shown]
	v_add_f64 v[0:1], v[0:1], v[6:7]
	v_accvgpr_read_b32 v9, a121
	s_waitcnt lgkmcnt(0)
	v_mul_f64 v[6:7], v[120:121], v[10:11]
	v_fmac_f64_e32 v[6:7], v[122:123], v[8:9]
	v_accvgpr_write_b32 a135, v15
	v_add_f64 v[0:1], v[0:1], v[6:7]
	v_mul_f64 v[6:7], v[186:187], v[94:95]
	v_accvgpr_write_b32 a134, v14
	v_accvgpr_write_b32 a133, v13
	;; [unrolled: 1-line block ×3, first 2 shown]
	v_fma_f64 v[14:15], v[184:185], v[92:93], -v[6:7]
	scratch_load_dwordx4 v[92:95], off, off offset:816
	v_mul_f64 v[6:7], v[194:195], v[102:103]
	v_fma_f64 v[18:19], v[192:193], v[100:101], -v[6:7]
	scratch_load_dwordx4 v[100:103], off, off offset:832
	v_mul_f64 v[6:7], v[198:199], v[110:111]
	v_fma_f64 v[12:13], v[196:197], v[108:109], -v[6:7]
	scratch_load_dwordx4 v[108:111], off, off offset:848
	ds_read_b128 v[128:131], v2 offset:1488
	ds_read_b128 v[132:135], v2 offset:1504
	;; [unrolled: 1-line block ×5, first 2 shown]
	s_waitcnt vmcnt(16) lgkmcnt(4)
	v_mul_f64 v[6:7], v[128:129], v[236:237]
	v_fmac_f64_e32 v[6:7], v[130:131], v[234:235]
	v_add_f64 v[0:1], v[0:1], v[6:7]
	v_mul_f64 v[6:7], v[202:203], v[138:139]
	v_fma_f64 v[22:23], v[200:201], v[136:137], -v[6:7]
	ds_read_b128 v[136:139], v2 offset:1520
	s_waitcnt vmcnt(15) lgkmcnt(4)
	v_mul_f64 v[6:7], v[132:133], v[38:39]
	v_fmac_f64_e32 v[6:7], v[134:135], v[36:37]
	v_add_f64 v[0:1], v[0:1], v[6:7]
	v_mul_f64 v[6:7], v[206:207], v[142:143]
	v_fma_f64 v[10:11], v[204:205], v[140:141], -v[6:7]
	ds_read_b128 v[140:143], v2 offset:1536
	;; [unrolled: 7-line block ×3, first 2 shown]
	s_waitcnt vmcnt(13) lgkmcnt(1)
	v_mul_f64 v[6:7], v[140:141], v[46:47]
	v_fmac_f64_e32 v[6:7], v[142:143], v[44:45]
	v_add_f64 v[0:1], v[0:1], v[6:7]
	v_mul_f64 v[182:183], v[244:245], v[182:183]
	s_waitcnt vmcnt(12) lgkmcnt(0)
	v_mul_f64 v[6:7], v[144:145], v[50:51]
	v_fmac_f64_e32 v[6:7], v[146:147], v[48:49]
	v_add_f64 v[0:1], v[0:1], v[6:7]
	v_mul_f64 v[6:7], v[214:215], v[154:155]
	v_fma_f64 v[8:9], v[212:213], v[152:153], -v[6:7]
	s_waitcnt vmcnt(11)
	v_mul_f64 v[6:7], v[148:149], v[54:55]
	v_fmac_f64_e32 v[6:7], v[150:151], v[52:53]
	ds_read_b128 v[152:155], v2 offset:1584
	v_add_f64 v[0:1], v[0:1], v[6:7]
	v_mul_f64 v[6:7], v[218:219], v[158:159]
	v_fma_f64 v[30:31], v[216:217], v[156:157], -v[6:7]
	ds_read_b128 v[156:159], v2 offset:1600
	s_waitcnt vmcnt(10) lgkmcnt(1)
	v_mul_f64 v[6:7], v[152:153], v[58:59]
	v_fmac_f64_e32 v[6:7], v[154:155], v[56:57]
	v_add_f64 v[0:1], v[0:1], v[6:7]
	s_waitcnt vmcnt(5)
	v_mul_f64 v[184:185], v[172:173], v[78:79]
	s_waitcnt lgkmcnt(0)
	v_mul_f64 v[6:7], v[156:157], v[62:63]
	v_fmac_f64_e32 v[6:7], v[158:159], v[60:61]
	v_add_f64 v[0:1], v[0:1], v[6:7]
	v_mul_f64 v[6:7], v[222:223], v[166:167]
	v_fma_f64 v[4:5], v[220:221], v[164:165], -v[6:7]
	ds_read_b128 v[164:167], v2 offset:1632
	v_mul_f64 v[6:7], v[160:161], v[66:67]
	v_fmac_f64_e32 v[6:7], v[162:163], v[64:65]
	v_add_f64 v[0:1], v[0:1], v[6:7]
	v_mul_f64 v[6:7], v[226:227], v[170:171]
	v_fma_f64 v[6:7], v[224:225], v[168:169], -v[6:7]
	ds_read_b128 v[168:171], v2 offset:1648
	s_waitcnt lgkmcnt(1)
	v_mul_f64 v[34:35], v[164:165], v[70:71]
	v_fmac_f64_e32 v[34:35], v[166:167], v[68:69]
	v_add_f64 v[0:1], v[0:1], v[34:35]
	v_fmac_f64_e32 v[184:185], v[174:175], v[76:77]
	s_waitcnt lgkmcnt(0)
	v_mul_f64 v[34:35], v[168:169], v[74:75]
	v_fmac_f64_e32 v[34:35], v[170:171], v[72:73]
	v_add_f64 v[34:35], v[0:1], v[34:35]
	v_mul_f64 v[0:1], v[230:231], v[178:179]
	v_fma_f64 v[0:1], v[228:229], v[176:177], -v[0:1]
	ds_read_b128 v[176:179], v2 offset:1680
	v_fma_f64 v[238:239], v[242:243], v[180:181], -v[182:183]
	ds_read_b128 v[180:183], v2 offset:1696
	v_add_f64 v[34:35], v[34:35], v[184:185]
	v_mul_f64 v[190:191], v[248:249], v[190:191]
	s_waitcnt vmcnt(4) lgkmcnt(1)
	v_mul_f64 v[184:185], v[176:177], v[86:87]
	v_fmac_f64_e32 v[184:185], v[178:179], v[84:85]
	v_add_f64 v[34:35], v[34:35], v[184:185]
	ds_read_b128 v[184:187], v2 offset:1712
	v_fma_f64 v[242:243], v[246:247], v[188:189], -v[190:191]
	ds_read_b128 v[188:191], v2 offset:1728
	s_waitcnt vmcnt(3) lgkmcnt(2)
	v_mul_f64 v[192:193], v[180:181], v[82:83]
	v_fmac_f64_e32 v[192:193], v[182:183], v[80:81]
	v_add_f64 v[34:35], v[34:35], v[192:193]
	s_waitcnt vmcnt(2) lgkmcnt(1)
	v_mul_f64 v[192:193], v[184:185], v[94:95]
	v_fmac_f64_e32 v[192:193], v[186:187], v[92:93]
	v_add_f64 v[34:35], v[34:35], v[192:193]
	;; [unrolled: 4-line block ×3, first 2 shown]
	ds_read_b128 v[192:195], v2 offset:1744
	ds_read_b128 v[200:203], v2 offset:1760
	;; [unrolled: 1-line block ×5, first 2 shown]
	s_waitcnt vmcnt(0) lgkmcnt(4)
	v_mul_f64 v[196:197], v[192:193], v[110:111]
	v_fmac_f64_e32 v[196:197], v[194:195], v[108:109]
	v_add_f64 v[34:35], v[34:35], v[196:197]
	scratch_load_dwordx4 v[196:199], off, off offset:864
	s_waitcnt vmcnt(0) lgkmcnt(3)
	v_mul_f64 v[204:205], v[200:201], v[198:199]
	v_fmac_f64_e32 v[204:205], v[202:203], v[196:197]
	v_add_f64 v[34:35], v[34:35], v[204:205]
	scratch_load_dwordx4 v[204:207], off, off offset:880
	;; [unrolled: 5-line block ×4, first 2 shown]
	s_waitcnt vmcnt(0) lgkmcnt(0)
	v_mul_f64 v[228:229], v[224:225], v[222:223]
	v_fmac_f64_e32 v[228:229], v[226:227], v[220:221]
	v_add_f64 v[246:247], v[34:35], v[228:229]
	v_add_f64 v[34:35], v[240:241], 0
	v_add_f64 v[34:35], v[34:35], v[250:251]
	v_add_f64 v[34:35], v[34:35], v[252:253]
	v_add_f64 v[34:35], v[34:35], v[254:255]
	v_add_f64 v[34:35], v[34:35], v[232:233]
	scratch_load_dwordx4 v[228:231], off, off offset:96
	v_add_f64 v[32:33], v[34:35], v[32:33]
	v_add_f64 v[28:29], v[32:33], v[28:29]
	;; [unrolled: 1-line block ×15, first 2 shown]
	v_accvgpr_read_b32 v6, a124
	v_accvgpr_read_b32 v8, a126
	;; [unrolled: 1-line block ×3, first 2 shown]
	v_add_f64 v[0:1], v[4:5], v[0:1]
	v_accvgpr_read_b32 v7, a125
	v_mul_f64 v[4:5], v[90:91], v[8:9]
	v_add_f64 v[0:1], v[0:1], v[238:239]
	v_fma_f64 v[4:5], v[88:89], v[6:7], -v[4:5]
	v_accvgpr_read_b32 v6, a128
	v_add_f64 v[0:1], v[0:1], v[242:243]
	v_accvgpr_read_b32 v8, a130
	v_accvgpr_read_b32 v9, a131
	v_add_f64 v[0:1], v[0:1], v[4:5]
	v_accvgpr_read_b32 v7, a129
	v_mul_f64 v[4:5], v[98:99], v[8:9]
	v_fma_f64 v[4:5], v[96:97], v[6:7], -v[4:5]
	v_accvgpr_read_b32 v6, a132
	v_accvgpr_read_b32 v8, a134
	v_accvgpr_read_b32 v9, a135
	v_add_f64 v[0:1], v[0:1], v[4:5]
	v_accvgpr_read_b32 v7, a133
	v_mul_f64 v[4:5], v[106:107], v[8:9]
	v_fma_f64 v[4:5], v[104:105], v[6:7], -v[4:5]
	v_accvgpr_read_b32 v6, a136
	;; [unrolled: 7-line block ×5, first 2 shown]
	v_accvgpr_read_b32 v8, a122
	v_accvgpr_read_b32 v9, a123
	v_add_f64 v[0:1], v[0:1], v[4:5]
	v_accvgpr_read_b32 v7, a121
	v_mul_f64 v[4:5], v[122:123], v[8:9]
	v_fma_f64 v[4:5], v[120:121], v[6:7], -v[4:5]
	v_add_f64 v[0:1], v[0:1], v[4:5]
	v_mul_f64 v[4:5], v[130:131], v[236:237]
	v_fma_f64 v[4:5], v[128:129], v[234:235], -v[4:5]
	v_add_f64 v[0:1], v[0:1], v[4:5]
	;; [unrolled: 3-line block ×22, first 2 shown]
	s_waitcnt vmcnt(0)
	v_add_f64 v[4:5], v[228:229], -v[0:1]
	v_accvgpr_read_b32 v0, a114
	v_add_f64 v[6:7], v[230:231], -v[246:247]
	v_cmp_lt_u32_e32 vcc, 4, v0
	scratch_store_dwordx4 off, v[4:7], off offset:96
	s_and_saveexec_b64 s[0:1], vcc
	s_cbranch_execz .LBB56_347
; %bb.346:
	scratch_load_dwordx4 v[6:9], off, s41
	v_mov_b32_e32 v3, v2
	v_mov_b32_e32 v4, v2
	;; [unrolled: 1-line block ×3, first 2 shown]
	v_accvgpr_read_b32 v0, a115
	scratch_store_dwordx4 off, v[2:5], off offset:80
	s_waitcnt vmcnt(1)
	ds_write_b128 v0, v[6:9]
.LBB56_347:
	s_or_b64 exec, exec, s[0:1]
	s_waitcnt lgkmcnt(0)
	; wave barrier
	scratch_load_dwordx4 v[48:51], off, off offset:96
	scratch_load_dwordx4 v[52:55], off, off offset:112
	;; [unrolled: 1-line block ×18, first 2 shown]
	ds_read_b128 v[104:107], v2 offset:992
	ds_read_b128 v[208:211], v2 offset:1008
	;; [unrolled: 1-line block ×6, first 2 shown]
	scratch_load_dwordx4 v[164:167], off, off offset:384
	ds_read_b128 v[192:195], v2 offset:1088
	ds_read_b128 v[124:127], v2 offset:1104
	scratch_load_dwordx4 v[168:171], off, off offset:400
	ds_read_b128 v[212:215], v2 offset:1120
	ds_read_b128 v[204:207], v2 offset:1136
	;; [unrolled: 1-line block ×5, first 2 shown]
	scratch_load_dwordx4 v[176:179], off, off offset:416
	ds_read_b128 v[200:203], v2 offset:1200
	ds_read_b128 v[172:175], v2 offset:1216
	scratch_load_dwordx4 v[180:183], off, off offset:432
	ds_read_b128 v[216:219], v2 offset:1232
	ds_read_b128 v[184:187], v2 offset:1248
	;; [unrolled: 1-line block ×3, first 2 shown]
	scratch_load_dwordx4 v[188:191], off, off offset:448
	scratch_load_dwordx4 v[4:7], off, off offset:464
	;; [unrolled: 1-line block ×8, first 2 shown]
	ds_read_b128 v[220:223], v2 offset:1280
	ds_read_b128 v[224:227], v2 offset:1296
	ds_read_b128 v[228:231], v2 offset:1312
	ds_read_b128 v[232:235], v2 offset:1328
	ds_read_b128 v[236:239], v2 offset:1344
	s_waitcnt vmcnt(29) lgkmcnt(14)
	v_mul_f64 v[0:1], v[104:105], v[50:51]
	s_waitcnt vmcnt(28)
	v_mul_f64 v[24:25], v[208:209], v[54:55]
	v_fmac_f64_e32 v[0:1], v[106:107], v[48:49]
	s_waitcnt vmcnt(27)
	v_mul_f64 v[26:27], v[196:197], v[58:59]
	v_fmac_f64_e32 v[24:25], v[210:211], v[52:53]
	v_add_f64 v[0:1], v[0:1], 0
	s_waitcnt vmcnt(26)
	v_mul_f64 v[28:29], v[112:113], v[62:63]
	v_fmac_f64_e32 v[26:27], v[198:199], v[56:57]
	v_add_f64 v[0:1], v[0:1], v[24:25]
	;; [unrolled: 4-line block ×7, first 2 shown]
	s_waitcnt vmcnt(20) lgkmcnt(13)
	v_mul_f64 v[40:41], v[204:205], v[86:87]
	v_fmac_f64_e32 v[38:39], v[214:215], v[80:81]
	v_add_f64 v[0:1], v[0:1], v[36:37]
	s_waitcnt vmcnt(19) lgkmcnt(12)
	v_mul_f64 v[42:43], v[128:129], v[94:95]
	v_fmac_f64_e32 v[40:41], v[206:207], v[84:85]
	v_add_f64 v[0:1], v[0:1], v[38:39]
	;; [unrolled: 4-line block ×8, first 2 shown]
	v_fmac_f64_e32 v[98:99], v[186:187], v[152:153]
	v_add_f64 v[0:1], v[0:1], v[96:97]
	s_waitcnt vmcnt(12) lgkmcnt(5)
	v_mul_f64 v[32:33], v[160:161], v[158:159]
	v_add_f64 v[0:1], v[0:1], v[98:99]
	v_fmac_f64_e32 v[32:33], v[162:163], v[156:157]
	v_add_f64 v[0:1], v[0:1], v[32:33]
	s_waitcnt vmcnt(11) lgkmcnt(4)
	v_mul_f64 v[32:33], v[220:221], v[166:167]
	v_fmac_f64_e32 v[32:33], v[222:223], v[164:165]
	v_add_f64 v[0:1], v[0:1], v[32:33]
	scratch_load_dwordx4 v[32:35], off, off offset:576
	s_waitcnt vmcnt(11) lgkmcnt(3)
	v_mul_f64 v[36:37], v[224:225], v[170:171]
	v_fmac_f64_e32 v[36:37], v[226:227], v[168:169]
	v_add_f64 v[0:1], v[0:1], v[36:37]
	s_waitcnt vmcnt(10) lgkmcnt(2)
	v_mul_f64 v[36:37], v[228:229], v[178:179]
	v_fmac_f64_e32 v[36:37], v[230:231], v[176:177]
	v_add_f64 v[0:1], v[0:1], v[36:37]
	scratch_load_dwordx4 v[36:39], off, off offset:592
	s_waitcnt vmcnt(10) lgkmcnt(1)
	v_mul_f64 v[40:41], v[232:233], v[182:183]
	v_fmac_f64_e32 v[40:41], v[234:235], v[180:181]
	ds_read_b128 v[88:91], v2 offset:1360
	s_waitcnt vmcnt(9) lgkmcnt(1)
	v_mul_f64 v[44:45], v[236:237], v[190:191]
	v_add_f64 v[0:1], v[0:1], v[40:41]
	scratch_load_dwordx4 v[40:43], off, off offset:608
	v_fmac_f64_e32 v[44:45], v[238:239], v[188:189]
	v_add_f64 v[0:1], v[0:1], v[44:45]
	scratch_load_dwordx4 v[44:47], off, off offset:624
	v_mul_f64 v[50:51], v[106:107], v[50:51]
	v_fma_f64 v[240:241], v[104:105], v[48:49], -v[50:51]
	scratch_load_dwordx4 v[48:51], off, off offset:640
	s_waitcnt vmcnt(11) lgkmcnt(0)
	v_mul_f64 v[96:97], v[88:89], v[6:7]
	v_mul_f64 v[54:55], v[210:211], v[54:55]
	v_fmac_f64_e32 v[96:97], v[90:91], v[4:5]
	v_fma_f64 v[246:247], v[208:209], v[52:53], -v[54:55]
	scratch_load_dwordx4 v[52:55], off, off offset:656
	v_mul_f64 v[58:59], v[198:199], v[58:59]
	v_add_f64 v[0:1], v[0:1], v[96:97]
	ds_read_b128 v[96:99], v2 offset:1376
	ds_read_b128 v[104:107], v2 offset:1392
	v_fma_f64 v[248:249], v[196:197], v[56:57], -v[58:59]
	scratch_load_dwordx4 v[56:59], off, off offset:672
	v_mul_f64 v[62:63], v[114:115], v[62:63]
	v_accvgpr_write_b32 a127, v7
	v_fma_f64 v[250:251], v[112:113], v[60:61], -v[62:63]
	scratch_load_dwordx4 v[60:63], off, off offset:688
	v_accvgpr_write_b32 a126, v6
	v_accvgpr_write_b32 a125, v5
	;; [unrolled: 1-line block ×3, first 2 shown]
	s_waitcnt vmcnt(13)
	v_mov_b64_e32 v[4:5], v[8:9]
	v_mov_b64_e32 v[6:7], v[10:11]
	s_waitcnt lgkmcnt(1)
	v_mul_f64 v[208:209], v[96:97], v[6:7]
	v_fmac_f64_e32 v[208:209], v[98:99], v[4:5]
	s_waitcnt vmcnt(12)
	v_mov_b64_e32 v[4:5], v[12:13]
	ds_read_b128 v[112:115], v2 offset:1408
	v_mov_b64_e32 v[6:7], v[14:15]
	s_waitcnt lgkmcnt(1)
	v_mul_f64 v[196:197], v[104:105], v[6:7]
	v_mul_f64 v[66:67], v[122:123], v[66:67]
	;; [unrolled: 1-line block ×3, first 2 shown]
	v_fmac_f64_e32 v[196:197], v[106:107], v[4:5]
	v_fma_f64 v[252:253], v[120:121], v[64:65], -v[66:67]
	scratch_load_dwordx4 v[64:67], off, off offset:704
	v_fma_f64 v[254:255], v[116:117], v[68:69], -v[70:71]
	ds_read_b128 v[116:119], v2 offset:1424
	s_waitcnt vmcnt(12)
	v_mov_b64_e32 v[4:5], v[16:17]
	v_mov_b64_e32 v[6:7], v[18:19]
	scratch_load_dwordx4 v[68:71], off, off offset:720
	s_waitcnt lgkmcnt(1)
	v_mul_f64 v[120:121], v[112:113], v[6:7]
	v_mul_f64 v[74:75], v[194:195], v[74:75]
	v_add_f64 v[0:1], v[0:1], v[208:209]
	v_fmac_f64_e32 v[120:121], v[114:115], v[4:5]
	v_fma_f64 v[242:243], v[192:193], v[72:73], -v[74:75]
	s_waitcnt vmcnt(12)
	v_mov_b64_e32 v[4:5], v[20:21]
	scratch_load_dwordx4 v[72:75], off, off offset:736
	v_add_f64 v[0:1], v[0:1], v[196:197]
	v_mov_b64_e32 v[6:7], v[22:23]
	v_add_f64 v[0:1], v[0:1], v[120:121]
	s_waitcnt lgkmcnt(0)
	v_mul_f64 v[120:121], v[116:117], v[6:7]
	v_fmac_f64_e32 v[120:121], v[118:119], v[4:5]
	v_mul_f64 v[78:79], v[126:127], v[78:79]
	v_add_f64 v[0:1], v[0:1], v[120:121]
	v_fma_f64 v[28:29], v[124:125], v[76:77], -v[78:79]
	scratch_load_dwordx4 v[76:79], off, off offset:752
	ds_read_b128 v[124:127], v2 offset:1440
	ds_read_b128 v[120:123], v2 offset:1456
	v_mul_f64 v[6:7], v[214:215], v[82:83]
	v_fma_f64 v[24:25], v[212:213], v[80:81], -v[6:7]
	s_waitcnt vmcnt(13)
	v_accvgpr_read_b32 v4, a116
	v_accvgpr_write_b32 a131, v11
	v_accvgpr_write_b32 a143, v23
	v_mul_f64 v[80:81], v[206:207], v[86:87]
	v_accvgpr_read_b32 v6, a118
	v_accvgpr_read_b32 v7, a119
	v_accvgpr_write_b32 a130, v10
	v_accvgpr_write_b32 a129, v9
	;; [unrolled: 1-line block ×6, first 2 shown]
	v_fma_f64 v[20:21], v[204:205], v[84:85], -v[80:81]
	scratch_load_dwordx4 v[84:87], off, off offset:768
	v_accvgpr_read_b32 v5, a117
	s_waitcnt lgkmcnt(1)
	v_mul_f64 v[10:11], v[124:125], v[6:7]
	v_fmac_f64_e32 v[10:11], v[126:127], v[4:5]
	s_waitcnt vmcnt(13)
	v_accvgpr_read_b32 v4, a120
	v_accvgpr_read_b32 v6, a122
	;; [unrolled: 1-line block ×3, first 2 shown]
	v_add_f64 v[0:1], v[0:1], v[10:11]
	v_accvgpr_read_b32 v5, a121
	s_waitcnt lgkmcnt(0)
	v_mul_f64 v[10:11], v[120:121], v[6:7]
	v_fmac_f64_e32 v[10:11], v[122:123], v[4:5]
	v_accvgpr_write_b32 a139, v19
	scratch_load_dwordx4 v[80:83], off, off offset:784
	v_add_f64 v[0:1], v[0:1], v[10:11]
	v_mul_f64 v[10:11], v[130:131], v[94:95]
	v_accvgpr_write_b32 a135, v15
	v_accvgpr_write_b32 a138, v18
	;; [unrolled: 1-line block ×4, first 2 shown]
	v_fma_f64 v[16:17], v[128:129], v[92:93], -v[10:11]
	v_mul_f64 v[92:93], v[134:135], v[102:103]
	v_accvgpr_write_b32 a134, v14
	v_accvgpr_write_b32 a133, v13
	;; [unrolled: 1-line block ×3, first 2 shown]
	v_fma_f64 v[12:13], v[132:133], v[100:101], -v[92:93]
	scratch_load_dwordx4 v[92:95], off, off offset:800
	ds_read_b128 v[128:131], v2 offset:1472
	ds_read_b128 v[132:135], v2 offset:1488
	scratch_load_dwordx4 v[100:103], off, off offset:816
	v_mul_f64 v[14:15], v[150:151], v[110:111]
	v_fma_f64 v[14:15], v[148:149], v[108:109], -v[14:15]
	s_waitcnt vmcnt(15) lgkmcnt(1)
	v_mul_f64 v[108:109], v[128:129], v[34:35]
	v_fmac_f64_e32 v[108:109], v[130:131], v[32:33]
	v_add_f64 v[0:1], v[0:1], v[108:109]
	v_mul_f64 v[108:109], v[202:203], v[138:139]
	v_fma_f64 v[10:11], v[200:201], v[136:137], -v[108:109]
	scratch_load_dwordx4 v[108:111], off, off offset:832
	s_waitcnt vmcnt(15) lgkmcnt(0)
	v_mul_f64 v[18:19], v[132:133], v[38:39]
	v_fmac_f64_e32 v[18:19], v[134:135], v[36:37]
	ds_read_b128 v[136:139], v2 offset:1504
	v_add_f64 v[0:1], v[0:1], v[18:19]
	v_mul_f64 v[18:19], v[174:175], v[142:143]
	v_fma_f64 v[18:19], v[172:173], v[140:141], -v[18:19]
	ds_read_b128 v[140:143], v2 offset:1520
	v_mul_f64 v[146:147], v[218:219], v[146:147]
	v_fma_f64 v[8:9], v[216:217], v[144:145], -v[146:147]
	ds_read_b128 v[144:147], v2 offset:1536
	s_waitcnt vmcnt(14) lgkmcnt(2)
	v_mul_f64 v[148:149], v[136:137], v[42:43]
	v_fmac_f64_e32 v[148:149], v[138:139], v[40:41]
	s_waitcnt vmcnt(13) lgkmcnt(1)
	v_mul_f64 v[22:23], v[140:141], v[46:47]
	v_add_f64 v[0:1], v[0:1], v[148:149]
	v_fmac_f64_e32 v[22:23], v[142:143], v[44:45]
	ds_read_b128 v[148:151], v2 offset:1552
	v_add_f64 v[0:1], v[0:1], v[22:23]
	s_waitcnt vmcnt(12) lgkmcnt(1)
	v_mul_f64 v[22:23], v[144:145], v[50:51]
	v_fmac_f64_e32 v[22:23], v[146:147], v[48:49]
	v_add_f64 v[0:1], v[0:1], v[22:23]
	v_mul_f64 v[22:23], v[186:187], v[154:155]
	v_fma_f64 v[22:23], v[184:185], v[152:153], -v[22:23]
	ds_read_b128 v[152:155], v2 offset:1568
	v_mul_f64 v[158:159], v[162:163], v[158:159]
	v_fma_f64 v[6:7], v[160:161], v[156:157], -v[158:159]
	ds_read_b128 v[156:159], v2 offset:1584
	s_waitcnt vmcnt(11) lgkmcnt(2)
	v_mul_f64 v[172:173], v[148:149], v[54:55]
	v_fmac_f64_e32 v[172:173], v[150:151], v[52:53]
	s_waitcnt vmcnt(10) lgkmcnt(1)
	v_mul_f64 v[26:27], v[152:153], v[58:59]
	v_add_f64 v[0:1], v[0:1], v[172:173]
	v_fmac_f64_e32 v[26:27], v[154:155], v[56:57]
	v_add_f64 v[0:1], v[0:1], v[26:27]
	s_waitcnt vmcnt(9) lgkmcnt(0)
	v_mul_f64 v[26:27], v[156:157], v[62:63]
	v_fmac_f64_e32 v[26:27], v[158:159], v[60:61]
	ds_read_b128 v[160:163], v2 offset:1600
	v_add_f64 v[0:1], v[0:1], v[26:27]
	v_mul_f64 v[26:27], v[222:223], v[166:167]
	v_fma_f64 v[26:27], v[220:221], v[164:165], -v[26:27]
	ds_read_b128 v[164:167], v2 offset:1616
	v_mul_f64 v[170:171], v[226:227], v[170:171]
	v_fma_f64 v[4:5], v[224:225], v[168:169], -v[170:171]
	ds_read_b128 v[168:171], v2 offset:1632
	s_waitcnt vmcnt(8) lgkmcnt(2)
	v_mul_f64 v[172:173], v[160:161], v[66:67]
	v_fmac_f64_e32 v[172:173], v[162:163], v[64:65]
	s_waitcnt vmcnt(7) lgkmcnt(1)
	v_mul_f64 v[30:31], v[164:165], v[70:71]
	v_add_f64 v[0:1], v[0:1], v[172:173]
	v_fmac_f64_e32 v[30:31], v[166:167], v[68:69]
	v_add_f64 v[0:1], v[0:1], v[30:31]
	ds_read_b128 v[172:175], v2 offset:1648
	s_waitcnt vmcnt(6) lgkmcnt(1)
	v_mul_f64 v[30:31], v[168:169], v[74:75]
	v_fmac_f64_e32 v[30:31], v[170:171], v[72:73]
	v_add_f64 v[30:31], v[0:1], v[30:31]
	v_mul_f64 v[0:1], v[230:231], v[178:179]
	v_fma_f64 v[0:1], v[228:229], v[176:177], -v[0:1]
	ds_read_b128 v[176:179], v2 offset:1664
	v_mul_f64 v[182:183], v[234:235], v[182:183]
	s_waitcnt vmcnt(5) lgkmcnt(1)
	v_mul_f64 v[184:185], v[172:173], v[78:79]
	v_fma_f64 v[180:181], v[232:233], v[180:181], -v[182:183]
	v_fmac_f64_e32 v[184:185], v[174:175], v[76:77]
	v_accvgpr_write_b32 a144, v180
	v_mul_f64 v[190:191], v[238:239], v[190:191]
	v_accvgpr_write_b32 a145, v181
	ds_read_b128 v[180:183], v2 offset:1680
	v_add_f64 v[30:31], v[30:31], v[184:185]
	v_fma_f64 v[244:245], v[236:237], v[188:189], -v[190:191]
	scratch_load_dwordx4 v[236:239], off, off offset:80
	s_waitcnt vmcnt(5) lgkmcnt(1)
	v_mul_f64 v[184:185], v[176:177], v[86:87]
	v_fmac_f64_e32 v[184:185], v[178:179], v[84:85]
	v_add_f64 v[30:31], v[30:31], v[184:185]
	ds_read_b128 v[184:187], v2 offset:1696
	ds_read_b128 v[188:191], v2 offset:1712
	s_waitcnt vmcnt(4) lgkmcnt(2)
	v_mul_f64 v[192:193], v[180:181], v[82:83]
	v_fmac_f64_e32 v[192:193], v[182:183], v[80:81]
	v_add_f64 v[30:31], v[30:31], v[192:193]
	s_waitcnt vmcnt(3) lgkmcnt(1)
	v_mul_f64 v[192:193], v[184:185], v[94:95]
	v_fmac_f64_e32 v[192:193], v[186:187], v[92:93]
	v_add_f64 v[30:31], v[30:31], v[192:193]
	;; [unrolled: 4-line block ×3, first 2 shown]
	ds_read_b128 v[192:195], v2 offset:1728
	ds_read_b128 v[200:203], v2 offset:1744
	scratch_load_dwordx4 v[232:235], off, off offset:912
	ds_read_b128 v[208:211], v2 offset:1760
	ds_read_b128 v[216:219], v2 offset:1776
	s_waitcnt vmcnt(2) lgkmcnt(3)
	v_mul_f64 v[196:197], v[192:193], v[110:111]
	v_fmac_f64_e32 v[196:197], v[194:195], v[108:109]
	v_add_f64 v[30:31], v[30:31], v[196:197]
	scratch_load_dwordx4 v[196:199], off, off offset:848
	ds_read_b128 v[224:227], v2 offset:1792
	s_waitcnt vmcnt(0) lgkmcnt(3)
	v_mul_f64 v[204:205], v[200:201], v[198:199]
	v_fmac_f64_e32 v[204:205], v[202:203], v[196:197]
	v_add_f64 v[30:31], v[30:31], v[204:205]
	scratch_load_dwordx4 v[204:207], off, off offset:864
	s_waitcnt vmcnt(0) lgkmcnt(2)
	v_mul_f64 v[212:213], v[208:209], v[206:207]
	v_fmac_f64_e32 v[212:213], v[210:211], v[204:205]
	v_add_f64 v[30:31], v[30:31], v[212:213]
	scratch_load_dwordx4 v[212:215], off, off offset:880
	;; [unrolled: 5-line block ×3, first 2 shown]
	s_waitcnt vmcnt(0) lgkmcnt(0)
	v_mul_f64 v[228:229], v[224:225], v[222:223]
	v_fmac_f64_e32 v[228:229], v[226:227], v[220:221]
	v_add_f64 v[30:31], v[30:31], v[228:229]
	ds_read_b128 v[228:231], v2 offset:1808
	s_waitcnt lgkmcnt(0)
	v_mul_f64 v[2:3], v[228:229], v[234:235]
	v_fmac_f64_e32 v[2:3], v[230:231], v[232:233]
	v_add_f64 v[2:3], v[30:31], v[2:3]
	v_add_f64 v[30:31], v[240:241], 0
	;; [unrolled: 1-line block ×21, first 2 shown]
	v_accvgpr_read_b32 v6, a124
	v_add_f64 v[246:247], v[4:5], v[0:1]
	v_accvgpr_read_b32 v0, a144
	v_accvgpr_read_b32 v8, a126
	;; [unrolled: 1-line block ×5, first 2 shown]
	v_mul_f64 v[4:5], v[90:91], v[8:9]
	v_add_f64 v[0:1], v[246:247], v[0:1]
	v_fma_f64 v[4:5], v[88:89], v[6:7], -v[4:5]
	v_accvgpr_read_b32 v6, a128
	v_add_f64 v[0:1], v[0:1], v[244:245]
	v_accvgpr_read_b32 v8, a130
	v_accvgpr_read_b32 v9, a131
	v_add_f64 v[0:1], v[0:1], v[4:5]
	v_accvgpr_read_b32 v7, a129
	v_mul_f64 v[4:5], v[98:99], v[8:9]
	v_fma_f64 v[4:5], v[96:97], v[6:7], -v[4:5]
	v_accvgpr_read_b32 v6, a132
	v_accvgpr_read_b32 v8, a134
	v_accvgpr_read_b32 v9, a135
	v_add_f64 v[0:1], v[0:1], v[4:5]
	v_accvgpr_read_b32 v7, a133
	v_mul_f64 v[4:5], v[106:107], v[8:9]
	v_fma_f64 v[4:5], v[104:105], v[6:7], -v[4:5]
	v_accvgpr_read_b32 v6, a136
	;; [unrolled: 7-line block ×5, first 2 shown]
	v_accvgpr_read_b32 v8, a122
	v_accvgpr_read_b32 v9, a123
	v_add_f64 v[0:1], v[0:1], v[4:5]
	v_accvgpr_read_b32 v7, a121
	v_mul_f64 v[4:5], v[122:123], v[8:9]
	v_fma_f64 v[4:5], v[120:121], v[6:7], -v[4:5]
	v_add_f64 v[0:1], v[0:1], v[4:5]
	v_mul_f64 v[4:5], v[130:131], v[34:35]
	v_fma_f64 v[4:5], v[128:129], v[32:33], -v[4:5]
	v_add_f64 v[0:1], v[0:1], v[4:5]
	;; [unrolled: 3-line block ×23, first 2 shown]
	v_add_f64 v[4:5], v[236:237], -v[0:1]
	v_accvgpr_read_b32 v0, a114
	v_add_f64 v[6:7], v[238:239], -v[2:3]
	v_cmp_lt_u32_e32 vcc, 3, v0
	scratch_store_dwordx4 off, v[4:7], off offset:80
	s_and_saveexec_b64 s[0:1], vcc
	s_cbranch_execz .LBB56_349
; %bb.348:
	scratch_load_dwordx4 v[2:5], off, s70
	v_mov_b32_e32 v6, 0
	v_mov_b32_e32 v7, v6
	;; [unrolled: 1-line block ×4, first 2 shown]
	v_accvgpr_read_b32 v0, a115
	scratch_store_dwordx4 off, v[6:9], off offset:64
	s_waitcnt vmcnt(1)
	ds_write_b128 v0, v[2:5]
.LBB56_349:
	s_or_b64 exec, exec, s[0:1]
	s_waitcnt lgkmcnt(0)
	; wave barrier
	scratch_load_dwordx4 v[40:43], off, off offset:80
	scratch_load_dwordx4 v[44:47], off, off offset:96
	;; [unrolled: 1-line block ×29, first 2 shown]
	v_mov_b32_e32 v2, 0
	ds_read_b128 v[80:83], v2 offset:976
	ds_read_b128 v[100:103], v2 offset:992
	;; [unrolled: 1-line block ×18, first 2 shown]
	scratch_load_dwordx4 a[116:119], off, off offset:544
	scratch_load_dwordx4 a[120:123], off, off offset:560
	ds_read_b128 v[228:231], v2 offset:1328
	ds_read_b128 v[242:245], v2 offset:1344
	scratch_load_dwordx4 a[124:127], off, off offset:576
	scratch_load_dwordx4 v[234:237], off, off offset:592
	ds_read_b128 v[246:249], v2 offset:1360
	scratch_load_dwordx4 a[128:131], off, off offset:608
	ds_read_b128 v[224:227], v2 offset:1312
	s_waitcnt vmcnt(33) lgkmcnt(14)
	v_mul_f64 v[0:1], v[80:81], v[42:43]
	s_waitcnt vmcnt(32)
	v_mul_f64 v[20:21], v[100:101], v[46:47]
	v_fmac_f64_e32 v[0:1], v[82:83], v[40:41]
	s_waitcnt vmcnt(31)
	v_mul_f64 v[22:23], v[104:105], v[50:51]
	v_fmac_f64_e32 v[20:21], v[102:103], v[44:45]
	v_add_f64 v[0:1], v[0:1], 0
	s_waitcnt vmcnt(30)
	v_mul_f64 v[24:25], v[108:109], v[54:55]
	v_fmac_f64_e32 v[22:23], v[106:107], v[48:49]
	v_add_f64 v[0:1], v[0:1], v[20:21]
	;; [unrolled: 4-line block ×6, first 2 shown]
	s_waitcnt vmcnt(25) lgkmcnt(13)
	v_mul_f64 v[34:35], v[144:145], v[74:75]
	v_fmac_f64_e32 v[32:33], v[134:135], v[68:69]
	v_add_f64 v[0:1], v[0:1], v[30:31]
	s_waitcnt vmcnt(24) lgkmcnt(12)
	v_mul_f64 v[36:37], v[156:157], v[78:79]
	v_fmac_f64_e32 v[34:35], v[146:147], v[72:73]
	v_add_f64 v[0:1], v[0:1], v[32:33]
	;; [unrolled: 4-line block ×7, first 2 shown]
	v_fmac_f64_e32 v[218:219], v[198:199], v[124:125]
	v_add_f64 v[0:1], v[0:1], v[216:217]
	ds_read_b128 v[212:215], v2 offset:1264
	s_waitcnt vmcnt(18) lgkmcnt(7)
	v_mul_f64 v[220:221], v[200:201], v[130:131]
	v_add_f64 v[0:1], v[0:1], v[218:219]
	ds_read_b128 v[216:219], v2 offset:1280
	v_fmac_f64_e32 v[220:221], v[202:203], v[128:129]
	s_waitcnt vmcnt(17) lgkmcnt(7)
	v_mul_f64 v[20:21], v[204:205], v[138:139]
	v_add_f64 v[0:1], v[0:1], v[220:221]
	v_fmac_f64_e32 v[20:21], v[206:207], v[136:137]
	s_waitcnt vmcnt(16) lgkmcnt(6)
	v_mul_f64 v[24:25], v[208:209], v[142:143]
	ds_read_b128 v[220:223], v2 offset:1296
	v_add_f64 v[0:1], v[0:1], v[20:21]
	v_fmac_f64_e32 v[24:25], v[210:211], v[140:141]
	v_add_f64 v[0:1], v[0:1], v[24:25]
	s_waitcnt vmcnt(15) lgkmcnt(2)
	v_mul_f64 v[24:25], v[212:213], v[150:151]
	v_fmac_f64_e32 v[24:25], v[214:215], v[148:149]
	s_waitcnt vmcnt(14) lgkmcnt(1)
	v_mul_f64 v[28:29], v[216:217], v[154:155]
	v_add_f64 v[0:1], v[0:1], v[24:25]
	v_fmac_f64_e32 v[28:29], v[218:219], v[152:153]
	v_add_f64 v[0:1], v[0:1], v[28:29]
	s_waitcnt vmcnt(13) lgkmcnt(0)
	v_mul_f64 v[28:29], v[220:221], v[162:163]
	v_fmac_f64_e32 v[28:29], v[222:223], v[160:161]
	s_waitcnt vmcnt(12)
	v_mul_f64 v[32:33], v[224:225], v[166:167]
	v_add_f64 v[0:1], v[0:1], v[28:29]
	v_fmac_f64_e32 v[32:33], v[226:227], v[164:165]
	v_add_f64 v[0:1], v[0:1], v[32:33]
	s_waitcnt vmcnt(11)
	v_mul_f64 v[32:33], v[228:229], v[174:175]
	v_fmac_f64_e32 v[32:33], v[230:231], v[172:173]
	s_waitcnt vmcnt(10)
	v_mul_f64 v[36:37], v[242:243], v[178:179]
	v_mul_f64 v[42:43], v[82:83], v[42:43]
	v_add_f64 v[0:1], v[0:1], v[32:33]
	v_fmac_f64_e32 v[36:37], v[244:245], v[176:177]
	v_fma_f64 v[240:241], v[80:81], v[40:41], -v[42:43]
	ds_read_b128 v[80:83], v2 offset:1376
	s_waitcnt vmcnt(9)
	v_mul_f64 v[40:41], v[246:247], v[186:187]
	v_add_f64 v[0:1], v[0:1], v[36:37]
	v_fmac_f64_e32 v[40:41], v[248:249], v[184:185]
	v_add_f64 v[0:1], v[0:1], v[40:41]
	v_mul_f64 v[40:41], v[102:103], v[46:47]
	v_fma_f64 v[250:251], v[100:101], v[44:45], -v[40:41]
	scratch_load_dwordx4 v[40:43], off, off offset:624
	s_waitcnt vmcnt(9) lgkmcnt(0)
	v_mul_f64 v[44:45], v[80:81], v[6:7]
	v_fmac_f64_e32 v[44:45], v[82:83], v[4:5]
	v_add_f64 v[0:1], v[0:1], v[44:45]
	scratch_load_dwordx4 v[44:47], off, off offset:640
	v_mul_f64 v[50:51], v[106:107], v[50:51]
	v_fma_f64 v[252:253], v[104:105], v[48:49], -v[50:51]
	ds_read_b128 v[100:103], v2 offset:1392
	v_mul_f64 v[48:49], v[110:111], v[54:55]
	v_fma_f64 v[254:255], v[108:109], v[52:53], -v[48:49]
	scratch_load_dwordx4 v[52:55], off, off offset:656
	scratch_load_dwordx4 v[48:51], off, off offset:672
	v_accvgpr_write_b32 a135, v7
	v_accvgpr_write_b32 a134, v6
	;; [unrolled: 1-line block ×4, first 2 shown]
	s_waitcnt vmcnt(11)
	v_mov_b64_e32 v[4:5], v[8:9]
	v_mul_f64 v[58:59], v[114:115], v[58:59]
	v_mov_b64_e32 v[6:7], v[10:11]
	v_fma_f64 v[232:233], v[112:113], v[56:57], -v[58:59]
	ds_read_b128 v[104:107], v2 offset:1408
	ds_read_b128 v[108:111], v2 offset:1424
	s_waitcnt lgkmcnt(2)
	v_mul_f64 v[56:57], v[100:101], v[6:7]
	v_fmac_f64_e32 v[56:57], v[102:103], v[4:5]
	v_accvgpr_write_b32 a139, v11
	v_add_f64 v[0:1], v[0:1], v[56:57]
	v_mul_f64 v[56:57], v[118:119], v[62:63]
	v_accvgpr_write_b32 a138, v10
	v_accvgpr_write_b32 a137, v9
	;; [unrolled: 1-line block ×3, first 2 shown]
	v_fma_f64 v[36:37], v[116:117], v[60:61], -v[56:57]
	scratch_load_dwordx4 v[56:59], off, off offset:688
	scratch_load_dwordx4 v[60:63], off, off offset:704
	s_waitcnt vmcnt(12)
	v_mov_b64_e32 v[8:9], v[12:13]
	v_mov_b64_e32 v[10:11], v[14:15]
	s_waitcnt lgkmcnt(1)
	v_mul_f64 v[6:7], v[104:105], v[10:11]
	v_fmac_f64_e32 v[6:7], v[106:107], v[8:9]
	v_add_f64 v[0:1], v[0:1], v[6:7]
	v_mul_f64 v[6:7], v[122:123], v[66:67]
	v_fma_f64 v[32:33], v[120:121], v[64:65], -v[6:7]
	scratch_load_dwordx4 v[64:67], off, off offset:720
	v_mul_f64 v[6:7], v[134:135], v[70:71]
	v_fma_f64 v[28:29], v[132:133], v[68:69], -v[6:7]
	scratch_load_dwordx4 v[68:71], off, off offset:736
	v_mul_f64 v[6:7], v[146:147], v[74:75]
	v_fma_f64 v[24:25], v[144:145], v[72:73], -v[6:7]
	s_waitcnt vmcnt(13)
	v_mov_b64_e32 v[8:9], v[16:17]
	scratch_load_dwordx4 v[72:75], off, off offset:752
	ds_read_b128 v[112:115], v2 offset:1440
	ds_read_b128 v[116:119], v2 offset:1456
	v_mov_b64_e32 v[10:11], v[18:19]
	s_waitcnt lgkmcnt(2)
	v_mul_f64 v[6:7], v[108:109], v[10:11]
	v_fmac_f64_e32 v[6:7], v[110:111], v[8:9]
	v_add_f64 v[0:1], v[0:1], v[6:7]
	v_mul_f64 v[6:7], v[158:159], v[78:79]
	s_waitcnt vmcnt(13)
	v_accvgpr_read_b32 v8, a116
	v_accvgpr_write_b32 a147, v19
	v_fma_f64 v[20:21], v[156:157], v[76:77], -v[6:7]
	v_accvgpr_read_b32 v10, a118
	v_accvgpr_read_b32 v11, a119
	v_mul_f64 v[76:77], v[170:171], v[86:87]
	v_accvgpr_write_b32 a146, v18
	v_accvgpr_write_b32 a145, v17
	;; [unrolled: 1-line block ×3, first 2 shown]
	v_accvgpr_read_b32 v9, a117
	s_waitcnt lgkmcnt(1)
	v_mul_f64 v[6:7], v[112:113], v[10:11]
	v_fma_f64 v[16:17], v[168:169], v[84:85], -v[76:77]
	scratch_load_dwordx4 v[76:79], off, off offset:768
	v_fmac_f64_e32 v[6:7], v[114:115], v[8:9]
	v_accvgpr_write_b32 a143, v15
	v_add_f64 v[0:1], v[0:1], v[6:7]
	v_mul_f64 v[6:7], v[182:183], v[90:91]
	v_mul_f64 v[84:85], v[190:191], v[94:95]
	v_accvgpr_write_b32 a142, v14
	v_accvgpr_write_b32 a141, v13
	;; [unrolled: 1-line block ×3, first 2 shown]
	v_fma_f64 v[18:19], v[180:181], v[88:89], -v[6:7]
	ds_read_b128 v[120:123], v2 offset:1472
	v_fma_f64 v[14:15], v[188:189], v[92:93], -v[84:85]
	scratch_load_dwordx4 v[88:91], off, off offset:784
	scratch_load_dwordx4 v[84:87], off, off offset:800
	v_mul_f64 v[22:23], v[194:195], v[98:99]
	scratch_load_dwordx4 v[92:95], off, off offset:816
	v_fma_f64 v[22:23], v[192:193], v[96:97], -v[22:23]
	v_mul_f64 v[96:97], v[198:199], v[126:127]
	v_fma_f64 v[12:13], v[196:197], v[124:125], -v[96:97]
	scratch_load_dwordx4 v[96:99], off, off offset:832
	s_waitcnt vmcnt(17)
	v_accvgpr_read_b32 v8, a120
	v_accvgpr_read_b32 v10, a122
	;; [unrolled: 1-line block ×4, first 2 shown]
	s_waitcnt lgkmcnt(1)
	v_mul_f64 v[6:7], v[116:117], v[10:11]
	ds_read_b128 v[124:127], v2 offset:1488
	v_fmac_f64_e32 v[6:7], v[118:119], v[8:9]
	s_waitcnt vmcnt(16)
	v_accvgpr_read_b32 v8, a124
	v_mul_f64 v[26:27], v[202:203], v[130:131]
	v_accvgpr_read_b32 v10, a126
	v_accvgpr_read_b32 v11, a127
	v_fma_f64 v[26:27], v[200:201], v[128:129], -v[26:27]
	ds_read_b128 v[128:131], v2 offset:1504
	v_add_f64 v[0:1], v[0:1], v[6:7]
	v_accvgpr_read_b32 v9, a125
	s_waitcnt lgkmcnt(2)
	v_mul_f64 v[6:7], v[120:121], v[10:11]
	v_fmac_f64_e32 v[6:7], v[122:123], v[8:9]
	v_add_f64 v[0:1], v[0:1], v[6:7]
	s_waitcnt vmcnt(15) lgkmcnt(1)
	v_mul_f64 v[6:7], v[124:125], v[236:237]
	s_waitcnt vmcnt(14)
	v_accvgpr_read_b32 v8, a128
	ds_read_b128 v[132:135], v2 offset:1520
	v_fmac_f64_e32 v[6:7], v[126:127], v[234:235]
	v_accvgpr_read_b32 v10, a130
	v_accvgpr_read_b32 v11, a131
	v_add_f64 v[0:1], v[0:1], v[6:7]
	v_accvgpr_read_b32 v9, a129
	s_waitcnt lgkmcnt(1)
	v_mul_f64 v[6:7], v[128:129], v[10:11]
	v_fmac_f64_e32 v[6:7], v[130:131], v[8:9]
	v_add_f64 v[0:1], v[0:1], v[6:7]
	v_mul_f64 v[6:7], v[206:207], v[138:139]
	v_fma_f64 v[10:11], v[204:205], v[136:137], -v[6:7]
	ds_read_b128 v[136:139], v2 offset:1536
	s_waitcnt vmcnt(13) lgkmcnt(1)
	v_mul_f64 v[6:7], v[132:133], v[42:43]
	v_fmac_f64_e32 v[6:7], v[134:135], v[40:41]
	v_add_f64 v[0:1], v[0:1], v[6:7]
	v_mul_f64 v[6:7], v[210:211], v[142:143]
	v_fma_f64 v[30:31], v[208:209], v[140:141], -v[6:7]
	ds_read_b128 v[140:143], v2 offset:1552
	ds_read_b128 v[144:147], v2 offset:1568
	s_waitcnt vmcnt(12) lgkmcnt(2)
	v_mul_f64 v[6:7], v[136:137], v[46:47]
	v_fmac_f64_e32 v[6:7], v[138:139], v[44:45]
	v_add_f64 v[0:1], v[0:1], v[6:7]
	s_waitcnt vmcnt(11) lgkmcnt(1)
	v_mul_f64 v[6:7], v[140:141], v[54:55]
	v_fmac_f64_e32 v[6:7], v[142:143], v[52:53]
	v_add_f64 v[0:1], v[0:1], v[6:7]
	v_mul_f64 v[6:7], v[214:215], v[150:151]
	v_fma_f64 v[8:9], v[212:213], v[148:149], -v[6:7]
	ds_read_b128 v[148:151], v2 offset:1584
	v_mul_f64 v[34:35], v[218:219], v[154:155]
	v_fma_f64 v[34:35], v[216:217], v[152:153], -v[34:35]
	ds_read_b128 v[152:155], v2 offset:1600
	s_waitcnt vmcnt(10) lgkmcnt(2)
	v_mul_f64 v[6:7], v[144:145], v[50:51]
	v_fmac_f64_e32 v[6:7], v[146:147], v[48:49]
	v_add_f64 v[0:1], v[0:1], v[6:7]
	s_waitcnt vmcnt(9) lgkmcnt(1)
	v_mul_f64 v[6:7], v[148:149], v[58:59]
	ds_read_b128 v[156:159], v2 offset:1616
	v_fmac_f64_e32 v[6:7], v[150:151], v[56:57]
	v_add_f64 v[0:1], v[0:1], v[6:7]
	s_waitcnt vmcnt(8) lgkmcnt(1)
	v_mul_f64 v[6:7], v[152:153], v[62:63]
	v_fmac_f64_e32 v[6:7], v[154:155], v[60:61]
	v_add_f64 v[0:1], v[0:1], v[6:7]
	v_mul_f64 v[6:7], v[222:223], v[162:163]
	v_fma_f64 v[4:5], v[220:221], v[160:161], -v[6:7]
	ds_read_b128 v[160:163], v2 offset:1632
	s_waitcnt vmcnt(7) lgkmcnt(1)
	v_mul_f64 v[6:7], v[156:157], v[66:67]
	v_fmac_f64_e32 v[6:7], v[158:159], v[64:65]
	v_add_f64 v[0:1], v[0:1], v[6:7]
	v_mul_f64 v[6:7], v[226:227], v[166:167]
	v_fma_f64 v[6:7], v[224:225], v[164:165], -v[6:7]
	ds_read_b128 v[164:167], v2 offset:1648
	ds_read_b128 v[168:171], v2 offset:1664
	s_waitcnt vmcnt(6) lgkmcnt(2)
	v_mul_f64 v[38:39], v[160:161], v[70:71]
	v_fmac_f64_e32 v[38:39], v[162:163], v[68:69]
	v_add_f64 v[0:1], v[0:1], v[38:39]
	s_waitcnt vmcnt(5) lgkmcnt(1)
	v_mul_f64 v[38:39], v[164:165], v[74:75]
	v_fmac_f64_e32 v[38:39], v[166:167], v[72:73]
	v_add_f64 v[38:39], v[0:1], v[38:39]
	v_mul_f64 v[0:1], v[230:231], v[174:175]
	v_fma_f64 v[0:1], v[228:229], v[172:173], -v[0:1]
	ds_read_b128 v[172:175], v2 offset:1680
	s_waitcnt vmcnt(4) lgkmcnt(1)
	v_mul_f64 v[180:181], v[168:169], v[78:79]
	v_fmac_f64_e32 v[180:181], v[170:171], v[76:77]
	v_mul_f64 v[178:179], v[244:245], v[178:179]
	v_fma_f64 v[238:239], v[242:243], v[176:177], -v[178:179]
	ds_read_b128 v[176:179], v2 offset:1696
	v_add_f64 v[38:39], v[38:39], v[180:181]
	s_waitcnt vmcnt(3) lgkmcnt(1)
	v_mul_f64 v[180:181], v[172:173], v[90:91]
	v_fmac_f64_e32 v[180:181], v[174:175], v[88:89]
	v_add_f64 v[38:39], v[38:39], v[180:181]
	ds_read_b128 v[180:183], v2 offset:1712
	v_mul_f64 v[186:187], v[248:249], v[186:187]
	v_fma_f64 v[242:243], v[246:247], v[184:185], -v[186:187]
	ds_read_b128 v[184:187], v2 offset:1728
	s_waitcnt vmcnt(2) lgkmcnt(2)
	v_mul_f64 v[188:189], v[176:177], v[86:87]
	v_fmac_f64_e32 v[188:189], v[178:179], v[84:85]
	v_add_f64 v[38:39], v[38:39], v[188:189]
	s_waitcnt vmcnt(1) lgkmcnt(1)
	v_mul_f64 v[188:189], v[180:181], v[94:95]
	v_fmac_f64_e32 v[188:189], v[182:183], v[92:93]
	v_add_f64 v[38:39], v[38:39], v[188:189]
	s_waitcnt vmcnt(0) lgkmcnt(0)
	v_mul_f64 v[188:189], v[184:185], v[98:99]
	v_fmac_f64_e32 v[188:189], v[186:187], v[96:97]
	v_add_f64 v[38:39], v[38:39], v[188:189]
	scratch_load_dwordx4 v[188:191], off, off offset:848
	ds_read_b128 v[192:195], v2 offset:1744
	ds_read_b128 v[200:203], v2 offset:1760
	ds_read_b128 v[208:211], v2 offset:1776
	ds_read_b128 v[216:219], v2 offset:1792
	ds_read_b128 v[224:227], v2 offset:1808
	s_waitcnt vmcnt(0) lgkmcnt(4)
	v_mul_f64 v[196:197], v[192:193], v[190:191]
	v_fmac_f64_e32 v[196:197], v[194:195], v[188:189]
	v_add_f64 v[38:39], v[38:39], v[196:197]
	scratch_load_dwordx4 v[196:199], off, off offset:864
	s_waitcnt vmcnt(0) lgkmcnt(3)
	v_mul_f64 v[204:205], v[200:201], v[198:199]
	v_fmac_f64_e32 v[204:205], v[202:203], v[196:197]
	v_add_f64 v[38:39], v[38:39], v[204:205]
	scratch_load_dwordx4 v[204:207], off, off offset:880
	;; [unrolled: 5-line block ×4, first 2 shown]
	s_waitcnt vmcnt(0) lgkmcnt(0)
	v_mul_f64 v[228:229], v[224:225], v[222:223]
	v_fmac_f64_e32 v[228:229], v[226:227], v[220:221]
	v_add_f64 v[246:247], v[38:39], v[228:229]
	v_add_f64 v[38:39], v[240:241], 0
	v_add_f64 v[38:39], v[38:39], v[250:251]
	v_add_f64 v[38:39], v[38:39], v[252:253]
	v_add_f64 v[38:39], v[38:39], v[254:255]
	v_add_f64 v[38:39], v[38:39], v[232:233]
	v_add_f64 v[36:37], v[38:39], v[36:37]
	v_add_f64 v[32:33], v[36:37], v[32:33]
	scratch_load_dwordx4 v[228:231], off, off offset:64
	v_add_f64 v[28:29], v[32:33], v[28:29]
	v_add_f64 v[24:25], v[28:29], v[24:25]
	;; [unrolled: 1-line block ×15, first 2 shown]
	v_accvgpr_read_b32 v6, a132
	v_accvgpr_read_b32 v8, a134
	;; [unrolled: 1-line block ×3, first 2 shown]
	v_add_f64 v[0:1], v[4:5], v[0:1]
	v_accvgpr_read_b32 v7, a133
	v_mul_f64 v[4:5], v[82:83], v[8:9]
	v_add_f64 v[0:1], v[0:1], v[238:239]
	v_fma_f64 v[4:5], v[80:81], v[6:7], -v[4:5]
	v_accvgpr_read_b32 v6, a136
	v_add_f64 v[0:1], v[0:1], v[242:243]
	v_accvgpr_read_b32 v8, a138
	v_accvgpr_read_b32 v9, a139
	v_add_f64 v[0:1], v[0:1], v[4:5]
	v_accvgpr_read_b32 v7, a137
	v_mul_f64 v[4:5], v[102:103], v[8:9]
	v_fma_f64 v[4:5], v[100:101], v[6:7], -v[4:5]
	v_accvgpr_read_b32 v6, a140
	v_accvgpr_read_b32 v8, a142
	v_accvgpr_read_b32 v9, a143
	v_add_f64 v[0:1], v[0:1], v[4:5]
	v_accvgpr_read_b32 v7, a141
	v_mul_f64 v[4:5], v[106:107], v[8:9]
	v_fma_f64 v[4:5], v[104:105], v[6:7], -v[4:5]
	v_accvgpr_read_b32 v6, a144
	;; [unrolled: 7-line block ×5, first 2 shown]
	v_accvgpr_read_b32 v8, a126
	v_accvgpr_read_b32 v9, a127
	v_add_f64 v[0:1], v[0:1], v[4:5]
	v_accvgpr_read_b32 v7, a125
	v_mul_f64 v[4:5], v[122:123], v[8:9]
	v_fma_f64 v[4:5], v[120:121], v[6:7], -v[4:5]
	v_add_f64 v[0:1], v[0:1], v[4:5]
	v_mul_f64 v[4:5], v[126:127], v[236:237]
	v_accvgpr_read_b32 v6, a128
	v_fma_f64 v[4:5], v[124:125], v[234:235], -v[4:5]
	v_accvgpr_read_b32 v8, a130
	v_accvgpr_read_b32 v9, a131
	v_add_f64 v[0:1], v[0:1], v[4:5]
	v_accvgpr_read_b32 v7, a129
	v_mul_f64 v[4:5], v[130:131], v[8:9]
	v_fma_f64 v[4:5], v[128:129], v[6:7], -v[4:5]
	v_add_f64 v[0:1], v[0:1], v[4:5]
	v_mul_f64 v[4:5], v[134:135], v[42:43]
	v_fma_f64 v[4:5], v[132:133], v[40:41], -v[4:5]
	v_add_f64 v[0:1], v[0:1], v[4:5]
	;; [unrolled: 3-line block ×20, first 2 shown]
	s_waitcnt vmcnt(0)
	v_add_f64 v[4:5], v[228:229], -v[0:1]
	v_accvgpr_read_b32 v0, a114
	v_add_f64 v[6:7], v[230:231], -v[246:247]
	v_cmp_lt_u32_e32 vcc, 2, v0
	scratch_store_dwordx4 off, v[4:7], off offset:64
	s_and_saveexec_b64 s[0:1], vcc
	s_cbranch_execz .LBB56_351
; %bb.350:
	scratch_load_dwordx4 v[6:9], off, s71
	v_mov_b32_e32 v3, v2
	v_mov_b32_e32 v4, v2
	;; [unrolled: 1-line block ×3, first 2 shown]
	v_accvgpr_read_b32 v0, a115
	scratch_store_dwordx4 off, v[2:5], off offset:48
	s_waitcnt vmcnt(1)
	ds_write_b128 v0, v[6:9]
.LBB56_351:
	s_or_b64 exec, exec, s[0:1]
	s_waitcnt lgkmcnt(0)
	; wave barrier
	scratch_load_dwordx4 v[40:43], off, off offset:64
	scratch_load_dwordx4 v[44:47], off, off offset:80
	;; [unrolled: 1-line block ×18, first 2 shown]
	ds_read_b128 v[80:83], v2 offset:960
	ds_read_b128 v[204:207], v2 offset:976
	ds_read_b128 v[100:103], v2 offset:992
	ds_read_b128 v[116:119], v2 offset:1008
	ds_read_b128 v[104:107], v2 offset:1024
	ds_read_b128 v[108:111], v2 offset:1040
	scratch_load_dwordx4 v[148:151], off, off offset:352
	ds_read_b128 v[180:183], v2 offset:1056
	ds_read_b128 v[112:115], v2 offset:1072
	scratch_load_dwordx4 v[152:155], off, off offset:368
	ds_read_b128 v[208:211], v2 offset:1088
	ds_read_b128 v[200:203], v2 offset:1104
	;; [unrolled: 1-line block ×5, first 2 shown]
	scratch_load_dwordx4 v[160:163], off, off offset:384
	ds_read_b128 v[196:199], v2 offset:1168
	ds_read_b128 v[192:195], v2 offset:1184
	;; [unrolled: 1-line block ×4, first 2 shown]
	scratch_load_dwordx4 v[164:167], off, off offset:400
	ds_read_b128 v[168:171], v2 offset:1232
	scratch_load_dwordx4 v[172:175], off, off offset:416
	scratch_load_dwordx4 v[176:179], off, off offset:432
	;; [unrolled: 1-line block ×7, first 2 shown]
	ds_read_b128 v[228:231], v2 offset:1312
	ds_read_b128 v[232:235], v2 offset:1328
	scratch_load_dwordx4 a[120:123], off, off offset:560
	scratch_load_dwordx4 a[124:127], off, off offset:576
	ds_read_b128 v[236:239], v2 offset:1344
	scratch_load_dwordx4 a[116:119], off, off offset:544
	ds_read_b128 v[224:227], v2 offset:1296
	s_waitcnt vmcnt(31) lgkmcnt(14)
	v_mul_f64 v[0:1], v[80:81], v[42:43]
	s_waitcnt vmcnt(30)
	v_mul_f64 v[20:21], v[204:205], v[46:47]
	v_fmac_f64_e32 v[0:1], v[82:83], v[40:41]
	s_waitcnt vmcnt(29)
	v_mul_f64 v[22:23], v[100:101], v[50:51]
	v_fmac_f64_e32 v[20:21], v[206:207], v[44:45]
	v_add_f64 v[0:1], v[0:1], 0
	v_fmac_f64_e32 v[22:23], v[102:103], v[48:49]
	v_add_f64 v[0:1], v[0:1], v[20:21]
	v_add_f64 v[0:1], v[0:1], v[22:23]
	scratch_load_dwordx4 v[20:23], off, off offset:528
	s_waitcnt vmcnt(29)
	v_mul_f64 v[24:25], v[116:117], v[54:55]
	s_waitcnt vmcnt(28)
	v_mul_f64 v[26:27], v[104:105], v[58:59]
	v_fmac_f64_e32 v[24:25], v[118:119], v[52:53]
	s_waitcnt vmcnt(27)
	v_mul_f64 v[28:29], v[108:109], v[62:63]
	v_fmac_f64_e32 v[26:27], v[106:107], v[56:57]
	v_add_f64 v[0:1], v[0:1], v[24:25]
	s_waitcnt vmcnt(26)
	v_mul_f64 v[30:31], v[180:181], v[66:67]
	v_fmac_f64_e32 v[28:29], v[110:111], v[60:61]
	v_add_f64 v[0:1], v[0:1], v[26:27]
	;; [unrolled: 4-line block ×3, first 2 shown]
	s_waitcnt vmcnt(24) lgkmcnt(13)
	v_mul_f64 v[34:35], v[208:209], v[74:75]
	v_fmac_f64_e32 v[32:33], v[114:115], v[68:69]
	v_add_f64 v[0:1], v[0:1], v[30:31]
	s_waitcnt vmcnt(23) lgkmcnt(12)
	v_mul_f64 v[36:37], v[200:201], v[78:79]
	v_fmac_f64_e32 v[34:35], v[210:211], v[72:73]
	v_add_f64 v[0:1], v[0:1], v[32:33]
	;; [unrolled: 4-line block ×8, first 2 shown]
	ds_read_b128 v[212:215], v2 offset:1248
	s_waitcnt vmcnt(16) lgkmcnt(6)
	v_mul_f64 v[222:223], v[144:145], v[138:139]
	v_fmac_f64_e32 v[220:221], v[158:159], v[128:129]
	v_add_f64 v[0:1], v[0:1], v[218:219]
	ds_read_b128 v[216:219], v2 offset:1264
	v_add_f64 v[0:1], v[0:1], v[220:221]
	v_fmac_f64_e32 v[222:223], v[146:147], v[136:137]
	v_add_f64 v[0:1], v[0:1], v[222:223]
	s_waitcnt vmcnt(15) lgkmcnt(6)
	v_mul_f64 v[24:25], v[168:169], v[142:143]
	ds_read_b128 v[220:223], v2 offset:1280
	v_fmac_f64_e32 v[24:25], v[170:171], v[140:141]
	v_add_f64 v[0:1], v[0:1], v[24:25]
	s_waitcnt vmcnt(14) lgkmcnt(2)
	v_mul_f64 v[24:25], v[212:213], v[150:151]
	v_fmac_f64_e32 v[24:25], v[214:215], v[148:149]
	s_waitcnt vmcnt(13) lgkmcnt(1)
	v_mul_f64 v[28:29], v[216:217], v[154:155]
	v_add_f64 v[0:1], v[0:1], v[24:25]
	v_fmac_f64_e32 v[28:29], v[218:219], v[152:153]
	v_add_f64 v[0:1], v[0:1], v[28:29]
	s_waitcnt vmcnt(12) lgkmcnt(0)
	v_mul_f64 v[28:29], v[220:221], v[162:163]
	v_fmac_f64_e32 v[28:29], v[222:223], v[160:161]
	s_waitcnt vmcnt(11)
	v_mul_f64 v[32:33], v[224:225], v[166:167]
	v_add_f64 v[0:1], v[0:1], v[28:29]
	v_fmac_f64_e32 v[32:33], v[226:227], v[164:165]
	v_add_f64 v[0:1], v[0:1], v[32:33]
	s_waitcnt vmcnt(10)
	v_mul_f64 v[32:33], v[228:229], v[174:175]
	v_fmac_f64_e32 v[32:33], v[230:231], v[172:173]
	s_waitcnt vmcnt(9)
	v_mul_f64 v[36:37], v[232:233], v[178:179]
	v_add_f64 v[0:1], v[0:1], v[32:33]
	v_fmac_f64_e32 v[36:37], v[234:235], v[176:177]
	v_mul_f64 v[42:43], v[82:83], v[42:43]
	v_add_f64 v[0:1], v[0:1], v[36:37]
	scratch_load_dwordx4 v[36:39], off, off offset:592
	v_fma_f64 v[240:241], v[80:81], v[40:41], -v[42:43]
	ds_read_b128 v[80:83], v2 offset:1360
	s_waitcnt vmcnt(9)
	v_mul_f64 v[40:41], v[236:237], v[186:187]
	v_fmac_f64_e32 v[40:41], v[238:239], v[184:185]
	v_add_f64 v[0:1], v[0:1], v[40:41]
	v_mul_f64 v[40:41], v[206:207], v[46:47]
	v_fma_f64 v[246:247], v[204:205], v[44:45], -v[40:41]
	scratch_load_dwordx4 v[40:43], off, off offset:608
	s_waitcnt vmcnt(9) lgkmcnt(0)
	v_mul_f64 v[44:45], v[80:81], v[6:7]
	v_fmac_f64_e32 v[44:45], v[82:83], v[4:5]
	v_add_f64 v[0:1], v[0:1], v[44:45]
	scratch_load_dwordx4 v[44:47], off, off offset:624
	v_mul_f64 v[50:51], v[102:103], v[50:51]
	v_fma_f64 v[248:249], v[100:101], v[48:49], -v[50:51]
	ds_read_b128 v[100:103], v2 offset:1376
	v_mul_f64 v[48:49], v[118:119], v[54:55]
	v_fma_f64 v[250:251], v[116:117], v[52:53], -v[48:49]
	scratch_load_dwordx4 v[52:55], off, off offset:640
	scratch_load_dwordx4 v[48:51], off, off offset:656
	v_accvgpr_write_b32 a131, v7
	v_accvgpr_write_b32 a130, v6
	;; [unrolled: 1-line block ×4, first 2 shown]
	s_waitcnt vmcnt(11)
	v_mov_b64_e32 v[4:5], v[8:9]
	v_mul_f64 v[58:59], v[106:107], v[58:59]
	v_mov_b64_e32 v[6:7], v[10:11]
	v_fma_f64 v[252:253], v[104:105], v[56:57], -v[58:59]
	s_waitcnt lgkmcnt(0)
	v_mul_f64 v[56:57], v[100:101], v[6:7]
	ds_read_b128 v[104:107], v2 offset:1392
	v_fmac_f64_e32 v[56:57], v[102:103], v[4:5]
	v_add_f64 v[0:1], v[0:1], v[56:57]
	v_mul_f64 v[56:57], v[110:111], v[62:63]
	v_fma_f64 v[254:255], v[108:109], v[60:61], -v[56:57]
	scratch_load_dwordx4 v[56:59], off, off offset:672
	scratch_load_dwordx4 v[60:63], off, off offset:688
	s_waitcnt vmcnt(12)
	v_mov_b64_e32 v[4:5], v[12:13]
	v_mul_f64 v[66:67], v[182:183], v[66:67]
	v_mov_b64_e32 v[6:7], v[14:15]
	v_fma_f64 v[242:243], v[180:181], v[64:65], -v[66:67]
	v_mul_f64 v[64:65], v[114:115], v[70:71]
	v_fma_f64 v[32:33], v[112:113], v[68:69], -v[64:65]
	ds_read_b128 v[112:115], v2 offset:1424
	s_waitcnt lgkmcnt(1)
	v_mul_f64 v[108:109], v[104:105], v[6:7]
	v_fmac_f64_e32 v[108:109], v[106:107], v[4:5]
	v_add_f64 v[0:1], v[0:1], v[108:109]
	ds_read_b128 v[108:111], v2 offset:1408
	ds_read_b128 v[116:119], v2 offset:1440
	scratch_load_dwordx4 v[64:67], off, off offset:704
	scratch_load_dwordx4 v[68:71], off, off offset:720
	v_mul_f64 v[6:7], v[210:211], v[74:75]
	v_fma_f64 v[28:29], v[208:209], v[72:73], -v[6:7]
	s_waitcnt vmcnt(13)
	v_mov_b64_e32 v[4:5], v[16:17]
	v_mov_b64_e32 v[6:7], v[18:19]
	s_waitcnt lgkmcnt(1)
	v_mul_f64 v[72:73], v[108:109], v[6:7]
	v_fmac_f64_e32 v[72:73], v[110:111], v[4:5]
	v_add_f64 v[0:1], v[0:1], v[72:73]
	v_mul_f64 v[72:73], v[202:203], v[78:79]
	v_fma_f64 v[24:25], v[200:201], v[76:77], -v[72:73]
	scratch_load_dwordx4 v[72:75], off, off offset:736
	s_waitcnt vmcnt(10)
	v_mov_b64_e32 v[4:5], v[20:21]
	v_accvgpr_write_b32 a135, v11
	v_mov_b64_e32 v[6:7], v[22:23]
	v_mul_f64 v[76:77], v[190:191], v[86:87]
	v_accvgpr_write_b32 a134, v10
	v_accvgpr_write_b32 a133, v9
	;; [unrolled: 1-line block ×3, first 2 shown]
	v_mul_f64 v[10:11], v[112:113], v[6:7]
	v_fma_f64 v[244:245], v[188:189], v[84:85], -v[76:77]
	scratch_load_dwordx4 v[76:79], off, off offset:752
	v_fmac_f64_e32 v[10:11], v[114:115], v[4:5]
	v_accvgpr_write_b32 a147, v23
	v_add_f64 v[0:1], v[0:1], v[10:11]
	v_mul_f64 v[10:11], v[122:123], v[90:91]
	v_accvgpr_write_b32 a146, v22
	v_accvgpr_write_b32 a145, v21
	;; [unrolled: 1-line block ×3, first 2 shown]
	v_fma_f64 v[20:21], v[120:121], v[88:89], -v[10:11]
	ds_read_b128 v[120:123], v2 offset:1456
	scratch_load_dwordx4 v[88:91], off, off offset:768
	scratch_load_dwordx4 v[84:87], off, off offset:784
	v_accvgpr_write_b32 a139, v15
	v_accvgpr_write_b32 a138, v14
	v_accvgpr_write_b32 a137, v13
	v_accvgpr_write_b32 a136, v12
	v_accvgpr_write_b32 a143, v19
	v_mul_f64 v[14:15], v[134:135], v[94:95]
	v_accvgpr_write_b32 a142, v18
	v_accvgpr_write_b32 a141, v17
	;; [unrolled: 1-line block ×3, first 2 shown]
	v_fma_f64 v[16:17], v[132:133], v[92:93], -v[14:15]
	v_mul_f64 v[92:93], v[198:199], v[98:99]
	v_fma_f64 v[14:15], v[196:197], v[96:97], -v[92:93]
	scratch_load_dwordx4 v[92:95], off, off offset:800
	v_mul_f64 v[96:97], v[158:159], v[130:131]
	v_fma_f64 v[12:13], v[156:157], v[128:129], -v[96:97]
	scratch_load_dwordx4 v[96:99], off, off offset:816
	v_accvgpr_read_b32 v4, a116
	v_accvgpr_read_b32 v6, a118
	;; [unrolled: 1-line block ×4, first 2 shown]
	s_waitcnt lgkmcnt(1)
	v_mul_f64 v[10:11], v[116:117], v[6:7]
	v_mul_f64 v[18:19], v[194:195], v[126:127]
	v_fmac_f64_e32 v[10:11], v[118:119], v[4:5]
	v_accvgpr_read_b32 v4, a120
	v_fma_f64 v[18:19], v[192:193], v[124:125], -v[18:19]
	ds_read_b128 v[124:127], v2 offset:1472
	ds_read_b128 v[128:131], v2 offset:1488
	v_accvgpr_read_b32 v6, a122
	v_accvgpr_read_b32 v7, a123
	v_add_f64 v[0:1], v[0:1], v[10:11]
	v_accvgpr_read_b32 v5, a121
	s_waitcnt lgkmcnt(2)
	v_mul_f64 v[10:11], v[120:121], v[6:7]
	v_fmac_f64_e32 v[10:11], v[122:123], v[4:5]
	v_accvgpr_read_b32 v4, a124
	v_accvgpr_read_b32 v6, a126
	v_accvgpr_read_b32 v7, a127
	v_add_f64 v[0:1], v[0:1], v[10:11]
	v_accvgpr_read_b32 v5, a125
	s_waitcnt lgkmcnt(1)
	v_mul_f64 v[10:11], v[124:125], v[6:7]
	ds_read_b128 v[132:135], v2 offset:1504
	v_fmac_f64_e32 v[10:11], v[126:127], v[4:5]
	v_add_f64 v[0:1], v[0:1], v[10:11]
	s_waitcnt vmcnt(14) lgkmcnt(1)
	v_mul_f64 v[10:11], v[128:129], v[38:39]
	v_fmac_f64_e32 v[10:11], v[130:131], v[36:37]
	v_add_f64 v[0:1], v[0:1], v[10:11]
	v_mul_f64 v[10:11], v[146:147], v[138:139]
	v_fma_f64 v[22:23], v[144:145], v[136:137], -v[10:11]
	ds_read_b128 v[136:139], v2 offset:1520
	s_waitcnt vmcnt(13) lgkmcnt(1)
	v_mul_f64 v[10:11], v[132:133], v[42:43]
	v_fmac_f64_e32 v[10:11], v[134:135], v[40:41]
	v_add_f64 v[0:1], v[0:1], v[10:11]
	v_mul_f64 v[10:11], v[170:171], v[142:143]
	v_fma_f64 v[8:9], v[168:169], v[140:141], -v[10:11]
	ds_read_b128 v[140:143], v2 offset:1536
	ds_read_b128 v[144:147], v2 offset:1552
	s_waitcnt vmcnt(12) lgkmcnt(2)
	v_mul_f64 v[10:11], v[136:137], v[46:47]
	v_fmac_f64_e32 v[10:11], v[138:139], v[44:45]
	v_add_f64 v[0:1], v[0:1], v[10:11]
	s_waitcnt vmcnt(11) lgkmcnt(1)
	v_mul_f64 v[10:11], v[140:141], v[54:55]
	v_fmac_f64_e32 v[10:11], v[142:143], v[52:53]
	v_add_f64 v[0:1], v[0:1], v[10:11]
	v_mul_f64 v[10:11], v[214:215], v[150:151]
	v_fma_f64 v[26:27], v[212:213], v[148:149], -v[10:11]
	ds_read_b128 v[148:151], v2 offset:1568
	v_mul_f64 v[154:155], v[218:219], v[154:155]
	v_fma_f64 v[6:7], v[216:217], v[152:153], -v[154:155]
	ds_read_b128 v[152:155], v2 offset:1584
	s_waitcnt vmcnt(10) lgkmcnt(2)
	v_mul_f64 v[10:11], v[144:145], v[50:51]
	v_fmac_f64_e32 v[10:11], v[146:147], v[48:49]
	v_add_f64 v[0:1], v[0:1], v[10:11]
	s_waitcnt vmcnt(9) lgkmcnt(1)
	v_mul_f64 v[10:11], v[148:149], v[58:59]
	ds_read_b128 v[156:159], v2 offset:1600
	v_fmac_f64_e32 v[10:11], v[150:151], v[56:57]
	v_add_f64 v[0:1], v[0:1], v[10:11]
	s_waitcnt vmcnt(8) lgkmcnt(1)
	v_mul_f64 v[10:11], v[152:153], v[62:63]
	v_fmac_f64_e32 v[10:11], v[154:155], v[60:61]
	v_add_f64 v[0:1], v[0:1], v[10:11]
	v_mul_f64 v[10:11], v[222:223], v[162:163]
	v_fma_f64 v[30:31], v[220:221], v[160:161], -v[10:11]
	ds_read_b128 v[160:163], v2 offset:1616
	s_waitcnt vmcnt(7) lgkmcnt(1)
	v_mul_f64 v[10:11], v[156:157], v[66:67]
	v_fmac_f64_e32 v[10:11], v[158:159], v[64:65]
	v_add_f64 v[0:1], v[0:1], v[10:11]
	v_mul_f64 v[10:11], v[226:227], v[166:167]
	v_fma_f64 v[4:5], v[224:225], v[164:165], -v[10:11]
	ds_read_b128 v[164:167], v2 offset:1632
	ds_read_b128 v[168:171], v2 offset:1648
	s_waitcnt vmcnt(6) lgkmcnt(2)
	v_mul_f64 v[10:11], v[160:161], v[70:71]
	v_fmac_f64_e32 v[10:11], v[162:163], v[68:69]
	v_add_f64 v[0:1], v[0:1], v[10:11]
	s_waitcnt vmcnt(5) lgkmcnt(1)
	v_mul_f64 v[10:11], v[164:165], v[74:75]
	v_fmac_f64_e32 v[10:11], v[166:167], v[72:73]
	v_add_f64 v[10:11], v[0:1], v[10:11]
	v_mul_f64 v[0:1], v[230:231], v[174:175]
	v_fma_f64 v[34:35], v[228:229], v[172:173], -v[0:1]
	ds_read_b128 v[172:175], v2 offset:1664
	s_waitcnt vmcnt(4) lgkmcnt(1)
	v_mul_f64 v[180:181], v[168:169], v[78:79]
	v_fmac_f64_e32 v[180:181], v[170:171], v[76:77]
	v_mul_f64 v[0:1], v[234:235], v[178:179]
	v_fma_f64 v[0:1], v[232:233], v[176:177], -v[0:1]
	ds_read_b128 v[176:179], v2 offset:1680
	v_add_f64 v[10:11], v[10:11], v[180:181]
	s_waitcnt vmcnt(3) lgkmcnt(1)
	v_mul_f64 v[180:181], v[172:173], v[90:91]
	v_fmac_f64_e32 v[180:181], v[174:175], v[88:89]
	v_add_f64 v[188:189], v[10:11], v[180:181]
	ds_read_b128 v[180:183], v2 offset:1696
	v_mul_f64 v[10:11], v[238:239], v[186:187]
	v_fma_f64 v[10:11], v[236:237], v[184:185], -v[10:11]
	ds_read_b128 v[184:187], v2 offset:1712
	s_waitcnt vmcnt(2) lgkmcnt(2)
	v_mul_f64 v[190:191], v[176:177], v[86:87]
	v_fmac_f64_e32 v[190:191], v[178:179], v[84:85]
	v_add_f64 v[188:189], v[188:189], v[190:191]
	s_waitcnt vmcnt(1) lgkmcnt(1)
	v_mul_f64 v[190:191], v[180:181], v[94:95]
	v_fmac_f64_e32 v[190:191], v[182:183], v[92:93]
	v_add_f64 v[188:189], v[188:189], v[190:191]
	;; [unrolled: 4-line block ×3, first 2 shown]
	scratch_load_dwordx4 v[188:191], off, off offset:832
	scratch_load_dwordx4 v[232:235], off, off offset:912
	ds_read_b128 v[192:195], v2 offset:1728
	ds_read_b128 v[200:203], v2 offset:1744
	;; [unrolled: 1-line block ×5, first 2 shown]
	s_waitcnt vmcnt(1) lgkmcnt(4)
	v_mul_f64 v[198:199], v[192:193], v[190:191]
	v_fmac_f64_e32 v[198:199], v[194:195], v[188:189]
	v_add_f64 v[204:205], v[196:197], v[198:199]
	scratch_load_dwordx4 v[196:199], off, off offset:848
	s_waitcnt vmcnt(0) lgkmcnt(3)
	v_mul_f64 v[206:207], v[200:201], v[198:199]
	v_fmac_f64_e32 v[206:207], v[202:203], v[196:197]
	v_add_f64 v[212:213], v[204:205], v[206:207]
	scratch_load_dwordx4 v[204:207], off, off offset:864
	s_waitcnt vmcnt(0) lgkmcnt(2)
	v_mul_f64 v[214:215], v[208:209], v[206:207]
	v_fmac_f64_e32 v[214:215], v[210:211], v[204:205]
	v_add_f64 v[220:221], v[212:213], v[214:215]
	scratch_load_dwordx4 v[212:215], off, off offset:880
	s_waitcnt vmcnt(0) lgkmcnt(1)
	v_mul_f64 v[222:223], v[216:217], v[214:215]
	v_fmac_f64_e32 v[222:223], v[218:219], v[212:213]
	v_add_f64 v[228:229], v[220:221], v[222:223]
	scratch_load_dwordx4 v[220:223], off, off offset:896
	s_waitcnt vmcnt(0) lgkmcnt(0)
	v_mul_f64 v[230:231], v[224:225], v[222:223]
	v_fmac_f64_e32 v[230:231], v[226:227], v[220:221]
	v_add_f64 v[236:237], v[228:229], v[230:231]
	ds_read_b128 v[228:231], v2 offset:1808
	s_waitcnt lgkmcnt(0)
	v_mul_f64 v[2:3], v[228:229], v[234:235]
	v_fmac_f64_e32 v[2:3], v[230:231], v[232:233]
	v_add_f64 v[2:3], v[236:237], v[2:3]
	v_add_f64 v[236:237], v[240:241], 0
	;; [unrolled: 1-line block ×11, first 2 shown]
	scratch_load_dwordx4 v[236:239], off, off offset:48
	v_add_f64 v[24:25], v[24:25], v[244:245]
	v_add_f64 v[20:21], v[24:25], v[20:21]
	;; [unrolled: 1-line block ×12, first 2 shown]
	v_accvgpr_read_b32 v6, a128
	v_accvgpr_read_b32 v8, a130
	;; [unrolled: 1-line block ×3, first 2 shown]
	v_add_f64 v[246:247], v[4:5], v[34:35]
	v_accvgpr_read_b32 v7, a129
	v_mul_f64 v[4:5], v[82:83], v[8:9]
	v_add_f64 v[0:1], v[246:247], v[0:1]
	v_fma_f64 v[4:5], v[80:81], v[6:7], -v[4:5]
	v_accvgpr_read_b32 v6, a132
	v_add_f64 v[0:1], v[0:1], v[10:11]
	v_accvgpr_read_b32 v8, a134
	v_accvgpr_read_b32 v9, a135
	v_add_f64 v[0:1], v[0:1], v[4:5]
	v_accvgpr_read_b32 v7, a133
	v_mul_f64 v[4:5], v[102:103], v[8:9]
	v_fma_f64 v[4:5], v[100:101], v[6:7], -v[4:5]
	v_accvgpr_read_b32 v6, a136
	v_accvgpr_read_b32 v8, a138
	v_accvgpr_read_b32 v9, a139
	v_add_f64 v[0:1], v[0:1], v[4:5]
	v_accvgpr_read_b32 v7, a137
	v_mul_f64 v[4:5], v[106:107], v[8:9]
	v_fma_f64 v[4:5], v[104:105], v[6:7], -v[4:5]
	v_accvgpr_read_b32 v6, a140
	v_accvgpr_read_b32 v8, a142
	v_accvgpr_read_b32 v9, a143
	v_add_f64 v[0:1], v[0:1], v[4:5]
	v_accvgpr_read_b32 v7, a141
	v_mul_f64 v[4:5], v[110:111], v[8:9]
	v_fma_f64 v[4:5], v[108:109], v[6:7], -v[4:5]
	v_accvgpr_read_b32 v6, a144
	v_accvgpr_read_b32 v8, a146
	v_accvgpr_read_b32 v9, a147
	v_add_f64 v[0:1], v[0:1], v[4:5]
	v_accvgpr_read_b32 v7, a145
	v_mul_f64 v[4:5], v[114:115], v[8:9]
	v_fma_f64 v[4:5], v[112:113], v[6:7], -v[4:5]
	v_accvgpr_read_b32 v6, a116
	v_accvgpr_read_b32 v8, a118
	v_accvgpr_read_b32 v9, a119
	v_add_f64 v[0:1], v[0:1], v[4:5]
	v_accvgpr_read_b32 v7, a117
	v_mul_f64 v[4:5], v[118:119], v[8:9]
	v_fma_f64 v[4:5], v[116:117], v[6:7], -v[4:5]
	v_accvgpr_read_b32 v6, a120
	v_accvgpr_read_b32 v8, a122
	v_accvgpr_read_b32 v9, a123
	v_add_f64 v[0:1], v[0:1], v[4:5]
	v_accvgpr_read_b32 v7, a121
	v_mul_f64 v[4:5], v[122:123], v[8:9]
	v_fma_f64 v[4:5], v[120:121], v[6:7], -v[4:5]
	v_accvgpr_read_b32 v6, a124
	v_accvgpr_read_b32 v8, a126
	v_accvgpr_read_b32 v9, a127
	v_add_f64 v[0:1], v[0:1], v[4:5]
	v_accvgpr_read_b32 v7, a125
	v_mul_f64 v[4:5], v[126:127], v[8:9]
	v_fma_f64 v[4:5], v[124:125], v[6:7], -v[4:5]
	v_add_f64 v[0:1], v[0:1], v[4:5]
	v_mul_f64 v[4:5], v[130:131], v[38:39]
	v_fma_f64 v[4:5], v[128:129], v[36:37], -v[4:5]
	v_add_f64 v[0:1], v[0:1], v[4:5]
	;; [unrolled: 3-line block ×22, first 2 shown]
	s_waitcnt vmcnt(0)
	v_add_f64 v[4:5], v[236:237], -v[0:1]
	v_accvgpr_read_b32 v0, a114
	v_add_f64 v[6:7], v[238:239], -v[2:3]
	v_cmp_lt_u32_e32 vcc, 1, v0
	scratch_store_dwordx4 off, v[4:7], off offset:48
	s_and_saveexec_b64 s[0:1], vcc
	s_cbranch_execz .LBB56_353
; %bb.352:
	scratch_load_dwordx4 v[2:5], off, s72
	v_mov_b32_e32 v6, 0
	v_mov_b32_e32 v7, v6
	;; [unrolled: 1-line block ×4, first 2 shown]
	v_accvgpr_read_b32 v0, a115
	scratch_store_dwordx4 off, v[6:9], off offset:32
	s_waitcnt vmcnt(1)
	ds_write_b128 v0, v[2:5]
.LBB56_353:
	s_or_b64 exec, exec, s[0:1]
	s_waitcnt lgkmcnt(0)
	; wave barrier
	scratch_load_dwordx4 v[16:19], off, off offset:48
	scratch_load_dwordx4 v[20:23], off, off offset:64
	;; [unrolled: 1-line block ×30, first 2 shown]
	v_mov_b32_e32 v2, 0
	ds_read_b128 v[84:87], v2 offset:944
	ds_read_b128 v[96:99], v2 offset:960
	;; [unrolled: 1-line block ×17, first 2 shown]
	scratch_load_dwordx4 a[116:119], off, off offset:528
	scratch_load_dwordx4 a[120:123], off, off offset:544
	;; [unrolled: 1-line block ×4, first 2 shown]
	ds_read_b128 v[228:231], v2 offset:1312
	ds_read_b128 v[236:239], v2 offset:1328
	scratch_load_dwordx4 a[132:135], off, off offset:592
	ds_read_b128 v[242:245], v2 offset:1344
	ds_read_b128 v[246:249], v2 offset:1360
	;; [unrolled: 1-line block ×3, first 2 shown]
	s_waitcnt vmcnt(34) lgkmcnt(14)
	v_mul_f64 v[0:1], v[84:85], v[18:19]
	s_waitcnt vmcnt(33)
	v_mul_f64 v[40:41], v[96:97], v[22:23]
	v_fmac_f64_e32 v[0:1], v[86:87], v[16:17]
	s_waitcnt vmcnt(32)
	v_mul_f64 v[42:43], v[104:105], v[26:27]
	v_fmac_f64_e32 v[40:41], v[98:99], v[20:21]
	v_add_f64 v[0:1], v[0:1], 0
	s_waitcnt vmcnt(31)
	v_mul_f64 v[48:49], v[108:109], v[30:31]
	v_fmac_f64_e32 v[42:43], v[106:107], v[24:25]
	v_add_f64 v[0:1], v[0:1], v[40:41]
	s_waitcnt vmcnt(30)
	v_mul_f64 v[50:51], v[112:113], v[34:35]
	v_fmac_f64_e32 v[48:49], v[110:111], v[28:29]
	v_add_f64 v[0:1], v[0:1], v[42:43]
	s_waitcnt vmcnt(29)
	v_mul_f64 v[56:57], v[116:117], v[38:39]
	v_fmac_f64_e32 v[50:51], v[114:115], v[32:33]
	v_add_f64 v[0:1], v[0:1], v[48:49]
	s_waitcnt vmcnt(28)
	v_mul_f64 v[58:59], v[120:121], v[46:47]
	v_fmac_f64_e32 v[56:57], v[118:119], v[36:37]
	v_add_f64 v[0:1], v[0:1], v[50:51]
	s_waitcnt vmcnt(27)
	v_mul_f64 v[204:205], v[124:125], v[54:55]
	v_fmac_f64_e32 v[58:59], v[122:123], v[44:45]
	v_add_f64 v[0:1], v[0:1], v[56:57]
	s_waitcnt vmcnt(26) lgkmcnt(13)
	v_mul_f64 v[206:207], v[140:141], v[62:63]
	v_fmac_f64_e32 v[204:205], v[126:127], v[52:53]
	v_add_f64 v[0:1], v[0:1], v[58:59]
	s_waitcnt vmcnt(25) lgkmcnt(12)
	v_mul_f64 v[208:209], v[152:153], v[66:67]
	v_fmac_f64_e32 v[206:207], v[142:143], v[60:61]
	v_add_f64 v[0:1], v[0:1], v[204:205]
	;; [unrolled: 4-line block ×6, first 2 shown]
	ds_read_b128 v[204:207], v2 offset:1216
	ds_read_b128 v[208:211], v2 offset:1232
	s_waitcnt vmcnt(20) lgkmcnt(9)
	v_mul_f64 v[218:219], v[192:193], v[90:91]
	v_fmac_f64_e32 v[216:217], v[190:191], v[80:81]
	v_add_f64 v[0:1], v[0:1], v[214:215]
	s_waitcnt vmcnt(19) lgkmcnt(8)
	v_mul_f64 v[220:221], v[196:197], v[94:95]
	v_fmac_f64_e32 v[218:219], v[194:195], v[88:89]
	v_add_f64 v[0:1], v[0:1], v[216:217]
	v_fmac_f64_e32 v[220:221], v[198:199], v[92:93]
	v_add_f64 v[0:1], v[0:1], v[218:219]
	s_waitcnt vmcnt(18) lgkmcnt(7)
	v_mul_f64 v[40:41], v[200:201], v[102:103]
	ds_read_b128 v[212:215], v2 offset:1248
	ds_read_b128 v[216:219], v2 offset:1264
	v_add_f64 v[0:1], v[0:1], v[220:221]
	v_fmac_f64_e32 v[40:41], v[202:203], v[100:101]
	v_add_f64 v[0:1], v[0:1], v[40:41]
	s_waitcnt vmcnt(17) lgkmcnt(3)
	v_mul_f64 v[40:41], v[204:205], v[130:131]
	v_fmac_f64_e32 v[40:41], v[206:207], v[128:129]
	ds_read_b128 v[220:223], v2 offset:1280
	v_add_f64 v[0:1], v[0:1], v[40:41]
	s_waitcnt vmcnt(16) lgkmcnt(3)
	v_mul_f64 v[40:41], v[208:209], v[134:135]
	v_fmac_f64_e32 v[40:41], v[210:211], v[132:133]
	s_waitcnt vmcnt(15) lgkmcnt(2)
	v_mul_f64 v[48:49], v[212:213], v[138:139]
	v_add_f64 v[0:1], v[0:1], v[40:41]
	v_fmac_f64_e32 v[48:49], v[214:215], v[136:137]
	s_waitcnt vmcnt(14) lgkmcnt(1)
	v_mul_f64 v[56:57], v[216:217], v[146:147]
	v_add_f64 v[0:1], v[0:1], v[48:49]
	v_fmac_f64_e32 v[56:57], v[218:219], v[144:145]
	v_add_f64 v[0:1], v[0:1], v[56:57]
	s_waitcnt vmcnt(13) lgkmcnt(0)
	v_mul_f64 v[56:57], v[220:221], v[150:151]
	v_fmac_f64_e32 v[56:57], v[222:223], v[148:149]
	v_add_f64 v[0:1], v[0:1], v[56:57]
	s_waitcnt vmcnt(12)
	v_mul_f64 v[56:57], v[224:225], v[158:159]
	v_fmac_f64_e32 v[56:57], v[226:227], v[156:157]
	s_waitcnt vmcnt(11)
	v_mul_f64 v[232:233], v[228:229], v[162:163]
	v_add_f64 v[0:1], v[0:1], v[56:57]
	v_fmac_f64_e32 v[232:233], v[230:231], v[160:161]
	v_add_f64 v[0:1], v[0:1], v[232:233]
	s_waitcnt vmcnt(10)
	v_mul_f64 v[232:233], v[236:237], v[170:171]
	v_mul_f64 v[18:19], v[86:87], v[18:19]
	v_fmac_f64_e32 v[232:233], v[238:239], v[168:169]
	v_fma_f64 v[240:241], v[84:85], v[16:17], -v[18:19]
	s_waitcnt vmcnt(9)
	v_mul_f64 v[84:85], v[242:243], v[174:175]
	v_add_f64 v[0:1], v[0:1], v[232:233]
	v_fmac_f64_e32 v[84:85], v[244:245], v[172:173]
	v_add_f64 v[0:1], v[0:1], v[84:85]
	ds_read_b128 v[84:87], v2 offset:1376
	scratch_load_dwordx4 v[56:59], off, off offset:608
	scratch_load_dwordx4 v[40:43], off, off offset:624
	;; [unrolled: 1-line block ×3, first 2 shown]
	v_mul_f64 v[30:31], v[110:111], v[30:31]
	v_mul_f64 v[22:23], v[98:99], v[22:23]
	;; [unrolled: 1-line block ×3, first 2 shown]
	v_fma_f64 v[254:255], v[108:109], v[28:29], -v[30:31]
	s_waitcnt vmcnt(11)
	v_mul_f64 v[28:29], v[246:247], v[182:183]
	v_fma_f64 v[250:251], v[96:97], v[20:21], -v[22:23]
	v_fma_f64 v[252:253], v[104:105], v[24:25], -v[26:27]
	v_fmac_f64_e32 v[28:29], v[248:249], v[180:181]
	ds_read_b128 v[104:107], v2 offset:1408
	s_waitcnt vmcnt(10) lgkmcnt(1)
	v_mul_f64 v[96:97], v[84:85], v[6:7]
	v_add_f64 v[0:1], v[0:1], v[28:29]
	v_fmac_f64_e32 v[96:97], v[86:87], v[4:5]
	v_add_f64 v[0:1], v[0:1], v[96:97]
	ds_read_b128 v[96:99], v2 offset:1392
	v_mul_f64 v[34:35], v[114:115], v[34:35]
	v_accvgpr_write_b32 a139, v7
	v_mul_f64 v[38:39], v[118:119], v[38:39]
	v_fma_f64 v[232:233], v[112:113], v[32:33], -v[34:35]
	v_accvgpr_write_b32 a138, v6
	v_accvgpr_write_b32 a137, v5
	;; [unrolled: 1-line block ×3, first 2 shown]
	v_fma_f64 v[32:33], v[116:117], v[36:37], -v[38:39]
	scratch_load_dwordx4 v[36:39], off, off offset:656
	v_mul_f64 v[6:7], v[122:123], v[46:47]
	v_mul_f64 v[46:47], v[126:127], v[54:55]
	v_fma_f64 v[28:29], v[120:121], v[44:45], -v[6:7]
	v_fma_f64 v[24:25], v[124:125], v[52:53], -v[46:47]
	scratch_load_dwordx4 v[52:55], off, off offset:672
	ds_read_b128 v[112:115], v2 offset:1440
	s_waitcnt vmcnt(11) lgkmcnt(1)
	v_mul_f64 v[44:45], v[96:97], v[10:11]
	v_fmac_f64_e32 v[44:45], v[98:99], v[8:9]
	v_add_f64 v[0:1], v[0:1], v[44:45]
	scratch_load_dwordx4 v[44:47], off, off offset:688
	s_waitcnt vmcnt(11)
	v_mov_b64_e32 v[4:5], v[12:13]
	v_mov_b64_e32 v[6:7], v[14:15]
	v_accvgpr_write_b32 a143, v11
	v_mul_f64 v[108:109], v[104:105], v[6:7]
	v_accvgpr_write_b32 a142, v10
	v_accvgpr_write_b32 a141, v9
	;; [unrolled: 1-line block ×3, first 2 shown]
	v_mul_f64 v[10:11], v[142:143], v[62:63]
	v_fmac_f64_e32 v[108:109], v[106:107], v[4:5]
	v_fma_f64 v[20:21], v[140:141], v[60:61], -v[10:11]
	scratch_load_dwordx4 v[60:63], off, off offset:704
	v_add_f64 v[0:1], v[0:1], v[108:109]
	ds_read_b128 v[108:111], v2 offset:1424
	v_mul_f64 v[66:67], v[154:155], v[66:67]
	v_fma_f64 v[16:17], v[152:153], v[64:65], -v[66:67]
	scratch_load_dwordx4 v[64:67], off, off offset:720
	s_waitcnt vmcnt(12)
	v_accvgpr_read_b32 v4, a116
	v_accvgpr_write_b32 a147, v15
	v_accvgpr_read_b32 v6, a118
	v_accvgpr_read_b32 v7, a119
	v_accvgpr_write_b32 a146, v14
	v_accvgpr_write_b32 a145, v13
	;; [unrolled: 1-line block ×3, first 2 shown]
	v_mul_f64 v[14:15], v[166:167], v[70:71]
	v_accvgpr_read_b32 v5, a117
	s_waitcnt lgkmcnt(0)
	v_mul_f64 v[116:117], v[108:109], v[6:7]
	v_fma_f64 v[14:15], v[164:165], v[68:69], -v[14:15]
	v_mul_f64 v[68:69], v[178:179], v[74:75]
	v_fmac_f64_e32 v[116:117], v[110:111], v[4:5]
	s_waitcnt vmcnt(11)
	v_accvgpr_read_b32 v4, a120
	v_fma_f64 v[12:13], v[176:177], v[72:73], -v[68:69]
	scratch_load_dwordx4 v[68:71], off, off offset:736
	v_accvgpr_read_b32 v6, a122
	v_accvgpr_read_b32 v7, a123
	;; [unrolled: 1-line block ×3, first 2 shown]
	v_mul_f64 v[18:19], v[112:113], v[6:7]
	v_add_f64 v[0:1], v[0:1], v[116:117]
	v_fmac_f64_e32 v[18:19], v[114:115], v[4:5]
	scratch_load_dwordx4 v[72:75], off, off offset:752
	v_add_f64 v[0:1], v[0:1], v[18:19]
	v_mul_f64 v[18:19], v[186:187], v[78:79]
	v_fma_f64 v[18:19], v[184:185], v[76:77], -v[18:19]
	ds_read_b128 v[116:119], v2 offset:1456
	v_mul_f64 v[76:77], v[190:191], v[82:83]
	v_fma_f64 v[184:185], v[188:189], v[80:81], -v[76:77]
	scratch_load_dwordx4 v[80:83], off, off offset:768
	scratch_load_dwordx4 v[76:79], off, off offset:784
	ds_read_b128 v[120:123], v2 offset:1472
	s_waitcnt vmcnt(14)
	v_accvgpr_read_b32 v4, a124
	v_mul_f64 v[90:91], v[194:195], v[90:91]
	v_accvgpr_read_b32 v6, a126
	v_accvgpr_read_b32 v7, a127
	v_fma_f64 v[186:187], v[192:193], v[88:89], -v[90:91]
	v_accvgpr_read_b32 v5, a125
	s_waitcnt lgkmcnt(1)
	v_mul_f64 v[88:89], v[116:117], v[6:7]
	v_fmac_f64_e32 v[88:89], v[118:119], v[4:5]
	s_waitcnt vmcnt(13)
	v_accvgpr_read_b32 v4, a128
	v_add_f64 v[0:1], v[0:1], v[88:89]
	v_mul_f64 v[88:89], v[198:199], v[94:95]
	v_mul_f64 v[22:23], v[202:203], v[102:103]
	v_accvgpr_read_b32 v6, a130
	v_accvgpr_read_b32 v7, a131
	v_fma_f64 v[10:11], v[196:197], v[92:93], -v[88:89]
	scratch_load_dwordx4 v[92:95], off, off offset:800
	scratch_load_dwordx4 v[88:91], off, off offset:816
	v_fma_f64 v[22:23], v[200:201], v[100:101], -v[22:23]
	v_accvgpr_read_b32 v5, a129
	s_waitcnt lgkmcnt(0)
	v_mul_f64 v[100:101], v[120:121], v[6:7]
	v_fmac_f64_e32 v[100:101], v[122:123], v[4:5]
	v_add_f64 v[0:1], v[0:1], v[100:101]
	v_mul_f64 v[100:101], v[206:207], v[130:131]
	v_fma_f64 v[8:9], v[204:205], v[128:129], -v[100:101]
	scratch_load_dwordx4 v[100:103], off, off offset:832
	ds_read_b128 v[124:127], v2 offset:1488
	ds_read_b128 v[128:131], v2 offset:1504
	s_waitcnt vmcnt(15)
	v_accvgpr_read_b32 v4, a132
	v_accvgpr_read_b32 v6, a134
	;; [unrolled: 1-line block ×4, first 2 shown]
	s_waitcnt lgkmcnt(1)
	v_mul_f64 v[26:27], v[124:125], v[6:7]
	v_fmac_f64_e32 v[26:27], v[126:127], v[4:5]
	v_add_f64 v[0:1], v[0:1], v[26:27]
	v_mul_f64 v[26:27], v[210:211], v[134:135]
	v_fma_f64 v[26:27], v[208:209], v[132:133], -v[26:27]
	ds_read_b128 v[132:135], v2 offset:1520
	v_mul_f64 v[138:139], v[214:215], v[138:139]
	v_fma_f64 v[6:7], v[212:213], v[136:137], -v[138:139]
	ds_read_b128 v[136:139], v2 offset:1536
	s_waitcnt vmcnt(14) lgkmcnt(2)
	v_mul_f64 v[140:141], v[128:129], v[58:59]
	v_fmac_f64_e32 v[140:141], v[130:131], v[56:57]
	s_waitcnt vmcnt(13) lgkmcnt(1)
	v_mul_f64 v[30:31], v[132:133], v[42:43]
	v_add_f64 v[0:1], v[0:1], v[140:141]
	v_fmac_f64_e32 v[30:31], v[134:135], v[40:41]
	v_add_f64 v[0:1], v[0:1], v[30:31]
	s_waitcnt vmcnt(12) lgkmcnt(0)
	v_mul_f64 v[30:31], v[136:137], v[50:51]
	v_fmac_f64_e32 v[30:31], v[138:139], v[48:49]
	ds_read_b128 v[140:143], v2 offset:1552
	v_add_f64 v[0:1], v[0:1], v[30:31]
	v_mul_f64 v[30:31], v[218:219], v[146:147]
	v_fma_f64 v[30:31], v[216:217], v[144:145], -v[30:31]
	ds_read_b128 v[144:147], v2 offset:1568
	v_mul_f64 v[150:151], v[222:223], v[150:151]
	v_fma_f64 v[4:5], v[220:221], v[148:149], -v[150:151]
	ds_read_b128 v[148:151], v2 offset:1584
	s_waitcnt vmcnt(11) lgkmcnt(2)
	v_mul_f64 v[152:153], v[140:141], v[38:39]
	v_fmac_f64_e32 v[152:153], v[142:143], v[36:37]
	s_waitcnt vmcnt(10) lgkmcnt(1)
	v_mul_f64 v[34:35], v[144:145], v[54:55]
	v_add_f64 v[0:1], v[0:1], v[152:153]
	v_fmac_f64_e32 v[34:35], v[146:147], v[52:53]
	v_add_f64 v[0:1], v[0:1], v[34:35]
	ds_read_b128 v[152:155], v2 offset:1600
	s_waitcnt vmcnt(9) lgkmcnt(1)
	v_mul_f64 v[34:35], v[148:149], v[46:47]
	v_fmac_f64_e32 v[34:35], v[150:151], v[44:45]
	v_add_f64 v[0:1], v[0:1], v[34:35]
	v_mul_f64 v[34:35], v[226:227], v[158:159]
	v_fma_f64 v[34:35], v[224:225], v[156:157], -v[34:35]
	ds_read_b128 v[156:159], v2 offset:1616
	s_waitcnt vmcnt(8) lgkmcnt(1)
	v_mul_f64 v[164:165], v[152:153], v[62:63]
	v_fmac_f64_e32 v[164:165], v[154:155], v[60:61]
	v_mul_f64 v[162:163], v[230:231], v[162:163]
	v_fma_f64 v[234:235], v[228:229], v[160:161], -v[162:163]
	ds_read_b128 v[160:163], v2 offset:1632
	v_add_f64 v[0:1], v[0:1], v[164:165]
	s_waitcnt vmcnt(7) lgkmcnt(1)
	v_mul_f64 v[164:165], v[156:157], v[66:67]
	v_fmac_f64_e32 v[164:165], v[158:159], v[64:65]
	v_add_f64 v[0:1], v[0:1], v[164:165]
	ds_read_b128 v[164:167], v2 offset:1648
	v_mul_f64 v[170:171], v[238:239], v[170:171]
	v_fma_f64 v[236:237], v[236:237], v[168:169], -v[170:171]
	ds_read_b128 v[168:171], v2 offset:1664
	s_waitcnt vmcnt(6) lgkmcnt(2)
	v_mul_f64 v[176:177], v[160:161], v[70:71]
	v_fmac_f64_e32 v[176:177], v[162:163], v[68:69]
	v_add_f64 v[0:1], v[0:1], v[176:177]
	s_waitcnt vmcnt(5) lgkmcnt(1)
	v_mul_f64 v[176:177], v[164:165], v[74:75]
	v_fmac_f64_e32 v[176:177], v[166:167], v[72:73]
	v_mul_f64 v[174:175], v[244:245], v[174:175]
	v_add_f64 v[0:1], v[0:1], v[176:177]
	v_fma_f64 v[238:239], v[242:243], v[172:173], -v[174:175]
	ds_read_b128 v[172:175], v2 offset:1680
	s_waitcnt vmcnt(4) lgkmcnt(1)
	v_mul_f64 v[176:177], v[168:169], v[82:83]
	v_fmac_f64_e32 v[176:177], v[170:171], v[80:81]
	v_add_f64 v[0:1], v[0:1], v[176:177]
	ds_read_b128 v[176:179], v2 offset:1696
	v_mul_f64 v[182:183], v[248:249], v[182:183]
	v_fma_f64 v[242:243], v[246:247], v[180:181], -v[182:183]
	ds_read_b128 v[180:183], v2 offset:1712
	ds_read_b128 v[246:249], v2 offset:1728
	s_waitcnt vmcnt(3) lgkmcnt(3)
	v_mul_f64 v[188:189], v[172:173], v[78:79]
	v_fmac_f64_e32 v[188:189], v[174:175], v[76:77]
	v_add_f64 v[0:1], v[0:1], v[188:189]
	s_waitcnt vmcnt(2) lgkmcnt(2)
	v_mul_f64 v[188:189], v[176:177], v[94:95]
	v_fmac_f64_e32 v[188:189], v[178:179], v[92:93]
	v_add_f64 v[0:1], v[0:1], v[188:189]
	;; [unrolled: 4-line block ×4, first 2 shown]
	scratch_load_dwordx4 v[188:191], off, off offset:848
	ds_read_b128 v[192:195], v2 offset:1744
	ds_read_b128 v[200:203], v2 offset:1760
	;; [unrolled: 1-line block ×5, first 2 shown]
	s_waitcnt vmcnt(0) lgkmcnt(4)
	v_mul_f64 v[196:197], v[192:193], v[190:191]
	v_fmac_f64_e32 v[196:197], v[194:195], v[188:189]
	v_add_f64 v[0:1], v[0:1], v[196:197]
	scratch_load_dwordx4 v[196:199], off, off offset:864
	s_waitcnt vmcnt(0) lgkmcnt(3)
	v_mul_f64 v[204:205], v[200:201], v[198:199]
	v_fmac_f64_e32 v[204:205], v[202:203], v[196:197]
	v_add_f64 v[0:1], v[0:1], v[204:205]
	scratch_load_dwordx4 v[204:207], off, off offset:880
	;; [unrolled: 5-line block ×4, first 2 shown]
	s_waitcnt vmcnt(0) lgkmcnt(0)
	v_mul_f64 v[228:229], v[224:225], v[222:223]
	v_fmac_f64_e32 v[228:229], v[226:227], v[220:221]
	v_add_f64 v[0:1], v[0:1], v[228:229]
	v_add_f64 v[228:229], v[240:241], 0
	;; [unrolled: 1-line block ×9, first 2 shown]
	scratch_load_dwordx4 v[228:231], off, off offset:32
	v_add_f64 v[20:21], v[24:25], v[20:21]
	v_add_f64 v[16:17], v[20:21], v[16:17]
	;; [unrolled: 1-line block ×15, first 2 shown]
	v_accvgpr_read_b32 v8, a136
	v_add_f64 v[4:5], v[244:245], v[234:235]
	v_accvgpr_read_b32 v10, a138
	v_accvgpr_read_b32 v11, a139
	v_add_f64 v[4:5], v[4:5], v[236:237]
	v_accvgpr_read_b32 v9, a137
	v_mul_f64 v[6:7], v[86:87], v[10:11]
	v_add_f64 v[4:5], v[4:5], v[238:239]
	v_fma_f64 v[6:7], v[84:85], v[8:9], -v[6:7]
	v_accvgpr_read_b32 v8, a140
	v_add_f64 v[4:5], v[4:5], v[242:243]
	v_accvgpr_read_b32 v10, a142
	v_accvgpr_read_b32 v11, a143
	v_add_f64 v[4:5], v[4:5], v[6:7]
	v_accvgpr_read_b32 v9, a141
	v_mul_f64 v[6:7], v[98:99], v[10:11]
	v_fma_f64 v[6:7], v[96:97], v[8:9], -v[6:7]
	v_accvgpr_read_b32 v8, a144
	v_accvgpr_read_b32 v10, a146
	v_accvgpr_read_b32 v11, a147
	v_add_f64 v[4:5], v[4:5], v[6:7]
	v_accvgpr_read_b32 v9, a145
	v_mul_f64 v[6:7], v[106:107], v[10:11]
	v_fma_f64 v[6:7], v[104:105], v[8:9], -v[6:7]
	v_accvgpr_read_b32 v8, a116
	;; [unrolled: 7-line block ×6, first 2 shown]
	v_accvgpr_read_b32 v10, a134
	v_accvgpr_read_b32 v11, a135
	v_add_f64 v[4:5], v[4:5], v[6:7]
	v_accvgpr_read_b32 v9, a133
	v_mul_f64 v[6:7], v[126:127], v[10:11]
	v_fma_f64 v[6:7], v[124:125], v[8:9], -v[6:7]
	v_add_f64 v[4:5], v[4:5], v[6:7]
	v_mul_f64 v[6:7], v[130:131], v[58:59]
	v_fma_f64 v[6:7], v[128:129], v[56:57], -v[6:7]
	v_add_f64 v[4:5], v[4:5], v[6:7]
	;; [unrolled: 3-line block ×21, first 2 shown]
	s_waitcnt vmcnt(0)
	v_add_f64 v[6:7], v[230:231], -v[0:1]
	v_accvgpr_read_b32 v0, a114
	v_add_f64 v[4:5], v[228:229], -v[4:5]
	v_cmp_ne_u32_e32 vcc, 0, v0
	scratch_store_dwordx4 off, v[4:7], off offset:32
	s_and_saveexec_b64 s[0:1], vcc
	s_cbranch_execz .LBB56_355
; %bb.354:
	scratch_load_dwordx4 v[6:9], off, off offset:16
	v_mov_b32_e32 v3, v2
	v_mov_b32_e32 v4, v2
	;; [unrolled: 1-line block ×3, first 2 shown]
	v_accvgpr_read_b32 v0, a115
	scratch_store_dwordx4 off, v[2:5], off offset:16
	s_waitcnt vmcnt(1)
	ds_write_b128 v0, v[6:9]
.LBB56_355:
	s_or_b64 exec, exec, s[0:1]
	s_waitcnt lgkmcnt(0)
	; wave barrier
	scratch_load_dwordx4 v[16:19], off, off offset:32
	scratch_load_dwordx4 v[20:23], off, off offset:48
	;; [unrolled: 1-line block ×17, first 2 shown]
	ds_read_b128 v[176:179], v2 offset:928
	ds_read_b128 v[96:99], v2 offset:944
	ds_read_b128 v[76:79], v2 offset:960
	scratch_load_dwordx4 v[128:131], off, off offset:304
	ds_read_b128 v[184:187], v2 offset:976
	ds_read_b128 v[112:115], v2 offset:992
	ds_read_b128 v[104:107], v2 offset:1008
	scratch_load_dwordx4 v[132:135], off, off offset:320
	;; [unrolled: 4-line block ×3, first 2 shown]
	ds_read_b128 v[200:203], v2 offset:1072
	ds_read_b128 v[192:195], v2 offset:1088
	;; [unrolled: 1-line block ×5, first 2 shown]
	scratch_load_dwordx4 v[144:147], off, off offset:352
	ds_read_b128 v[180:183], v2 offset:1152
	ds_read_b128 v[140:143], v2 offset:1168
	;; [unrolled: 1-line block ×3, first 2 shown]
	scratch_load_dwordx4 v[148:151], off, off offset:368
	scratch_load_dwordx4 v[156:159], off, off offset:384
	;; [unrolled: 1-line block ×9, first 2 shown]
	ds_read_b128 v[204:207], v2 offset:1200
	scratch_load_dwordx4 a[118:121], off, off offset:544
	scratch_load_dwordx4 a[122:125], off, off offset:560
	;; [unrolled: 1-line block ×3, first 2 shown]
	ds_read_b128 v[228:231], v2 offset:1296
	s_and_b64 vcc, exec, s[18:19]
	ds_read_b128 v[242:245], v2 offset:1344
	scratch_load_dwordx4 a[114:117], off, off offset:528
	s_waitcnt vmcnt(33) lgkmcnt(14)
	v_mul_f64 v[0:1], v[176:177], v[18:19]
	s_waitcnt vmcnt(32)
	v_mul_f64 v[36:37], v[96:97], v[22:23]
	v_fmac_f64_e32 v[0:1], v[178:179], v[16:17]
	s_waitcnt vmcnt(31)
	v_mul_f64 v[38:39], v[76:77], v[26:27]
	v_fmac_f64_e32 v[36:37], v[98:99], v[20:21]
	v_add_f64 v[0:1], v[0:1], 0
	s_waitcnt vmcnt(30)
	v_mul_f64 v[44:45], v[184:185], v[30:31]
	v_fmac_f64_e32 v[38:39], v[78:79], v[24:25]
	v_add_f64 v[0:1], v[0:1], v[36:37]
	;; [unrolled: 4-line block ×4, first 2 shown]
	s_waitcnt vmcnt(27) lgkmcnt(13)
	v_mul_f64 v[54:55], v[188:189], v[50:51]
	v_fmac_f64_e32 v[52:53], v[106:107], v[40:41]
	v_add_f64 v[0:1], v[0:1], v[46:47]
	s_waitcnt vmcnt(26) lgkmcnt(12)
	v_mul_f64 v[208:209], v[152:153], v[58:59]
	v_fmac_f64_e32 v[54:55], v[190:191], v[48:49]
	v_add_f64 v[0:1], v[0:1], v[52:53]
	;; [unrolled: 4-line block ×10, first 2 shown]
	ds_read_b128 v[208:211], v2 offset:1216
	v_fmac_f64_e32 v[224:225], v[142:143], v[92:93]
	v_add_f64 v[0:1], v[0:1], v[222:223]
	s_waitcnt vmcnt(17) lgkmcnt(4)
	v_mul_f64 v[36:37], v[124:125], v[102:103]
	v_add_f64 v[0:1], v[0:1], v[224:225]
	v_fmac_f64_e32 v[36:37], v[126:127], v[100:101]
	v_add_f64 v[0:1], v[0:1], v[36:37]
	s_waitcnt vmcnt(16) lgkmcnt(3)
	v_mul_f64 v[36:37], v[204:205], v[130:131]
	v_fmac_f64_e32 v[36:37], v[206:207], v[128:129]
	v_add_f64 v[0:1], v[0:1], v[36:37]
	s_waitcnt vmcnt(15) lgkmcnt(0)
	v_mul_f64 v[36:37], v[208:209], v[134:135]
	v_fmac_f64_e32 v[36:37], v[210:211], v[132:133]
	v_add_f64 v[0:1], v[0:1], v[36:37]
	scratch_load_dwordx4 v[36:39], off, off offset:512
	ds_read_b128 v[212:215], v2 offset:1232
	ds_read_b128 v[216:219], v2 offset:1248
	;; [unrolled: 1-line block ×4, first 2 shown]
	v_mul_f64 v[18:19], v[178:179], v[18:19]
	s_waitcnt vmcnt(15) lgkmcnt(3)
	v_mul_f64 v[52:53], v[212:213], v[138:139]
	v_fmac_f64_e32 v[52:53], v[214:215], v[136:137]
	v_add_f64 v[0:1], v[0:1], v[52:53]
	s_waitcnt vmcnt(14) lgkmcnt(2)
	v_mul_f64 v[52:53], v[216:217], v[146:147]
	v_fmac_f64_e32 v[52:53], v[218:219], v[144:145]
	v_add_f64 v[0:1], v[0:1], v[52:53]
	s_waitcnt vmcnt(13) lgkmcnt(1)
	v_mul_f64 v[52:53], v[220:221], v[150:151]
	v_fmac_f64_e32 v[52:53], v[222:223], v[148:149]
	s_waitcnt vmcnt(12) lgkmcnt(0)
	v_mul_f64 v[232:233], v[224:225], v[158:159]
	v_add_f64 v[0:1], v[0:1], v[52:53]
	v_fmac_f64_e32 v[232:233], v[226:227], v[156:157]
	v_add_f64 v[0:1], v[0:1], v[232:233]
	ds_read_b128 v[232:235], v2 offset:1312
	scratch_load_dwordx4 v[52:55], off, off offset:592
	v_fma_f64 v[240:241], v[176:177], v[16:17], -v[18:19]
	ds_read_b128 v[176:179], v2 offset:1328
	v_mul_f64 v[26:27], v[78:79], v[26:27]
	s_waitcnt vmcnt(12)
	v_mul_f64 v[236:237], v[228:229], v[162:163]
	v_fma_f64 v[248:249], v[76:77], v[24:25], -v[26:27]
	v_mul_f64 v[24:25], v[186:187], v[30:31]
	v_fmac_f64_e32 v[236:237], v[230:231], v[160:161]
	v_fma_f64 v[250:251], v[184:185], v[28:29], -v[24:25]
	scratch_load_dwordx4 v[184:187], off, off offset:608
	scratch_load_dwordx4 v[44:47], off, off offset:624
	v_add_f64 v[0:1], v[0:1], v[236:237]
	s_waitcnt vmcnt(13) lgkmcnt(1)
	v_mul_f64 v[236:237], v[232:233], v[170:171]
	ds_read_b128 v[76:79], v2 offset:1360
	v_fmac_f64_e32 v[236:237], v[234:235], v[168:169]
	v_add_f64 v[0:1], v[0:1], v[236:237]
	s_waitcnt vmcnt(12) lgkmcnt(1)
	v_mul_f64 v[236:237], v[176:177], v[174:175]
	v_mul_f64 v[22:23], v[98:99], v[22:23]
	v_fmac_f64_e32 v[236:237], v[178:179], v[172:173]
	v_fma_f64 v[246:247], v[96:97], v[20:21], -v[22:23]
	s_waitcnt vmcnt(11)
	v_mul_f64 v[96:97], v[242:243], v[198:199]
	v_add_f64 v[0:1], v[0:1], v[236:237]
	v_fmac_f64_e32 v[96:97], v[244:245], v[196:197]
	v_mul_f64 v[42:43], v[106:107], v[42:43]
	v_add_f64 v[0:1], v[0:1], v[96:97]
	v_fma_f64 v[254:255], v[104:105], v[40:41], -v[42:43]
	ds_read_b128 v[104:107], v2 offset:1392
	s_waitcnt vmcnt(10) lgkmcnt(1)
	v_mul_f64 v[96:97], v[76:77], v[6:7]
	v_fmac_f64_e32 v[96:97], v[78:79], v[4:5]
	scratch_load_dwordx4 v[40:43], off, off offset:640
	v_add_f64 v[0:1], v[0:1], v[96:97]
	ds_read_b128 v[96:99], v2 offset:1376
	v_accvgpr_write_b32 a133, v7
	v_mul_f64 v[34:35], v[114:115], v[34:35]
	v_accvgpr_write_b32 a132, v6
	v_accvgpr_write_b32 a131, v5
	;; [unrolled: 1-line block ×3, first 2 shown]
	v_mul_f64 v[50:51], v[190:191], v[50:51]
	v_mul_f64 v[6:7], v[154:155], v[58:59]
	;; [unrolled: 1-line block ×3, first 2 shown]
	v_fma_f64 v[252:253], v[112:113], v[32:33], -v[34:35]
	v_fma_f64 v[34:35], v[188:189], v[48:49], -v[50:51]
	scratch_load_dwordx4 v[48:51], off, off offset:656
	v_fma_f64 v[32:33], v[152:153], v[56:57], -v[6:7]
	v_fma_f64 v[28:29], v[108:109], v[60:61], -v[62:63]
	ds_read_b128 v[108:111], v2 offset:1408
	s_waitcnt vmcnt(11) lgkmcnt(1)
	v_mul_f64 v[56:57], v[96:97], v[10:11]
	v_fmac_f64_e32 v[56:57], v[98:99], v[8:9]
	v_add_f64 v[0:1], v[0:1], v[56:57]
	scratch_load_dwordx4 v[56:59], off, off offset:672
	scratch_load_dwordx4 v[60:63], off, off offset:688
	v_accvgpr_write_b32 a137, v11
	v_accvgpr_write_b32 a136, v10
	;; [unrolled: 1-line block ×4, first 2 shown]
	v_mul_f64 v[10:11], v[202:203], v[66:67]
	v_fma_f64 v[24:25], v[200:201], v[64:65], -v[10:11]
	scratch_load_dwordx4 v[64:67], off, off offset:704
	v_mul_f64 v[70:71], v[194:195], v[70:71]
	v_fma_f64 v[20:21], v[192:193], v[68:69], -v[70:71]
	v_mul_f64 v[68:69], v[166:167], v[74:75]
	v_fma_f64 v[236:237], v[164:165], v[72:73], -v[68:69]
	scratch_load_dwordx4 v[68:71], off, off offset:720
	s_waitcnt vmcnt(14)
	v_mul_f64 v[112:113], v[104:105], v[14:15]
	v_fmac_f64_e32 v[112:113], v[106:107], v[12:13]
	v_mul_f64 v[72:73], v[122:123], v[82:83]
	v_add_f64 v[0:1], v[0:1], v[112:113]
	ds_read_b128 v[112:115], v2 offset:1424
	v_fma_f64 v[16:17], v[120:121], v[80:81], -v[72:73]
	scratch_load_dwordx4 v[80:83], off, off offset:736
	scratch_load_dwordx4 v[72:75], off, off offset:752
	s_waitcnt vmcnt(11)
	v_mov_b64_e32 v[4:5], v[36:37]
	v_accvgpr_write_b32 a141, v15
	v_mov_b64_e32 v[6:7], v[38:39]
	v_accvgpr_write_b32 a140, v14
	v_accvgpr_write_b32 a139, v13
	;; [unrolled: 1-line block ×3, first 2 shown]
	s_waitcnt lgkmcnt(1)
	v_mul_f64 v[14:15], v[108:109], v[6:7]
	v_fmac_f64_e32 v[14:15], v[110:111], v[4:5]
	v_accvgpr_read_b32 v4, a114
	ds_read_b128 v[120:123], v2 offset:1440
	v_accvgpr_read_b32 v6, a116
	v_accvgpr_read_b32 v7, a117
	v_add_f64 v[0:1], v[0:1], v[14:15]
	v_accvgpr_read_b32 v5, a115
	s_waitcnt lgkmcnt(1)
	v_mul_f64 v[14:15], v[112:113], v[6:7]
	v_mul_f64 v[18:19], v[118:119], v[86:87]
	v_fmac_f64_e32 v[14:15], v[114:115], v[4:5]
	v_fma_f64 v[18:19], v[116:117], v[84:85], -v[18:19]
	ds_read_b128 v[116:119], v2 offset:1456
	v_accvgpr_read_b32 v4, a118
	v_add_f64 v[0:1], v[0:1], v[14:15]
	v_mul_f64 v[14:15], v[182:183], v[90:91]
	v_accvgpr_read_b32 v6, a120
	v_accvgpr_read_b32 v7, a121
	v_fma_f64 v[12:13], v[180:181], v[88:89], -v[14:15]
	v_accvgpr_read_b32 v5, a119
	s_waitcnt lgkmcnt(1)
	v_mul_f64 v[14:15], v[120:121], v[6:7]
	v_fmac_f64_e32 v[14:15], v[122:123], v[4:5]
	v_accvgpr_read_b32 v4, a122
	v_mul_f64 v[22:23], v[142:143], v[94:95]
	v_accvgpr_read_b32 v6, a124
	v_accvgpr_read_b32 v7, a125
	v_fma_f64 v[22:23], v[140:141], v[92:93], -v[22:23]
	v_mul_f64 v[92:93], v[126:127], v[102:103]
	v_add_f64 v[0:1], v[0:1], v[14:15]
	v_accvgpr_read_b32 v5, a123
	s_waitcnt lgkmcnt(0)
	v_mul_f64 v[14:15], v[116:117], v[6:7]
	v_fma_f64 v[10:11], v[124:125], v[100:101], -v[92:93]
	ds_read_b128 v[124:127], v2 offset:1472
	v_fmac_f64_e32 v[14:15], v[118:119], v[4:5]
	v_add_f64 v[0:1], v[0:1], v[14:15]
	v_mul_f64 v[14:15], v[206:207], v[130:131]
	v_fma_f64 v[26:27], v[204:205], v[128:129], -v[14:15]
	ds_read_b128 v[128:131], v2 offset:1488
	v_accvgpr_read_b32 v4, a126
	v_accvgpr_read_b32 v6, a128
	;; [unrolled: 1-line block ×4, first 2 shown]
	s_waitcnt lgkmcnt(1)
	v_mul_f64 v[14:15], v[124:125], v[6:7]
	v_fmac_f64_e32 v[14:15], v[126:127], v[4:5]
	v_add_f64 v[0:1], v[0:1], v[14:15]
	v_mul_f64 v[14:15], v[210:211], v[134:135]
	v_fma_f64 v[8:9], v[208:209], v[132:133], -v[14:15]
	ds_read_b128 v[132:135], v2 offset:1504
	s_waitcnt vmcnt(10) lgkmcnt(1)
	v_mul_f64 v[14:15], v[128:129], v[54:55]
	v_fmac_f64_e32 v[14:15], v[130:131], v[52:53]
	v_add_f64 v[0:1], v[0:1], v[14:15]
	v_mul_f64 v[14:15], v[214:215], v[138:139]
	v_fma_f64 v[30:31], v[212:213], v[136:137], -v[14:15]
	ds_read_b128 v[136:139], v2 offset:1520
	s_waitcnt vmcnt(9)
	v_mov_b64_e32 v[4:5], v[184:185]
	v_mov_b64_e32 v[6:7], v[186:187]
	s_waitcnt lgkmcnt(1)
	v_mul_f64 v[14:15], v[132:133], v[6:7]
	ds_read_b128 v[140:143], v2 offset:1536
	v_fmac_f64_e32 v[14:15], v[134:135], v[4:5]
	v_add_f64 v[0:1], v[0:1], v[14:15]
	v_mul_f64 v[14:15], v[218:219], v[146:147]
	v_fma_f64 v[6:7], v[216:217], v[144:145], -v[14:15]
	s_waitcnt vmcnt(8) lgkmcnt(1)
	v_mul_f64 v[14:15], v[136:137], v[46:47]
	v_fmac_f64_e32 v[14:15], v[138:139], v[44:45]
	ds_read_b128 v[144:147], v2 offset:1552
	v_add_f64 v[0:1], v[0:1], v[14:15]
	s_waitcnt vmcnt(7) lgkmcnt(1)
	v_mul_f64 v[14:15], v[140:141], v[42:43]
	v_fmac_f64_e32 v[14:15], v[142:143], v[40:41]
	v_accvgpr_write_b32 a145, v39
	v_add_f64 v[0:1], v[0:1], v[14:15]
	v_mul_f64 v[14:15], v[222:223], v[150:151]
	v_accvgpr_write_b32 a144, v38
	v_accvgpr_write_b32 a143, v37
	v_accvgpr_write_b32 a142, v36
	v_fma_f64 v[38:39], v[220:221], v[148:149], -v[14:15]
	ds_read_b128 v[148:151], v2 offset:1568
	ds_read_b128 v[152:155], v2 offset:1584
	s_waitcnt vmcnt(6) lgkmcnt(2)
	v_mul_f64 v[14:15], v[144:145], v[50:51]
	v_fmac_f64_e32 v[14:15], v[146:147], v[48:49]
	v_add_f64 v[0:1], v[0:1], v[14:15]
	s_waitcnt vmcnt(5) lgkmcnt(1)
	v_mul_f64 v[14:15], v[148:149], v[58:59]
	v_fmac_f64_e32 v[14:15], v[150:151], v[56:57]
	v_add_f64 v[0:1], v[0:1], v[14:15]
	v_mul_f64 v[14:15], v[226:227], v[158:159]
	v_fma_f64 v[4:5], v[224:225], v[156:157], -v[14:15]
	ds_read_b128 v[156:159], v2 offset:1600
	s_waitcnt vmcnt(4) lgkmcnt(1)
	v_mul_f64 v[14:15], v[152:153], v[62:63]
	v_fmac_f64_e32 v[14:15], v[154:155], v[60:61]
	v_add_f64 v[0:1], v[0:1], v[14:15]
	v_mul_f64 v[14:15], v[230:231], v[162:163]
	v_fma_f64 v[36:37], v[228:229], v[160:161], -v[14:15]
	ds_read_b128 v[160:163], v2 offset:1616
	s_waitcnt vmcnt(3) lgkmcnt(1)
	v_mul_f64 v[14:15], v[156:157], v[66:67]
	scratch_load_dwordx4 v[84:87], off, off offset:768
	scratch_load_dwordx4 v[88:91], off, off offset:784
	v_fmac_f64_e32 v[14:15], v[158:159], v[64:65]
	ds_read_b128 v[164:167], v2 offset:1632
	v_add_f64 v[0:1], v[0:1], v[14:15]
	v_mul_f64 v[14:15], v[234:235], v[170:171]
	v_fma_f64 v[232:233], v[232:233], v[168:169], -v[14:15]
	ds_read_b128 v[168:171], v2 offset:1648
	s_waitcnt vmcnt(4) lgkmcnt(2)
	v_mul_f64 v[14:15], v[160:161], v[70:71]
	scratch_load_dwordx4 v[92:95], off, off offset:800
	scratch_load_dwordx4 v[100:103], off, off offset:816
	v_fmac_f64_e32 v[14:15], v[162:163], v[68:69]
	v_add_f64 v[0:1], v[0:1], v[14:15]
	s_waitcnt vmcnt(5) lgkmcnt(1)
	v_mul_f64 v[14:15], v[164:165], v[82:83]
	v_fmac_f64_e32 v[14:15], v[166:167], v[80:81]
	v_add_f64 v[0:1], v[0:1], v[14:15]
	s_waitcnt vmcnt(4) lgkmcnt(0)
	v_mul_f64 v[14:15], v[168:169], v[74:75]
	v_fmac_f64_e32 v[14:15], v[170:171], v[72:73]
	scratch_load_dwordx4 v[188:191], off, off offset:832
	v_add_f64 v[0:1], v[0:1], v[14:15]
	v_mul_f64 v[14:15], v[244:245], v[198:199]
	v_fma_f64 v[242:243], v[242:243], v[196:197], -v[14:15]
	scratch_load_dwordx4 v[196:199], off, off offset:848
	scratch_load_dwordx4 v[204:207], off, off offset:864
	;; [unrolled: 1-line block ×5, first 2 shown]
	v_mul_f64 v[174:175], v[178:179], v[174:175]
	v_fma_f64 v[238:239], v[176:177], v[172:173], -v[174:175]
	ds_read_b128 v[176:179], v2 offset:1664
	ds_read_b128 v[172:175], v2 offset:1680
	;; [unrolled: 1-line block ×3, first 2 shown]
	v_accvgpr_write_b32 a146, v184
	v_accvgpr_write_b32 a147, v185
	;; [unrolled: 1-line block ×4, first 2 shown]
	ds_read_b128 v[184:187], v2 offset:1712
	ds_read_b128 v[192:195], v2 offset:1728
	;; [unrolled: 1-line block ×6, first 2 shown]
	s_waitcnt vmcnt(9) lgkmcnt(8)
	v_mul_f64 v[14:15], v[176:177], v[86:87]
	v_fmac_f64_e32 v[14:15], v[178:179], v[84:85]
	v_add_f64 v[0:1], v[0:1], v[14:15]
	s_waitcnt vmcnt(8) lgkmcnt(7)
	v_mul_f64 v[14:15], v[172:173], v[90:91]
	v_fmac_f64_e32 v[14:15], v[174:175], v[88:89]
	v_add_f64 v[0:1], v[0:1], v[14:15]
	;; [unrolled: 4-line block ×9, first 2 shown]
	ds_read_b128 v[0:3], v2 offset:1808
	s_waitcnt vmcnt(0) lgkmcnt(0)
	v_mul_f64 v[234:235], v[0:1], v[230:231]
	v_fmac_f64_e32 v[234:235], v[2:3], v[228:229]
	v_add_f64 v[14:15], v[14:15], v[234:235]
	v_add_f64 v[234:235], v[240:241], 0
	;; [unrolled: 1-line block ×26, first 2 shown]
	scratch_load_dwordx4 v[232:235], off, off offset:16
	v_accvgpr_read_b32 v8, a130
	v_accvgpr_read_b32 v10, a132
	;; [unrolled: 1-line block ×4, first 2 shown]
	v_mul_f64 v[6:7], v[78:79], v[10:11]
	v_add_f64 v[4:5], v[244:245], v[238:239]
	v_fma_f64 v[6:7], v[76:77], v[8:9], -v[6:7]
	v_accvgpr_read_b32 v8, a134
	v_add_f64 v[4:5], v[4:5], v[242:243]
	v_accvgpr_read_b32 v10, a136
	v_accvgpr_read_b32 v11, a137
	v_add_f64 v[4:5], v[4:5], v[6:7]
	v_accvgpr_read_b32 v9, a135
	v_mul_f64 v[6:7], v[98:99], v[10:11]
	v_fma_f64 v[6:7], v[96:97], v[8:9], -v[6:7]
	v_accvgpr_read_b32 v8, a138
	v_accvgpr_read_b32 v10, a140
	v_accvgpr_read_b32 v11, a141
	v_add_f64 v[4:5], v[4:5], v[6:7]
	v_accvgpr_read_b32 v9, a139
	v_mul_f64 v[6:7], v[106:107], v[10:11]
	v_fma_f64 v[6:7], v[104:105], v[8:9], -v[6:7]
	v_accvgpr_read_b32 v8, a142
	;; [unrolled: 7-line block ×6, first 2 shown]
	v_accvgpr_read_b32 v10, a128
	v_accvgpr_read_b32 v11, a129
	v_add_f64 v[4:5], v[4:5], v[6:7]
	v_accvgpr_read_b32 v9, a127
	v_mul_f64 v[6:7], v[126:127], v[10:11]
	v_fma_f64 v[6:7], v[124:125], v[8:9], -v[6:7]
	v_add_f64 v[4:5], v[4:5], v[6:7]
	v_mul_f64 v[6:7], v[130:131], v[54:55]
	v_accvgpr_read_b32 v8, a146
	v_fma_f64 v[6:7], v[128:129], v[52:53], -v[6:7]
	v_accvgpr_read_b32 v10, a148
	v_accvgpr_read_b32 v11, a149
	v_add_f64 v[4:5], v[4:5], v[6:7]
	v_accvgpr_read_b32 v9, a147
	v_mul_f64 v[6:7], v[134:135], v[10:11]
	v_fma_f64 v[6:7], v[132:133], v[8:9], -v[6:7]
	v_add_f64 v[4:5], v[4:5], v[6:7]
	v_mul_f64 v[6:7], v[138:139], v[46:47]
	v_fma_f64 v[6:7], v[136:137], v[44:45], -v[6:7]
	v_add_f64 v[4:5], v[4:5], v[6:7]
	;; [unrolled: 3-line block ×18, first 2 shown]
	v_mul_f64 v[6:7], v[226:227], v[222:223]
	v_fma_f64 v[6:7], v[224:225], v[220:221], -v[6:7]
	v_mul_f64 v[2:3], v[2:3], v[230:231]
	v_add_f64 v[4:5], v[4:5], v[6:7]
	v_fma_f64 v[0:1], v[0:1], v[228:229], -v[2:3]
	v_add_f64 v[0:1], v[4:5], v[0:1]
	s_waitcnt vmcnt(0)
	v_add_f64 v[0:1], v[232:233], -v[0:1]
	v_add_f64 v[2:3], v[234:235], -v[14:15]
	scratch_store_dwordx4 off, v[0:3], off offset:16
	s_cbranch_vccz .LBB56_468
; %bb.356:
	s_nop 0
	v_mov_b32_e32 v0, 0
	global_load_dword v1, v0, s[16:17] offset:220
	s_waitcnt vmcnt(0)
	v_readfirstlane_b32 s0, v1
	s_add_i32 s0, s0, -1
	s_cmp_lg_u32 s0, 55
	s_cbranch_scc0 .LBB56_358
; %bb.357:
	s_lshl_b32 s0, s0, 4
	s_add_i32 s0, s0, 16
	scratch_load_dwordx4 v[2:5], off, s0
	scratch_load_dwordx4 v[6:9], off, s12
	s_waitcnt vmcnt(1)
	scratch_store_dwordx4 off, v[2:5], s12
	s_waitcnt vmcnt(1)
	scratch_store_dwordx4 off, v[6:9], s0
.LBB56_358:
	global_load_dword v0, v0, s[16:17] offset:216
	s_waitcnt vmcnt(0)
	v_readfirstlane_b32 s0, v0
	s_add_i32 s0, s0, -1
	s_cmp_eq_u32 s0, 54
	s_cbranch_scc1 .LBB56_360
; %bb.359:
	s_lshl_b32 s0, s0, 4
	s_add_i32 s0, s0, 16
	scratch_load_dwordx4 v[0:3], off, s0
	scratch_load_dwordx4 v[4:7], off, s15
	s_waitcnt vmcnt(1)
	scratch_store_dwordx4 off, v[0:3], s15
	s_waitcnt vmcnt(1)
	scratch_store_dwordx4 off, v[4:7], s0
.LBB56_360:
	v_mov_b32_e32 v0, 0
	global_load_dword v1, v0, s[16:17] offset:212
	s_waitcnt vmcnt(0)
	v_readfirstlane_b32 s0, v1
	s_add_i32 s0, s0, -1
	s_cmp_eq_u32 s0, 53
	s_cbranch_scc1 .LBB56_362
; %bb.361:
	s_lshl_b32 s0, s0, 4
	s_add_i32 s0, s0, 16
	scratch_load_dwordx4 v[2:5], off, s0
	scratch_load_dwordx4 v[6:9], off, s14
	s_waitcnt vmcnt(1)
	scratch_store_dwordx4 off, v[2:5], s14
	s_waitcnt vmcnt(1)
	scratch_store_dwordx4 off, v[6:9], s0
.LBB56_362:
	global_load_dword v0, v0, s[16:17] offset:208
	s_waitcnt vmcnt(0)
	v_readfirstlane_b32 s0, v0
	s_add_i32 s0, s0, -1
	s_cmp_eq_u32 s0, 52
	s_cbranch_scc1 .LBB56_364
; %bb.363:
	s_lshl_b32 s0, s0, 4
	s_add_i32 s0, s0, 16
	scratch_load_dwordx4 v[0:3], off, s0
	scratch_load_dwordx4 v[4:7], off, s21
	s_waitcnt vmcnt(1)
	scratch_store_dwordx4 off, v[0:3], s21
	s_waitcnt vmcnt(1)
	scratch_store_dwordx4 off, v[4:7], s0
.LBB56_364:
	v_mov_b32_e32 v0, 0
	global_load_dword v1, v0, s[16:17] offset:204
	s_waitcnt vmcnt(0)
	v_readfirstlane_b32 s0, v1
	s_add_i32 s0, s0, -1
	s_cmp_eq_u32 s0, 51
	s_cbranch_scc1 .LBB56_366
; %bb.365:
	s_lshl_b32 s0, s0, 4
	s_add_i32 s0, s0, 16
	scratch_load_dwordx4 v[2:5], off, s0
	scratch_load_dwordx4 v[6:9], off, s20
	s_waitcnt vmcnt(1)
	scratch_store_dwordx4 off, v[2:5], s20
	s_waitcnt vmcnt(1)
	scratch_store_dwordx4 off, v[6:9], s0
.LBB56_366:
	;; [unrolled: 33-line block ×27, first 2 shown]
	global_load_dword v0, v0, s[16:17]
	s_waitcnt vmcnt(0)
	v_readfirstlane_b32 s0, v0
	s_add_i32 s0, s0, -1
	s_cmp_eq_u32 s0, 0
	s_cbranch_scc1 .LBB56_468
; %bb.467:
	s_lshl_b32 s0, s0, 4
	s_add_i32 s0, s0, 16
	scratch_load_dwordx4 v[0:3], off, s0
	scratch_load_dwordx4 v[4:7], off, off offset:16
	s_waitcnt vmcnt(1)
	scratch_store_dwordx4 off, v[0:3], off offset:16
	s_waitcnt vmcnt(1)
	scratch_store_dwordx4 off, v[4:7], s0
.LBB56_468:
	scratch_load_dwordx4 v[0:3], off, off offset:16
	s_nop 0
	scratch_load_dwordx4 v[4:7], off, s72
	scratch_load_dwordx4 v[8:11], off, s71
	;; [unrolled: 1-line block ×32, first 2 shown]
	v_accvgpr_read_b32 v133, a1
	v_accvgpr_read_b32 v132, a0
	;; [unrolled: 1-line block ×20, first 2 shown]
	s_waitcnt vmcnt(32)
	global_store_dwordx4 v[132:133], v[0:3], off
	scratch_load_dwordx4 v[0:3], off, s39
	s_nop 0
	scratch_load_dwordx4 v[132:135], off, s40
	s_waitcnt vmcnt(34)
	global_store_dwordx4 v[136:137], v[4:7], off
	scratch_load_dwordx4 v[4:7], off, s37
	s_nop 0
	scratch_load_dwordx4 v[136:139], off, s38
	s_waitcnt vmcnt(36)
	global_store_dwordx4 v[140:141], v[8:11], off
	scratch_load_dwordx4 v[8:11], off, s35
	s_nop 0
	scratch_load_dwordx4 v[140:143], off, s36
	s_waitcnt vmcnt(38)
	global_store_dwordx4 v[144:145], v[12:15], off
	v_accvgpr_read_b32 v145, a11
	v_accvgpr_read_b32 v144, a10
	v_accvgpr_read_b32 v13, a9
	v_accvgpr_read_b32 v12, a8
	s_waitcnt vmcnt(38)
	global_store_dwordx4 v[12:13], v[16:19], off
	scratch_load_dwordx4 v[12:15], off, s33
	s_nop 0
	scratch_load_dwordx4 v[16:19], off, s34
	s_waitcnt vmcnt(40)
	global_store_dwordx4 v[144:145], v[20:23], off
	scratch_load_dwordx4 v[20:23], off, s30
	s_nop 0
	scratch_load_dwordx4 v[144:147], off, s31
	s_waitcnt vmcnt(42)
	global_store_dwordx4 v[148:149], v[24:27], off
	scratch_load_dwordx4 v[24:27], off, s28
	s_nop 0
	scratch_load_dwordx4 v[148:151], off, s29
	s_waitcnt vmcnt(44)
	global_store_dwordx4 v[152:153], v[28:31], off
	v_accvgpr_read_b32 v153, a19
	v_accvgpr_read_b32 v152, a18
	v_accvgpr_read_b32 v29, a17
	v_accvgpr_read_b32 v28, a16
	;; [unrolled: 21-line block ×3, first 2 shown]
	s_waitcnt vmcnt(50)
	global_store_dwordx4 v[44:45], v[48:51], off
	scratch_load_dwordx4 v[44:47], off, s20
	s_nop 0
	scratch_load_dwordx4 v[48:51], off, s21
	s_waitcnt vmcnt(52)
	global_store_dwordx4 v[160:161], v[52:55], off
	scratch_load_dwordx4 v[52:55], off, s14
	s_nop 0
	scratch_load_dwordx4 v[160:163], off, s15
	;; [unrolled: 5-line block ×3, first 2 shown]
	s_waitcnt vmcnt(56)
	global_store_dwordx4 v[168:169], v[60:63], off
	s_nop 1
	v_accvgpr_read_b32 v61, a33
	v_accvgpr_read_b32 v60, a32
	s_waitcnt vmcnt(56)
	global_store_dwordx4 v[60:61], v[64:67], off
	v_accvgpr_read_b32 v61, a35
	v_accvgpr_read_b32 v60, a34
	s_waitcnt vmcnt(56)
	global_store_dwordx4 v[60:61], v[68:71], off
	;; [unrolled: 4-line block ×18, first 2 shown]
	s_nop 1
	v_accvgpr_read_b32 v0, a68
	v_accvgpr_read_b32 v1, a69
	s_waitcnt vmcnt(55)
	global_store_dwordx4 v[0:1], v[132:135], off
	v_accvgpr_read_b32 v0, a70
	v_accvgpr_read_b32 v1, a71
	s_waitcnt vmcnt(54)
	global_store_dwordx4 v[0:1], v[4:7], off
	;; [unrolled: 4-line block ×23, first 2 shown]
	s_endpgm
	.section	.rodata,"a",@progbits
	.p2align	6, 0x0
	.amdhsa_kernel _ZN9rocsolver6v33100L18getri_kernel_smallILi57E19rocblas_complex_numIdEPS3_EEvT1_iilPiilS6_bb
		.amdhsa_group_segment_fixed_size 1832
		.amdhsa_private_segment_fixed_size 944
		.amdhsa_kernarg_size 60
		.amdhsa_user_sgpr_count 2
		.amdhsa_user_sgpr_dispatch_ptr 0
		.amdhsa_user_sgpr_queue_ptr 0
		.amdhsa_user_sgpr_kernarg_segment_ptr 1
		.amdhsa_user_sgpr_dispatch_id 0
		.amdhsa_user_sgpr_kernarg_preload_length 0
		.amdhsa_user_sgpr_kernarg_preload_offset 0
		.amdhsa_user_sgpr_private_segment_size 0
		.amdhsa_uses_dynamic_stack 0
		.amdhsa_enable_private_segment 1
		.amdhsa_system_sgpr_workgroup_id_x 1
		.amdhsa_system_sgpr_workgroup_id_y 0
		.amdhsa_system_sgpr_workgroup_id_z 0
		.amdhsa_system_sgpr_workgroup_info 0
		.amdhsa_system_vgpr_workitem_id 0
		.amdhsa_next_free_vgpr 406
		.amdhsa_next_free_sgpr 73
		.amdhsa_accum_offset 256
		.amdhsa_reserve_vcc 1
		.amdhsa_float_round_mode_32 0
		.amdhsa_float_round_mode_16_64 0
		.amdhsa_float_denorm_mode_32 3
		.amdhsa_float_denorm_mode_16_64 3
		.amdhsa_dx10_clamp 1
		.amdhsa_ieee_mode 1
		.amdhsa_fp16_overflow 0
		.amdhsa_tg_split 0
		.amdhsa_exception_fp_ieee_invalid_op 0
		.amdhsa_exception_fp_denorm_src 0
		.amdhsa_exception_fp_ieee_div_zero 0
		.amdhsa_exception_fp_ieee_overflow 0
		.amdhsa_exception_fp_ieee_underflow 0
		.amdhsa_exception_fp_ieee_inexact 0
		.amdhsa_exception_int_div_zero 0
	.end_amdhsa_kernel
	.section	.text._ZN9rocsolver6v33100L18getri_kernel_smallILi57E19rocblas_complex_numIdEPS3_EEvT1_iilPiilS6_bb,"axG",@progbits,_ZN9rocsolver6v33100L18getri_kernel_smallILi57E19rocblas_complex_numIdEPS3_EEvT1_iilPiilS6_bb,comdat
.Lfunc_end56:
	.size	_ZN9rocsolver6v33100L18getri_kernel_smallILi57E19rocblas_complex_numIdEPS3_EEvT1_iilPiilS6_bb, .Lfunc_end56-_ZN9rocsolver6v33100L18getri_kernel_smallILi57E19rocblas_complex_numIdEPS3_EEvT1_iilPiilS6_bb
                                        ; -- End function
	.set _ZN9rocsolver6v33100L18getri_kernel_smallILi57E19rocblas_complex_numIdEPS3_EEvT1_iilPiilS6_bb.num_vgpr, 256
	.set _ZN9rocsolver6v33100L18getri_kernel_smallILi57E19rocblas_complex_numIdEPS3_EEvT1_iilPiilS6_bb.num_agpr, 150
	.set _ZN9rocsolver6v33100L18getri_kernel_smallILi57E19rocblas_complex_numIdEPS3_EEvT1_iilPiilS6_bb.numbered_sgpr, 73
	.set _ZN9rocsolver6v33100L18getri_kernel_smallILi57E19rocblas_complex_numIdEPS3_EEvT1_iilPiilS6_bb.num_named_barrier, 0
	.set _ZN9rocsolver6v33100L18getri_kernel_smallILi57E19rocblas_complex_numIdEPS3_EEvT1_iilPiilS6_bb.private_seg_size, 944
	.set _ZN9rocsolver6v33100L18getri_kernel_smallILi57E19rocblas_complex_numIdEPS3_EEvT1_iilPiilS6_bb.uses_vcc, 1
	.set _ZN9rocsolver6v33100L18getri_kernel_smallILi57E19rocblas_complex_numIdEPS3_EEvT1_iilPiilS6_bb.uses_flat_scratch, 0
	.set _ZN9rocsolver6v33100L18getri_kernel_smallILi57E19rocblas_complex_numIdEPS3_EEvT1_iilPiilS6_bb.has_dyn_sized_stack, 0
	.set _ZN9rocsolver6v33100L18getri_kernel_smallILi57E19rocblas_complex_numIdEPS3_EEvT1_iilPiilS6_bb.has_recursion, 0
	.set _ZN9rocsolver6v33100L18getri_kernel_smallILi57E19rocblas_complex_numIdEPS3_EEvT1_iilPiilS6_bb.has_indirect_call, 0
	.section	.AMDGPU.csdata,"",@progbits
; Kernel info:
; codeLenInByte = 137268
; TotalNumSgprs: 79
; NumVgprs: 256
; NumAgprs: 150
; TotalNumVgprs: 406
; ScratchSize: 944
; MemoryBound: 0
; FloatMode: 240
; IeeeMode: 1
; LDSByteSize: 1832 bytes/workgroup (compile time only)
; SGPRBlocks: 9
; VGPRBlocks: 50
; NumSGPRsForWavesPerEU: 79
; NumVGPRsForWavesPerEU: 406
; AccumOffset: 256
; Occupancy: 1
; WaveLimiterHint : 1
; COMPUTE_PGM_RSRC2:SCRATCH_EN: 1
; COMPUTE_PGM_RSRC2:USER_SGPR: 2
; COMPUTE_PGM_RSRC2:TRAP_HANDLER: 0
; COMPUTE_PGM_RSRC2:TGID_X_EN: 1
; COMPUTE_PGM_RSRC2:TGID_Y_EN: 0
; COMPUTE_PGM_RSRC2:TGID_Z_EN: 0
; COMPUTE_PGM_RSRC2:TIDIG_COMP_CNT: 0
; COMPUTE_PGM_RSRC3_GFX90A:ACCUM_OFFSET: 63
; COMPUTE_PGM_RSRC3_GFX90A:TG_SPLIT: 0
	.section	.text._ZN9rocsolver6v33100L18getri_kernel_smallILi58E19rocblas_complex_numIdEPS3_EEvT1_iilPiilS6_bb,"axG",@progbits,_ZN9rocsolver6v33100L18getri_kernel_smallILi58E19rocblas_complex_numIdEPS3_EEvT1_iilPiilS6_bb,comdat
	.globl	_ZN9rocsolver6v33100L18getri_kernel_smallILi58E19rocblas_complex_numIdEPS3_EEvT1_iilPiilS6_bb ; -- Begin function _ZN9rocsolver6v33100L18getri_kernel_smallILi58E19rocblas_complex_numIdEPS3_EEvT1_iilPiilS6_bb
	.p2align	8
	.type	_ZN9rocsolver6v33100L18getri_kernel_smallILi58E19rocblas_complex_numIdEPS3_EEvT1_iilPiilS6_bb,@function
_ZN9rocsolver6v33100L18getri_kernel_smallILi58E19rocblas_complex_numIdEPS3_EEvT1_iilPiilS6_bb: ; @_ZN9rocsolver6v33100L18getri_kernel_smallILi58E19rocblas_complex_numIdEPS3_EEvT1_iilPiilS6_bb
; %bb.0:
	v_mov_b32_e32 v242, v0
	v_cmp_gt_u32_e32 vcc, 58, v242
	s_and_saveexec_b64 s[4:5], vcc
	s_cbranch_execz .LBB57_246
; %bb.1:
	s_load_dword s8, s[0:1], 0x38
	s_load_dwordx4 s[12:15], s[0:1], 0x10
	s_load_dwordx4 s[4:7], s[0:1], 0x28
                                        ; implicit-def: $sgpr16_sgpr17
	s_waitcnt lgkmcnt(0)
	s_bitcmp1_b32 s8, 8
	s_cselect_b64 s[18:19], -1, 0
	s_ashr_i32 s3, s2, 31
	s_bfe_u32 s8, s8, 0x10008
	s_cmp_eq_u32 s8, 0
	s_cbranch_scc1 .LBB57_3
; %bb.2:
	s_load_dword s8, s[0:1], 0x20
	s_mul_i32 s9, s4, s3
	s_mul_hi_u32 s10, s4, s2
	s_mul_i32 s5, s5, s2
	s_add_i32 s10, s10, s9
	s_add_i32 s5, s10, s5
	s_mul_i32 s4, s4, s2
	s_waitcnt lgkmcnt(0)
	s_ashr_i32 s9, s8, 31
	s_lshl_b64 s[4:5], s[4:5], 2
	s_add_u32 s10, s14, s4
	s_addc_u32 s11, s15, s5
	s_lshl_b64 s[4:5], s[8:9], 2
	s_add_u32 s16, s10, s4
	s_addc_u32 s17, s11, s5
.LBB57_3:
	s_load_dwordx4 s[8:11], s[0:1], 0x0
	s_load_dword s4, s[0:1], 0x38
	s_mul_i32 s5, s12, s3
	s_mul_hi_u32 s14, s12, s2
	s_add_i32 s5, s14, s5
	s_waitcnt lgkmcnt(0)
	s_ashr_i32 s1, s10, 31
	s_mov_b32 s0, s10
	s_mul_i32 s10, s13, s2
	s_add_i32 s13, s5, s10
	s_mul_i32 s12, s12, s2
	s_lshl_b64 s[12:13], s[12:13], 4
	s_add_u32 s5, s8, s12
	s_addc_u32 s8, s9, s13
	s_lshl_b64 s[0:1], s[0:1], 4
	s_add_u32 s0, s5, s0
	s_addc_u32 s1, s8, s1
	s_add_i32 s5, s11, s11
	v_add_u32_e32 v14, s5, v242
	v_lshlrev_b32_e32 v34, 4, v242
	v_mov_b32_e32 v35, 0
	v_ashrrev_i32_e32 v15, 31, v14
	v_lshl_add_u64 v[0:1], s[0:1], 0, v[34:35]
	v_lshl_add_u64 v[10:11], v[14:15], 4, s[0:1]
	v_add_u32_e32 v14, s11, v14
	s_ashr_i32 s9, s11, 31
	s_mov_b32 s8, s11
	v_accvgpr_write_b32 a0, v0
	v_add_u32_e32 v22, s11, v14
	v_accvgpr_write_b32 a1, v1
	v_lshl_add_u64 v[0:1], s[8:9], 4, v[0:1]
	v_ashrrev_i32_e32 v23, 31, v22
	v_accvgpr_write_b32 a3, v1
	v_ashrrev_i32_e32 v15, 31, v14
	v_lshl_add_u64 v[18:19], v[22:23], 4, s[0:1]
	v_add_u32_e32 v22, s11, v22
	global_load_dwordx4 v[2:5], v34, s[0:1]
	global_load_dwordx4 v[6:9], v[0:1], off
	v_accvgpr_write_b32 a2, v0
	v_lshl_add_u64 v[0:1], v[14:15], 4, s[0:1]
	v_add_u32_e32 v30, s11, v22
	v_accvgpr_write_b32 a4, v10
	v_accvgpr_write_b32 a7, v1
	v_ashrrev_i32_e32 v23, 31, v22
	v_ashrrev_i32_e32 v31, 31, v30
	v_accvgpr_write_b32 a5, v11
	global_load_dwordx4 v[10:13], v[10:11], off
	v_accvgpr_write_b32 a6, v0
	global_load_dwordx4 v[14:17], v[0:1], off
	v_lshl_add_u64 v[0:1], v[22:23], 4, s[0:1]
	v_lshl_add_u64 v[26:27], v[30:31], 4, s[0:1]
	v_add_u32_e32 v30, s11, v30
	v_accvgpr_write_b32 a8, v18
	v_accvgpr_write_b32 a11, v1
	v_ashrrev_i32_e32 v31, 31, v30
	v_accvgpr_write_b32 a9, v19
	global_load_dwordx4 v[18:21], v[18:19], off
	v_accvgpr_write_b32 a10, v0
	global_load_dwordx4 v[22:25], v[0:1], off
	v_lshl_add_u64 v[0:1], v[30:31], 4, s[0:1]
	v_add_u32_e32 v30, s11, v30
	v_add_u32_e32 v40, s11, v30
	v_accvgpr_write_b32 a12, v26
	v_ashrrev_i32_e32 v31, 31, v30
	v_ashrrev_i32_e32 v41, 31, v40
	v_add_u32_e32 v42, s11, v40
	v_accvgpr_write_b32 a15, v1
	v_accvgpr_write_b32 a13, v27
	global_load_dwordx4 v[26:29], v[26:27], off
	v_lshl_add_u64 v[36:37], v[30:31], 4, s[0:1]
	v_accvgpr_write_b32 a14, v0
	global_load_dwordx4 v[30:33], v[0:1], off
	v_lshl_add_u64 v[0:1], v[40:41], 4, s[0:1]
	v_add_u32_e32 v48, s11, v42
	v_accvgpr_write_b32 a16, v36
	v_ashrrev_i32_e32 v43, 31, v42
	v_ashrrev_i32_e32 v49, 31, v48
	v_add_u32_e32 v50, s11, v48
	v_accvgpr_write_b32 a19, v1
	v_accvgpr_write_b32 a17, v37
	global_load_dwordx4 v[36:39], v[36:37], off
	v_lshl_add_u64 v[44:45], v[42:43], 4, s[0:1]
	v_accvgpr_write_b32 a18, v0
	global_load_dwordx4 v[40:43], v[0:1], off
	v_lshl_add_u64 v[0:1], v[48:49], 4, s[0:1]
	v_add_u32_e32 v56, s11, v50
	v_accvgpr_write_b32 a20, v44
	v_ashrrev_i32_e32 v51, 31, v50
	v_ashrrev_i32_e32 v57, 31, v56
	v_accvgpr_write_b32 a23, v1
	v_accvgpr_write_b32 a21, v45
	global_load_dwordx4 v[44:47], v[44:45], off
	v_lshl_add_u64 v[52:53], v[50:51], 4, s[0:1]
	v_accvgpr_write_b32 a22, v0
	global_load_dwordx4 v[48:51], v[0:1], off
	v_lshl_add_u64 v[0:1], v[56:57], 4, s[0:1]
	v_add_u32_e32 v56, s11, v56
	v_add_u32_e32 v64, s11, v56
	;; [unrolled: 1-line block ×4, first 2 shown]
	v_accvgpr_write_b32 a24, v52
	v_ashrrev_i32_e32 v57, 31, v56
	v_add_u32_e32 v80, s11, v72
	v_accvgpr_write_b32 a25, v53
	global_load_dwordx4 v[52:55], v[52:53], off
	v_lshl_add_u64 v[60:61], v[56:57], 4, s[0:1]
	v_ashrrev_i32_e32 v81, 31, v80
	v_ashrrev_i32_e32 v65, 31, v64
	v_accvgpr_write_b32 a27, v1
	global_load_dwordx4 v[56:59], v[0:1], off
	v_accvgpr_write_b32 a28, v60
	v_ashrrev_i32_e32 v67, 31, v66
	v_lshl_add_u64 v[76:77], v[80:81], 4, s[0:1]
	v_add_u32_e32 v80, s11, v80
	v_accvgpr_write_b32 a26, v0
	v_accvgpr_write_b32 a29, v61
	global_load_dwordx4 v[60:63], v[60:61], off
	v_lshl_add_u64 v[0:1], v[64:65], 4, s[0:1]
	v_lshl_add_u64 v[68:69], v[66:67], 4, s[0:1]
	v_add_u32_e32 v88, s11, v80
	v_ashrrev_i32_e32 v73, 31, v72
	v_accvgpr_write_b32 a31, v1
	global_load_dwordx4 v[64:67], v[0:1], off
	v_accvgpr_write_b32 a32, v68
	v_ashrrev_i32_e32 v89, 31, v88
	v_accvgpr_write_b32 a30, v0
	v_accvgpr_write_b32 a33, v69
	global_load_dwordx4 v[68:71], v[68:69], off
	v_lshl_add_u64 v[0:1], v[72:73], 4, s[0:1]
	v_lshl_add_u64 v[84:85], v[88:89], 4, s[0:1]
	v_add_u32_e32 v88, s11, v88
	v_accvgpr_write_b32 a35, v1
	global_load_dwordx4 v[72:75], v[0:1], off
	v_accvgpr_write_b32 a36, v76
	v_ashrrev_i32_e32 v81, 31, v80
	v_add_u32_e32 v96, s11, v88
	v_accvgpr_write_b32 a34, v0
	v_accvgpr_write_b32 a37, v77
	global_load_dwordx4 v[76:79], v[76:77], off
	v_lshl_add_u64 v[0:1], v[80:81], 4, s[0:1]
	v_ashrrev_i32_e32 v97, 31, v96
	v_accvgpr_write_b32 a39, v1
	global_load_dwordx4 v[80:83], v[0:1], off
	v_accvgpr_write_b32 a40, v84
	v_ashrrev_i32_e32 v89, 31, v88
	v_lshl_add_u64 v[92:93], v[96:97], 4, s[0:1]
	v_add_u32_e32 v96, s11, v96
	v_accvgpr_write_b32 a38, v0
	v_accvgpr_write_b32 a41, v85
	global_load_dwordx4 v[84:87], v[84:85], off
	v_lshl_add_u64 v[0:1], v[88:89], 4, s[0:1]
	v_add_u32_e32 v104, s11, v96
	v_accvgpr_write_b32 a43, v1
	global_load_dwordx4 v[88:91], v[0:1], off
	v_accvgpr_write_b32 a44, v92
	v_ashrrev_i32_e32 v97, 31, v96
	v_ashrrev_i32_e32 v105, 31, v104
	v_accvgpr_write_b32 a42, v0
	v_accvgpr_write_b32 a45, v93
	global_load_dwordx4 v[92:95], v[92:93], off
	v_lshl_add_u64 v[0:1], v[96:97], 4, s[0:1]
	v_lshl_add_u64 v[100:101], v[104:105], 4, s[0:1]
	global_load_dwordx4 v[96:99], v[0:1], off
	v_accvgpr_write_b32 a48, v100
	v_accvgpr_write_b32 a49, v101
	global_load_dwordx4 v[100:103], v[100:101], off
	s_waitcnt vmcnt(24)
	scratch_store_dwordx4 off, v[2:5], off offset:16
	s_waitcnt vmcnt(24)
	scratch_store_dwordx4 off, v[6:9], off offset:32
	;; [unrolled: 2-line block ×25, first 2 shown]
	v_add_u32_e32 v2, s11, v104
	v_add_u32_e32 v10, s11, v2
	v_ashrrev_i32_e32 v11, 31, v10
	v_lshl_add_u64 v[6:7], v[10:11], 4, s[0:1]
	v_add_u32_e32 v10, s11, v10
	v_add_u32_e32 v18, s11, v10
	v_ashrrev_i32_e32 v19, 31, v18
	v_lshl_add_u64 v[14:15], v[18:19], 4, s[0:1]
	;; [unrolled: 4-line block ×5, first 2 shown]
	v_add_u32_e32 v44, s11, v44
	v_add_u32_e32 v52, s11, v44
	v_accvgpr_write_b32 a47, v1
	v_ashrrev_i32_e32 v3, 31, v2
	v_ashrrev_i32_e32 v53, 31, v52
	v_accvgpr_write_b32 a46, v0
	v_lshl_add_u64 v[0:1], v[2:3], 4, s[0:1]
	v_lshl_add_u64 v[48:49], v[52:53], 4, s[0:1]
	v_add_u32_e32 v52, s11, v52
	v_accvgpr_write_b32 a51, v1
	v_accvgpr_write_b32 a53, v7
	v_ashrrev_i32_e32 v11, 31, v10
	v_add_u32_e32 v60, s11, v52
	v_accvgpr_write_b32 a50, v0
	global_load_dwordx4 v[2:5], v[0:1], off
	v_accvgpr_write_b32 a52, v6
	global_load_dwordx4 v[6:9], v[6:7], off
	v_lshl_add_u64 v[0:1], v[10:11], 4, s[0:1]
	v_ashrrev_i32_e32 v61, 31, v60
	v_accvgpr_write_b32 a55, v1
	v_accvgpr_write_b32 a57, v15
	v_ashrrev_i32_e32 v19, 31, v18
	v_lshl_add_u64 v[56:57], v[60:61], 4, s[0:1]
	v_add_u32_e32 v60, s11, v60
	v_accvgpr_write_b32 a54, v0
	global_load_dwordx4 v[10:13], v[0:1], off
	v_accvgpr_write_b32 a56, v14
	global_load_dwordx4 v[14:17], v[14:15], off
	v_lshl_add_u64 v[0:1], v[18:19], 4, s[0:1]
	v_add_u32_e32 v68, s11, v60
	v_accvgpr_write_b32 a59, v1
	v_accvgpr_write_b32 a61, v23
	v_ashrrev_i32_e32 v27, 31, v26
	v_ashrrev_i32_e32 v69, 31, v68
	v_accvgpr_write_b32 a58, v0
	global_load_dwordx4 v[18:21], v[0:1], off
	v_accvgpr_write_b32 a60, v22
	global_load_dwordx4 v[22:25], v[22:23], off
	v_lshl_add_u64 v[0:1], v[26:27], 4, s[0:1]
	v_lshl_add_u64 v[64:65], v[68:69], 4, s[0:1]
	v_add_u32_e32 v68, s11, v68
	v_accvgpr_write_b32 a63, v1
	v_accvgpr_write_b32 a65, v31
	v_ashrrev_i32_e32 v37, 31, v36
	v_add_u32_e32 v76, s11, v68
	v_accvgpr_write_b32 a62, v0
	global_load_dwordx4 v[26:29], v[0:1], off
	v_accvgpr_write_b32 a64, v30
	global_load_dwordx4 v[30:33], v[30:31], off
	v_lshl_add_u64 v[0:1], v[36:37], 4, s[0:1]
	v_ashrrev_i32_e32 v77, 31, v76
	v_accvgpr_write_b32 a67, v1
	v_accvgpr_write_b32 a69, v41
	v_ashrrev_i32_e32 v45, 31, v44
	v_lshl_add_u64 v[72:73], v[76:77], 4, s[0:1]
	v_add_u32_e32 v76, s11, v76
	v_accvgpr_write_b32 a66, v0
	global_load_dwordx4 v[36:39], v[0:1], off
	v_accvgpr_write_b32 a68, v40
	global_load_dwordx4 v[40:43], v[40:41], off
	v_lshl_add_u64 v[0:1], v[44:45], 4, s[0:1]
	v_add_u32_e32 v84, s11, v76
	v_accvgpr_write_b32 a71, v1
	v_accvgpr_write_b32 a73, v49
	v_ashrrev_i32_e32 v53, 31, v52
	v_ashrrev_i32_e32 v85, 31, v84
	v_accvgpr_write_b32 a70, v0
	global_load_dwordx4 v[44:47], v[0:1], off
	v_accvgpr_write_b32 a72, v48
	global_load_dwordx4 v[48:51], v[48:49], off
	;; [unrolled: 32-line block ×5, first 2 shown]
	v_lshl_add_u64 v[0:1], v[124:125], 4, s[0:1]
	v_lshl_add_u64 v[128:129], v[132:133], 4, s[0:1]
	v_add_u32_e32 v132, s11, v132
	v_accvgpr_write_b32 a111, v1
	v_accvgpr_write_b32 a112, v128
	v_ashrrev_i32_e32 v133, 31, v132
	v_accvgpr_write_b32 a110, v0
	global_load_dwordx4 v[124:127], v[0:1], off
	v_accvgpr_write_b32 a113, v129
	global_load_dwordx4 v[128:131], v[128:129], off
	v_lshl_add_u64 v[0:1], v[132:133], 4, s[0:1]
	s_movk_i32 s0, 0x50
	s_add_i32 s42, s0, 16
	s_movk_i32 s0, 0x60
	s_add_i32 s43, s0, 16
	;; [unrolled: 2-line block ×6, first 2 shown]
	s_movk_i32 s0, 0xb0
	global_load_dwordx4 v[132:135], v[0:1], off
	s_add_i32 s48, s0, 16
	s_movk_i32 s0, 0xc0
	s_add_i32 s49, s0, 16
	s_movk_i32 s0, 0xd0
	;; [unrolled: 2-line block ×46, first 2 shown]
	v_accvgpr_write_b32 a115, v1
	s_add_i32 s70, s0, 16
	v_accvgpr_write_b32 a114, v0
	s_mov_b32 s73, 32
	s_mov_b32 s72, 48
	;; [unrolled: 1-line block ×3, first 2 shown]
	s_movk_i32 s41, 0x50
	s_bitcmp0_b32 s4, 0
	s_mov_b64 s[4:5], -1
	s_waitcnt vmcnt(32)
	scratch_store_dwordx4 off, v[2:5], off offset:416
	s_waitcnt vmcnt(32)
	scratch_store_dwordx4 off, v[6:9], off offset:432
	;; [unrolled: 2-line block ×33, first 2 shown]
	s_cbranch_scc1 .LBB57_244
; %bb.4:
	v_cmp_eq_u32_e64 s[0:1], 0, v242
	s_and_saveexec_b64 s[4:5], s[0:1]
; %bb.5:
	v_mov_b32_e32 v0, 0
	ds_write_b32 v0, v0 offset:1856
; %bb.6:
	s_or_b64 exec, exec, s[4:5]
	s_waitcnt lgkmcnt(0)
	; wave barrier
	scratch_load_dwordx4 v[2:5], v34, off offset:16
	s_waitcnt vmcnt(0)
	v_cmp_eq_f64_e32 vcc, 0, v[2:3]
	v_cmp_eq_f64_e64 s[4:5], 0, v[4:5]
	s_and_b64 s[4:5], vcc, s[4:5]
	s_and_saveexec_b64 s[8:9], s[4:5]
	s_cbranch_execz .LBB57_10
; %bb.7:
	v_mov_b32_e32 v1, 0
	ds_read_b32 v0, v1 offset:1856
	v_add_u32_e32 v2, 1, v242
	s_waitcnt lgkmcnt(0)
	v_readfirstlane_b32 s4, v0
	s_cmp_eq_u32 s4, 0
	s_cselect_b64 s[10:11], -1, 0
	v_cmp_gt_i32_e32 vcc, s4, v2
	s_or_b64 s[10:11], s[10:11], vcc
	s_and_b64 exec, exec, s[10:11]
	s_cbranch_execz .LBB57_10
; %bb.8:
	s_mov_b64 s[10:11], 0
	v_mov_b32_e32 v3, s4
.LBB57_9:                               ; =>This Inner Loop Header: Depth=1
	ds_cmpst_rtn_b32 v3, v1, v3, v2 offset:1856
	s_waitcnt lgkmcnt(0)
	v_cmp_ne_u32_e32 vcc, 0, v3
	v_cmp_le_i32_e64 s[4:5], v3, v2
	s_and_b64 s[4:5], vcc, s[4:5]
	s_and_b64 s[4:5], exec, s[4:5]
	s_or_b64 s[10:11], s[4:5], s[10:11]
	s_andn2_b64 exec, exec, s[10:11]
	s_cbranch_execnz .LBB57_9
.LBB57_10:
	s_or_b64 exec, exec, s[8:9]
	v_mov_b32_e32 v2, 0
	; wave barrier
	ds_read_b32 v1, v2 offset:1856
	s_and_saveexec_b64 s[4:5], s[0:1]
	s_cbranch_execz .LBB57_12
; %bb.11:
	s_lshl_b64 s[8:9], s[2:3], 2
	s_add_u32 s8, s6, s8
	s_addc_u32 s9, s7, s9
	s_waitcnt lgkmcnt(0)
	global_store_dword v2, v1, s[8:9]
.LBB57_12:
	s_or_b64 exec, exec, s[4:5]
	s_waitcnt lgkmcnt(0)
	v_cmp_ne_u32_e32 vcc, 0, v1
	s_mov_b64 s[4:5], 0
	s_cbranch_vccnz .LBB57_244
; %bb.13:
	v_add_u32_e32 v14, 16, v34
	scratch_load_dwordx4 v[2:5], v14, off
                                        ; implicit-def: $vgpr6_vgpr7
                                        ; implicit-def: $vgpr10_vgpr11
	s_waitcnt vmcnt(0)
	v_cmp_ngt_f64_e64 s[4:5], |v[2:3]|, |v[4:5]|
	s_and_saveexec_b64 s[8:9], s[4:5]
	s_xor_b64 s[4:5], exec, s[8:9]
	s_cbranch_execz .LBB57_15
; %bb.14:
	v_div_scale_f64 v[6:7], s[8:9], v[4:5], v[4:5], v[2:3]
	v_rcp_f64_e32 v[8:9], v[6:7]
	v_div_scale_f64 v[10:11], vcc, v[2:3], v[4:5], v[2:3]
	v_fma_f64 v[12:13], -v[6:7], v[8:9], 1.0
	v_fmac_f64_e32 v[8:9], v[8:9], v[12:13]
	v_fma_f64 v[12:13], -v[6:7], v[8:9], 1.0
	v_fmac_f64_e32 v[8:9], v[8:9], v[12:13]
	v_mul_f64 v[12:13], v[10:11], v[8:9]
	v_fma_f64 v[6:7], -v[6:7], v[12:13], v[10:11]
	v_div_fmas_f64 v[6:7], v[6:7], v[8:9], v[12:13]
	v_div_fixup_f64 v[6:7], v[6:7], v[4:5], v[2:3]
	v_fmac_f64_e32 v[4:5], v[2:3], v[6:7]
	v_div_scale_f64 v[2:3], s[8:9], v[4:5], v[4:5], 1.0
	v_rcp_f64_e32 v[8:9], v[2:3]
	s_nop 0
	v_fma_f64 v[10:11], -v[2:3], v[8:9], 1.0
	v_fmac_f64_e32 v[8:9], v[8:9], v[10:11]
	v_fma_f64 v[10:11], -v[2:3], v[8:9], 1.0
	v_fmac_f64_e32 v[8:9], v[8:9], v[10:11]
	v_div_scale_f64 v[10:11], vcc, 1.0, v[4:5], 1.0
	v_mul_f64 v[12:13], v[10:11], v[8:9]
	v_fma_f64 v[2:3], -v[2:3], v[12:13], v[10:11]
	s_nop 1
	v_div_fmas_f64 v[2:3], v[2:3], v[8:9], v[12:13]
	v_div_fixup_f64 v[8:9], v[2:3], v[4:5], 1.0
	v_mul_f64 v[6:7], v[6:7], v[8:9]
	v_xor_b32_e32 v9, 0x80000000, v9
	v_xor_b32_e32 v11, 0x80000000, v7
	v_mov_b32_e32 v10, v6
                                        ; implicit-def: $vgpr2_vgpr3
.LBB57_15:
	s_andn2_saveexec_b64 s[4:5], s[4:5]
	s_cbranch_execz .LBB57_17
; %bb.16:
	v_div_scale_f64 v[6:7], s[8:9], v[2:3], v[2:3], v[4:5]
	v_rcp_f64_e32 v[8:9], v[6:7]
	v_div_scale_f64 v[10:11], vcc, v[4:5], v[2:3], v[4:5]
	v_fma_f64 v[12:13], -v[6:7], v[8:9], 1.0
	v_fmac_f64_e32 v[8:9], v[8:9], v[12:13]
	v_fma_f64 v[12:13], -v[6:7], v[8:9], 1.0
	v_fmac_f64_e32 v[8:9], v[8:9], v[12:13]
	v_mul_f64 v[12:13], v[10:11], v[8:9]
	v_fma_f64 v[6:7], -v[6:7], v[12:13], v[10:11]
	v_div_fmas_f64 v[6:7], v[6:7], v[8:9], v[12:13]
	v_div_fixup_f64 v[8:9], v[6:7], v[2:3], v[4:5]
	v_fmac_f64_e32 v[2:3], v[4:5], v[8:9]
	v_div_scale_f64 v[4:5], s[8:9], v[2:3], v[2:3], 1.0
	v_rcp_f64_e32 v[6:7], v[4:5]
	s_nop 0
	v_fma_f64 v[10:11], -v[4:5], v[6:7], 1.0
	v_fmac_f64_e32 v[6:7], v[6:7], v[10:11]
	v_fma_f64 v[10:11], -v[4:5], v[6:7], 1.0
	v_fmac_f64_e32 v[6:7], v[6:7], v[10:11]
	v_div_scale_f64 v[10:11], vcc, 1.0, v[2:3], 1.0
	v_mul_f64 v[12:13], v[10:11], v[6:7]
	v_fma_f64 v[4:5], -v[4:5], v[12:13], v[10:11]
	s_nop 1
	v_div_fmas_f64 v[4:5], v[4:5], v[6:7], v[12:13]
	v_div_fixup_f64 v[6:7], v[4:5], v[2:3], 1.0
	v_xor_b32_e32 v11, 0x80000000, v7
	v_mov_b32_e32 v10, v6
	v_mul_f64 v[8:9], v[8:9], -v[6:7]
.LBB57_17:
	s_or_b64 exec, exec, s[4:5]
	scratch_store_dwordx4 v14, v[6:9], off
	scratch_load_dwordx4 v[2:5], off, s73
	v_xor_b32_e32 v13, 0x80000000, v9
	v_mov_b32_e32 v12, v8
	v_add_u32_e32 v1, 0x3a0, v34
	ds_write_b128 v34, v[10:13]
	s_waitcnt vmcnt(0)
	ds_write_b128 v34, v[2:5] offset:928
	s_waitcnt lgkmcnt(0)
	; wave barrier
	s_and_saveexec_b64 s[4:5], s[0:1]
	s_cbranch_execz .LBB57_19
; %bb.18:
	scratch_load_dwordx4 v[2:5], v14, off
	ds_read_b128 v[6:9], v1
	v_mov_b32_e32 v0, 0
	ds_read_b128 v[10:13], v0 offset:16
	s_waitcnt vmcnt(0) lgkmcnt(1)
	v_mul_f64 v[16:17], v[8:9], v[4:5]
	v_mul_f64 v[4:5], v[6:7], v[4:5]
	v_fma_f64 v[6:7], v[6:7], v[2:3], -v[16:17]
	v_fmac_f64_e32 v[4:5], v[8:9], v[2:3]
	v_add_f64 v[2:3], v[6:7], 0
	v_add_f64 v[6:7], v[4:5], 0
	s_waitcnt lgkmcnt(0)
	v_mul_f64 v[8:9], v[6:7], v[12:13]
	v_mul_f64 v[4:5], v[2:3], v[12:13]
	v_fma_f64 v[2:3], v[2:3], v[10:11], -v[8:9]
	v_fmac_f64_e32 v[4:5], v[6:7], v[10:11]
	scratch_store_dwordx4 off, v[2:5], off offset:32
.LBB57_19:
	s_or_b64 exec, exec, s[4:5]
	; wave barrier
	scratch_load_dwordx4 v[2:5], off, s72
	v_cmp_gt_u32_e32 vcc, 2, v242
	s_waitcnt vmcnt(0)
	ds_write_b128 v1, v[2:5]
	s_waitcnt lgkmcnt(0)
	; wave barrier
	s_and_saveexec_b64 s[4:5], vcc
	s_cbranch_execz .LBB57_23
; %bb.20:
	scratch_load_dwordx4 v[2:5], v14, off
	ds_read_b128 v[6:9], v1
	s_waitcnt vmcnt(0) lgkmcnt(0)
	v_mul_f64 v[10:11], v[8:9], v[4:5]
	v_mul_f64 v[12:13], v[6:7], v[4:5]
	v_fma_f64 v[4:5], v[6:7], v[2:3], -v[10:11]
	v_fmac_f64_e32 v[12:13], v[8:9], v[2:3]
	v_add_f64 v[4:5], v[4:5], 0
	v_add_f64 v[2:3], v[12:13], 0
	s_and_saveexec_b64 s[8:9], s[0:1]
	s_cbranch_execz .LBB57_22
; %bb.21:
	scratch_load_dwordx4 v[6:9], off, off offset:32
	v_mov_b32_e32 v0, 0
	ds_read_b128 v[10:13], v0 offset:944
	s_waitcnt vmcnt(0) lgkmcnt(0)
	v_mul_f64 v[14:15], v[10:11], v[8:9]
	v_mul_f64 v[8:9], v[12:13], v[8:9]
	v_fmac_f64_e32 v[14:15], v[12:13], v[6:7]
	v_fma_f64 v[6:7], v[10:11], v[6:7], -v[8:9]
	v_add_f64 v[2:3], v[2:3], v[14:15]
	v_add_f64 v[4:5], v[4:5], v[6:7]
.LBB57_22:
	s_or_b64 exec, exec, s[8:9]
	v_mov_b32_e32 v0, 0
	ds_read_b128 v[6:9], v0 offset:32
	s_waitcnt lgkmcnt(0)
	v_mul_f64 v[12:13], v[2:3], v[8:9]
	v_mul_f64 v[10:11], v[4:5], v[8:9]
	v_fma_f64 v[8:9], v[4:5], v[6:7], -v[12:13]
	v_fmac_f64_e32 v[10:11], v[2:3], v[6:7]
	scratch_store_dwordx4 off, v[8:11], off offset:48
.LBB57_23:
	s_or_b64 exec, exec, s[4:5]
	; wave barrier
	scratch_load_dwordx4 v[2:5], off, s71
	v_cmp_gt_u32_e32 vcc, 3, v242
	v_add_u32_e32 v6, -1, v242
	s_waitcnt vmcnt(0)
	ds_write_b128 v1, v[2:5]
	s_waitcnt lgkmcnt(0)
	; wave barrier
	s_and_saveexec_b64 s[0:1], vcc
	s_cbranch_execz .LBB57_27
; %bb.24:
	v_add_u32_e32 v7, -1, v242
	v_add_u32_e32 v8, 0x3a0, v34
	v_add_u32_e32 v9, 16, v34
	v_mov_b64_e32 v[2:3], 0
	s_mov_b64 s[4:5], 0
	v_mov_b64_e32 v[4:5], 0
.LBB57_25:                              ; =>This Inner Loop Header: Depth=1
	scratch_load_dwordx4 v[10:13], v9, off
	ds_read_b128 v[14:17], v8
	v_add_u32_e32 v7, 1, v7
	v_cmp_lt_u32_e32 vcc, 1, v7
	v_add_u32_e32 v8, 16, v8
	v_add_u32_e32 v9, 16, v9
	s_or_b64 s[4:5], vcc, s[4:5]
	s_waitcnt vmcnt(0) lgkmcnt(0)
	v_mul_f64 v[18:19], v[16:17], v[12:13]
	v_mul_f64 v[12:13], v[14:15], v[12:13]
	v_fma_f64 v[14:15], v[14:15], v[10:11], -v[18:19]
	v_fmac_f64_e32 v[12:13], v[16:17], v[10:11]
	v_add_f64 v[4:5], v[4:5], v[14:15]
	v_add_f64 v[2:3], v[2:3], v[12:13]
	s_andn2_b64 exec, exec, s[4:5]
	s_cbranch_execnz .LBB57_25
; %bb.26:
	s_or_b64 exec, exec, s[4:5]
	v_mov_b32_e32 v0, 0
	ds_read_b128 v[8:11], v0 offset:48
	s_waitcnt lgkmcnt(0)
	v_mul_f64 v[14:15], v[2:3], v[10:11]
	v_mul_f64 v[12:13], v[4:5], v[10:11]
	v_fma_f64 v[10:11], v[4:5], v[8:9], -v[14:15]
	v_fmac_f64_e32 v[12:13], v[2:3], v[8:9]
	scratch_store_dwordx4 off, v[10:13], off offset:64
.LBB57_27:
	s_or_b64 exec, exec, s[0:1]
	; wave barrier
	scratch_load_dwordx4 v[2:5], off, s41
	v_cmp_gt_u32_e32 vcc, 4, v242
	s_waitcnt vmcnt(0)
	ds_write_b128 v1, v[2:5]
	s_waitcnt lgkmcnt(0)
	; wave barrier
	s_and_saveexec_b64 s[0:1], vcc
	s_cbranch_execz .LBB57_31
; %bb.28:
	v_add_u32_e32 v7, -1, v242
	v_add_u32_e32 v8, 0x3a0, v34
	v_add_u32_e32 v9, 16, v34
	v_mov_b64_e32 v[2:3], 0
	s_mov_b64 s[4:5], 0
	v_mov_b64_e32 v[4:5], 0
.LBB57_29:                              ; =>This Inner Loop Header: Depth=1
	scratch_load_dwordx4 v[10:13], v9, off
	ds_read_b128 v[14:17], v8
	v_add_u32_e32 v7, 1, v7
	v_cmp_lt_u32_e32 vcc, 2, v7
	v_add_u32_e32 v8, 16, v8
	v_add_u32_e32 v9, 16, v9
	s_or_b64 s[4:5], vcc, s[4:5]
	s_waitcnt vmcnt(0) lgkmcnt(0)
	v_mul_f64 v[18:19], v[16:17], v[12:13]
	v_mul_f64 v[12:13], v[14:15], v[12:13]
	v_fma_f64 v[14:15], v[14:15], v[10:11], -v[18:19]
	v_fmac_f64_e32 v[12:13], v[16:17], v[10:11]
	v_add_f64 v[4:5], v[4:5], v[14:15]
	v_add_f64 v[2:3], v[2:3], v[12:13]
	s_andn2_b64 exec, exec, s[4:5]
	s_cbranch_execnz .LBB57_29
; %bb.30:
	s_or_b64 exec, exec, s[4:5]
	v_mov_b32_e32 v0, 0
	ds_read_b128 v[8:11], v0 offset:64
	s_waitcnt lgkmcnt(0)
	v_mul_f64 v[14:15], v[2:3], v[10:11]
	v_mul_f64 v[12:13], v[4:5], v[10:11]
	v_fma_f64 v[10:11], v[4:5], v[8:9], -v[14:15]
	v_fmac_f64_e32 v[12:13], v[2:3], v[8:9]
	scratch_store_dwordx4 off, v[10:13], off offset:80
.LBB57_31:
	s_or_b64 exec, exec, s[0:1]
	; wave barrier
	scratch_load_dwordx4 v[2:5], off, s42
	v_cmp_gt_u32_e32 vcc, 5, v242
	;; [unrolled: 45-line block ×19, first 2 shown]
	s_waitcnt vmcnt(0)
	ds_write_b128 v1, v[2:5]
	s_waitcnt lgkmcnt(0)
	; wave barrier
	s_and_saveexec_b64 s[0:1], vcc
	s_cbranch_execz .LBB57_103
; %bb.100:
	v_add_u32_e32 v7, -1, v242
	v_add_u32_e32 v8, 0x3a0, v34
	v_add_u32_e32 v9, 16, v34
	v_mov_b64_e32 v[2:3], 0
	s_mov_b64 s[4:5], 0
	v_mov_b64_e32 v[4:5], 0
.LBB57_101:                             ; =>This Inner Loop Header: Depth=1
	scratch_load_dwordx4 v[10:13], v9, off
	ds_read_b128 v[14:17], v8
	v_add_u32_e32 v7, 1, v7
	v_cmp_lt_u32_e32 vcc, 20, v7
	v_add_u32_e32 v8, 16, v8
	v_add_u32_e32 v9, 16, v9
	s_or_b64 s[4:5], vcc, s[4:5]
	s_waitcnt vmcnt(0) lgkmcnt(0)
	v_mul_f64 v[18:19], v[16:17], v[12:13]
	v_mul_f64 v[12:13], v[14:15], v[12:13]
	v_fma_f64 v[14:15], v[14:15], v[10:11], -v[18:19]
	v_fmac_f64_e32 v[12:13], v[16:17], v[10:11]
	v_add_f64 v[4:5], v[4:5], v[14:15]
	v_add_f64 v[2:3], v[2:3], v[12:13]
	s_andn2_b64 exec, exec, s[4:5]
	s_cbranch_execnz .LBB57_101
; %bb.102:
	s_or_b64 exec, exec, s[4:5]
	v_mov_b32_e32 v0, 0
	ds_read_b128 v[8:11], v0 offset:352
	s_waitcnt lgkmcnt(0)
	v_mul_f64 v[14:15], v[2:3], v[10:11]
	v_mul_f64 v[12:13], v[4:5], v[10:11]
	v_fma_f64 v[10:11], v[4:5], v[8:9], -v[14:15]
	v_fmac_f64_e32 v[12:13], v[2:3], v[8:9]
	scratch_store_dwordx4 off, v[10:13], off offset:368
.LBB57_103:
	s_or_b64 exec, exec, s[0:1]
	; wave barrier
	scratch_load_dwordx4 v[2:5], off, s60
	v_cmp_gt_u32_e32 vcc, 23, v242
	s_waitcnt vmcnt(0)
	ds_write_b128 v1, v[2:5]
	s_waitcnt lgkmcnt(0)
	; wave barrier
	s_and_saveexec_b64 s[0:1], vcc
	s_cbranch_execz .LBB57_107
; %bb.104:
	v_add_u32_e32 v7, -1, v242
	v_add_u32_e32 v8, 0x3a0, v34
	v_add_u32_e32 v9, 16, v34
	v_mov_b64_e32 v[2:3], 0
	s_mov_b64 s[4:5], 0
	v_mov_b64_e32 v[4:5], 0
.LBB57_105:                             ; =>This Inner Loop Header: Depth=1
	scratch_load_dwordx4 v[10:13], v9, off
	ds_read_b128 v[14:17], v8
	v_add_u32_e32 v7, 1, v7
	v_cmp_lt_u32_e32 vcc, 21, v7
	v_add_u32_e32 v8, 16, v8
	v_add_u32_e32 v9, 16, v9
	s_or_b64 s[4:5], vcc, s[4:5]
	s_waitcnt vmcnt(0) lgkmcnt(0)
	v_mul_f64 v[18:19], v[16:17], v[12:13]
	v_mul_f64 v[12:13], v[14:15], v[12:13]
	v_fma_f64 v[14:15], v[14:15], v[10:11], -v[18:19]
	v_fmac_f64_e32 v[12:13], v[16:17], v[10:11]
	v_add_f64 v[4:5], v[4:5], v[14:15]
	v_add_f64 v[2:3], v[2:3], v[12:13]
	s_andn2_b64 exec, exec, s[4:5]
	s_cbranch_execnz .LBB57_105
; %bb.106:
	s_or_b64 exec, exec, s[4:5]
	v_mov_b32_e32 v0, 0
	ds_read_b128 v[8:11], v0 offset:368
	s_waitcnt lgkmcnt(0)
	v_mul_f64 v[14:15], v[2:3], v[10:11]
	v_mul_f64 v[12:13], v[4:5], v[10:11]
	v_fma_f64 v[10:11], v[4:5], v[8:9], -v[14:15]
	v_fmac_f64_e32 v[12:13], v[2:3], v[8:9]
	scratch_store_dwordx4 off, v[10:13], off offset:384
.LBB57_107:
	s_or_b64 exec, exec, s[0:1]
	; wave barrier
	scratch_load_dwordx4 v[2:5], off, s61
	v_cmp_gt_u32_e32 vcc, 24, v242
	;; [unrolled: 45-line block ×34, first 2 shown]
	s_waitcnt vmcnt(0)
	ds_write_b128 v1, v[2:5]
	s_waitcnt lgkmcnt(0)
	; wave barrier
	s_and_saveexec_b64 s[0:1], vcc
	s_cbranch_execz .LBB57_239
; %bb.236:
	v_add_u32_e32 v7, -1, v242
	v_add_u32_e32 v8, 0x3a0, v34
	v_add_u32_e32 v9, 16, v34
	v_mov_b64_e32 v[2:3], 0
	s_mov_b64 s[4:5], 0
	v_mov_b64_e32 v[4:5], 0
.LBB57_237:                             ; =>This Inner Loop Header: Depth=1
	scratch_load_dwordx4 v[10:13], v9, off
	ds_read_b128 v[14:17], v8
	v_add_u32_e32 v7, 1, v7
	v_cmp_lt_u32_e32 vcc, 54, v7
	v_add_u32_e32 v8, 16, v8
	v_add_u32_e32 v9, 16, v9
	s_or_b64 s[4:5], vcc, s[4:5]
	s_waitcnt vmcnt(0) lgkmcnt(0)
	v_mul_f64 v[18:19], v[16:17], v[12:13]
	v_mul_f64 v[12:13], v[14:15], v[12:13]
	v_fma_f64 v[14:15], v[14:15], v[10:11], -v[18:19]
	v_fmac_f64_e32 v[12:13], v[16:17], v[10:11]
	v_add_f64 v[4:5], v[4:5], v[14:15]
	v_add_f64 v[2:3], v[2:3], v[12:13]
	s_andn2_b64 exec, exec, s[4:5]
	s_cbranch_execnz .LBB57_237
; %bb.238:
	s_or_b64 exec, exec, s[4:5]
	v_mov_b32_e32 v0, 0
	ds_read_b128 v[8:11], v0 offset:896
	s_waitcnt lgkmcnt(0)
	v_mul_f64 v[14:15], v[2:3], v[10:11]
	v_mul_f64 v[12:13], v[4:5], v[10:11]
	v_fma_f64 v[10:11], v[4:5], v[8:9], -v[14:15]
	v_fmac_f64_e32 v[12:13], v[2:3], v[8:9]
	scratch_store_dwordx4 off, v[10:13], off offset:912
.LBB57_239:
	s_or_b64 exec, exec, s[0:1]
	; wave barrier
	scratch_load_dwordx4 v[2:5], off, s70
	v_cmp_ne_u32_e32 vcc, 57, v242
	s_waitcnt vmcnt(0)
	ds_write_b128 v1, v[2:5]
	s_waitcnt lgkmcnt(0)
	; wave barrier
	s_and_saveexec_b64 s[0:1], vcc
	s_cbranch_execz .LBB57_243
; %bb.240:
	v_add_u32_e32 v1, 0x3a0, v34
	v_add_u32_e32 v7, 16, v34
	v_mov_b64_e32 v[2:3], 0
	s_mov_b64 s[4:5], 0
	v_mov_b64_e32 v[4:5], 0
.LBB57_241:                             ; =>This Inner Loop Header: Depth=1
	scratch_load_dwordx4 v[8:11], v7, off
	ds_read_b128 v[12:15], v1
	v_add_u32_e32 v6, 1, v6
	v_cmp_lt_u32_e32 vcc, 55, v6
	v_add_u32_e32 v1, 16, v1
	v_add_u32_e32 v7, 16, v7
	s_or_b64 s[4:5], vcc, s[4:5]
	s_waitcnt vmcnt(0) lgkmcnt(0)
	v_mul_f64 v[16:17], v[14:15], v[10:11]
	v_mul_f64 v[10:11], v[12:13], v[10:11]
	v_fma_f64 v[12:13], v[12:13], v[8:9], -v[16:17]
	v_fmac_f64_e32 v[10:11], v[14:15], v[8:9]
	v_add_f64 v[4:5], v[4:5], v[12:13]
	v_add_f64 v[2:3], v[2:3], v[10:11]
	s_andn2_b64 exec, exec, s[4:5]
	s_cbranch_execnz .LBB57_241
; %bb.242:
	s_or_b64 exec, exec, s[4:5]
	v_mov_b32_e32 v0, 0
	ds_read_b128 v[6:9], v0 offset:912
	s_waitcnt lgkmcnt(0)
	v_mul_f64 v[12:13], v[2:3], v[8:9]
	v_mul_f64 v[10:11], v[4:5], v[8:9]
	v_fma_f64 v[8:9], v[4:5], v[6:7], -v[12:13]
	v_fmac_f64_e32 v[10:11], v[2:3], v[6:7]
	scratch_store_dwordx4 off, v[8:11], off offset:928
.LBB57_243:
	s_or_b64 exec, exec, s[0:1]
	s_mov_b64 s[4:5], -1
	; wave barrier
.LBB57_244:
	s_and_b64 vcc, exec, s[4:5]
	s_cbranch_vccz .LBB57_246
; %bb.245:
	s_lshl_b64 s[0:1], s[2:3], 2
	s_add_u32 s0, s6, s0
	s_addc_u32 s1, s7, s1
	v_mov_b32_e32 v0, 0
	global_load_dword v0, v0, s[0:1]
	s_waitcnt vmcnt(0)
	v_cmp_ne_u32_e32 vcc, 0, v0
	s_cbranch_vccz .LBB57_247
.LBB57_246:
	s_endpgm
.LBB57_247:
	v_mov_b32_e32 v0, 0x3a0
	v_lshl_add_u32 v0, v242, 4, v0
	v_accvgpr_write_b32 a117, v0
	v_cmp_eq_u32_e32 vcc, 57, v242
	s_and_saveexec_b64 s[0:1], vcc
	s_cbranch_execz .LBB57_249
; %bb.248:
	scratch_load_dwordx4 v[2:5], off, s40
	v_mov_b32_e32 v6, 0
	v_mov_b32_e32 v7, v6
	;; [unrolled: 1-line block ×4, first 2 shown]
	v_accvgpr_read_b32 v0, a117
	scratch_store_dwordx4 off, v[6:9], off offset:912
	s_waitcnt vmcnt(1)
	ds_write_b128 v0, v[2:5]
.LBB57_249:
	s_or_b64 exec, exec, s[0:1]
	s_waitcnt lgkmcnt(0)
	; wave barrier
	scratch_load_dwordx4 v[4:7], off, off offset:928
	scratch_load_dwordx4 v[8:11], off, off offset:912
	v_mov_b32_e32 v2, 0
	ds_read_b128 v[12:15], v2 offset:1840
	v_cmp_lt_u32_e32 vcc, 55, v242
	s_waitcnt vmcnt(1) lgkmcnt(0)
	v_mul_f64 v[16:17], v[12:13], v[6:7]
	v_mul_f64 v[6:7], v[14:15], v[6:7]
	v_fmac_f64_e32 v[16:17], v[14:15], v[4:5]
	v_fma_f64 v[4:5], v[12:13], v[4:5], -v[6:7]
	v_add_f64 v[6:7], v[16:17], 0
	v_add_f64 v[4:5], v[4:5], 0
	s_waitcnt vmcnt(0)
	v_add_f64 v[4:5], v[8:9], -v[4:5]
	v_add_f64 v[6:7], v[10:11], -v[6:7]
	scratch_store_dwordx4 off, v[4:7], off offset:912
	s_and_saveexec_b64 s[0:1], vcc
	s_cbranch_execz .LBB57_251
; %bb.250:
	scratch_load_dwordx4 v[6:9], off, s39
	v_mov_b32_e32 v3, v2
	v_mov_b32_e32 v4, v2
	;; [unrolled: 1-line block ×3, first 2 shown]
	v_accvgpr_read_b32 v0, a117
	scratch_store_dwordx4 off, v[2:5], off offset:896
	s_waitcnt vmcnt(1)
	ds_write_b128 v0, v[6:9]
.LBB57_251:
	s_or_b64 exec, exec, s[0:1]
	s_waitcnt lgkmcnt(0)
	; wave barrier
	scratch_load_dwordx4 v[4:7], off, off offset:912
	scratch_load_dwordx4 v[8:11], off, off offset:928
	;; [unrolled: 1-line block ×3, first 2 shown]
	ds_read_b128 v[16:19], v2 offset:1824
	ds_read_b128 v[20:23], v2 offset:1840
	v_cmp_lt_u32_e32 vcc, 54, v242
	s_waitcnt vmcnt(2) lgkmcnt(1)
	v_mul_f64 v[2:3], v[16:17], v[6:7]
	v_mul_f64 v[6:7], v[18:19], v[6:7]
	s_waitcnt vmcnt(1) lgkmcnt(0)
	v_mul_f64 v[24:25], v[20:21], v[10:11]
	v_mul_f64 v[10:11], v[22:23], v[10:11]
	v_fmac_f64_e32 v[2:3], v[18:19], v[4:5]
	v_fma_f64 v[4:5], v[16:17], v[4:5], -v[6:7]
	v_fmac_f64_e32 v[24:25], v[22:23], v[8:9]
	v_fma_f64 v[6:7], v[20:21], v[8:9], -v[10:11]
	v_add_f64 v[2:3], v[2:3], 0
	v_add_f64 v[4:5], v[4:5], 0
	;; [unrolled: 1-line block ×4, first 2 shown]
	s_waitcnt vmcnt(0)
	v_add_f64 v[2:3], v[12:13], -v[2:3]
	v_add_f64 v[4:5], v[14:15], -v[8:9]
	scratch_store_dwordx4 off, v[2:5], off offset:896
	s_and_saveexec_b64 s[0:1], vcc
	s_cbranch_execz .LBB57_253
; %bb.252:
	scratch_load_dwordx4 v[2:5], off, s38
	v_mov_b32_e32 v6, 0
	v_mov_b32_e32 v7, v6
	;; [unrolled: 1-line block ×4, first 2 shown]
	v_accvgpr_read_b32 v0, a117
	scratch_store_dwordx4 off, v[6:9], off offset:880
	s_waitcnt vmcnt(1)
	ds_write_b128 v0, v[2:5]
.LBB57_253:
	s_or_b64 exec, exec, s[0:1]
	s_waitcnt lgkmcnt(0)
	; wave barrier
	scratch_load_dwordx4 v[4:7], off, off offset:896
	scratch_load_dwordx4 v[8:11], off, off offset:912
	;; [unrolled: 1-line block ×4, first 2 shown]
	v_mov_b32_e32 v2, 0
	ds_read_b128 v[20:23], v2 offset:1808
	ds_read_b128 v[24:27], v2 offset:1824
	;; [unrolled: 1-line block ×3, first 2 shown]
	v_cmp_lt_u32_e32 vcc, 53, v242
	s_waitcnt vmcnt(3) lgkmcnt(2)
	v_mul_f64 v[32:33], v[20:21], v[6:7]
	v_mul_f64 v[6:7], v[22:23], v[6:7]
	s_waitcnt vmcnt(2) lgkmcnt(1)
	v_mul_f64 v[34:35], v[24:25], v[10:11]
	v_mul_f64 v[10:11], v[26:27], v[10:11]
	v_fmac_f64_e32 v[32:33], v[22:23], v[4:5]
	v_fma_f64 v[4:5], v[20:21], v[4:5], -v[6:7]
	s_waitcnt vmcnt(1) lgkmcnt(0)
	v_mul_f64 v[36:37], v[28:29], v[14:15]
	v_mul_f64 v[14:15], v[30:31], v[14:15]
	v_fmac_f64_e32 v[34:35], v[26:27], v[8:9]
	v_fma_f64 v[6:7], v[24:25], v[8:9], -v[10:11]
	v_add_f64 v[10:11], v[32:33], 0
	v_add_f64 v[4:5], v[4:5], 0
	v_fmac_f64_e32 v[36:37], v[30:31], v[12:13]
	v_fma_f64 v[8:9], v[28:29], v[12:13], -v[14:15]
	v_add_f64 v[10:11], v[10:11], v[34:35]
	v_add_f64 v[4:5], v[4:5], v[6:7]
	;; [unrolled: 1-line block ×4, first 2 shown]
	s_waitcnt vmcnt(0)
	v_add_f64 v[4:5], v[16:17], -v[4:5]
	v_add_f64 v[6:7], v[18:19], -v[6:7]
	scratch_store_dwordx4 off, v[4:7], off offset:880
	s_and_saveexec_b64 s[0:1], vcc
	s_cbranch_execz .LBB57_255
; %bb.254:
	scratch_load_dwordx4 v[6:9], off, s37
	v_mov_b32_e32 v3, v2
	v_mov_b32_e32 v4, v2
	;; [unrolled: 1-line block ×3, first 2 shown]
	v_accvgpr_read_b32 v0, a117
	scratch_store_dwordx4 off, v[2:5], off offset:864
	s_waitcnt vmcnt(1)
	ds_write_b128 v0, v[6:9]
.LBB57_255:
	s_or_b64 exec, exec, s[0:1]
	s_waitcnt lgkmcnt(0)
	; wave barrier
	scratch_load_dwordx4 v[4:7], off, off offset:880
	scratch_load_dwordx4 v[8:11], off, off offset:896
	;; [unrolled: 1-line block ×5, first 2 shown]
	ds_read_b128 v[24:27], v2 offset:1792
	ds_read_b128 v[28:31], v2 offset:1808
	;; [unrolled: 1-line block ×4, first 2 shown]
	v_cmp_lt_u32_e32 vcc, 52, v242
	s_waitcnt vmcnt(4) lgkmcnt(3)
	v_mul_f64 v[2:3], v[24:25], v[6:7]
	v_mul_f64 v[6:7], v[26:27], v[6:7]
	s_waitcnt vmcnt(3) lgkmcnt(2)
	v_mul_f64 v[40:41], v[28:29], v[10:11]
	v_mul_f64 v[10:11], v[30:31], v[10:11]
	v_fmac_f64_e32 v[2:3], v[26:27], v[4:5]
	v_fma_f64 v[4:5], v[24:25], v[4:5], -v[6:7]
	s_waitcnt vmcnt(2) lgkmcnt(1)
	v_mul_f64 v[42:43], v[32:33], v[14:15]
	v_mul_f64 v[14:15], v[34:35], v[14:15]
	v_fmac_f64_e32 v[40:41], v[30:31], v[8:9]
	v_fma_f64 v[6:7], v[28:29], v[8:9], -v[10:11]
	v_add_f64 v[2:3], v[2:3], 0
	v_add_f64 v[4:5], v[4:5], 0
	s_waitcnt vmcnt(1) lgkmcnt(0)
	v_mul_f64 v[44:45], v[36:37], v[18:19]
	v_mul_f64 v[18:19], v[38:39], v[18:19]
	v_fmac_f64_e32 v[42:43], v[34:35], v[12:13]
	v_fma_f64 v[8:9], v[32:33], v[12:13], -v[14:15]
	v_add_f64 v[2:3], v[2:3], v[40:41]
	v_add_f64 v[4:5], v[4:5], v[6:7]
	v_fmac_f64_e32 v[44:45], v[38:39], v[16:17]
	v_fma_f64 v[10:11], v[36:37], v[16:17], -v[18:19]
	v_add_f64 v[2:3], v[2:3], v[42:43]
	v_add_f64 v[4:5], v[4:5], v[8:9]
	;; [unrolled: 1-line block ×4, first 2 shown]
	s_waitcnt vmcnt(0)
	v_add_f64 v[2:3], v[20:21], -v[2:3]
	v_add_f64 v[4:5], v[22:23], -v[6:7]
	scratch_store_dwordx4 off, v[2:5], off offset:864
	s_and_saveexec_b64 s[0:1], vcc
	s_cbranch_execz .LBB57_257
; %bb.256:
	scratch_load_dwordx4 v[2:5], off, s36
	v_mov_b32_e32 v6, 0
	v_mov_b32_e32 v7, v6
	v_mov_b32_e32 v8, v6
	v_mov_b32_e32 v9, v6
	v_accvgpr_read_b32 v0, a117
	scratch_store_dwordx4 off, v[6:9], off offset:848
	s_waitcnt vmcnt(1)
	ds_write_b128 v0, v[2:5]
.LBB57_257:
	s_or_b64 exec, exec, s[0:1]
	v_mov_b32_e32 v2, 0
	s_waitcnt lgkmcnt(0)
	; wave barrier
	ds_read_b128 v[4:7], v2 offset:1776
	ds_read_b128 v[8:11], v2 offset:1792
	;; [unrolled: 1-line block ×4, first 2 shown]
	scratch_load_dwordx4 v[20:23], off, off offset:864
	scratch_load_dwordx4 v[40:43], off, off offset:928
	v_cmp_lt_u32_e32 vcc, 51, v242
	s_waitcnt vmcnt(1) lgkmcnt(3)
	v_mul_f64 v[24:25], v[4:5], v[22:23]
	v_fmac_f64_e32 v[24:25], v[6:7], v[20:21]
	v_add_f64 v[28:29], v[24:25], 0
	scratch_load_dwordx4 v[24:27], off, off offset:880
	v_mul_f64 v[6:7], v[6:7], v[22:23]
	v_fma_f64 v[4:5], v[4:5], v[20:21], -v[6:7]
	v_add_f64 v[4:5], v[4:5], 0
	s_waitcnt vmcnt(0) lgkmcnt(2)
	v_mul_f64 v[30:31], v[8:9], v[26:27]
	v_fmac_f64_e32 v[30:31], v[10:11], v[24:25]
	v_add_f64 v[32:33], v[28:29], v[30:31]
	scratch_load_dwordx4 v[28:31], off, off offset:896
	v_mul_f64 v[6:7], v[10:11], v[26:27]
	v_fma_f64 v[6:7], v[8:9], v[24:25], -v[6:7]
	v_add_f64 v[4:5], v[4:5], v[6:7]
	;; [unrolled: 8-line block ×3, first 2 shown]
	s_waitcnt vmcnt(0) lgkmcnt(0)
	v_mul_f64 v[38:39], v[16:17], v[34:35]
	v_fmac_f64_e32 v[38:39], v[18:19], v[32:33]
	v_add_f64 v[44:45], v[36:37], v[38:39]
	ds_read_b128 v[36:39], v2 offset:1840
	v_mul_f64 v[6:7], v[18:19], v[34:35]
	v_fma_f64 v[6:7], v[16:17], v[32:33], -v[6:7]
	v_add_f64 v[4:5], v[4:5], v[6:7]
	s_waitcnt lgkmcnt(0)
	v_mul_f64 v[6:7], v[38:39], v[42:43]
	v_fma_f64 v[6:7], v[36:37], v[40:41], -v[6:7]
	v_add_f64 v[8:9], v[4:5], v[6:7]
	scratch_load_dwordx4 v[4:7], off, off offset:848
	v_mul_f64 v[46:47], v[36:37], v[42:43]
	v_fmac_f64_e32 v[46:47], v[38:39], v[40:41]
	v_add_f64 v[44:45], v[44:45], v[46:47]
	s_waitcnt vmcnt(0)
	v_add_f64 v[4:5], v[4:5], -v[8:9]
	v_add_f64 v[6:7], v[6:7], -v[44:45]
	scratch_store_dwordx4 off, v[4:7], off offset:848
	s_and_saveexec_b64 s[0:1], vcc
	s_cbranch_execz .LBB57_259
; %bb.258:
	scratch_load_dwordx4 v[6:9], off, s34
	v_mov_b32_e32 v3, v2
	v_mov_b32_e32 v4, v2
	;; [unrolled: 1-line block ×3, first 2 shown]
	v_accvgpr_read_b32 v0, a117
	scratch_store_dwordx4 off, v[2:5], off offset:832
	s_waitcnt vmcnt(1)
	ds_write_b128 v0, v[6:9]
.LBB57_259:
	s_or_b64 exec, exec, s[0:1]
	s_waitcnt lgkmcnt(0)
	; wave barrier
	scratch_load_dwordx4 v[4:7], off, off offset:848
	scratch_load_dwordx4 v[8:11], off, off offset:864
	;; [unrolled: 1-line block ×7, first 2 shown]
	ds_read_b128 v[32:35], v2 offset:1760
	ds_read_b128 v[36:39], v2 offset:1776
	ds_read_b128 v[40:43], v2 offset:1792
	ds_read_b128 v[44:47], v2 offset:1808
	ds_read_b128 v[48:51], v2 offset:1824
	ds_read_b128 v[52:55], v2 offset:1840
	v_cmp_lt_u32_e32 vcc, 50, v242
	s_waitcnt vmcnt(6) lgkmcnt(5)
	v_mul_f64 v[2:3], v[32:33], v[6:7]
	v_mul_f64 v[6:7], v[34:35], v[6:7]
	s_waitcnt vmcnt(5) lgkmcnt(4)
	v_mul_f64 v[56:57], v[36:37], v[10:11]
	v_mul_f64 v[10:11], v[38:39], v[10:11]
	v_fmac_f64_e32 v[2:3], v[34:35], v[4:5]
	v_fma_f64 v[4:5], v[32:33], v[4:5], -v[6:7]
	s_waitcnt vmcnt(4) lgkmcnt(3)
	v_mul_f64 v[58:59], v[40:41], v[14:15]
	v_mul_f64 v[14:15], v[42:43], v[14:15]
	v_fmac_f64_e32 v[56:57], v[38:39], v[8:9]
	v_fma_f64 v[6:7], v[36:37], v[8:9], -v[10:11]
	v_add_f64 v[2:3], v[2:3], 0
	v_add_f64 v[4:5], v[4:5], 0
	s_waitcnt vmcnt(3) lgkmcnt(2)
	v_mul_f64 v[60:61], v[44:45], v[18:19]
	v_mul_f64 v[18:19], v[46:47], v[18:19]
	v_fmac_f64_e32 v[58:59], v[42:43], v[12:13]
	v_fma_f64 v[8:9], v[40:41], v[12:13], -v[14:15]
	v_add_f64 v[2:3], v[2:3], v[56:57]
	v_add_f64 v[4:5], v[4:5], v[6:7]
	;; [unrolled: 7-line block ×4, first 2 shown]
	v_fmac_f64_e32 v[64:65], v[54:55], v[24:25]
	v_fma_f64 v[14:15], v[52:53], v[24:25], -v[26:27]
	v_add_f64 v[2:3], v[2:3], v[62:63]
	v_add_f64 v[4:5], v[4:5], v[12:13]
	;; [unrolled: 1-line block ×4, first 2 shown]
	s_waitcnt vmcnt(0)
	v_add_f64 v[2:3], v[28:29], -v[2:3]
	v_add_f64 v[4:5], v[30:31], -v[6:7]
	scratch_store_dwordx4 off, v[2:5], off offset:832
	s_and_saveexec_b64 s[0:1], vcc
	s_cbranch_execz .LBB57_261
; %bb.260:
	scratch_load_dwordx4 v[2:5], off, s35
	v_mov_b32_e32 v6, 0
	v_mov_b32_e32 v7, v6
	;; [unrolled: 1-line block ×4, first 2 shown]
	v_accvgpr_read_b32 v0, a117
	scratch_store_dwordx4 off, v[6:9], off offset:816
	s_waitcnt vmcnt(1)
	ds_write_b128 v0, v[2:5]
.LBB57_261:
	s_or_b64 exec, exec, s[0:1]
	s_waitcnt lgkmcnt(0)
	; wave barrier
	scratch_load_dwordx4 v[4:7], off, off offset:832
	scratch_load_dwordx4 v[8:11], off, off offset:848
	;; [unrolled: 1-line block ×8, first 2 shown]
	v_mov_b32_e32 v2, 0
	ds_read_b128 v[36:39], v2 offset:1744
	ds_read_b128 v[40:43], v2 offset:1760
	ds_read_b128 v[44:47], v2 offset:1776
	ds_read_b128 v[48:51], v2 offset:1792
	ds_read_b128 v[52:55], v2 offset:1808
	ds_read_b128 v[56:59], v2 offset:1824
	ds_read_b128 v[60:63], v2 offset:1840
	v_cmp_lt_u32_e32 vcc, 49, v242
	s_waitcnt vmcnt(7) lgkmcnt(6)
	v_mul_f64 v[64:65], v[36:37], v[6:7]
	v_mul_f64 v[6:7], v[38:39], v[6:7]
	s_waitcnt vmcnt(6) lgkmcnt(5)
	v_mul_f64 v[66:67], v[40:41], v[10:11]
	s_waitcnt vmcnt(4) lgkmcnt(3)
	v_mul_f64 v[70:71], v[48:49], v[18:19]
	v_mul_f64 v[10:11], v[42:43], v[10:11]
	;; [unrolled: 1-line block ×3, first 2 shown]
	v_fmac_f64_e32 v[64:65], v[38:39], v[4:5]
	v_fma_f64 v[4:5], v[36:37], v[4:5], -v[6:7]
	v_mul_f64 v[68:69], v[44:45], v[14:15]
	v_mul_f64 v[14:15], v[46:47], v[14:15]
	v_fmac_f64_e32 v[66:67], v[42:43], v[8:9]
	v_fma_f64 v[6:7], v[40:41], v[8:9], -v[10:11]
	v_fma_f64 v[10:11], v[48:49], v[16:17], -v[18:19]
	v_add_f64 v[18:19], v[64:65], 0
	v_add_f64 v[4:5], v[4:5], 0
	v_fmac_f64_e32 v[68:69], v[46:47], v[12:13]
	v_fma_f64 v[8:9], v[44:45], v[12:13], -v[14:15]
	v_add_f64 v[18:19], v[18:19], v[66:67]
	v_add_f64 v[4:5], v[4:5], v[6:7]
	s_waitcnt vmcnt(3) lgkmcnt(2)
	v_mul_f64 v[72:73], v[52:53], v[22:23]
	v_mul_f64 v[22:23], v[54:55], v[22:23]
	v_fmac_f64_e32 v[70:71], v[50:51], v[16:17]
	v_add_f64 v[6:7], v[18:19], v[68:69]
	v_add_f64 v[4:5], v[4:5], v[8:9]
	s_waitcnt vmcnt(2) lgkmcnt(1)
	v_mul_f64 v[74:75], v[56:57], v[26:27]
	v_mul_f64 v[26:27], v[58:59], v[26:27]
	v_fmac_f64_e32 v[72:73], v[54:55], v[20:21]
	v_fma_f64 v[12:13], v[52:53], v[20:21], -v[22:23]
	v_add_f64 v[6:7], v[6:7], v[70:71]
	v_add_f64 v[4:5], v[4:5], v[10:11]
	s_waitcnt vmcnt(1) lgkmcnt(0)
	v_mul_f64 v[76:77], v[60:61], v[30:31]
	v_mul_f64 v[30:31], v[62:63], v[30:31]
	v_fmac_f64_e32 v[74:75], v[58:59], v[24:25]
	v_fma_f64 v[14:15], v[56:57], v[24:25], -v[26:27]
	v_add_f64 v[6:7], v[6:7], v[72:73]
	v_add_f64 v[4:5], v[4:5], v[12:13]
	v_fmac_f64_e32 v[76:77], v[62:63], v[28:29]
	v_fma_f64 v[16:17], v[60:61], v[28:29], -v[30:31]
	v_add_f64 v[6:7], v[6:7], v[74:75]
	v_add_f64 v[4:5], v[4:5], v[14:15]
	;; [unrolled: 1-line block ×4, first 2 shown]
	s_waitcnt vmcnt(0)
	v_add_f64 v[4:5], v[32:33], -v[4:5]
	v_add_f64 v[6:7], v[34:35], -v[6:7]
	scratch_store_dwordx4 off, v[4:7], off offset:816
	s_and_saveexec_b64 s[0:1], vcc
	s_cbranch_execz .LBB57_263
; %bb.262:
	scratch_load_dwordx4 v[6:9], off, s33
	v_mov_b32_e32 v3, v2
	v_mov_b32_e32 v4, v2
	;; [unrolled: 1-line block ×3, first 2 shown]
	v_accvgpr_read_b32 v0, a117
	scratch_store_dwordx4 off, v[2:5], off offset:800
	s_waitcnt vmcnt(1)
	ds_write_b128 v0, v[6:9]
.LBB57_263:
	s_or_b64 exec, exec, s[0:1]
	s_waitcnt lgkmcnt(0)
	; wave barrier
	scratch_load_dwordx4 v[4:7], off, off offset:816
	scratch_load_dwordx4 v[8:11], off, off offset:832
	;; [unrolled: 1-line block ×9, first 2 shown]
	ds_read_b128 v[40:43], v2 offset:1728
	ds_read_b128 v[44:47], v2 offset:1744
	;; [unrolled: 1-line block ×8, first 2 shown]
	v_cmp_lt_u32_e32 vcc, 48, v242
	s_waitcnt vmcnt(8) lgkmcnt(7)
	v_mul_f64 v[2:3], v[40:41], v[6:7]
	v_mul_f64 v[6:7], v[42:43], v[6:7]
	s_waitcnt vmcnt(7) lgkmcnt(6)
	v_mul_f64 v[72:73], v[44:45], v[10:11]
	v_mul_f64 v[10:11], v[46:47], v[10:11]
	v_fmac_f64_e32 v[2:3], v[42:43], v[4:5]
	v_fma_f64 v[4:5], v[40:41], v[4:5], -v[6:7]
	s_waitcnt vmcnt(6) lgkmcnt(5)
	v_mul_f64 v[74:75], v[48:49], v[14:15]
	v_mul_f64 v[14:15], v[50:51], v[14:15]
	v_fmac_f64_e32 v[72:73], v[46:47], v[8:9]
	v_fma_f64 v[6:7], v[44:45], v[8:9], -v[10:11]
	v_add_f64 v[2:3], v[2:3], 0
	v_add_f64 v[4:5], v[4:5], 0
	s_waitcnt vmcnt(5) lgkmcnt(4)
	v_mul_f64 v[76:77], v[52:53], v[18:19]
	v_mul_f64 v[18:19], v[54:55], v[18:19]
	v_fmac_f64_e32 v[74:75], v[50:51], v[12:13]
	v_fma_f64 v[8:9], v[48:49], v[12:13], -v[14:15]
	v_add_f64 v[2:3], v[2:3], v[72:73]
	v_add_f64 v[4:5], v[4:5], v[6:7]
	;; [unrolled: 7-line block ×6, first 2 shown]
	v_fmac_f64_e32 v[84:85], v[70:71], v[32:33]
	v_fma_f64 v[18:19], v[68:69], v[32:33], -v[34:35]
	v_add_f64 v[2:3], v[2:3], v[82:83]
	v_add_f64 v[4:5], v[4:5], v[16:17]
	;; [unrolled: 1-line block ×4, first 2 shown]
	s_waitcnt vmcnt(0)
	v_add_f64 v[2:3], v[36:37], -v[2:3]
	v_add_f64 v[4:5], v[38:39], -v[6:7]
	scratch_store_dwordx4 off, v[2:5], off offset:800
	s_and_saveexec_b64 s[0:1], vcc
	s_cbranch_execz .LBB57_265
; %bb.264:
	scratch_load_dwordx4 v[2:5], off, s31
	v_mov_b32_e32 v6, 0
	v_mov_b32_e32 v7, v6
	;; [unrolled: 1-line block ×4, first 2 shown]
	v_accvgpr_read_b32 v0, a117
	scratch_store_dwordx4 off, v[6:9], off offset:784
	s_waitcnt vmcnt(1)
	ds_write_b128 v0, v[2:5]
.LBB57_265:
	s_or_b64 exec, exec, s[0:1]
	s_waitcnt lgkmcnt(0)
	; wave barrier
	scratch_load_dwordx4 v[4:7], off, off offset:800
	scratch_load_dwordx4 v[8:11], off, off offset:816
	;; [unrolled: 1-line block ×10, first 2 shown]
	v_mov_b32_e32 v2, 0
	ds_read_b128 v[44:47], v2 offset:1712
	ds_read_b128 v[48:51], v2 offset:1728
	;; [unrolled: 1-line block ×9, first 2 shown]
	v_cmp_lt_u32_e32 vcc, 47, v242
	s_waitcnt vmcnt(9) lgkmcnt(8)
	v_mul_f64 v[80:81], v[44:45], v[6:7]
	v_mul_f64 v[6:7], v[46:47], v[6:7]
	s_waitcnt vmcnt(8) lgkmcnt(7)
	v_mul_f64 v[82:83], v[48:49], v[10:11]
	s_waitcnt vmcnt(7) lgkmcnt(6)
	;; [unrolled: 2-line block ×3, first 2 shown]
	v_mul_f64 v[88:89], v[60:61], v[22:23]
	v_mul_f64 v[10:11], v[50:51], v[10:11]
	;; [unrolled: 1-line block ×4, first 2 shown]
	v_fmac_f64_e32 v[80:81], v[46:47], v[4:5]
	v_fma_f64 v[4:5], v[44:45], v[4:5], -v[6:7]
	v_fmac_f64_e32 v[82:83], v[50:51], v[8:9]
	v_fmac_f64_e32 v[84:85], v[54:55], v[12:13]
	v_fma_f64 v[6:7], v[48:49], v[8:9], -v[10:11]
	v_fma_f64 v[8:9], v[52:53], v[12:13], -v[14:15]
	;; [unrolled: 1-line block ×3, first 2 shown]
	v_add_f64 v[22:23], v[80:81], 0
	v_add_f64 v[4:5], v[4:5], 0
	v_mul_f64 v[86:87], v[56:57], v[18:19]
	v_mul_f64 v[18:19], v[58:59], v[18:19]
	v_add_f64 v[22:23], v[22:23], v[82:83]
	v_add_f64 v[4:5], v[4:5], v[6:7]
	v_fmac_f64_e32 v[86:87], v[58:59], v[16:17]
	v_fma_f64 v[10:11], v[56:57], v[16:17], -v[18:19]
	v_add_f64 v[6:7], v[22:23], v[84:85]
	v_add_f64 v[4:5], v[4:5], v[8:9]
	s_waitcnt vmcnt(4) lgkmcnt(3)
	v_mul_f64 v[90:91], v[64:65], v[26:27]
	v_mul_f64 v[26:27], v[66:67], v[26:27]
	v_fmac_f64_e32 v[88:89], v[62:63], v[20:21]
	v_add_f64 v[6:7], v[6:7], v[86:87]
	v_add_f64 v[4:5], v[4:5], v[10:11]
	s_waitcnt vmcnt(3) lgkmcnt(2)
	v_mul_f64 v[92:93], v[68:69], v[30:31]
	v_mul_f64 v[30:31], v[70:71], v[30:31]
	v_fmac_f64_e32 v[90:91], v[66:67], v[24:25]
	v_fma_f64 v[14:15], v[64:65], v[24:25], -v[26:27]
	v_add_f64 v[6:7], v[6:7], v[88:89]
	v_add_f64 v[4:5], v[4:5], v[12:13]
	s_waitcnt vmcnt(2) lgkmcnt(1)
	v_mul_f64 v[94:95], v[72:73], v[34:35]
	v_mul_f64 v[34:35], v[74:75], v[34:35]
	v_fmac_f64_e32 v[92:93], v[70:71], v[28:29]
	v_fma_f64 v[16:17], v[68:69], v[28:29], -v[30:31]
	;; [unrolled: 7-line block ×3, first 2 shown]
	v_add_f64 v[6:7], v[6:7], v[92:93]
	v_add_f64 v[4:5], v[4:5], v[16:17]
	v_fmac_f64_e32 v[96:97], v[78:79], v[36:37]
	v_fma_f64 v[20:21], v[76:77], v[36:37], -v[38:39]
	v_add_f64 v[6:7], v[6:7], v[94:95]
	v_add_f64 v[4:5], v[4:5], v[18:19]
	;; [unrolled: 1-line block ×4, first 2 shown]
	s_waitcnt vmcnt(0)
	v_add_f64 v[4:5], v[40:41], -v[4:5]
	v_add_f64 v[6:7], v[42:43], -v[6:7]
	scratch_store_dwordx4 off, v[4:7], off offset:784
	s_and_saveexec_b64 s[0:1], vcc
	s_cbranch_execz .LBB57_267
; %bb.266:
	scratch_load_dwordx4 v[6:9], off, s30
	v_mov_b32_e32 v3, v2
	v_mov_b32_e32 v4, v2
	;; [unrolled: 1-line block ×3, first 2 shown]
	v_accvgpr_read_b32 v0, a117
	scratch_store_dwordx4 off, v[2:5], off offset:768
	s_waitcnt vmcnt(1)
	ds_write_b128 v0, v[6:9]
.LBB57_267:
	s_or_b64 exec, exec, s[0:1]
	s_waitcnt lgkmcnt(0)
	; wave barrier
	scratch_load_dwordx4 v[4:7], off, off offset:784
	scratch_load_dwordx4 v[8:11], off, off offset:800
	;; [unrolled: 1-line block ×11, first 2 shown]
	ds_read_b128 v[48:51], v2 offset:1696
	ds_read_b128 v[52:55], v2 offset:1712
	;; [unrolled: 1-line block ×10, first 2 shown]
	v_cmp_lt_u32_e32 vcc, 46, v242
	s_waitcnt vmcnt(10) lgkmcnt(9)
	v_mul_f64 v[2:3], v[48:49], v[6:7]
	v_mul_f64 v[6:7], v[50:51], v[6:7]
	s_waitcnt vmcnt(9) lgkmcnt(8)
	v_mul_f64 v[88:89], v[52:53], v[10:11]
	v_mul_f64 v[10:11], v[54:55], v[10:11]
	v_fmac_f64_e32 v[2:3], v[50:51], v[4:5]
	v_fma_f64 v[4:5], v[48:49], v[4:5], -v[6:7]
	s_waitcnt vmcnt(8) lgkmcnt(7)
	v_mul_f64 v[90:91], v[56:57], v[14:15]
	v_mul_f64 v[14:15], v[58:59], v[14:15]
	v_fmac_f64_e32 v[88:89], v[54:55], v[8:9]
	v_fma_f64 v[6:7], v[52:53], v[8:9], -v[10:11]
	v_add_f64 v[2:3], v[2:3], 0
	v_add_f64 v[4:5], v[4:5], 0
	s_waitcnt vmcnt(7) lgkmcnt(6)
	v_mul_f64 v[92:93], v[60:61], v[18:19]
	v_mul_f64 v[18:19], v[62:63], v[18:19]
	v_fmac_f64_e32 v[90:91], v[58:59], v[12:13]
	v_fma_f64 v[8:9], v[56:57], v[12:13], -v[14:15]
	v_add_f64 v[2:3], v[2:3], v[88:89]
	v_add_f64 v[4:5], v[4:5], v[6:7]
	;; [unrolled: 7-line block ×8, first 2 shown]
	v_fmac_f64_e32 v[104:105], v[86:87], v[40:41]
	v_fma_f64 v[22:23], v[84:85], v[40:41], -v[42:43]
	v_add_f64 v[2:3], v[2:3], v[102:103]
	v_add_f64 v[4:5], v[4:5], v[20:21]
	;; [unrolled: 1-line block ×4, first 2 shown]
	s_waitcnt vmcnt(0)
	v_add_f64 v[2:3], v[44:45], -v[2:3]
	v_add_f64 v[4:5], v[46:47], -v[6:7]
	scratch_store_dwordx4 off, v[2:5], off offset:768
	s_and_saveexec_b64 s[0:1], vcc
	s_cbranch_execz .LBB57_269
; %bb.268:
	scratch_load_dwordx4 v[2:5], off, s29
	v_mov_b32_e32 v6, 0
	v_mov_b32_e32 v7, v6
	;; [unrolled: 1-line block ×4, first 2 shown]
	v_accvgpr_read_b32 v0, a117
	scratch_store_dwordx4 off, v[6:9], off offset:752
	s_waitcnt vmcnt(1)
	ds_write_b128 v0, v[2:5]
.LBB57_269:
	s_or_b64 exec, exec, s[0:1]
	s_waitcnt lgkmcnt(0)
	; wave barrier
	scratch_load_dwordx4 v[4:7], off, off offset:768
	scratch_load_dwordx4 v[8:11], off, off offset:784
	;; [unrolled: 1-line block ×12, first 2 shown]
	v_mov_b32_e32 v2, 0
	ds_read_b128 v[52:55], v2 offset:1680
	ds_read_b128 v[56:59], v2 offset:1696
	;; [unrolled: 1-line block ×11, first 2 shown]
	v_cmp_lt_u32_e32 vcc, 45, v242
	s_waitcnt vmcnt(11) lgkmcnt(10)
	v_mul_f64 v[96:97], v[52:53], v[6:7]
	v_mul_f64 v[6:7], v[54:55], v[6:7]
	s_waitcnt vmcnt(10) lgkmcnt(9)
	v_mul_f64 v[98:99], v[56:57], v[10:11]
	s_waitcnt vmcnt(9) lgkmcnt(8)
	v_mul_f64 v[100:101], v[60:61], v[14:15]
	v_mul_f64 v[10:11], v[58:59], v[10:11]
	s_waitcnt vmcnt(6) lgkmcnt(5)
	v_mul_f64 v[106:107], v[72:73], v[26:27]
	v_mul_f64 v[14:15], v[62:63], v[14:15]
	;; [unrolled: 1-line block ×3, first 2 shown]
	v_fmac_f64_e32 v[96:97], v[54:55], v[4:5]
	v_fma_f64 v[4:5], v[52:53], v[4:5], -v[6:7]
	v_fmac_f64_e32 v[98:99], v[58:59], v[8:9]
	v_fma_f64 v[6:7], v[56:57], v[8:9], -v[10:11]
	v_fma_f64 v[8:9], v[60:61], v[12:13], -v[14:15]
	;; [unrolled: 1-line block ×3, first 2 shown]
	v_add_f64 v[26:27], v[96:97], 0
	v_add_f64 v[4:5], v[4:5], 0
	v_mul_f64 v[102:103], v[64:65], v[18:19]
	v_mul_f64 v[18:19], v[66:67], v[18:19]
	v_fmac_f64_e32 v[100:101], v[62:63], v[12:13]
	v_add_f64 v[26:27], v[26:27], v[98:99]
	v_add_f64 v[4:5], v[4:5], v[6:7]
	v_mul_f64 v[104:105], v[68:69], v[22:23]
	v_mul_f64 v[22:23], v[70:71], v[22:23]
	v_fmac_f64_e32 v[102:103], v[66:67], v[16:17]
	v_fma_f64 v[10:11], v[64:65], v[16:17], -v[18:19]
	v_add_f64 v[6:7], v[26:27], v[100:101]
	v_add_f64 v[4:5], v[4:5], v[8:9]
	v_fmac_f64_e32 v[104:105], v[70:71], v[20:21]
	v_fma_f64 v[12:13], v[68:69], v[20:21], -v[22:23]
	v_add_f64 v[6:7], v[6:7], v[102:103]
	v_add_f64 v[4:5], v[4:5], v[10:11]
	s_waitcnt vmcnt(5) lgkmcnt(4)
	v_mul_f64 v[108:109], v[76:77], v[30:31]
	v_mul_f64 v[30:31], v[78:79], v[30:31]
	v_fmac_f64_e32 v[106:107], v[74:75], v[24:25]
	v_add_f64 v[6:7], v[6:7], v[104:105]
	v_add_f64 v[4:5], v[4:5], v[12:13]
	s_waitcnt vmcnt(4) lgkmcnt(3)
	v_mul_f64 v[110:111], v[80:81], v[34:35]
	v_mul_f64 v[34:35], v[82:83], v[34:35]
	v_fmac_f64_e32 v[108:109], v[78:79], v[28:29]
	v_fma_f64 v[16:17], v[76:77], v[28:29], -v[30:31]
	v_add_f64 v[6:7], v[6:7], v[106:107]
	v_add_f64 v[4:5], v[4:5], v[14:15]
	s_waitcnt vmcnt(3) lgkmcnt(2)
	v_mul_f64 v[112:113], v[84:85], v[38:39]
	v_mul_f64 v[38:39], v[86:87], v[38:39]
	v_fmac_f64_e32 v[110:111], v[82:83], v[32:33]
	v_fma_f64 v[18:19], v[80:81], v[32:33], -v[34:35]
	;; [unrolled: 7-line block ×4, first 2 shown]
	v_add_f64 v[6:7], v[6:7], v[112:113]
	v_add_f64 v[4:5], v[4:5], v[20:21]
	v_fmac_f64_e32 v[116:117], v[94:95], v[44:45]
	v_fma_f64 v[24:25], v[92:93], v[44:45], -v[46:47]
	v_add_f64 v[6:7], v[6:7], v[114:115]
	v_add_f64 v[4:5], v[4:5], v[22:23]
	;; [unrolled: 1-line block ×4, first 2 shown]
	s_waitcnt vmcnt(0)
	v_add_f64 v[4:5], v[48:49], -v[4:5]
	v_add_f64 v[6:7], v[50:51], -v[6:7]
	scratch_store_dwordx4 off, v[4:7], off offset:752
	s_and_saveexec_b64 s[0:1], vcc
	s_cbranch_execz .LBB57_271
; %bb.270:
	scratch_load_dwordx4 v[6:9], off, s27
	v_mov_b32_e32 v3, v2
	v_mov_b32_e32 v4, v2
	;; [unrolled: 1-line block ×3, first 2 shown]
	v_accvgpr_read_b32 v0, a117
	scratch_store_dwordx4 off, v[2:5], off offset:736
	s_waitcnt vmcnt(1)
	ds_write_b128 v0, v[6:9]
.LBB57_271:
	s_or_b64 exec, exec, s[0:1]
	s_waitcnt lgkmcnt(0)
	; wave barrier
	scratch_load_dwordx4 v[4:7], off, off offset:752
	scratch_load_dwordx4 v[8:11], off, off offset:768
	;; [unrolled: 1-line block ×12, first 2 shown]
	ds_read_b128 v[52:55], v2 offset:1664
	ds_read_b128 v[56:59], v2 offset:1680
	;; [unrolled: 1-line block ×4, first 2 shown]
	scratch_load_dwordx4 v[68:71], off, off offset:736
	ds_read_b128 v[72:75], v2 offset:1728
	ds_read_b128 v[76:79], v2 offset:1744
	;; [unrolled: 1-line block ×8, first 2 shown]
	v_cmp_lt_u32_e32 vcc, 44, v242
	s_waitcnt vmcnt(12) lgkmcnt(11)
	v_mul_f64 v[2:3], v[52:53], v[6:7]
	s_waitcnt vmcnt(11) lgkmcnt(10)
	v_mul_f64 v[104:105], v[56:57], v[10:11]
	v_fmac_f64_e32 v[2:3], v[54:55], v[4:5]
	s_waitcnt vmcnt(10) lgkmcnt(9)
	v_mul_f64 v[106:107], v[60:61], v[14:15]
	v_mul_f64 v[6:7], v[54:55], v[6:7]
	v_fmac_f64_e32 v[104:105], v[58:59], v[8:9]
	v_add_f64 v[2:3], v[2:3], 0
	s_waitcnt vmcnt(9) lgkmcnt(8)
	v_mul_f64 v[108:109], v[64:65], v[18:19]
	v_mul_f64 v[10:11], v[58:59], v[10:11]
	v_fmac_f64_e32 v[106:107], v[62:63], v[12:13]
	v_fma_f64 v[4:5], v[52:53], v[4:5], -v[6:7]
	v_add_f64 v[2:3], v[2:3], v[104:105]
	s_waitcnt vmcnt(8) lgkmcnt(7)
	v_mul_f64 v[110:111], v[72:73], v[22:23]
	v_mul_f64 v[14:15], v[62:63], v[14:15]
	v_fmac_f64_e32 v[108:109], v[66:67], v[16:17]
	v_fma_f64 v[6:7], v[56:57], v[8:9], -v[10:11]
	v_add_f64 v[4:5], v[4:5], 0
	v_add_f64 v[2:3], v[2:3], v[106:107]
	s_waitcnt vmcnt(7) lgkmcnt(6)
	v_mul_f64 v[112:113], v[76:77], v[26:27]
	v_mul_f64 v[18:19], v[66:67], v[18:19]
	v_fmac_f64_e32 v[110:111], v[74:75], v[20:21]
	v_fma_f64 v[8:9], v[60:61], v[12:13], -v[14:15]
	v_add_f64 v[4:5], v[4:5], v[6:7]
	;; [unrolled: 7-line block ×8, first 2 shown]
	v_add_f64 v[2:3], v[2:3], v[120:121]
	v_mul_f64 v[46:47], v[98:99], v[46:47]
	v_fmac_f64_e32 v[124:125], v[102:103], v[48:49]
	v_fma_f64 v[22:23], v[92:93], v[40:41], -v[42:43]
	v_add_f64 v[4:5], v[4:5], v[20:21]
	v_add_f64 v[2:3], v[2:3], v[122:123]
	;; [unrolled: 1-line block ×4, first 2 shown]
	v_fma_f64 v[2:3], v[96:97], v[44:45], -v[46:47]
	v_add_f64 v[2:3], v[4:5], v[2:3]
	v_mul_f64 v[4:5], v[102:103], v[50:51]
	v_fma_f64 v[4:5], v[100:101], v[48:49], -v[4:5]
	v_add_f64 v[2:3], v[2:3], v[4:5]
	s_waitcnt vmcnt(0)
	v_add_f64 v[2:3], v[68:69], -v[2:3]
	v_add_f64 v[4:5], v[70:71], -v[6:7]
	scratch_store_dwordx4 off, v[2:5], off offset:736
	s_and_saveexec_b64 s[0:1], vcc
	s_cbranch_execz .LBB57_273
; %bb.272:
	scratch_load_dwordx4 v[2:5], off, s28
	v_mov_b32_e32 v6, 0
	v_mov_b32_e32 v7, v6
	;; [unrolled: 1-line block ×4, first 2 shown]
	v_accvgpr_read_b32 v0, a117
	scratch_store_dwordx4 off, v[6:9], off offset:720
	s_waitcnt vmcnt(1)
	ds_write_b128 v0, v[2:5]
.LBB57_273:
	s_or_b64 exec, exec, s[0:1]
	s_waitcnt lgkmcnt(0)
	; wave barrier
	scratch_load_dwordx4 v[4:7], off, off offset:736
	scratch_load_dwordx4 v[8:11], off, off offset:752
	;; [unrolled: 1-line block ×14, first 2 shown]
	v_mov_b32_e32 v2, 0
	ds_read_b128 v[60:63], v2 offset:1648
	ds_read_b128 v[64:67], v2 offset:1664
	;; [unrolled: 1-line block ×13, first 2 shown]
	v_cmp_lt_u32_e32 vcc, 43, v242
	s_waitcnt vmcnt(13) lgkmcnt(12)
	v_mul_f64 v[112:113], v[60:61], v[6:7]
	v_mul_f64 v[6:7], v[62:63], v[6:7]
	s_waitcnt vmcnt(12) lgkmcnt(11)
	v_mul_f64 v[114:115], v[64:65], v[10:11]
	v_mul_f64 v[10:11], v[66:67], v[10:11]
	v_fmac_f64_e32 v[112:113], v[62:63], v[4:5]
	v_fma_f64 v[4:5], v[60:61], v[4:5], -v[6:7]
	s_waitcnt vmcnt(11) lgkmcnt(10)
	v_mul_f64 v[116:117], v[68:69], v[14:15]
	v_mul_f64 v[14:15], v[70:71], v[14:15]
	v_fma_f64 v[6:7], v[64:65], v[8:9], -v[10:11]
	v_add_f64 v[4:5], v[4:5], 0
	s_waitcnt vmcnt(10) lgkmcnt(9)
	v_mul_f64 v[118:119], v[72:73], v[18:19]
	v_mul_f64 v[18:19], v[74:75], v[18:19]
	v_fmac_f64_e32 v[114:115], v[66:67], v[8:9]
	v_fma_f64 v[8:9], v[68:69], v[12:13], -v[14:15]
	v_add_f64 v[4:5], v[4:5], v[6:7]
	s_waitcnt vmcnt(9) lgkmcnt(8)
	v_mul_f64 v[120:121], v[76:77], v[22:23]
	v_mul_f64 v[22:23], v[78:79], v[22:23]
	v_fma_f64 v[10:11], v[72:73], v[16:17], -v[18:19]
	v_add_f64 v[4:5], v[4:5], v[8:9]
	s_waitcnt vmcnt(8) lgkmcnt(7)
	v_mul_f64 v[122:123], v[80:81], v[26:27]
	v_mul_f64 v[26:27], v[82:83], v[26:27]
	v_fmac_f64_e32 v[116:117], v[70:71], v[12:13]
	v_fma_f64 v[12:13], v[76:77], v[20:21], -v[22:23]
	v_add_f64 v[22:23], v[112:113], 0
	v_add_f64 v[4:5], v[4:5], v[10:11]
	s_waitcnt vmcnt(7) lgkmcnt(6)
	v_mul_f64 v[124:125], v[84:85], v[30:31]
	v_mul_f64 v[30:31], v[86:87], v[30:31]
	v_fma_f64 v[14:15], v[80:81], v[24:25], -v[26:27]
	v_add_f64 v[22:23], v[22:23], v[114:115]
	v_add_f64 v[4:5], v[4:5], v[12:13]
	s_waitcnt vmcnt(6) lgkmcnt(5)
	v_mul_f64 v[126:127], v[88:89], v[34:35]
	v_mul_f64 v[34:35], v[90:91], v[34:35]
	v_fmac_f64_e32 v[118:119], v[74:75], v[16:17]
	v_fma_f64 v[16:17], v[84:85], v[28:29], -v[30:31]
	v_add_f64 v[6:7], v[22:23], v[116:117]
	v_add_f64 v[4:5], v[4:5], v[14:15]
	s_waitcnt vmcnt(5) lgkmcnt(4)
	v_mul_f64 v[128:129], v[92:93], v[38:39]
	v_mul_f64 v[38:39], v[94:95], v[38:39]
	v_fmac_f64_e32 v[120:121], v[78:79], v[20:21]
	v_fma_f64 v[18:19], v[88:89], v[32:33], -v[34:35]
	v_add_f64 v[6:7], v[6:7], v[118:119]
	v_add_f64 v[4:5], v[4:5], v[16:17]
	v_fmac_f64_e32 v[122:123], v[82:83], v[24:25]
	v_fma_f64 v[20:21], v[92:93], v[36:37], -v[38:39]
	v_add_f64 v[6:7], v[6:7], v[120:121]
	v_add_f64 v[4:5], v[4:5], v[18:19]
	s_waitcnt vmcnt(4) lgkmcnt(3)
	v_mul_f64 v[8:9], v[98:99], v[42:43]
	v_fmac_f64_e32 v[124:125], v[86:87], v[28:29]
	v_add_f64 v[6:7], v[6:7], v[122:123]
	v_add_f64 v[4:5], v[4:5], v[20:21]
	v_fma_f64 v[8:9], v[96:97], v[40:41], -v[8:9]
	v_fmac_f64_e32 v[126:127], v[90:91], v[32:33]
	v_add_f64 v[6:7], v[6:7], v[124:125]
	v_add_f64 v[4:5], v[4:5], v[8:9]
	s_waitcnt vmcnt(3) lgkmcnt(2)
	v_mul_f64 v[8:9], v[102:103], v[46:47]
	v_mul_f64 v[130:131], v[96:97], v[42:43]
	v_fmac_f64_e32 v[128:129], v[94:95], v[36:37]
	v_add_f64 v[6:7], v[6:7], v[126:127]
	v_fma_f64 v[8:9], v[100:101], v[44:45], -v[8:9]
	v_mul_f64 v[132:133], v[100:101], v[46:47]
	v_fmac_f64_e32 v[130:131], v[98:99], v[40:41]
	v_add_f64 v[6:7], v[6:7], v[128:129]
	v_add_f64 v[4:5], v[4:5], v[8:9]
	s_waitcnt vmcnt(2) lgkmcnt(1)
	v_mul_f64 v[8:9], v[106:107], v[50:51]
	v_mul_f64 v[134:135], v[104:105], v[50:51]
	v_fmac_f64_e32 v[132:133], v[102:103], v[44:45]
	v_add_f64 v[6:7], v[6:7], v[130:131]
	v_fma_f64 v[8:9], v[104:105], v[48:49], -v[8:9]
	s_waitcnt vmcnt(1) lgkmcnt(0)
	v_mul_f64 v[136:137], v[108:109], v[54:55]
	v_fmac_f64_e32 v[134:135], v[106:107], v[48:49]
	v_add_f64 v[6:7], v[6:7], v[132:133]
	v_add_f64 v[4:5], v[4:5], v[8:9]
	v_mul_f64 v[8:9], v[110:111], v[54:55]
	v_fmac_f64_e32 v[136:137], v[110:111], v[52:53]
	v_add_f64 v[6:7], v[6:7], v[134:135]
	v_fma_f64 v[8:9], v[108:109], v[52:53], -v[8:9]
	v_add_f64 v[6:7], v[6:7], v[136:137]
	v_add_f64 v[4:5], v[4:5], v[8:9]
	s_waitcnt vmcnt(0)
	v_add_f64 v[4:5], v[56:57], -v[4:5]
	v_add_f64 v[6:7], v[58:59], -v[6:7]
	scratch_store_dwordx4 off, v[4:7], off offset:720
	s_and_saveexec_b64 s[0:1], vcc
	s_cbranch_execz .LBB57_275
; %bb.274:
	scratch_load_dwordx4 v[6:9], off, s26
	v_mov_b32_e32 v3, v2
	v_mov_b32_e32 v4, v2
	;; [unrolled: 1-line block ×3, first 2 shown]
	v_accvgpr_read_b32 v0, a117
	scratch_store_dwordx4 off, v[2:5], off offset:704
	s_waitcnt vmcnt(1)
	ds_write_b128 v0, v[6:9]
.LBB57_275:
	s_or_b64 exec, exec, s[0:1]
	s_waitcnt lgkmcnt(0)
	; wave barrier
	ds_read_b128 v[16:19], v2 offset:1632
	ds_read_b128 v[12:15], v2 offset:1648
	;; [unrolled: 1-line block ×4, first 2 shown]
	scratch_load_dwordx4 v[20:23], off, off offset:720
	scratch_load_dwordx4 v[42:45], off, off offset:784
	;; [unrolled: 1-line block ×8, first 2 shown]
	v_cmp_lt_u32_e32 vcc, 42, v242
	scratch_load_dwordx4 v[50:53], off, off offset:800
	scratch_load_dwordx4 v[58:61], off, off offset:816
	;; [unrolled: 1-line block ×3, first 2 shown]
	s_waitcnt vmcnt(10) lgkmcnt(3)
	v_mul_f64 v[24:25], v[16:17], v[22:23]
	v_fmac_f64_e32 v[24:25], v[18:19], v[20:21]
	v_add_f64 v[28:29], v[24:25], 0
	scratch_load_dwordx4 v[24:27], off, off offset:736
	s_waitcnt vmcnt(0) lgkmcnt(2)
	v_mul_f64 v[30:31], v[12:13], v[26:27]
	v_fmac_f64_e32 v[30:31], v[14:15], v[24:25]
	v_add_f64 v[32:33], v[28:29], v[30:31]
	scratch_load_dwordx4 v[28:31], off, off offset:752
	v_mul_f64 v[14:15], v[14:15], v[26:27]
	v_fma_f64 v[12:13], v[12:13], v[24:25], -v[14:15]
	s_waitcnt vmcnt(0) lgkmcnt(1)
	v_mul_f64 v[34:35], v[8:9], v[30:31]
	v_fmac_f64_e32 v[34:35], v[10:11], v[28:29]
	v_add_f64 v[36:37], v[32:33], v[34:35]
	scratch_load_dwordx4 v[32:35], off, off offset:768
	v_mul_f64 v[10:11], v[10:11], v[30:31]
	v_fma_f64 v[8:9], v[8:9], v[28:29], -v[10:11]
	s_waitcnt vmcnt(0) lgkmcnt(0)
	v_mul_f64 v[38:39], v[4:5], v[34:35]
	v_fmac_f64_e32 v[38:39], v[6:7], v[32:33]
	v_add_f64 v[40:41], v[36:37], v[38:39]
	ds_read_b128 v[36:39], v2 offset:1696
	v_mul_f64 v[6:7], v[6:7], v[34:35]
	v_fma_f64 v[4:5], v[4:5], v[32:33], -v[6:7]
	s_waitcnt lgkmcnt(0)
	v_mul_f64 v[46:47], v[36:37], v[44:45]
	v_fmac_f64_e32 v[46:47], v[38:39], v[42:43]
	v_add_f64 v[40:41], v[40:41], v[46:47]
	ds_read_b128 v[46:49], v2 offset:1712
	s_waitcnt lgkmcnt(0)
	v_mul_f64 v[54:55], v[46:47], v[52:53]
	v_fmac_f64_e32 v[54:55], v[48:49], v[50:51]
	v_add_f64 v[40:41], v[40:41], v[54:55]
	ds_read_b128 v[54:57], v2 offset:1728
	;; [unrolled: 5-line block ×9, first 2 shown]
	s_waitcnt lgkmcnt(0)
	v_mul_f64 v[2:3], v[110:111], v[116:117]
	v_fmac_f64_e32 v[2:3], v[112:113], v[114:115]
	v_add_f64 v[40:41], v[40:41], v[2:3]
	v_mul_f64 v[2:3], v[18:19], v[22:23]
	v_fma_f64 v[2:3], v[16:17], v[20:21], -v[2:3]
	v_add_f64 v[2:3], v[2:3], 0
	v_add_f64 v[2:3], v[2:3], v[12:13]
	;; [unrolled: 1-line block ×4, first 2 shown]
	v_mul_f64 v[4:5], v[38:39], v[44:45]
	v_fma_f64 v[4:5], v[36:37], v[42:43], -v[4:5]
	v_add_f64 v[2:3], v[2:3], v[4:5]
	v_mul_f64 v[4:5], v[48:49], v[52:53]
	v_fma_f64 v[4:5], v[46:47], v[50:51], -v[4:5]
	v_add_f64 v[2:3], v[2:3], v[4:5]
	;; [unrolled: 3-line block ×10, first 2 shown]
	scratch_load_dwordx4 v[2:5], off, off offset:704
	s_waitcnt vmcnt(0)
	v_add_f64 v[2:3], v[2:3], -v[6:7]
	v_add_f64 v[4:5], v[4:5], -v[40:41]
	scratch_store_dwordx4 off, v[2:5], off offset:704
	s_and_saveexec_b64 s[0:1], vcc
	s_cbranch_execz .LBB57_277
; %bb.276:
	scratch_load_dwordx4 v[2:5], off, s25
	v_mov_b32_e32 v6, 0
	v_mov_b32_e32 v7, v6
	;; [unrolled: 1-line block ×4, first 2 shown]
	v_accvgpr_read_b32 v0, a117
	scratch_store_dwordx4 off, v[6:9], off offset:688
	s_waitcnt vmcnt(1)
	ds_write_b128 v0, v[2:5]
.LBB57_277:
	s_or_b64 exec, exec, s[0:1]
	v_mov_b32_e32 v2, 0
	s_waitcnt lgkmcnt(0)
	; wave barrier
	ds_read_b128 v[16:19], v2 offset:1616
	ds_read_b128 v[12:15], v2 offset:1632
	ds_read_b128 v[8:11], v2 offset:1648
	ds_read_b128 v[4:7], v2 offset:1664
	scratch_load_dwordx4 v[20:23], off, off offset:704
	scratch_load_dwordx4 v[40:43], off, off offset:768
	scratch_load_dwordx4 v[74:77], off, off offset:832
	scratch_load_dwordx4 v[82:85], off, off offset:848
	scratch_load_dwordx4 v[90:93], off, off offset:864
	scratch_load_dwordx4 v[98:101], off, off offset:880
	scratch_load_dwordx4 v[106:109], off, off offset:896
	scratch_load_dwordx4 v[114:117], off, off offset:912
	scratch_load_dwordx4 v[122:125], off, off offset:928
	v_cmp_lt_u32_e32 vcc, 41, v242
	scratch_load_dwordx4 v[50:53], off, off offset:784
	scratch_load_dwordx4 v[58:61], off, off offset:800
	;; [unrolled: 1-line block ×3, first 2 shown]
	s_waitcnt vmcnt(11) lgkmcnt(3)
	v_mul_f64 v[24:25], v[16:17], v[22:23]
	v_fmac_f64_e32 v[24:25], v[18:19], v[20:21]
	v_add_f64 v[28:29], v[24:25], 0
	scratch_load_dwordx4 v[24:27], off, off offset:720
	v_mul_f64 v[18:19], v[18:19], v[22:23]
	v_fma_f64 v[16:17], v[16:17], v[20:21], -v[18:19]
	v_add_f64 v[16:17], v[16:17], 0
	s_waitcnt vmcnt(0) lgkmcnt(2)
	v_mul_f64 v[30:31], v[12:13], v[26:27]
	v_fmac_f64_e32 v[30:31], v[14:15], v[24:25]
	v_add_f64 v[32:33], v[28:29], v[30:31]
	scratch_load_dwordx4 v[28:31], off, off offset:736
	v_mul_f64 v[14:15], v[14:15], v[26:27]
	v_fma_f64 v[12:13], v[12:13], v[24:25], -v[14:15]
	v_add_f64 v[12:13], v[16:17], v[12:13]
	;; [unrolled: 8-line block ×3, first 2 shown]
	s_waitcnt vmcnt(0) lgkmcnt(0)
	v_mul_f64 v[38:39], v[4:5], v[34:35]
	v_fmac_f64_e32 v[38:39], v[6:7], v[32:33]
	v_add_f64 v[44:45], v[36:37], v[38:39]
	ds_read_b128 v[36:39], v2 offset:1680
	v_mul_f64 v[6:7], v[6:7], v[34:35]
	v_fma_f64 v[4:5], v[4:5], v[32:33], -v[6:7]
	v_add_f64 v[4:5], v[8:9], v[4:5]
	s_waitcnt lgkmcnt(0)
	v_mul_f64 v[46:47], v[36:37], v[42:43]
	v_fmac_f64_e32 v[46:47], v[38:39], v[40:41]
	v_add_f64 v[48:49], v[44:45], v[46:47]
	ds_read_b128 v[44:47], v2 offset:1696
	v_mul_f64 v[6:7], v[38:39], v[42:43]
	v_fma_f64 v[6:7], v[36:37], v[40:41], -v[6:7]
	v_add_f64 v[4:5], v[4:5], v[6:7]
	s_waitcnt lgkmcnt(0)
	;; [unrolled: 8-line block ×11, first 2 shown]
	v_mul_f64 v[6:7], v[120:121], v[124:125]
	v_fma_f64 v[6:7], v[118:119], v[122:123], -v[6:7]
	v_add_f64 v[8:9], v[4:5], v[6:7]
	scratch_load_dwordx4 v[4:7], off, off offset:688
	v_mul_f64 v[126:127], v[118:119], v[124:125]
	v_fmac_f64_e32 v[126:127], v[120:121], v[122:123]
	v_add_f64 v[48:49], v[48:49], v[126:127]
	s_waitcnt vmcnt(0)
	v_add_f64 v[4:5], v[4:5], -v[8:9]
	v_add_f64 v[6:7], v[6:7], -v[48:49]
	scratch_store_dwordx4 off, v[4:7], off offset:688
	s_and_saveexec_b64 s[0:1], vcc
	s_cbranch_execz .LBB57_279
; %bb.278:
	scratch_load_dwordx4 v[6:9], off, s24
	v_mov_b32_e32 v3, v2
	v_mov_b32_e32 v4, v2
	;; [unrolled: 1-line block ×3, first 2 shown]
	v_accvgpr_read_b32 v0, a117
	scratch_store_dwordx4 off, v[2:5], off offset:672
	s_waitcnt vmcnt(1)
	ds_write_b128 v0, v[6:9]
.LBB57_279:
	s_or_b64 exec, exec, s[0:1]
	s_waitcnt lgkmcnt(0)
	; wave barrier
	ds_read_b128 v[16:19], v2 offset:1600
	ds_read_b128 v[12:15], v2 offset:1616
	ds_read_b128 v[8:11], v2 offset:1632
	ds_read_b128 v[4:7], v2 offset:1648
	scratch_load_dwordx4 v[20:23], off, off offset:688
	scratch_load_dwordx4 v[40:43], off, off offset:752
	;; [unrolled: 1-line block ×10, first 2 shown]
	v_cmp_lt_u32_e32 vcc, 40, v242
	scratch_load_dwordx4 v[48:51], off, off offset:768
	scratch_load_dwordx4 v[56:59], off, off offset:784
	;; [unrolled: 1-line block ×3, first 2 shown]
	s_waitcnt vmcnt(12) lgkmcnt(3)
	v_mul_f64 v[24:25], v[16:17], v[22:23]
	v_fmac_f64_e32 v[24:25], v[18:19], v[20:21]
	v_add_f64 v[28:29], v[24:25], 0
	scratch_load_dwordx4 v[24:27], off, off offset:704
	s_waitcnt vmcnt(0) lgkmcnt(2)
	v_mul_f64 v[30:31], v[12:13], v[26:27]
	v_fmac_f64_e32 v[30:31], v[14:15], v[24:25]
	v_add_f64 v[32:33], v[28:29], v[30:31]
	scratch_load_dwordx4 v[28:31], off, off offset:720
	v_mul_f64 v[14:15], v[14:15], v[26:27]
	v_fma_f64 v[12:13], v[12:13], v[24:25], -v[14:15]
	s_waitcnt vmcnt(0) lgkmcnt(1)
	v_mul_f64 v[34:35], v[8:9], v[30:31]
	v_fmac_f64_e32 v[34:35], v[10:11], v[28:29]
	v_add_f64 v[36:37], v[32:33], v[34:35]
	scratch_load_dwordx4 v[32:35], off, off offset:736
	v_mul_f64 v[10:11], v[10:11], v[30:31]
	v_fma_f64 v[8:9], v[8:9], v[28:29], -v[10:11]
	s_waitcnt vmcnt(0) lgkmcnt(0)
	v_mul_f64 v[38:39], v[4:5], v[34:35]
	v_fmac_f64_e32 v[38:39], v[6:7], v[32:33]
	v_add_f64 v[44:45], v[36:37], v[38:39]
	ds_read_b128 v[36:39], v2 offset:1664
	v_mul_f64 v[6:7], v[6:7], v[34:35]
	v_fma_f64 v[4:5], v[4:5], v[32:33], -v[6:7]
	s_waitcnt lgkmcnt(0)
	v_mul_f64 v[46:47], v[36:37], v[42:43]
	v_fmac_f64_e32 v[46:47], v[38:39], v[40:41]
	v_add_f64 v[52:53], v[44:45], v[46:47]
	ds_read_b128 v[44:47], v2 offset:1680
	s_waitcnt lgkmcnt(0)
	v_mul_f64 v[54:55], v[44:45], v[50:51]
	v_fmac_f64_e32 v[54:55], v[46:47], v[48:49]
	v_add_f64 v[60:61], v[52:53], v[54:55]
	ds_read_b128 v[52:55], v2 offset:1696
	s_waitcnt lgkmcnt(0)
	v_mul_f64 v[62:63], v[52:53], v[58:59]
	v_fmac_f64_e32 v[62:63], v[54:55], v[56:57]
	v_add_f64 v[64:65], v[60:61], v[62:63]
	ds_read_b128 v[60:63], v2 offset:1712
	s_waitcnt lgkmcnt(0)
	v_mul_f64 v[70:71], v[60:61], v[68:69]
	v_fmac_f64_e32 v[70:71], v[62:63], v[66:67]
	v_add_f64 v[64:65], v[64:65], v[70:71]
	ds_read_b128 v[70:73], v2 offset:1728
	s_waitcnt lgkmcnt(0)
	v_mul_f64 v[78:79], v[70:71], v[76:77]
	v_fmac_f64_e32 v[78:79], v[72:73], v[74:75]
	v_add_f64 v[64:65], v[64:65], v[78:79]
	ds_read_b128 v[78:81], v2 offset:1744
	s_waitcnt lgkmcnt(0)
	v_mul_f64 v[86:87], v[78:79], v[84:85]
	v_fmac_f64_e32 v[86:87], v[80:81], v[82:83]
	v_add_f64 v[64:65], v[64:65], v[86:87]
	ds_read_b128 v[86:89], v2 offset:1760
	s_waitcnt lgkmcnt(0)
	v_mul_f64 v[94:95], v[86:87], v[92:93]
	v_fmac_f64_e32 v[94:95], v[88:89], v[90:91]
	v_add_f64 v[64:65], v[64:65], v[94:95]
	ds_read_b128 v[94:97], v2 offset:1776
	s_waitcnt lgkmcnt(0)
	v_mul_f64 v[102:103], v[94:95], v[100:101]
	v_fmac_f64_e32 v[102:103], v[96:97], v[98:99]
	v_add_f64 v[64:65], v[64:65], v[102:103]
	ds_read_b128 v[102:105], v2 offset:1792
	s_waitcnt lgkmcnt(0)
	v_mul_f64 v[110:111], v[102:103], v[108:109]
	v_fmac_f64_e32 v[110:111], v[104:105], v[106:107]
	v_add_f64 v[64:65], v[64:65], v[110:111]
	ds_read_b128 v[110:113], v2 offset:1808
	s_waitcnt lgkmcnt(0)
	v_mul_f64 v[118:119], v[110:111], v[116:117]
	v_fmac_f64_e32 v[118:119], v[112:113], v[114:115]
	v_add_f64 v[64:65], v[64:65], v[118:119]
	ds_read_b128 v[118:121], v2 offset:1824
	s_waitcnt lgkmcnt(0)
	v_mul_f64 v[126:127], v[118:119], v[124:125]
	v_fmac_f64_e32 v[126:127], v[120:121], v[122:123]
	v_add_f64 v[64:65], v[64:65], v[126:127]
	ds_read_b128 v[126:129], v2 offset:1840
	s_waitcnt lgkmcnt(0)
	v_mul_f64 v[2:3], v[126:127], v[132:133]
	v_fmac_f64_e32 v[2:3], v[128:129], v[130:131]
	v_add_f64 v[64:65], v[64:65], v[2:3]
	v_mul_f64 v[2:3], v[18:19], v[22:23]
	v_fma_f64 v[2:3], v[16:17], v[20:21], -v[2:3]
	v_add_f64 v[2:3], v[2:3], 0
	v_add_f64 v[2:3], v[2:3], v[12:13]
	;; [unrolled: 1-line block ×4, first 2 shown]
	v_mul_f64 v[4:5], v[38:39], v[42:43]
	v_fma_f64 v[4:5], v[36:37], v[40:41], -v[4:5]
	v_add_f64 v[2:3], v[2:3], v[4:5]
	v_mul_f64 v[4:5], v[46:47], v[50:51]
	v_fma_f64 v[4:5], v[44:45], v[48:49], -v[4:5]
	v_add_f64 v[2:3], v[2:3], v[4:5]
	;; [unrolled: 3-line block ×12, first 2 shown]
	scratch_load_dwordx4 v[2:5], off, off offset:672
	s_waitcnt vmcnt(0)
	v_add_f64 v[2:3], v[2:3], -v[6:7]
	v_add_f64 v[4:5], v[4:5], -v[64:65]
	scratch_store_dwordx4 off, v[2:5], off offset:672
	s_and_saveexec_b64 s[0:1], vcc
	s_cbranch_execz .LBB57_281
; %bb.280:
	scratch_load_dwordx4 v[2:5], off, s23
	v_mov_b32_e32 v6, 0
	v_mov_b32_e32 v7, v6
	;; [unrolled: 1-line block ×4, first 2 shown]
	v_accvgpr_read_b32 v0, a117
	scratch_store_dwordx4 off, v[6:9], off offset:656
	s_waitcnt vmcnt(1)
	ds_write_b128 v0, v[2:5]
.LBB57_281:
	s_or_b64 exec, exec, s[0:1]
	v_mov_b32_e32 v2, 0
	s_waitcnt lgkmcnt(0)
	; wave barrier
	ds_read_b128 v[16:19], v2 offset:1584
	ds_read_b128 v[12:15], v2 offset:1600
	;; [unrolled: 1-line block ×4, first 2 shown]
	scratch_load_dwordx4 v[20:23], off, off offset:672
	scratch_load_dwordx4 v[40:43], off, off offset:736
	;; [unrolled: 1-line block ×11, first 2 shown]
	v_cmp_lt_u32_e32 vcc, 39, v242
	scratch_load_dwordx4 v[48:51], off, off offset:752
	scratch_load_dwordx4 v[56:59], off, off offset:768
	;; [unrolled: 1-line block ×3, first 2 shown]
	s_waitcnt vmcnt(13) lgkmcnt(3)
	v_mul_f64 v[24:25], v[16:17], v[22:23]
	v_fmac_f64_e32 v[24:25], v[18:19], v[20:21]
	v_add_f64 v[28:29], v[24:25], 0
	scratch_load_dwordx4 v[24:27], off, off offset:688
	v_mul_f64 v[18:19], v[18:19], v[22:23]
	v_fma_f64 v[16:17], v[16:17], v[20:21], -v[18:19]
	v_add_f64 v[16:17], v[16:17], 0
	s_waitcnt vmcnt(0) lgkmcnt(2)
	v_mul_f64 v[30:31], v[12:13], v[26:27]
	v_fmac_f64_e32 v[30:31], v[14:15], v[24:25]
	v_add_f64 v[32:33], v[28:29], v[30:31]
	scratch_load_dwordx4 v[28:31], off, off offset:704
	v_mul_f64 v[14:15], v[14:15], v[26:27]
	v_fma_f64 v[12:13], v[12:13], v[24:25], -v[14:15]
	v_add_f64 v[12:13], v[16:17], v[12:13]
	s_waitcnt vmcnt(0) lgkmcnt(1)
	v_mul_f64 v[34:35], v[8:9], v[30:31]
	v_fmac_f64_e32 v[34:35], v[10:11], v[28:29]
	v_add_f64 v[36:37], v[32:33], v[34:35]
	scratch_load_dwordx4 v[32:35], off, off offset:720
	v_mul_f64 v[10:11], v[10:11], v[30:31]
	v_fma_f64 v[8:9], v[8:9], v[28:29], -v[10:11]
	v_add_f64 v[8:9], v[12:13], v[8:9]
	s_waitcnt vmcnt(0) lgkmcnt(0)
	v_mul_f64 v[38:39], v[4:5], v[34:35]
	v_fmac_f64_e32 v[38:39], v[6:7], v[32:33]
	v_add_f64 v[44:45], v[36:37], v[38:39]
	ds_read_b128 v[36:39], v2 offset:1648
	v_mul_f64 v[6:7], v[6:7], v[34:35]
	v_fma_f64 v[4:5], v[4:5], v[32:33], -v[6:7]
	v_add_f64 v[4:5], v[8:9], v[4:5]
	s_waitcnt lgkmcnt(0)
	v_mul_f64 v[46:47], v[36:37], v[42:43]
	v_fmac_f64_e32 v[46:47], v[38:39], v[40:41]
	v_add_f64 v[52:53], v[44:45], v[46:47]
	ds_read_b128 v[44:47], v2 offset:1664
	v_mul_f64 v[6:7], v[38:39], v[42:43]
	v_fma_f64 v[6:7], v[36:37], v[40:41], -v[6:7]
	v_add_f64 v[4:5], v[4:5], v[6:7]
	s_waitcnt lgkmcnt(0)
	v_mul_f64 v[54:55], v[44:45], v[50:51]
	v_fmac_f64_e32 v[54:55], v[46:47], v[48:49]
	v_add_f64 v[60:61], v[52:53], v[54:55]
	ds_read_b128 v[52:55], v2 offset:1680
	v_mul_f64 v[6:7], v[46:47], v[50:51]
	v_fma_f64 v[6:7], v[44:45], v[48:49], -v[6:7]
	v_add_f64 v[4:5], v[4:5], v[6:7]
	s_waitcnt lgkmcnt(0)
	v_mul_f64 v[62:63], v[52:53], v[58:59]
	v_fmac_f64_e32 v[62:63], v[54:55], v[56:57]
	v_add_f64 v[68:69], v[60:61], v[62:63]
	ds_read_b128 v[60:63], v2 offset:1696
	v_mul_f64 v[6:7], v[54:55], v[58:59]
	v_fma_f64 v[6:7], v[52:53], v[56:57], -v[6:7]
	v_add_f64 v[4:5], v[4:5], v[6:7]
	s_waitcnt lgkmcnt(0)
	v_mul_f64 v[70:71], v[60:61], v[66:67]
	v_fmac_f64_e32 v[70:71], v[62:63], v[64:65]
	v_add_f64 v[72:73], v[68:69], v[70:71]
	ds_read_b128 v[68:71], v2 offset:1712
	v_mul_f64 v[6:7], v[62:63], v[66:67]
	v_fma_f64 v[6:7], v[60:61], v[64:65], -v[6:7]
	v_add_f64 v[4:5], v[4:5], v[6:7]
	s_waitcnt lgkmcnt(0)
	v_mul_f64 v[78:79], v[68:69], v[76:77]
	v_fmac_f64_e32 v[78:79], v[70:71], v[74:75]
	v_add_f64 v[72:73], v[72:73], v[78:79]
	ds_read_b128 v[78:81], v2 offset:1728
	v_mul_f64 v[6:7], v[70:71], v[76:77]
	v_fma_f64 v[6:7], v[68:69], v[74:75], -v[6:7]
	v_add_f64 v[4:5], v[4:5], v[6:7]
	s_waitcnt lgkmcnt(0)
	v_mul_f64 v[86:87], v[78:79], v[84:85]
	v_fmac_f64_e32 v[86:87], v[80:81], v[82:83]
	v_add_f64 v[72:73], v[72:73], v[86:87]
	ds_read_b128 v[86:89], v2 offset:1744
	v_mul_f64 v[6:7], v[80:81], v[84:85]
	v_fma_f64 v[6:7], v[78:79], v[82:83], -v[6:7]
	v_add_f64 v[4:5], v[4:5], v[6:7]
	s_waitcnt lgkmcnt(0)
	v_mul_f64 v[94:95], v[86:87], v[92:93]
	v_fmac_f64_e32 v[94:95], v[88:89], v[90:91]
	v_add_f64 v[72:73], v[72:73], v[94:95]
	ds_read_b128 v[94:97], v2 offset:1760
	v_mul_f64 v[6:7], v[88:89], v[92:93]
	v_fma_f64 v[6:7], v[86:87], v[90:91], -v[6:7]
	v_add_f64 v[4:5], v[4:5], v[6:7]
	s_waitcnt lgkmcnt(0)
	v_mul_f64 v[102:103], v[94:95], v[100:101]
	v_fmac_f64_e32 v[102:103], v[96:97], v[98:99]
	v_add_f64 v[72:73], v[72:73], v[102:103]
	ds_read_b128 v[102:105], v2 offset:1776
	v_mul_f64 v[6:7], v[96:97], v[100:101]
	v_fma_f64 v[6:7], v[94:95], v[98:99], -v[6:7]
	v_add_f64 v[4:5], v[4:5], v[6:7]
	s_waitcnt lgkmcnt(0)
	v_mul_f64 v[110:111], v[102:103], v[108:109]
	v_fmac_f64_e32 v[110:111], v[104:105], v[106:107]
	v_add_f64 v[72:73], v[72:73], v[110:111]
	ds_read_b128 v[110:113], v2 offset:1792
	v_mul_f64 v[6:7], v[104:105], v[108:109]
	v_fma_f64 v[6:7], v[102:103], v[106:107], -v[6:7]
	v_add_f64 v[4:5], v[4:5], v[6:7]
	s_waitcnt lgkmcnt(0)
	v_mul_f64 v[118:119], v[110:111], v[116:117]
	v_fmac_f64_e32 v[118:119], v[112:113], v[114:115]
	v_add_f64 v[72:73], v[72:73], v[118:119]
	ds_read_b128 v[118:121], v2 offset:1808
	v_mul_f64 v[6:7], v[112:113], v[116:117]
	v_fma_f64 v[6:7], v[110:111], v[114:115], -v[6:7]
	v_add_f64 v[4:5], v[4:5], v[6:7]
	s_waitcnt lgkmcnt(0)
	v_mul_f64 v[126:127], v[118:119], v[124:125]
	v_fmac_f64_e32 v[126:127], v[120:121], v[122:123]
	v_add_f64 v[72:73], v[72:73], v[126:127]
	ds_read_b128 v[126:129], v2 offset:1824
	v_mul_f64 v[6:7], v[120:121], v[124:125]
	v_fma_f64 v[6:7], v[118:119], v[122:123], -v[6:7]
	v_add_f64 v[4:5], v[4:5], v[6:7]
	s_waitcnt lgkmcnt(0)
	v_mul_f64 v[134:135], v[126:127], v[132:133]
	v_fmac_f64_e32 v[134:135], v[128:129], v[130:131]
	v_add_f64 v[72:73], v[72:73], v[134:135]
	ds_read_b128 v[134:137], v2 offset:1840
	v_mul_f64 v[6:7], v[128:129], v[132:133]
	v_fma_f64 v[6:7], v[126:127], v[130:131], -v[6:7]
	v_add_f64 v[4:5], v[4:5], v[6:7]
	s_waitcnt lgkmcnt(0)
	v_mul_f64 v[6:7], v[136:137], v[140:141]
	v_fma_f64 v[6:7], v[134:135], v[138:139], -v[6:7]
	v_add_f64 v[8:9], v[4:5], v[6:7]
	scratch_load_dwordx4 v[4:7], off, off offset:656
	v_mul_f64 v[142:143], v[134:135], v[140:141]
	v_fmac_f64_e32 v[142:143], v[136:137], v[138:139]
	v_add_f64 v[72:73], v[72:73], v[142:143]
	s_waitcnt vmcnt(0)
	v_add_f64 v[4:5], v[4:5], -v[8:9]
	v_add_f64 v[6:7], v[6:7], -v[72:73]
	scratch_store_dwordx4 off, v[4:7], off offset:656
	s_and_saveexec_b64 s[0:1], vcc
	s_cbranch_execz .LBB57_283
; %bb.282:
	scratch_load_dwordx4 v[6:9], off, s21
	v_mov_b32_e32 v3, v2
	v_mov_b32_e32 v4, v2
	;; [unrolled: 1-line block ×3, first 2 shown]
	v_accvgpr_read_b32 v0, a117
	scratch_store_dwordx4 off, v[2:5], off offset:640
	s_waitcnt vmcnt(1)
	ds_write_b128 v0, v[6:9]
.LBB57_283:
	s_or_b64 exec, exec, s[0:1]
	s_waitcnt lgkmcnt(0)
	; wave barrier
	ds_read_b128 v[16:19], v2 offset:1568
	ds_read_b128 v[12:15], v2 offset:1584
	;; [unrolled: 1-line block ×4, first 2 shown]
	scratch_load_dwordx4 v[20:23], off, off offset:656
	scratch_load_dwordx4 v[40:43], off, off offset:720
	scratch_load_dwordx4 v[72:75], off, off offset:784
	scratch_load_dwordx4 v[82:85], off, off offset:800
	scratch_load_dwordx4 v[90:93], off, off offset:816
	scratch_load_dwordx4 v[98:101], off, off offset:832
	scratch_load_dwordx4 v[106:109], off, off offset:848
	scratch_load_dwordx4 v[114:117], off, off offset:864
	scratch_load_dwordx4 v[122:125], off, off offset:880
	scratch_load_dwordx4 v[130:133], off, off offset:896
	scratch_load_dwordx4 v[138:141], off, off offset:912
	scratch_load_dwordx4 v[146:149], off, off offset:928
	v_cmp_lt_u32_e32 vcc, 38, v242
	scratch_load_dwordx4 v[48:51], off, off offset:736
	scratch_load_dwordx4 v[56:59], off, off offset:752
	;; [unrolled: 1-line block ×3, first 2 shown]
	s_waitcnt vmcnt(14) lgkmcnt(3)
	v_mul_f64 v[24:25], v[16:17], v[22:23]
	v_fmac_f64_e32 v[24:25], v[18:19], v[20:21]
	v_add_f64 v[28:29], v[24:25], 0
	scratch_load_dwordx4 v[24:27], off, off offset:672
	s_waitcnt vmcnt(0) lgkmcnt(2)
	v_mul_f64 v[30:31], v[12:13], v[26:27]
	v_fmac_f64_e32 v[30:31], v[14:15], v[24:25]
	v_add_f64 v[32:33], v[28:29], v[30:31]
	scratch_load_dwordx4 v[28:31], off, off offset:688
	v_mul_f64 v[14:15], v[14:15], v[26:27]
	v_fma_f64 v[12:13], v[12:13], v[24:25], -v[14:15]
	s_waitcnt vmcnt(0) lgkmcnt(1)
	v_mul_f64 v[34:35], v[8:9], v[30:31]
	v_fmac_f64_e32 v[34:35], v[10:11], v[28:29]
	v_add_f64 v[36:37], v[32:33], v[34:35]
	scratch_load_dwordx4 v[32:35], off, off offset:704
	v_mul_f64 v[10:11], v[10:11], v[30:31]
	v_fma_f64 v[8:9], v[8:9], v[28:29], -v[10:11]
	s_waitcnt vmcnt(0) lgkmcnt(0)
	v_mul_f64 v[38:39], v[4:5], v[34:35]
	v_fmac_f64_e32 v[38:39], v[6:7], v[32:33]
	v_add_f64 v[44:45], v[36:37], v[38:39]
	ds_read_b128 v[36:39], v2 offset:1632
	v_mul_f64 v[6:7], v[6:7], v[34:35]
	v_fma_f64 v[4:5], v[4:5], v[32:33], -v[6:7]
	s_waitcnt lgkmcnt(0)
	v_mul_f64 v[46:47], v[36:37], v[42:43]
	v_fmac_f64_e32 v[46:47], v[38:39], v[40:41]
	v_add_f64 v[52:53], v[44:45], v[46:47]
	ds_read_b128 v[44:47], v2 offset:1648
	s_waitcnt lgkmcnt(0)
	v_mul_f64 v[54:55], v[44:45], v[50:51]
	v_fmac_f64_e32 v[54:55], v[46:47], v[48:49]
	v_add_f64 v[60:61], v[52:53], v[54:55]
	ds_read_b128 v[52:55], v2 offset:1664
	;; [unrolled: 5-line block ×13, first 2 shown]
	s_waitcnt lgkmcnt(0)
	v_mul_f64 v[2:3], v[142:143], v[148:149]
	v_fmac_f64_e32 v[2:3], v[144:145], v[146:147]
	v_add_f64 v[80:81], v[80:81], v[2:3]
	v_mul_f64 v[2:3], v[18:19], v[22:23]
	v_fma_f64 v[2:3], v[16:17], v[20:21], -v[2:3]
	v_add_f64 v[2:3], v[2:3], 0
	v_add_f64 v[2:3], v[2:3], v[12:13]
	;; [unrolled: 1-line block ×4, first 2 shown]
	v_mul_f64 v[4:5], v[38:39], v[42:43]
	v_fma_f64 v[4:5], v[36:37], v[40:41], -v[4:5]
	v_add_f64 v[2:3], v[2:3], v[4:5]
	v_mul_f64 v[4:5], v[46:47], v[50:51]
	v_fma_f64 v[4:5], v[44:45], v[48:49], -v[4:5]
	v_add_f64 v[2:3], v[2:3], v[4:5]
	;; [unrolled: 3-line block ×14, first 2 shown]
	scratch_load_dwordx4 v[2:5], off, off offset:640
	s_waitcnt vmcnt(0)
	v_add_f64 v[2:3], v[2:3], -v[6:7]
	v_add_f64 v[4:5], v[4:5], -v[80:81]
	scratch_store_dwordx4 off, v[2:5], off offset:640
	s_and_saveexec_b64 s[0:1], vcc
	s_cbranch_execz .LBB57_285
; %bb.284:
	scratch_load_dwordx4 v[2:5], off, s22
	v_mov_b32_e32 v6, 0
	v_mov_b32_e32 v7, v6
	;; [unrolled: 1-line block ×4, first 2 shown]
	v_accvgpr_read_b32 v0, a117
	scratch_store_dwordx4 off, v[6:9], off offset:624
	s_waitcnt vmcnt(1)
	ds_write_b128 v0, v[2:5]
.LBB57_285:
	s_or_b64 exec, exec, s[0:1]
	v_mov_b32_e32 v2, 0
	s_waitcnt lgkmcnt(0)
	; wave barrier
	ds_read_b128 v[16:19], v2 offset:1552
	ds_read_b128 v[12:15], v2 offset:1568
	;; [unrolled: 1-line block ×4, first 2 shown]
	scratch_load_dwordx4 v[20:23], off, off offset:640
	scratch_load_dwordx4 v[40:43], off, off offset:704
	;; [unrolled: 1-line block ×13, first 2 shown]
	v_cmp_lt_u32_e32 vcc, 37, v242
	scratch_load_dwordx4 v[48:51], off, off offset:720
	scratch_load_dwordx4 v[56:59], off, off offset:736
	;; [unrolled: 1-line block ×3, first 2 shown]
	s_waitcnt vmcnt(15) lgkmcnt(3)
	v_mul_f64 v[24:25], v[16:17], v[22:23]
	v_fmac_f64_e32 v[24:25], v[18:19], v[20:21]
	v_add_f64 v[28:29], v[24:25], 0
	scratch_load_dwordx4 v[24:27], off, off offset:656
	v_mul_f64 v[18:19], v[18:19], v[22:23]
	v_fma_f64 v[16:17], v[16:17], v[20:21], -v[18:19]
	v_add_f64 v[16:17], v[16:17], 0
	s_waitcnt vmcnt(0) lgkmcnt(2)
	v_mul_f64 v[30:31], v[12:13], v[26:27]
	v_fmac_f64_e32 v[30:31], v[14:15], v[24:25]
	v_add_f64 v[32:33], v[28:29], v[30:31]
	scratch_load_dwordx4 v[28:31], off, off offset:672
	v_mul_f64 v[14:15], v[14:15], v[26:27]
	v_fma_f64 v[12:13], v[12:13], v[24:25], -v[14:15]
	v_add_f64 v[12:13], v[16:17], v[12:13]
	;; [unrolled: 8-line block ×3, first 2 shown]
	s_waitcnt vmcnt(0) lgkmcnt(0)
	v_mul_f64 v[38:39], v[4:5], v[34:35]
	v_fmac_f64_e32 v[38:39], v[6:7], v[32:33]
	v_add_f64 v[44:45], v[36:37], v[38:39]
	ds_read_b128 v[36:39], v2 offset:1616
	v_mul_f64 v[6:7], v[6:7], v[34:35]
	v_fma_f64 v[4:5], v[4:5], v[32:33], -v[6:7]
	v_add_f64 v[4:5], v[8:9], v[4:5]
	s_waitcnt lgkmcnt(0)
	v_mul_f64 v[46:47], v[36:37], v[42:43]
	v_fmac_f64_e32 v[46:47], v[38:39], v[40:41]
	v_add_f64 v[52:53], v[44:45], v[46:47]
	ds_read_b128 v[44:47], v2 offset:1632
	v_mul_f64 v[6:7], v[38:39], v[42:43]
	v_fma_f64 v[6:7], v[36:37], v[40:41], -v[6:7]
	v_add_f64 v[4:5], v[4:5], v[6:7]
	s_waitcnt lgkmcnt(0)
	;; [unrolled: 8-line block ×15, first 2 shown]
	v_mul_f64 v[6:7], v[152:153], v[156:157]
	v_fma_f64 v[6:7], v[150:151], v[154:155], -v[6:7]
	v_add_f64 v[8:9], v[4:5], v[6:7]
	scratch_load_dwordx4 v[4:7], off, off offset:624
	v_mul_f64 v[158:159], v[150:151], v[156:157]
	v_fmac_f64_e32 v[158:159], v[152:153], v[154:155]
	v_add_f64 v[88:89], v[88:89], v[158:159]
	s_waitcnt vmcnt(0)
	v_add_f64 v[4:5], v[4:5], -v[8:9]
	v_add_f64 v[6:7], v[6:7], -v[88:89]
	scratch_store_dwordx4 off, v[4:7], off offset:624
	s_and_saveexec_b64 s[0:1], vcc
	s_cbranch_execz .LBB57_287
; %bb.286:
	scratch_load_dwordx4 v[6:9], off, s20
	v_mov_b32_e32 v3, v2
	v_mov_b32_e32 v4, v2
	;; [unrolled: 1-line block ×3, first 2 shown]
	v_accvgpr_read_b32 v0, a117
	scratch_store_dwordx4 off, v[2:5], off offset:608
	s_waitcnt vmcnt(1)
	ds_write_b128 v0, v[6:9]
.LBB57_287:
	s_or_b64 exec, exec, s[0:1]
	s_waitcnt lgkmcnt(0)
	; wave barrier
	ds_read_b128 v[16:19], v2 offset:1536
	ds_read_b128 v[12:15], v2 offset:1552
	;; [unrolled: 1-line block ×4, first 2 shown]
	scratch_load_dwordx4 v[20:23], off, off offset:624
	scratch_load_dwordx4 v[40:43], off, off offset:688
	scratch_load_dwordx4 v[72:75], off, off offset:752
	scratch_load_dwordx4 v[80:83], off, off offset:768
	scratch_load_dwordx4 v[88:91], off, off offset:784
	scratch_load_dwordx4 v[98:101], off, off offset:800
	scratch_load_dwordx4 v[106:109], off, off offset:816
	scratch_load_dwordx4 v[114:117], off, off offset:832
	scratch_load_dwordx4 v[122:125], off, off offset:848
	scratch_load_dwordx4 v[130:133], off, off offset:864
	scratch_load_dwordx4 v[138:141], off, off offset:880
	scratch_load_dwordx4 v[146:149], off, off offset:896
	scratch_load_dwordx4 v[154:157], off, off offset:912
	scratch_load_dwordx4 v[162:165], off, off offset:928
	v_cmp_lt_u32_e32 vcc, 36, v242
	scratch_load_dwordx4 v[48:51], off, off offset:704
	scratch_load_dwordx4 v[56:59], off, off offset:720
	scratch_load_dwordx4 v[64:67], off, off offset:736
	s_waitcnt vmcnt(16) lgkmcnt(3)
	v_mul_f64 v[24:25], v[16:17], v[22:23]
	v_fmac_f64_e32 v[24:25], v[18:19], v[20:21]
	v_add_f64 v[28:29], v[24:25], 0
	scratch_load_dwordx4 v[24:27], off, off offset:640
	s_waitcnt vmcnt(0) lgkmcnt(2)
	v_mul_f64 v[30:31], v[12:13], v[26:27]
	v_fmac_f64_e32 v[30:31], v[14:15], v[24:25]
	v_add_f64 v[32:33], v[28:29], v[30:31]
	scratch_load_dwordx4 v[28:31], off, off offset:656
	v_mul_f64 v[14:15], v[14:15], v[26:27]
	v_fma_f64 v[12:13], v[12:13], v[24:25], -v[14:15]
	s_waitcnt vmcnt(0) lgkmcnt(1)
	v_mul_f64 v[34:35], v[8:9], v[30:31]
	v_fmac_f64_e32 v[34:35], v[10:11], v[28:29]
	v_add_f64 v[36:37], v[32:33], v[34:35]
	scratch_load_dwordx4 v[32:35], off, off offset:672
	v_mul_f64 v[10:11], v[10:11], v[30:31]
	v_fma_f64 v[8:9], v[8:9], v[28:29], -v[10:11]
	s_waitcnt vmcnt(0) lgkmcnt(0)
	v_mul_f64 v[38:39], v[4:5], v[34:35]
	v_fmac_f64_e32 v[38:39], v[6:7], v[32:33]
	v_add_f64 v[44:45], v[36:37], v[38:39]
	ds_read_b128 v[36:39], v2 offset:1600
	v_mul_f64 v[6:7], v[6:7], v[34:35]
	v_fma_f64 v[4:5], v[4:5], v[32:33], -v[6:7]
	s_waitcnt lgkmcnt(0)
	v_mul_f64 v[46:47], v[36:37], v[42:43]
	v_fmac_f64_e32 v[46:47], v[38:39], v[40:41]
	v_add_f64 v[52:53], v[44:45], v[46:47]
	ds_read_b128 v[44:47], v2 offset:1616
	s_waitcnt lgkmcnt(0)
	v_mul_f64 v[54:55], v[44:45], v[50:51]
	v_fmac_f64_e32 v[54:55], v[46:47], v[48:49]
	v_add_f64 v[60:61], v[52:53], v[54:55]
	ds_read_b128 v[52:55], v2 offset:1632
	;; [unrolled: 5-line block ×15, first 2 shown]
	s_waitcnt lgkmcnt(0)
	v_mul_f64 v[2:3], v[158:159], v[164:165]
	v_fmac_f64_e32 v[2:3], v[160:161], v[162:163]
	v_add_f64 v[96:97], v[96:97], v[2:3]
	v_mul_f64 v[2:3], v[18:19], v[22:23]
	v_fma_f64 v[2:3], v[16:17], v[20:21], -v[2:3]
	v_add_f64 v[2:3], v[2:3], 0
	v_add_f64 v[2:3], v[2:3], v[12:13]
	;; [unrolled: 1-line block ×4, first 2 shown]
	v_mul_f64 v[4:5], v[38:39], v[42:43]
	v_fma_f64 v[4:5], v[36:37], v[40:41], -v[4:5]
	v_add_f64 v[2:3], v[2:3], v[4:5]
	v_mul_f64 v[4:5], v[46:47], v[50:51]
	v_fma_f64 v[4:5], v[44:45], v[48:49], -v[4:5]
	v_add_f64 v[2:3], v[2:3], v[4:5]
	;; [unrolled: 3-line block ×16, first 2 shown]
	scratch_load_dwordx4 v[2:5], off, off offset:608
	s_waitcnt vmcnt(0)
	v_add_f64 v[2:3], v[2:3], -v[6:7]
	v_add_f64 v[4:5], v[4:5], -v[96:97]
	scratch_store_dwordx4 off, v[2:5], off offset:608
	s_and_saveexec_b64 s[0:1], vcc
	s_cbranch_execz .LBB57_289
; %bb.288:
	scratch_load_dwordx4 v[2:5], off, s15
	v_mov_b32_e32 v6, 0
	v_mov_b32_e32 v7, v6
	;; [unrolled: 1-line block ×4, first 2 shown]
	v_accvgpr_read_b32 v0, a117
	scratch_store_dwordx4 off, v[6:9], off offset:592
	s_waitcnt vmcnt(1)
	ds_write_b128 v0, v[2:5]
.LBB57_289:
	s_or_b64 exec, exec, s[0:1]
	v_mov_b32_e32 v2, 0
	s_waitcnt lgkmcnt(0)
	; wave barrier
	ds_read_b128 v[16:19], v2 offset:1520
	ds_read_b128 v[12:15], v2 offset:1536
	ds_read_b128 v[8:11], v2 offset:1552
	ds_read_b128 v[4:7], v2 offset:1568
	scratch_load_dwordx4 v[20:23], off, off offset:608
	scratch_load_dwordx4 v[40:43], off, off offset:672
	;; [unrolled: 1-line block ×15, first 2 shown]
	v_cmp_lt_u32_e32 vcc, 35, v242
	scratch_load_dwordx4 v[48:51], off, off offset:688
	scratch_load_dwordx4 v[56:59], off, off offset:704
	;; [unrolled: 1-line block ×3, first 2 shown]
	s_waitcnt vmcnt(17) lgkmcnt(3)
	v_mul_f64 v[24:25], v[16:17], v[22:23]
	v_fmac_f64_e32 v[24:25], v[18:19], v[20:21]
	v_add_f64 v[28:29], v[24:25], 0
	scratch_load_dwordx4 v[24:27], off, off offset:624
	v_mul_f64 v[18:19], v[18:19], v[22:23]
	v_fma_f64 v[16:17], v[16:17], v[20:21], -v[18:19]
	v_add_f64 v[16:17], v[16:17], 0
	s_waitcnt vmcnt(0) lgkmcnt(2)
	v_mul_f64 v[30:31], v[12:13], v[26:27]
	v_fmac_f64_e32 v[30:31], v[14:15], v[24:25]
	v_add_f64 v[32:33], v[28:29], v[30:31]
	scratch_load_dwordx4 v[28:31], off, off offset:640
	v_mul_f64 v[14:15], v[14:15], v[26:27]
	v_fma_f64 v[12:13], v[12:13], v[24:25], -v[14:15]
	v_add_f64 v[12:13], v[16:17], v[12:13]
	s_waitcnt vmcnt(0) lgkmcnt(1)
	v_mul_f64 v[34:35], v[8:9], v[30:31]
	v_fmac_f64_e32 v[34:35], v[10:11], v[28:29]
	v_add_f64 v[36:37], v[32:33], v[34:35]
	scratch_load_dwordx4 v[32:35], off, off offset:656
	v_mul_f64 v[10:11], v[10:11], v[30:31]
	v_fma_f64 v[8:9], v[8:9], v[28:29], -v[10:11]
	v_add_f64 v[8:9], v[12:13], v[8:9]
	s_waitcnt vmcnt(0) lgkmcnt(0)
	v_mul_f64 v[38:39], v[4:5], v[34:35]
	v_fmac_f64_e32 v[38:39], v[6:7], v[32:33]
	v_add_f64 v[44:45], v[36:37], v[38:39]
	ds_read_b128 v[36:39], v2 offset:1584
	v_mul_f64 v[6:7], v[6:7], v[34:35]
	v_fma_f64 v[4:5], v[4:5], v[32:33], -v[6:7]
	v_add_f64 v[4:5], v[8:9], v[4:5]
	s_waitcnt lgkmcnt(0)
	v_mul_f64 v[46:47], v[36:37], v[42:43]
	v_fmac_f64_e32 v[46:47], v[38:39], v[40:41]
	v_add_f64 v[52:53], v[44:45], v[46:47]
	ds_read_b128 v[44:47], v2 offset:1600
	v_mul_f64 v[6:7], v[38:39], v[42:43]
	v_fma_f64 v[6:7], v[36:37], v[40:41], -v[6:7]
	v_add_f64 v[4:5], v[4:5], v[6:7]
	s_waitcnt lgkmcnt(0)
	;; [unrolled: 8-line block ×17, first 2 shown]
	v_mul_f64 v[6:7], v[168:169], v[172:173]
	v_fma_f64 v[6:7], v[166:167], v[170:171], -v[6:7]
	v_add_f64 v[8:9], v[4:5], v[6:7]
	scratch_load_dwordx4 v[4:7], off, off offset:592
	v_mul_f64 v[174:175], v[166:167], v[172:173]
	v_fmac_f64_e32 v[174:175], v[168:169], v[170:171]
	v_add_f64 v[104:105], v[104:105], v[174:175]
	s_waitcnt vmcnt(0)
	v_add_f64 v[4:5], v[4:5], -v[8:9]
	v_add_f64 v[6:7], v[6:7], -v[104:105]
	scratch_store_dwordx4 off, v[4:7], off offset:592
	s_and_saveexec_b64 s[0:1], vcc
	s_cbranch_execz .LBB57_291
; %bb.290:
	scratch_load_dwordx4 v[6:9], off, s14
	v_mov_b32_e32 v3, v2
	v_mov_b32_e32 v4, v2
	;; [unrolled: 1-line block ×3, first 2 shown]
	v_accvgpr_read_b32 v0, a117
	scratch_store_dwordx4 off, v[2:5], off offset:576
	s_waitcnt vmcnt(1)
	ds_write_b128 v0, v[6:9]
.LBB57_291:
	s_or_b64 exec, exec, s[0:1]
	s_waitcnt lgkmcnt(0)
	; wave barrier
	ds_read_b128 v[16:19], v2 offset:1504
	ds_read_b128 v[12:15], v2 offset:1520
	;; [unrolled: 1-line block ×4, first 2 shown]
	scratch_load_dwordx4 v[20:23], off, off offset:592
	scratch_load_dwordx4 v[40:43], off, off offset:656
	;; [unrolled: 1-line block ×16, first 2 shown]
	v_cmp_lt_u32_e32 vcc, 34, v242
	scratch_load_dwordx4 v[48:51], off, off offset:672
	scratch_load_dwordx4 v[56:59], off, off offset:688
	;; [unrolled: 1-line block ×3, first 2 shown]
	s_waitcnt vmcnt(18) lgkmcnt(3)
	v_mul_f64 v[24:25], v[16:17], v[22:23]
	v_fmac_f64_e32 v[24:25], v[18:19], v[20:21]
	v_add_f64 v[28:29], v[24:25], 0
	scratch_load_dwordx4 v[24:27], off, off offset:608
	s_waitcnt vmcnt(0) lgkmcnt(2)
	v_mul_f64 v[30:31], v[12:13], v[26:27]
	v_fmac_f64_e32 v[30:31], v[14:15], v[24:25]
	v_add_f64 v[32:33], v[28:29], v[30:31]
	scratch_load_dwordx4 v[28:31], off, off offset:624
	v_mul_f64 v[14:15], v[14:15], v[26:27]
	v_fma_f64 v[12:13], v[12:13], v[24:25], -v[14:15]
	s_waitcnt vmcnt(0) lgkmcnt(1)
	v_mul_f64 v[34:35], v[8:9], v[30:31]
	v_fmac_f64_e32 v[34:35], v[10:11], v[28:29]
	v_add_f64 v[36:37], v[32:33], v[34:35]
	scratch_load_dwordx4 v[32:35], off, off offset:640
	v_mul_f64 v[10:11], v[10:11], v[30:31]
	v_fma_f64 v[8:9], v[8:9], v[28:29], -v[10:11]
	s_waitcnt vmcnt(0) lgkmcnt(0)
	v_mul_f64 v[38:39], v[4:5], v[34:35]
	v_fmac_f64_e32 v[38:39], v[6:7], v[32:33]
	v_add_f64 v[44:45], v[36:37], v[38:39]
	ds_read_b128 v[36:39], v2 offset:1568
	v_mul_f64 v[6:7], v[6:7], v[34:35]
	v_fma_f64 v[4:5], v[4:5], v[32:33], -v[6:7]
	s_waitcnt lgkmcnt(0)
	v_mul_f64 v[46:47], v[36:37], v[42:43]
	v_fmac_f64_e32 v[46:47], v[38:39], v[40:41]
	v_add_f64 v[52:53], v[44:45], v[46:47]
	ds_read_b128 v[44:47], v2 offset:1584
	s_waitcnt lgkmcnt(0)
	v_mul_f64 v[54:55], v[44:45], v[50:51]
	v_fmac_f64_e32 v[54:55], v[46:47], v[48:49]
	v_add_f64 v[60:61], v[52:53], v[54:55]
	ds_read_b128 v[52:55], v2 offset:1600
	;; [unrolled: 5-line block ×17, first 2 shown]
	s_waitcnt lgkmcnt(0)
	v_mul_f64 v[2:3], v[174:175], v[180:181]
	v_fmac_f64_e32 v[2:3], v[176:177], v[178:179]
	v_add_f64 v[120:121], v[120:121], v[2:3]
	v_mul_f64 v[2:3], v[18:19], v[22:23]
	v_fma_f64 v[2:3], v[16:17], v[20:21], -v[2:3]
	v_add_f64 v[2:3], v[2:3], 0
	v_add_f64 v[2:3], v[2:3], v[12:13]
	;; [unrolled: 1-line block ×4, first 2 shown]
	v_mul_f64 v[4:5], v[38:39], v[42:43]
	v_fma_f64 v[4:5], v[36:37], v[40:41], -v[4:5]
	v_add_f64 v[2:3], v[2:3], v[4:5]
	v_mul_f64 v[4:5], v[46:47], v[50:51]
	v_fma_f64 v[4:5], v[44:45], v[48:49], -v[4:5]
	v_add_f64 v[2:3], v[2:3], v[4:5]
	;; [unrolled: 3-line block ×18, first 2 shown]
	scratch_load_dwordx4 v[2:5], off, off offset:576
	s_waitcnt vmcnt(0)
	v_add_f64 v[2:3], v[2:3], -v[6:7]
	v_add_f64 v[4:5], v[4:5], -v[120:121]
	scratch_store_dwordx4 off, v[2:5], off offset:576
	s_and_saveexec_b64 s[0:1], vcc
	s_cbranch_execz .LBB57_293
; %bb.292:
	scratch_load_dwordx4 v[2:5], off, s13
	v_mov_b32_e32 v6, 0
	v_mov_b32_e32 v7, v6
	;; [unrolled: 1-line block ×4, first 2 shown]
	v_accvgpr_read_b32 v0, a117
	scratch_store_dwordx4 off, v[6:9], off offset:560
	s_waitcnt vmcnt(1)
	ds_write_b128 v0, v[2:5]
.LBB57_293:
	s_or_b64 exec, exec, s[0:1]
	v_mov_b32_e32 v2, 0
	s_waitcnt lgkmcnt(0)
	; wave barrier
	ds_read_b128 v[16:19], v2 offset:1488
	ds_read_b128 v[12:15], v2 offset:1504
	;; [unrolled: 1-line block ×4, first 2 shown]
	scratch_load_dwordx4 v[20:23], off, off offset:576
	scratch_load_dwordx4 v[40:43], off, off offset:640
	;; [unrolled: 1-line block ×17, first 2 shown]
	v_cmp_lt_u32_e32 vcc, 33, v242
	scratch_load_dwordx4 v[48:51], off, off offset:656
	scratch_load_dwordx4 v[56:59], off, off offset:672
	;; [unrolled: 1-line block ×3, first 2 shown]
	s_waitcnt vmcnt(19) lgkmcnt(3)
	v_mul_f64 v[24:25], v[16:17], v[22:23]
	v_fmac_f64_e32 v[24:25], v[18:19], v[20:21]
	v_add_f64 v[28:29], v[24:25], 0
	scratch_load_dwordx4 v[24:27], off, off offset:592
	v_mul_f64 v[18:19], v[18:19], v[22:23]
	v_fma_f64 v[16:17], v[16:17], v[20:21], -v[18:19]
	v_add_f64 v[16:17], v[16:17], 0
	s_waitcnt vmcnt(0) lgkmcnt(2)
	v_mul_f64 v[30:31], v[12:13], v[26:27]
	v_fmac_f64_e32 v[30:31], v[14:15], v[24:25]
	v_add_f64 v[32:33], v[28:29], v[30:31]
	scratch_load_dwordx4 v[28:31], off, off offset:608
	v_mul_f64 v[14:15], v[14:15], v[26:27]
	v_fma_f64 v[12:13], v[12:13], v[24:25], -v[14:15]
	v_add_f64 v[12:13], v[16:17], v[12:13]
	s_waitcnt vmcnt(0) lgkmcnt(1)
	v_mul_f64 v[34:35], v[8:9], v[30:31]
	v_fmac_f64_e32 v[34:35], v[10:11], v[28:29]
	v_add_f64 v[36:37], v[32:33], v[34:35]
	scratch_load_dwordx4 v[32:35], off, off offset:624
	v_mul_f64 v[10:11], v[10:11], v[30:31]
	v_fma_f64 v[8:9], v[8:9], v[28:29], -v[10:11]
	v_add_f64 v[8:9], v[12:13], v[8:9]
	s_waitcnt vmcnt(0) lgkmcnt(0)
	v_mul_f64 v[38:39], v[4:5], v[34:35]
	v_fmac_f64_e32 v[38:39], v[6:7], v[32:33]
	v_add_f64 v[44:45], v[36:37], v[38:39]
	ds_read_b128 v[36:39], v2 offset:1552
	v_mul_f64 v[6:7], v[6:7], v[34:35]
	v_fma_f64 v[4:5], v[4:5], v[32:33], -v[6:7]
	v_add_f64 v[4:5], v[8:9], v[4:5]
	s_waitcnt lgkmcnt(0)
	v_mul_f64 v[46:47], v[36:37], v[42:43]
	v_fmac_f64_e32 v[46:47], v[38:39], v[40:41]
	v_add_f64 v[52:53], v[44:45], v[46:47]
	ds_read_b128 v[44:47], v2 offset:1568
	v_mul_f64 v[6:7], v[38:39], v[42:43]
	v_fma_f64 v[6:7], v[36:37], v[40:41], -v[6:7]
	v_add_f64 v[4:5], v[4:5], v[6:7]
	s_waitcnt lgkmcnt(0)
	;; [unrolled: 8-line block ×19, first 2 shown]
	v_mul_f64 v[6:7], v[184:185], v[188:189]
	v_fma_f64 v[6:7], v[182:183], v[186:187], -v[6:7]
	v_add_f64 v[8:9], v[4:5], v[6:7]
	scratch_load_dwordx4 v[4:7], off, off offset:560
	v_mul_f64 v[190:191], v[182:183], v[188:189]
	v_fmac_f64_e32 v[190:191], v[184:185], v[186:187]
	v_add_f64 v[128:129], v[128:129], v[190:191]
	s_waitcnt vmcnt(0)
	v_add_f64 v[4:5], v[4:5], -v[8:9]
	v_add_f64 v[6:7], v[6:7], -v[128:129]
	scratch_store_dwordx4 off, v[4:7], off offset:560
	s_and_saveexec_b64 s[0:1], vcc
	s_cbranch_execz .LBB57_295
; %bb.294:
	scratch_load_dwordx4 v[6:9], off, s12
	v_mov_b32_e32 v3, v2
	v_mov_b32_e32 v4, v2
	;; [unrolled: 1-line block ×3, first 2 shown]
	v_accvgpr_read_b32 v0, a117
	scratch_store_dwordx4 off, v[2:5], off offset:544
	s_waitcnt vmcnt(1)
	ds_write_b128 v0, v[6:9]
.LBB57_295:
	s_or_b64 exec, exec, s[0:1]
	s_waitcnt lgkmcnt(0)
	; wave barrier
	ds_read_b128 v[16:19], v2 offset:1472
	ds_read_b128 v[12:15], v2 offset:1488
	;; [unrolled: 1-line block ×4, first 2 shown]
	scratch_load_dwordx4 v[20:23], off, off offset:560
	scratch_load_dwordx4 v[40:43], off, off offset:624
	;; [unrolled: 1-line block ×18, first 2 shown]
	v_cmp_lt_u32_e32 vcc, 32, v242
	scratch_load_dwordx4 v[48:51], off, off offset:640
	scratch_load_dwordx4 v[56:59], off, off offset:656
	;; [unrolled: 1-line block ×3, first 2 shown]
	s_waitcnt vmcnt(20) lgkmcnt(3)
	v_mul_f64 v[24:25], v[16:17], v[22:23]
	v_fmac_f64_e32 v[24:25], v[18:19], v[20:21]
	v_add_f64 v[28:29], v[24:25], 0
	scratch_load_dwordx4 v[24:27], off, off offset:576
	s_waitcnt vmcnt(0) lgkmcnt(2)
	v_mul_f64 v[30:31], v[12:13], v[26:27]
	v_fmac_f64_e32 v[30:31], v[14:15], v[24:25]
	v_add_f64 v[32:33], v[28:29], v[30:31]
	scratch_load_dwordx4 v[28:31], off, off offset:592
	v_mul_f64 v[14:15], v[14:15], v[26:27]
	v_fma_f64 v[12:13], v[12:13], v[24:25], -v[14:15]
	s_waitcnt vmcnt(0) lgkmcnt(1)
	v_mul_f64 v[34:35], v[8:9], v[30:31]
	v_fmac_f64_e32 v[34:35], v[10:11], v[28:29]
	v_add_f64 v[36:37], v[32:33], v[34:35]
	scratch_load_dwordx4 v[32:35], off, off offset:608
	v_mul_f64 v[10:11], v[10:11], v[30:31]
	v_fma_f64 v[8:9], v[8:9], v[28:29], -v[10:11]
	s_waitcnt vmcnt(0) lgkmcnt(0)
	v_mul_f64 v[38:39], v[4:5], v[34:35]
	v_fmac_f64_e32 v[38:39], v[6:7], v[32:33]
	v_add_f64 v[44:45], v[36:37], v[38:39]
	ds_read_b128 v[36:39], v2 offset:1536
	v_mul_f64 v[6:7], v[6:7], v[34:35]
	v_fma_f64 v[4:5], v[4:5], v[32:33], -v[6:7]
	s_waitcnt lgkmcnt(0)
	v_mul_f64 v[46:47], v[36:37], v[42:43]
	v_fmac_f64_e32 v[46:47], v[38:39], v[40:41]
	v_add_f64 v[52:53], v[44:45], v[46:47]
	ds_read_b128 v[44:47], v2 offset:1552
	s_waitcnt lgkmcnt(0)
	v_mul_f64 v[54:55], v[44:45], v[50:51]
	v_fmac_f64_e32 v[54:55], v[46:47], v[48:49]
	v_add_f64 v[60:61], v[52:53], v[54:55]
	ds_read_b128 v[52:55], v2 offset:1568
	;; [unrolled: 5-line block ×19, first 2 shown]
	s_waitcnt lgkmcnt(0)
	v_mul_f64 v[2:3], v[190:191], v[196:197]
	v_fmac_f64_e32 v[2:3], v[192:193], v[194:195]
	v_add_f64 v[148:149], v[148:149], v[2:3]
	v_mul_f64 v[2:3], v[18:19], v[22:23]
	v_fma_f64 v[2:3], v[16:17], v[20:21], -v[2:3]
	v_add_f64 v[2:3], v[2:3], 0
	v_add_f64 v[2:3], v[2:3], v[12:13]
	;; [unrolled: 1-line block ×4, first 2 shown]
	v_mul_f64 v[4:5], v[38:39], v[42:43]
	v_fma_f64 v[4:5], v[36:37], v[40:41], -v[4:5]
	v_add_f64 v[2:3], v[2:3], v[4:5]
	v_mul_f64 v[4:5], v[46:47], v[50:51]
	v_fma_f64 v[4:5], v[44:45], v[48:49], -v[4:5]
	v_add_f64 v[2:3], v[2:3], v[4:5]
	v_mul_f64 v[4:5], v[54:55], v[58:59]
	v_fma_f64 v[4:5], v[52:53], v[56:57], -v[4:5]
	v_add_f64 v[2:3], v[2:3], v[4:5]
	v_mul_f64 v[4:5], v[62:63], v[66:67]
	v_fma_f64 v[4:5], v[60:61], v[64:65], -v[4:5]
	v_add_f64 v[2:3], v[2:3], v[4:5]
	v_mul_f64 v[4:5], v[70:71], v[74:75]
	v_fma_f64 v[4:5], v[68:69], v[72:73], -v[4:5]
	v_add_f64 v[2:3], v[2:3], v[4:5]
	v_mul_f64 v[4:5], v[78:79], v[82:83]
	v_fma_f64 v[4:5], v[76:77], v[80:81], -v[4:5]
	v_add_f64 v[2:3], v[2:3], v[4:5]
	v_mul_f64 v[4:5], v[86:87], v[90:91]
	v_fma_f64 v[4:5], v[84:85], v[88:89], -v[4:5]
	v_add_f64 v[2:3], v[2:3], v[4:5]
	v_mul_f64 v[4:5], v[94:95], v[98:99]
	v_fma_f64 v[4:5], v[92:93], v[96:97], -v[4:5]
	v_add_f64 v[2:3], v[2:3], v[4:5]
	v_mul_f64 v[4:5], v[102:103], v[106:107]
	v_fma_f64 v[4:5], v[100:101], v[104:105], -v[4:5]
	v_add_f64 v[2:3], v[2:3], v[4:5]
	v_mul_f64 v[4:5], v[110:111], v[114:115]
	v_fma_f64 v[4:5], v[108:109], v[112:113], -v[4:5]
	v_add_f64 v[2:3], v[2:3], v[4:5]
	v_mul_f64 v[4:5], v[118:119], v[122:123]
	v_fma_f64 v[4:5], v[116:117], v[120:121], -v[4:5]
	v_add_f64 v[2:3], v[2:3], v[4:5]
	v_mul_f64 v[4:5], v[126:127], v[130:131]
	v_fma_f64 v[4:5], v[124:125], v[128:129], -v[4:5]
	v_add_f64 v[2:3], v[2:3], v[4:5]
	v_mul_f64 v[4:5], v[134:135], v[138:139]
	v_fma_f64 v[4:5], v[132:133], v[136:137], -v[4:5]
	v_add_f64 v[2:3], v[2:3], v[4:5]
	v_mul_f64 v[4:5], v[142:143], v[146:147]
	v_fma_f64 v[4:5], v[140:141], v[144:145], -v[4:5]
	v_add_f64 v[2:3], v[2:3], v[4:5]
	v_mul_f64 v[4:5], v[152:153], v[156:157]
	v_fma_f64 v[4:5], v[150:151], v[154:155], -v[4:5]
	v_add_f64 v[2:3], v[2:3], v[4:5]
	v_mul_f64 v[4:5], v[160:161], v[164:165]
	v_fma_f64 v[4:5], v[158:159], v[162:163], -v[4:5]
	v_add_f64 v[2:3], v[2:3], v[4:5]
	v_mul_f64 v[4:5], v[168:169], v[172:173]
	v_fma_f64 v[4:5], v[166:167], v[170:171], -v[4:5]
	v_add_f64 v[2:3], v[2:3], v[4:5]
	v_mul_f64 v[4:5], v[176:177], v[180:181]
	v_fma_f64 v[4:5], v[174:175], v[178:179], -v[4:5]
	v_add_f64 v[2:3], v[2:3], v[4:5]
	v_mul_f64 v[4:5], v[184:185], v[188:189]
	v_fma_f64 v[4:5], v[182:183], v[186:187], -v[4:5]
	v_add_f64 v[2:3], v[2:3], v[4:5]
	v_mul_f64 v[4:5], v[192:193], v[196:197]
	v_fma_f64 v[4:5], v[190:191], v[194:195], -v[4:5]
	v_add_f64 v[6:7], v[2:3], v[4:5]
	scratch_load_dwordx4 v[2:5], off, off offset:544
	s_waitcnt vmcnt(0)
	v_add_f64 v[2:3], v[2:3], -v[6:7]
	v_add_f64 v[4:5], v[4:5], -v[148:149]
	scratch_store_dwordx4 off, v[2:5], off offset:544
	s_and_saveexec_b64 s[0:1], vcc
	s_cbranch_execz .LBB57_297
; %bb.296:
	scratch_load_dwordx4 v[2:5], off, s69
	v_mov_b32_e32 v6, 0
	v_mov_b32_e32 v7, v6
	;; [unrolled: 1-line block ×4, first 2 shown]
	v_accvgpr_read_b32 v0, a117
	scratch_store_dwordx4 off, v[6:9], off offset:528
	s_waitcnt vmcnt(1)
	ds_write_b128 v0, v[2:5]
.LBB57_297:
	s_or_b64 exec, exec, s[0:1]
	v_mov_b32_e32 v2, 0
	s_waitcnt lgkmcnt(0)
	; wave barrier
	ds_read_b128 v[16:19], v2 offset:1456
	ds_read_b128 v[12:15], v2 offset:1472
	;; [unrolled: 1-line block ×4, first 2 shown]
	scratch_load_dwordx4 v[20:23], off, off offset:544
	scratch_load_dwordx4 v[40:43], off, off offset:608
	scratch_load_dwordx4 v[72:75], off, off offset:672
	scratch_load_dwordx4 v[80:83], off, off offset:688
	scratch_load_dwordx4 v[88:91], off, off offset:704
	scratch_load_dwordx4 v[96:99], off, off offset:720
	scratch_load_dwordx4 v[104:107], off, off offset:736
	scratch_load_dwordx4 v[112:115], off, off offset:752
	scratch_load_dwordx4 v[120:123], off, off offset:768
	scratch_load_dwordx4 v[128:131], off, off offset:784
	scratch_load_dwordx4 v[136:139], off, off offset:800
	scratch_load_dwordx4 v[146:149], off, off offset:816
	scratch_load_dwordx4 v[154:157], off, off offset:832
	scratch_load_dwordx4 v[162:165], off, off offset:848
	scratch_load_dwordx4 v[170:173], off, off offset:864
	scratch_load_dwordx4 v[178:181], off, off offset:880
	scratch_load_dwordx4 v[186:189], off, off offset:896
	scratch_load_dwordx4 v[194:197], off, off offset:912
	scratch_load_dwordx4 v[202:205], off, off offset:928
	v_cmp_lt_u32_e32 vcc, 31, v242
	scratch_load_dwordx4 v[48:51], off, off offset:624
	scratch_load_dwordx4 v[56:59], off, off offset:640
	;; [unrolled: 1-line block ×3, first 2 shown]
	s_waitcnt vmcnt(21) lgkmcnt(3)
	v_mul_f64 v[24:25], v[16:17], v[22:23]
	v_fmac_f64_e32 v[24:25], v[18:19], v[20:21]
	v_add_f64 v[28:29], v[24:25], 0
	scratch_load_dwordx4 v[24:27], off, off offset:560
	v_mul_f64 v[18:19], v[18:19], v[22:23]
	v_fma_f64 v[16:17], v[16:17], v[20:21], -v[18:19]
	v_add_f64 v[16:17], v[16:17], 0
	s_waitcnt vmcnt(0) lgkmcnt(2)
	v_mul_f64 v[30:31], v[12:13], v[26:27]
	v_fmac_f64_e32 v[30:31], v[14:15], v[24:25]
	v_add_f64 v[32:33], v[28:29], v[30:31]
	scratch_load_dwordx4 v[28:31], off, off offset:576
	v_mul_f64 v[14:15], v[14:15], v[26:27]
	v_fma_f64 v[12:13], v[12:13], v[24:25], -v[14:15]
	v_add_f64 v[12:13], v[16:17], v[12:13]
	;; [unrolled: 8-line block ×3, first 2 shown]
	s_waitcnt vmcnt(0) lgkmcnt(0)
	v_mul_f64 v[38:39], v[4:5], v[34:35]
	v_fmac_f64_e32 v[38:39], v[6:7], v[32:33]
	v_add_f64 v[44:45], v[36:37], v[38:39]
	ds_read_b128 v[36:39], v2 offset:1520
	v_mul_f64 v[6:7], v[6:7], v[34:35]
	v_fma_f64 v[4:5], v[4:5], v[32:33], -v[6:7]
	v_add_f64 v[4:5], v[8:9], v[4:5]
	s_waitcnt lgkmcnt(0)
	v_mul_f64 v[46:47], v[36:37], v[42:43]
	v_fmac_f64_e32 v[46:47], v[38:39], v[40:41]
	v_add_f64 v[52:53], v[44:45], v[46:47]
	ds_read_b128 v[44:47], v2 offset:1536
	v_mul_f64 v[6:7], v[38:39], v[42:43]
	v_fma_f64 v[6:7], v[36:37], v[40:41], -v[6:7]
	v_add_f64 v[4:5], v[4:5], v[6:7]
	s_waitcnt lgkmcnt(0)
	;; [unrolled: 8-line block ×21, first 2 shown]
	v_mul_f64 v[6:7], v[200:201], v[204:205]
	v_fma_f64 v[6:7], v[198:199], v[202:203], -v[6:7]
	v_add_f64 v[8:9], v[4:5], v[6:7]
	scratch_load_dwordx4 v[4:7], off, off offset:528
	v_mul_f64 v[206:207], v[198:199], v[204:205]
	v_fmac_f64_e32 v[206:207], v[200:201], v[202:203]
	v_add_f64 v[144:145], v[144:145], v[206:207]
	s_waitcnt vmcnt(0)
	v_add_f64 v[4:5], v[4:5], -v[8:9]
	v_add_f64 v[6:7], v[6:7], -v[144:145]
	scratch_store_dwordx4 off, v[4:7], off offset:528
	s_and_saveexec_b64 s[0:1], vcc
	s_cbranch_execz .LBB57_299
; %bb.298:
	scratch_load_dwordx4 v[6:9], off, s68
	v_mov_b32_e32 v3, v2
	v_mov_b32_e32 v4, v2
	;; [unrolled: 1-line block ×3, first 2 shown]
	v_accvgpr_read_b32 v0, a117
	scratch_store_dwordx4 off, v[2:5], off offset:512
	s_waitcnt vmcnt(1)
	ds_write_b128 v0, v[6:9]
.LBB57_299:
	s_or_b64 exec, exec, s[0:1]
	s_waitcnt lgkmcnt(0)
	; wave barrier
	ds_read_b128 v[16:19], v2 offset:1440
	ds_read_b128 v[12:15], v2 offset:1456
	;; [unrolled: 1-line block ×4, first 2 shown]
	scratch_load_dwordx4 v[20:23], off, off offset:528
	scratch_load_dwordx4 v[40:43], off, off offset:592
	;; [unrolled: 1-line block ×20, first 2 shown]
	v_cmp_lt_u32_e32 vcc, 30, v242
	scratch_load_dwordx4 v[48:51], off, off offset:608
	scratch_load_dwordx4 v[56:59], off, off offset:624
	;; [unrolled: 1-line block ×3, first 2 shown]
	s_waitcnt vmcnt(22) lgkmcnt(3)
	v_mul_f64 v[24:25], v[16:17], v[22:23]
	v_fmac_f64_e32 v[24:25], v[18:19], v[20:21]
	v_add_f64 v[28:29], v[24:25], 0
	scratch_load_dwordx4 v[24:27], off, off offset:544
	s_waitcnt vmcnt(0) lgkmcnt(2)
	v_mul_f64 v[30:31], v[12:13], v[26:27]
	v_fmac_f64_e32 v[30:31], v[14:15], v[24:25]
	v_add_f64 v[32:33], v[28:29], v[30:31]
	scratch_load_dwordx4 v[28:31], off, off offset:560
	v_mul_f64 v[14:15], v[14:15], v[26:27]
	v_fma_f64 v[12:13], v[12:13], v[24:25], -v[14:15]
	s_waitcnt vmcnt(0) lgkmcnt(1)
	v_mul_f64 v[34:35], v[8:9], v[30:31]
	v_fmac_f64_e32 v[34:35], v[10:11], v[28:29]
	v_add_f64 v[36:37], v[32:33], v[34:35]
	scratch_load_dwordx4 v[32:35], off, off offset:576
	v_mul_f64 v[10:11], v[10:11], v[30:31]
	v_fma_f64 v[8:9], v[8:9], v[28:29], -v[10:11]
	s_waitcnt vmcnt(0) lgkmcnt(0)
	v_mul_f64 v[38:39], v[4:5], v[34:35]
	v_fmac_f64_e32 v[38:39], v[6:7], v[32:33]
	v_add_f64 v[44:45], v[36:37], v[38:39]
	ds_read_b128 v[36:39], v2 offset:1504
	v_mul_f64 v[6:7], v[6:7], v[34:35]
	v_fma_f64 v[4:5], v[4:5], v[32:33], -v[6:7]
	s_waitcnt lgkmcnt(0)
	v_mul_f64 v[46:47], v[36:37], v[42:43]
	v_fmac_f64_e32 v[46:47], v[38:39], v[40:41]
	v_add_f64 v[52:53], v[44:45], v[46:47]
	ds_read_b128 v[44:47], v2 offset:1520
	s_waitcnt lgkmcnt(0)
	v_mul_f64 v[54:55], v[44:45], v[50:51]
	v_fmac_f64_e32 v[54:55], v[46:47], v[48:49]
	v_add_f64 v[60:61], v[52:53], v[54:55]
	ds_read_b128 v[52:55], v2 offset:1536
	;; [unrolled: 5-line block ×21, first 2 shown]
	s_waitcnt lgkmcnt(0)
	v_mul_f64 v[2:3], v[206:207], v[212:213]
	v_fmac_f64_e32 v[2:3], v[208:209], v[210:211]
	v_add_f64 v[168:169], v[168:169], v[2:3]
	v_mul_f64 v[2:3], v[18:19], v[22:23]
	v_fma_f64 v[2:3], v[16:17], v[20:21], -v[2:3]
	v_add_f64 v[2:3], v[2:3], 0
	v_add_f64 v[2:3], v[2:3], v[12:13]
	;; [unrolled: 1-line block ×4, first 2 shown]
	v_mul_f64 v[4:5], v[38:39], v[42:43]
	v_fma_f64 v[4:5], v[36:37], v[40:41], -v[4:5]
	v_add_f64 v[2:3], v[2:3], v[4:5]
	v_mul_f64 v[4:5], v[46:47], v[50:51]
	v_fma_f64 v[4:5], v[44:45], v[48:49], -v[4:5]
	v_add_f64 v[2:3], v[2:3], v[4:5]
	v_mul_f64 v[4:5], v[54:55], v[58:59]
	v_fma_f64 v[4:5], v[52:53], v[56:57], -v[4:5]
	v_add_f64 v[2:3], v[2:3], v[4:5]
	v_mul_f64 v[4:5], v[62:63], v[66:67]
	v_fma_f64 v[4:5], v[60:61], v[64:65], -v[4:5]
	v_add_f64 v[2:3], v[2:3], v[4:5]
	v_mul_f64 v[4:5], v[70:71], v[74:75]
	v_fma_f64 v[4:5], v[68:69], v[72:73], -v[4:5]
	v_add_f64 v[2:3], v[2:3], v[4:5]
	v_mul_f64 v[4:5], v[78:79], v[82:83]
	v_fma_f64 v[4:5], v[76:77], v[80:81], -v[4:5]
	v_add_f64 v[2:3], v[2:3], v[4:5]
	v_mul_f64 v[4:5], v[86:87], v[90:91]
	v_fma_f64 v[4:5], v[84:85], v[88:89], -v[4:5]
	v_add_f64 v[2:3], v[2:3], v[4:5]
	v_mul_f64 v[4:5], v[94:95], v[98:99]
	v_fma_f64 v[4:5], v[92:93], v[96:97], -v[4:5]
	v_add_f64 v[2:3], v[2:3], v[4:5]
	v_mul_f64 v[4:5], v[102:103], v[106:107]
	v_fma_f64 v[4:5], v[100:101], v[104:105], -v[4:5]
	v_add_f64 v[2:3], v[2:3], v[4:5]
	v_mul_f64 v[4:5], v[110:111], v[114:115]
	v_fma_f64 v[4:5], v[108:109], v[112:113], -v[4:5]
	v_add_f64 v[2:3], v[2:3], v[4:5]
	v_mul_f64 v[4:5], v[118:119], v[122:123]
	v_fma_f64 v[4:5], v[116:117], v[120:121], -v[4:5]
	v_add_f64 v[2:3], v[2:3], v[4:5]
	v_mul_f64 v[4:5], v[126:127], v[130:131]
	v_fma_f64 v[4:5], v[124:125], v[128:129], -v[4:5]
	v_add_f64 v[2:3], v[2:3], v[4:5]
	v_mul_f64 v[4:5], v[134:135], v[138:139]
	v_fma_f64 v[4:5], v[132:133], v[136:137], -v[4:5]
	v_add_f64 v[2:3], v[2:3], v[4:5]
	v_mul_f64 v[4:5], v[142:143], v[146:147]
	v_fma_f64 v[4:5], v[140:141], v[144:145], -v[4:5]
	v_add_f64 v[2:3], v[2:3], v[4:5]
	v_mul_f64 v[4:5], v[150:151], v[154:155]
	v_fma_f64 v[4:5], v[148:149], v[152:153], -v[4:5]
	v_add_f64 v[2:3], v[2:3], v[4:5]
	v_mul_f64 v[4:5], v[158:159], v[162:163]
	v_fma_f64 v[4:5], v[156:157], v[160:161], -v[4:5]
	v_add_f64 v[2:3], v[2:3], v[4:5]
	v_mul_f64 v[4:5], v[166:167], v[172:173]
	v_fma_f64 v[4:5], v[164:165], v[170:171], -v[4:5]
	v_add_f64 v[2:3], v[2:3], v[4:5]
	v_mul_f64 v[4:5], v[176:177], v[180:181]
	v_fma_f64 v[4:5], v[174:175], v[178:179], -v[4:5]
	v_add_f64 v[2:3], v[2:3], v[4:5]
	v_mul_f64 v[4:5], v[184:185], v[188:189]
	v_fma_f64 v[4:5], v[182:183], v[186:187], -v[4:5]
	v_add_f64 v[2:3], v[2:3], v[4:5]
	v_mul_f64 v[4:5], v[192:193], v[196:197]
	v_fma_f64 v[4:5], v[190:191], v[194:195], -v[4:5]
	v_add_f64 v[2:3], v[2:3], v[4:5]
	v_mul_f64 v[4:5], v[200:201], v[204:205]
	v_fma_f64 v[4:5], v[198:199], v[202:203], -v[4:5]
	v_add_f64 v[2:3], v[2:3], v[4:5]
	v_mul_f64 v[4:5], v[208:209], v[212:213]
	v_fma_f64 v[4:5], v[206:207], v[210:211], -v[4:5]
	v_add_f64 v[6:7], v[2:3], v[4:5]
	scratch_load_dwordx4 v[2:5], off, off offset:512
	s_waitcnt vmcnt(0)
	v_add_f64 v[2:3], v[2:3], -v[6:7]
	v_add_f64 v[4:5], v[4:5], -v[168:169]
	scratch_store_dwordx4 off, v[2:5], off offset:512
	s_and_saveexec_b64 s[0:1], vcc
	s_cbranch_execz .LBB57_301
; %bb.300:
	scratch_load_dwordx4 v[2:5], off, s67
	v_mov_b32_e32 v6, 0
	v_mov_b32_e32 v7, v6
	;; [unrolled: 1-line block ×4, first 2 shown]
	v_accvgpr_read_b32 v0, a117
	scratch_store_dwordx4 off, v[6:9], off offset:496
	s_waitcnt vmcnt(1)
	ds_write_b128 v0, v[2:5]
.LBB57_301:
	s_or_b64 exec, exec, s[0:1]
	v_mov_b32_e32 v2, 0
	s_waitcnt lgkmcnt(0)
	; wave barrier
	ds_read_b128 v[16:19], v2 offset:1424
	ds_read_b128 v[12:15], v2 offset:1440
	;; [unrolled: 1-line block ×4, first 2 shown]
	scratch_load_dwordx4 v[20:23], off, off offset:512
	scratch_load_dwordx4 v[40:43], off, off offset:576
	;; [unrolled: 1-line block ×21, first 2 shown]
	v_cmp_lt_u32_e32 vcc, 29, v242
	scratch_load_dwordx4 v[48:51], off, off offset:592
	scratch_load_dwordx4 v[56:59], off, off offset:608
	;; [unrolled: 1-line block ×3, first 2 shown]
	s_waitcnt vmcnt(23) lgkmcnt(3)
	v_mul_f64 v[24:25], v[16:17], v[22:23]
	v_fmac_f64_e32 v[24:25], v[18:19], v[20:21]
	v_add_f64 v[28:29], v[24:25], 0
	scratch_load_dwordx4 v[24:27], off, off offset:528
	v_mul_f64 v[18:19], v[18:19], v[22:23]
	v_fma_f64 v[16:17], v[16:17], v[20:21], -v[18:19]
	v_add_f64 v[16:17], v[16:17], 0
	s_waitcnt vmcnt(0) lgkmcnt(2)
	v_mul_f64 v[30:31], v[12:13], v[26:27]
	v_fmac_f64_e32 v[30:31], v[14:15], v[24:25]
	v_add_f64 v[32:33], v[28:29], v[30:31]
	scratch_load_dwordx4 v[28:31], off, off offset:544
	v_mul_f64 v[14:15], v[14:15], v[26:27]
	v_fma_f64 v[12:13], v[12:13], v[24:25], -v[14:15]
	v_add_f64 v[12:13], v[16:17], v[12:13]
	;; [unrolled: 8-line block ×3, first 2 shown]
	s_waitcnt vmcnt(0) lgkmcnt(0)
	v_mul_f64 v[38:39], v[4:5], v[34:35]
	v_fmac_f64_e32 v[38:39], v[6:7], v[32:33]
	v_add_f64 v[44:45], v[36:37], v[38:39]
	ds_read_b128 v[36:39], v2 offset:1488
	v_mul_f64 v[6:7], v[6:7], v[34:35]
	v_fma_f64 v[4:5], v[4:5], v[32:33], -v[6:7]
	v_add_f64 v[4:5], v[8:9], v[4:5]
	s_waitcnt lgkmcnt(0)
	v_mul_f64 v[46:47], v[36:37], v[42:43]
	v_fmac_f64_e32 v[46:47], v[38:39], v[40:41]
	v_add_f64 v[52:53], v[44:45], v[46:47]
	ds_read_b128 v[44:47], v2 offset:1504
	v_mul_f64 v[6:7], v[38:39], v[42:43]
	v_fma_f64 v[6:7], v[36:37], v[40:41], -v[6:7]
	v_add_f64 v[4:5], v[4:5], v[6:7]
	s_waitcnt lgkmcnt(0)
	;; [unrolled: 8-line block ×23, first 2 shown]
	v_mul_f64 v[6:7], v[216:217], v[220:221]
	v_fma_f64 v[6:7], v[214:215], v[218:219], -v[6:7]
	v_add_f64 v[8:9], v[4:5], v[6:7]
	scratch_load_dwordx4 v[4:7], off, off offset:496
	v_mul_f64 v[222:223], v[214:215], v[220:221]
	v_fmac_f64_e32 v[222:223], v[216:217], v[218:219]
	v_add_f64 v[160:161], v[160:161], v[222:223]
	s_waitcnt vmcnt(0)
	v_add_f64 v[4:5], v[4:5], -v[8:9]
	v_add_f64 v[6:7], v[6:7], -v[160:161]
	scratch_store_dwordx4 off, v[4:7], off offset:496
	s_and_saveexec_b64 s[0:1], vcc
	s_cbranch_execz .LBB57_303
; %bb.302:
	scratch_load_dwordx4 v[6:9], off, s66
	v_mov_b32_e32 v3, v2
	v_mov_b32_e32 v4, v2
	;; [unrolled: 1-line block ×3, first 2 shown]
	v_accvgpr_read_b32 v0, a117
	scratch_store_dwordx4 off, v[2:5], off offset:480
	s_waitcnt vmcnt(1)
	ds_write_b128 v0, v[6:9]
.LBB57_303:
	s_or_b64 exec, exec, s[0:1]
	s_waitcnt lgkmcnt(0)
	; wave barrier
	ds_read_b128 v[16:19], v2 offset:1408
	ds_read_b128 v[12:15], v2 offset:1424
	;; [unrolled: 1-line block ×4, first 2 shown]
	scratch_load_dwordx4 v[20:23], off, off offset:496
	scratch_load_dwordx4 v[40:43], off, off offset:560
	;; [unrolled: 1-line block ×22, first 2 shown]
	v_cmp_lt_u32_e32 vcc, 28, v242
	scratch_load_dwordx4 v[48:51], off, off offset:576
	scratch_load_dwordx4 v[56:59], off, off offset:592
	;; [unrolled: 1-line block ×3, first 2 shown]
	s_waitcnt vmcnt(24) lgkmcnt(3)
	v_mul_f64 v[24:25], v[16:17], v[22:23]
	v_fmac_f64_e32 v[24:25], v[18:19], v[20:21]
	v_add_f64 v[28:29], v[24:25], 0
	scratch_load_dwordx4 v[24:27], off, off offset:512
	s_waitcnt vmcnt(0) lgkmcnt(2)
	v_mul_f64 v[30:31], v[12:13], v[26:27]
	v_fmac_f64_e32 v[30:31], v[14:15], v[24:25]
	v_add_f64 v[32:33], v[28:29], v[30:31]
	scratch_load_dwordx4 v[28:31], off, off offset:528
	v_mul_f64 v[14:15], v[14:15], v[26:27]
	v_fma_f64 v[12:13], v[12:13], v[24:25], -v[14:15]
	s_waitcnt vmcnt(0) lgkmcnt(1)
	v_mul_f64 v[34:35], v[8:9], v[30:31]
	v_fmac_f64_e32 v[34:35], v[10:11], v[28:29]
	v_add_f64 v[36:37], v[32:33], v[34:35]
	scratch_load_dwordx4 v[32:35], off, off offset:544
	v_mul_f64 v[10:11], v[10:11], v[30:31]
	v_fma_f64 v[8:9], v[8:9], v[28:29], -v[10:11]
	s_waitcnt vmcnt(0) lgkmcnt(0)
	v_mul_f64 v[38:39], v[4:5], v[34:35]
	v_fmac_f64_e32 v[38:39], v[6:7], v[32:33]
	v_add_f64 v[44:45], v[36:37], v[38:39]
	ds_read_b128 v[36:39], v2 offset:1472
	v_mul_f64 v[6:7], v[6:7], v[34:35]
	v_fma_f64 v[4:5], v[4:5], v[32:33], -v[6:7]
	s_waitcnt lgkmcnt(0)
	v_mul_f64 v[46:47], v[36:37], v[42:43]
	v_fmac_f64_e32 v[46:47], v[38:39], v[40:41]
	v_add_f64 v[52:53], v[44:45], v[46:47]
	ds_read_b128 v[44:47], v2 offset:1488
	s_waitcnt lgkmcnt(0)
	v_mul_f64 v[54:55], v[44:45], v[50:51]
	v_fmac_f64_e32 v[54:55], v[46:47], v[48:49]
	v_add_f64 v[60:61], v[52:53], v[54:55]
	ds_read_b128 v[52:55], v2 offset:1504
	;; [unrolled: 5-line block ×23, first 2 shown]
	s_waitcnt lgkmcnt(0)
	v_mul_f64 v[2:3], v[222:223], v[228:229]
	v_fmac_f64_e32 v[2:3], v[224:225], v[226:227]
	v_add_f64 v[176:177], v[176:177], v[2:3]
	v_mul_f64 v[2:3], v[18:19], v[22:23]
	v_fma_f64 v[2:3], v[16:17], v[20:21], -v[2:3]
	v_add_f64 v[2:3], v[2:3], 0
	v_add_f64 v[2:3], v[2:3], v[12:13]
	v_add_f64 v[2:3], v[2:3], v[8:9]
	v_add_f64 v[2:3], v[2:3], v[4:5]
	v_mul_f64 v[4:5], v[38:39], v[42:43]
	v_fma_f64 v[4:5], v[36:37], v[40:41], -v[4:5]
	v_add_f64 v[2:3], v[2:3], v[4:5]
	v_mul_f64 v[4:5], v[46:47], v[50:51]
	v_fma_f64 v[4:5], v[44:45], v[48:49], -v[4:5]
	v_add_f64 v[2:3], v[2:3], v[4:5]
	v_mul_f64 v[4:5], v[54:55], v[58:59]
	v_fma_f64 v[4:5], v[52:53], v[56:57], -v[4:5]
	v_add_f64 v[2:3], v[2:3], v[4:5]
	v_mul_f64 v[4:5], v[62:63], v[66:67]
	v_fma_f64 v[4:5], v[60:61], v[64:65], -v[4:5]
	v_add_f64 v[2:3], v[2:3], v[4:5]
	v_mul_f64 v[4:5], v[70:71], v[74:75]
	v_fma_f64 v[4:5], v[68:69], v[72:73], -v[4:5]
	v_add_f64 v[2:3], v[2:3], v[4:5]
	v_mul_f64 v[4:5], v[78:79], v[82:83]
	v_fma_f64 v[4:5], v[76:77], v[80:81], -v[4:5]
	v_add_f64 v[2:3], v[2:3], v[4:5]
	v_mul_f64 v[4:5], v[86:87], v[90:91]
	v_fma_f64 v[4:5], v[84:85], v[88:89], -v[4:5]
	v_add_f64 v[2:3], v[2:3], v[4:5]
	v_mul_f64 v[4:5], v[94:95], v[98:99]
	v_fma_f64 v[4:5], v[92:93], v[96:97], -v[4:5]
	v_add_f64 v[2:3], v[2:3], v[4:5]
	v_mul_f64 v[4:5], v[102:103], v[106:107]
	v_fma_f64 v[4:5], v[100:101], v[104:105], -v[4:5]
	v_add_f64 v[2:3], v[2:3], v[4:5]
	v_mul_f64 v[4:5], v[110:111], v[114:115]
	v_fma_f64 v[4:5], v[108:109], v[112:113], -v[4:5]
	v_add_f64 v[2:3], v[2:3], v[4:5]
	v_mul_f64 v[4:5], v[118:119], v[122:123]
	v_fma_f64 v[4:5], v[116:117], v[120:121], -v[4:5]
	v_add_f64 v[2:3], v[2:3], v[4:5]
	v_mul_f64 v[4:5], v[126:127], v[130:131]
	v_fma_f64 v[4:5], v[124:125], v[128:129], -v[4:5]
	v_add_f64 v[2:3], v[2:3], v[4:5]
	v_mul_f64 v[4:5], v[134:135], v[138:139]
	v_fma_f64 v[4:5], v[132:133], v[136:137], -v[4:5]
	v_add_f64 v[2:3], v[2:3], v[4:5]
	v_mul_f64 v[4:5], v[142:143], v[146:147]
	v_fma_f64 v[4:5], v[140:141], v[144:145], -v[4:5]
	v_add_f64 v[2:3], v[2:3], v[4:5]
	v_mul_f64 v[4:5], v[150:151], v[154:155]
	v_fma_f64 v[4:5], v[148:149], v[152:153], -v[4:5]
	v_add_f64 v[2:3], v[2:3], v[4:5]
	v_mul_f64 v[4:5], v[158:159], v[162:163]
	v_fma_f64 v[4:5], v[156:157], v[160:161], -v[4:5]
	v_add_f64 v[2:3], v[2:3], v[4:5]
	v_mul_f64 v[4:5], v[166:167], v[170:171]
	v_fma_f64 v[4:5], v[164:165], v[168:169], -v[4:5]
	v_add_f64 v[2:3], v[2:3], v[4:5]
	v_mul_f64 v[4:5], v[174:175], v[180:181]
	v_fma_f64 v[4:5], v[172:173], v[178:179], -v[4:5]
	v_add_f64 v[2:3], v[2:3], v[4:5]
	v_mul_f64 v[4:5], v[184:185], v[188:189]
	v_fma_f64 v[4:5], v[182:183], v[186:187], -v[4:5]
	v_add_f64 v[2:3], v[2:3], v[4:5]
	v_mul_f64 v[4:5], v[192:193], v[196:197]
	v_fma_f64 v[4:5], v[190:191], v[194:195], -v[4:5]
	v_add_f64 v[2:3], v[2:3], v[4:5]
	v_mul_f64 v[4:5], v[200:201], v[204:205]
	v_fma_f64 v[4:5], v[198:199], v[202:203], -v[4:5]
	v_add_f64 v[2:3], v[2:3], v[4:5]
	v_mul_f64 v[4:5], v[208:209], v[212:213]
	v_fma_f64 v[4:5], v[206:207], v[210:211], -v[4:5]
	v_add_f64 v[2:3], v[2:3], v[4:5]
	v_mul_f64 v[4:5], v[216:217], v[220:221]
	v_fma_f64 v[4:5], v[214:215], v[218:219], -v[4:5]
	v_add_f64 v[2:3], v[2:3], v[4:5]
	v_mul_f64 v[4:5], v[224:225], v[228:229]
	v_fma_f64 v[4:5], v[222:223], v[226:227], -v[4:5]
	v_add_f64 v[6:7], v[2:3], v[4:5]
	scratch_load_dwordx4 v[2:5], off, off offset:480
	s_waitcnt vmcnt(0)
	v_add_f64 v[2:3], v[2:3], -v[6:7]
	v_add_f64 v[4:5], v[4:5], -v[176:177]
	scratch_store_dwordx4 off, v[2:5], off offset:480
	s_and_saveexec_b64 s[0:1], vcc
	s_cbranch_execz .LBB57_305
; %bb.304:
	scratch_load_dwordx4 v[2:5], off, s65
	v_mov_b32_e32 v6, 0
	v_mov_b32_e32 v7, v6
	v_mov_b32_e32 v8, v6
	v_mov_b32_e32 v9, v6
	v_accvgpr_read_b32 v0, a117
	scratch_store_dwordx4 off, v[6:9], off offset:464
	s_waitcnt vmcnt(1)
	ds_write_b128 v0, v[2:5]
.LBB57_305:
	s_or_b64 exec, exec, s[0:1]
	v_mov_b32_e32 v2, 0
	s_waitcnt lgkmcnt(0)
	; wave barrier
	ds_read_b128 v[16:19], v2 offset:1392
	ds_read_b128 v[12:15], v2 offset:1408
	;; [unrolled: 1-line block ×4, first 2 shown]
	scratch_load_dwordx4 v[20:23], off, off offset:480
	scratch_load_dwordx4 v[40:43], off, off offset:544
	;; [unrolled: 1-line block ×23, first 2 shown]
	v_cmp_lt_u32_e32 vcc, 27, v242
	scratch_load_dwordx4 v[48:51], off, off offset:560
	scratch_load_dwordx4 v[56:59], off, off offset:576
	;; [unrolled: 1-line block ×3, first 2 shown]
	s_waitcnt vmcnt(25) lgkmcnt(3)
	v_mul_f64 v[24:25], v[16:17], v[22:23]
	v_fmac_f64_e32 v[24:25], v[18:19], v[20:21]
	v_add_f64 v[28:29], v[24:25], 0
	scratch_load_dwordx4 v[24:27], off, off offset:496
	v_mul_f64 v[18:19], v[18:19], v[22:23]
	v_fma_f64 v[16:17], v[16:17], v[20:21], -v[18:19]
	v_add_f64 v[16:17], v[16:17], 0
	s_waitcnt vmcnt(0) lgkmcnt(2)
	v_mul_f64 v[30:31], v[12:13], v[26:27]
	v_fmac_f64_e32 v[30:31], v[14:15], v[24:25]
	v_add_f64 v[32:33], v[28:29], v[30:31]
	scratch_load_dwordx4 v[28:31], off, off offset:512
	v_mul_f64 v[14:15], v[14:15], v[26:27]
	v_fma_f64 v[12:13], v[12:13], v[24:25], -v[14:15]
	v_add_f64 v[12:13], v[16:17], v[12:13]
	;; [unrolled: 8-line block ×3, first 2 shown]
	s_waitcnt vmcnt(0) lgkmcnt(0)
	v_mul_f64 v[38:39], v[4:5], v[34:35]
	v_fmac_f64_e32 v[38:39], v[6:7], v[32:33]
	v_add_f64 v[44:45], v[36:37], v[38:39]
	ds_read_b128 v[36:39], v2 offset:1456
	v_mul_f64 v[6:7], v[6:7], v[34:35]
	v_fma_f64 v[4:5], v[4:5], v[32:33], -v[6:7]
	v_add_f64 v[4:5], v[8:9], v[4:5]
	s_waitcnt lgkmcnt(0)
	v_mul_f64 v[46:47], v[36:37], v[42:43]
	v_fmac_f64_e32 v[46:47], v[38:39], v[40:41]
	v_add_f64 v[52:53], v[44:45], v[46:47]
	ds_read_b128 v[44:47], v2 offset:1472
	v_mul_f64 v[6:7], v[38:39], v[42:43]
	v_fma_f64 v[6:7], v[36:37], v[40:41], -v[6:7]
	v_add_f64 v[4:5], v[4:5], v[6:7]
	s_waitcnt lgkmcnt(0)
	;; [unrolled: 8-line block ×25, first 2 shown]
	v_mul_f64 v[6:7], v[232:233], v[236:237]
	v_fma_f64 v[6:7], v[230:231], v[234:235], -v[6:7]
	v_add_f64 v[8:9], v[4:5], v[6:7]
	scratch_load_dwordx4 v[4:7], off, off offset:464
	v_mul_f64 v[238:239], v[230:231], v[236:237]
	v_fmac_f64_e32 v[238:239], v[232:233], v[234:235]
	v_add_f64 v[176:177], v[176:177], v[238:239]
	s_waitcnt vmcnt(0)
	v_add_f64 v[4:5], v[4:5], -v[8:9]
	v_add_f64 v[6:7], v[6:7], -v[176:177]
	scratch_store_dwordx4 off, v[4:7], off offset:464
	s_and_saveexec_b64 s[0:1], vcc
	s_cbranch_execz .LBB57_307
; %bb.306:
	scratch_load_dwordx4 v[6:9], off, s64
	v_mov_b32_e32 v3, v2
	v_mov_b32_e32 v4, v2
	;; [unrolled: 1-line block ×3, first 2 shown]
	v_accvgpr_read_b32 v0, a117
	scratch_store_dwordx4 off, v[2:5], off offset:448
	s_waitcnt vmcnt(1)
	ds_write_b128 v0, v[6:9]
.LBB57_307:
	s_or_b64 exec, exec, s[0:1]
	s_waitcnt lgkmcnt(0)
	; wave barrier
	ds_read_b128 v[16:19], v2 offset:1376
	ds_read_b128 v[12:15], v2 offset:1392
	;; [unrolled: 1-line block ×4, first 2 shown]
	scratch_load_dwordx4 v[20:23], off, off offset:464
	scratch_load_dwordx4 v[40:43], off, off offset:528
	;; [unrolled: 1-line block ×24, first 2 shown]
	v_cmp_lt_u32_e32 vcc, 26, v242
	scratch_load_dwordx4 v[48:51], off, off offset:544
	scratch_load_dwordx4 v[56:59], off, off offset:560
	;; [unrolled: 1-line block ×3, first 2 shown]
	ds_read_b128 v[244:247], v2 offset:1840
	s_waitcnt vmcnt(26) lgkmcnt(4)
	v_mul_f64 v[24:25], v[16:17], v[22:23]
	v_fmac_f64_e32 v[24:25], v[18:19], v[20:21]
	v_add_f64 v[28:29], v[24:25], 0
	scratch_load_dwordx4 v[24:27], off, off offset:480
	s_waitcnt vmcnt(0) lgkmcnt(3)
	v_mul_f64 v[30:31], v[12:13], v[26:27]
	v_fmac_f64_e32 v[30:31], v[14:15], v[24:25]
	v_add_f64 v[32:33], v[28:29], v[30:31]
	scratch_load_dwordx4 v[28:31], off, off offset:496
	v_mul_f64 v[14:15], v[14:15], v[26:27]
	v_fma_f64 v[12:13], v[12:13], v[24:25], -v[14:15]
	s_waitcnt vmcnt(0) lgkmcnt(2)
	v_mul_f64 v[34:35], v[8:9], v[30:31]
	v_fmac_f64_e32 v[34:35], v[10:11], v[28:29]
	v_add_f64 v[36:37], v[32:33], v[34:35]
	scratch_load_dwordx4 v[32:35], off, off offset:512
	v_mul_f64 v[10:11], v[10:11], v[30:31]
	v_fma_f64 v[8:9], v[8:9], v[28:29], -v[10:11]
	s_waitcnt vmcnt(0) lgkmcnt(1)
	v_mul_f64 v[38:39], v[4:5], v[34:35]
	v_fmac_f64_e32 v[38:39], v[6:7], v[32:33]
	v_add_f64 v[44:45], v[36:37], v[38:39]
	ds_read_b128 v[36:39], v2 offset:1440
	v_mul_f64 v[6:7], v[6:7], v[34:35]
	v_fma_f64 v[4:5], v[4:5], v[32:33], -v[6:7]
	s_waitcnt lgkmcnt(0)
	v_mul_f64 v[46:47], v[36:37], v[42:43]
	v_fmac_f64_e32 v[46:47], v[38:39], v[40:41]
	v_add_f64 v[52:53], v[44:45], v[46:47]
	ds_read_b128 v[44:47], v2 offset:1456
	s_waitcnt lgkmcnt(0)
	v_mul_f64 v[54:55], v[44:45], v[50:51]
	v_fmac_f64_e32 v[54:55], v[46:47], v[48:49]
	v_add_f64 v[60:61], v[52:53], v[54:55]
	ds_read_b128 v[52:55], v2 offset:1472
	;; [unrolled: 5-line block ×24, first 2 shown]
	v_mul_f64 v[2:3], v[244:245], v[250:251]
	v_fmac_f64_e32 v[2:3], v[246:247], v[248:249]
	s_waitcnt lgkmcnt(0)
	v_mul_f64 v[238:239], v[230:231], v[236:237]
	v_fmac_f64_e32 v[238:239], v[232:233], v[234:235]
	v_add_f64 v[184:185], v[184:185], v[238:239]
	v_add_f64 v[184:185], v[184:185], v[2:3]
	v_mul_f64 v[2:3], v[18:19], v[22:23]
	v_fma_f64 v[2:3], v[16:17], v[20:21], -v[2:3]
	v_add_f64 v[2:3], v[2:3], 0
	v_add_f64 v[2:3], v[2:3], v[12:13]
	;; [unrolled: 1-line block ×4, first 2 shown]
	v_mul_f64 v[4:5], v[38:39], v[42:43]
	v_fma_f64 v[4:5], v[36:37], v[40:41], -v[4:5]
	v_add_f64 v[2:3], v[2:3], v[4:5]
	v_mul_f64 v[4:5], v[46:47], v[50:51]
	v_fma_f64 v[4:5], v[44:45], v[48:49], -v[4:5]
	v_add_f64 v[2:3], v[2:3], v[4:5]
	;; [unrolled: 3-line block ×26, first 2 shown]
	scratch_load_dwordx4 v[2:5], off, off offset:448
	s_waitcnt vmcnt(0)
	v_add_f64 v[2:3], v[2:3], -v[6:7]
	v_add_f64 v[4:5], v[4:5], -v[184:185]
	scratch_store_dwordx4 off, v[2:5], off offset:448
	s_and_saveexec_b64 s[0:1], vcc
	s_cbranch_execz .LBB57_309
; %bb.308:
	scratch_load_dwordx4 v[2:5], off, s63
	v_mov_b32_e32 v6, 0
	v_mov_b32_e32 v7, v6
	;; [unrolled: 1-line block ×4, first 2 shown]
	v_accvgpr_read_b32 v0, a117
	scratch_store_dwordx4 off, v[6:9], off offset:432
	s_waitcnt vmcnt(1)
	ds_write_b128 v0, v[2:5]
.LBB57_309:
	s_or_b64 exec, exec, s[0:1]
	s_waitcnt lgkmcnt(0)
	; wave barrier
	scratch_load_dwordx4 v[16:19], off, off offset:448
	scratch_load_dwordx4 v[12:15], off, off offset:464
	;; [unrolled: 1-line block ×32, first 2 shown]
	v_mov_b32_e32 v2, 0
	ds_read_b128 v[132:135], v2 offset:1360
	ds_read_b128 v[136:139], v2 offset:1376
	;; [unrolled: 1-line block ×17, first 2 shown]
	v_cmp_lt_u32_e32 vcc, 25, v242
	s_waitcnt vmcnt(31) lgkmcnt(14)
	v_mul_f64 v[200:201], v[132:133], v[18:19]
	s_waitcnt vmcnt(30)
	v_mul_f64 v[202:203], v[136:137], v[14:15]
	v_fmac_f64_e32 v[200:201], v[134:135], v[16:17]
	s_waitcnt vmcnt(29)
	v_mul_f64 v[204:205], v[140:141], v[10:11]
	v_fmac_f64_e32 v[202:203], v[138:139], v[12:13]
	v_add_f64 v[200:201], v[200:201], 0
	s_waitcnt vmcnt(28) lgkmcnt(13)
	v_mul_f64 v[206:207], v[144:145], v[6:7]
	v_fmac_f64_e32 v[204:205], v[142:143], v[8:9]
	v_add_f64 v[200:201], v[200:201], v[202:203]
	s_waitcnt vmcnt(27) lgkmcnt(12)
	;; [unrolled: 4-line block ×12, first 2 shown]
	v_mul_f64 v[228:229], v[188:189], v[62:63]
	v_fmac_f64_e32 v[226:227], v[186:187], v[56:57]
	v_add_f64 v[200:201], v[200:201], v[224:225]
	v_fmac_f64_e32 v[228:229], v[190:191], v[60:61]
	v_add_f64 v[200:201], v[200:201], v[226:227]
	s_waitcnt vmcnt(16) lgkmcnt(1)
	v_mul_f64 v[202:203], v[192:193], v[66:67]
	v_add_f64 v[200:201], v[200:201], v[228:229]
	v_fmac_f64_e32 v[202:203], v[194:195], v[64:65]
	s_waitcnt vmcnt(15) lgkmcnt(0)
	v_mul_f64 v[206:207], v[196:197], v[70:71]
	v_add_f64 v[204:205], v[200:201], v[202:203]
	ds_read_b128 v[200:203], v2 offset:1632
	v_fmac_f64_e32 v[206:207], v[198:199], v[68:69]
	v_add_f64 v[208:209], v[204:205], v[206:207]
	ds_read_b128 v[204:207], v2 offset:1648
	v_mul_f64 v[18:19], v[134:135], v[18:19]
	s_waitcnt vmcnt(14) lgkmcnt(1)
	v_mul_f64 v[210:211], v[200:201], v[74:75]
	v_fmac_f64_e32 v[210:211], v[202:203], v[72:73]
	v_add_f64 v[212:213], v[208:209], v[210:211]
	s_waitcnt vmcnt(13) lgkmcnt(0)
	v_mul_f64 v[214:215], v[204:205], v[78:79]
	ds_read_b128 v[208:211], v2 offset:1664
	v_fmac_f64_e32 v[214:215], v[206:207], v[76:77]
	v_add_f64 v[216:217], v[212:213], v[214:215]
	ds_read_b128 v[212:215], v2 offset:1680
	v_fma_f64 v[246:247], v[132:133], v[16:17], -v[18:19]
	s_waitcnt vmcnt(12) lgkmcnt(1)
	v_mul_f64 v[218:219], v[208:209], v[82:83]
	v_fmac_f64_e32 v[218:219], v[210:211], v[80:81]
	v_add_f64 v[220:221], v[216:217], v[218:219]
	s_waitcnt vmcnt(11) lgkmcnt(0)
	v_mul_f64 v[222:223], v[212:213], v[86:87]
	ds_read_b128 v[216:219], v2 offset:1696
	v_fmac_f64_e32 v[222:223], v[214:215], v[84:85]
	v_add_f64 v[224:225], v[220:221], v[222:223]
	ds_read_b128 v[220:223], v2 offset:1712
	ds_read_b128 v[16:19], v2 offset:1792
	s_waitcnt vmcnt(10) lgkmcnt(2)
	v_mul_f64 v[226:227], v[216:217], v[90:91]
	v_fmac_f64_e32 v[226:227], v[218:219], v[88:89]
	v_add_f64 v[228:229], v[224:225], v[226:227]
	s_waitcnt vmcnt(9) lgkmcnt(1)
	v_mul_f64 v[230:231], v[220:221], v[94:95]
	ds_read_b128 v[224:227], v2 offset:1728
	v_fmac_f64_e32 v[230:231], v[222:223], v[92:93]
	v_add_f64 v[232:233], v[228:229], v[230:231]
	ds_read_b128 v[228:231], v2 offset:1744
	v_mul_f64 v[14:15], v[138:139], v[14:15]
	s_waitcnt vmcnt(8) lgkmcnt(1)
	v_mul_f64 v[234:235], v[224:225], v[98:99]
	v_fmac_f64_e32 v[234:235], v[226:227], v[96:97]
	v_add_f64 v[236:237], v[232:233], v[234:235]
	s_waitcnt vmcnt(7) lgkmcnt(0)
	v_mul_f64 v[238:239], v[228:229], v[102:103]
	ds_read_b128 v[232:235], v2 offset:1760
	v_fmac_f64_e32 v[238:239], v[230:231], v[100:101]
	v_add_f64 v[244:245], v[236:237], v[238:239]
	ds_read_b128 v[236:239], v2 offset:1776
	v_fma_f64 v[136:137], v[136:137], v[12:13], -v[14:15]
	s_waitcnt vmcnt(6) lgkmcnt(1)
	v_mul_f64 v[132:133], v[232:233], v[106:107]
	v_fmac_f64_e32 v[132:133], v[234:235], v[104:105]
	v_add_f64 v[132:133], v[244:245], v[132:133]
	s_waitcnt vmcnt(5) lgkmcnt(0)
	v_mul_f64 v[134:135], v[236:237], v[110:111]
	v_fmac_f64_e32 v[134:135], v[238:239], v[108:109]
	v_add_f64 v[132:133], v[132:133], v[134:135]
	ds_read_b128 v[12:15], v2 offset:1808
	s_waitcnt vmcnt(4)
	v_mul_f64 v[134:135], v[16:17], v[114:115]
	v_fmac_f64_e32 v[134:135], v[18:19], v[112:113]
	v_add_f64 v[138:139], v[132:133], v[134:135]
	ds_read_b128 v[132:135], v2 offset:1824
	v_mul_f64 v[10:11], v[142:143], v[10:11]
	v_fma_f64 v[140:141], v[140:141], v[8:9], -v[10:11]
	ds_read_b128 v[8:11], v2 offset:1840
	s_waitcnt vmcnt(3) lgkmcnt(2)
	v_mul_f64 v[142:143], v[12:13], v[118:119]
	v_fmac_f64_e32 v[142:143], v[14:15], v[116:117]
	v_add_f64 v[138:139], v[138:139], v[142:143]
	s_waitcnt vmcnt(2) lgkmcnt(1)
	v_mul_f64 v[142:143], v[132:133], v[122:123]
	v_fmac_f64_e32 v[142:143], v[134:135], v[120:121]
	v_add_f64 v[138:139], v[138:139], v[142:143]
	;; [unrolled: 4-line block ×3, first 2 shown]
	v_add_f64 v[142:143], v[246:247], 0
	v_add_f64 v[136:137], v[142:143], v[136:137]
	v_mul_f64 v[6:7], v[146:147], v[6:7]
	v_add_f64 v[136:137], v[136:137], v[140:141]
	v_fma_f64 v[4:5], v[144:145], v[4:5], -v[6:7]
	v_mul_f64 v[6:7], v[150:151], v[22:23]
	v_add_f64 v[4:5], v[136:137], v[4:5]
	v_fma_f64 v[6:7], v[148:149], v[20:21], -v[6:7]
	v_add_f64 v[4:5], v[4:5], v[6:7]
	v_mul_f64 v[6:7], v[154:155], v[26:27]
	v_fma_f64 v[6:7], v[152:153], v[24:25], -v[6:7]
	v_add_f64 v[4:5], v[4:5], v[6:7]
	v_mul_f64 v[6:7], v[158:159], v[30:31]
	;; [unrolled: 3-line block ×26, first 2 shown]
	v_fma_f64 v[6:7], v[8:9], v[124:125], -v[6:7]
	v_add_f64 v[4:5], v[4:5], v[6:7]
	s_waitcnt vmcnt(0)
	v_add_f64 v[4:5], v[128:129], -v[4:5]
	v_add_f64 v[6:7], v[130:131], -v[138:139]
	scratch_store_dwordx4 off, v[4:7], off offset:432
	s_and_saveexec_b64 s[0:1], vcc
	s_cbranch_execz .LBB57_311
; %bb.310:
	scratch_load_dwordx4 v[6:9], off, s62
	v_mov_b32_e32 v3, v2
	v_mov_b32_e32 v4, v2
	;; [unrolled: 1-line block ×3, first 2 shown]
	v_accvgpr_read_b32 v0, a117
	scratch_store_dwordx4 off, v[2:5], off offset:416
	s_waitcnt vmcnt(1)
	ds_write_b128 v0, v[6:9]
.LBB57_311:
	s_or_b64 exec, exec, s[0:1]
	s_waitcnt lgkmcnt(0)
	; wave barrier
	scratch_load_dwordx4 v[140:143], off, off offset:432
	scratch_load_dwordx4 v[148:151], off, off offset:448
	scratch_load_dwordx4 v[152:155], off, off offset:464
	scratch_load_dwordx4 v[4:7], off, off offset:480
	scratch_load_dwordx4 v[8:11], off, off offset:496
	scratch_load_dwordx4 v[12:15], off, off offset:512
	scratch_load_dwordx4 v[16:19], off, off offset:528
	scratch_load_dwordx4 v[20:23], off, off offset:544
	scratch_load_dwordx4 v[24:27], off, off offset:560
	scratch_load_dwordx4 v[28:31], off, off offset:576
	scratch_load_dwordx4 v[32:35], off, off offset:592
	scratch_load_dwordx4 v[36:39], off, off offset:608
	scratch_load_dwordx4 v[40:43], off, off offset:624
	scratch_load_dwordx4 v[44:47], off, off offset:640
	scratch_load_dwordx4 v[48:51], off, off offset:656
	scratch_load_dwordx4 v[52:55], off, off offset:672
	ds_read_b128 v[188:191], v2 offset:1344
	ds_read_b128 v[184:187], v2 offset:1360
	scratch_load_dwordx4 v[56:59], off, off offset:688
	ds_read_b128 v[192:195], v2 offset:1376
	ds_read_b128 v[68:71], v2 offset:1392
	scratch_load_dwordx4 v[60:63], off, off offset:704
	ds_read_b128 v[88:91], v2 offset:1408
	ds_read_b128 v[84:87], v2 offset:1424
	;; [unrolled: 1-line block ×4, first 2 shown]
	scratch_load_dwordx4 v[64:67], off, off offset:720
	ds_read_b128 v[100:103], v2 offset:1472
	ds_read_b128 v[96:99], v2 offset:1488
	scratch_load_dwordx4 v[72:75], off, off offset:736
	ds_read_b128 v[116:119], v2 offset:1504
	ds_read_b128 v[112:115], v2 offset:1520
	;; [unrolled: 1-line block ×4, first 2 shown]
	scratch_load_dwordx4 v[92:95], off, off offset:752
	ds_read_b128 v[132:135], v2 offset:1568
	ds_read_b128 v[128:131], v2 offset:1584
	ds_read_b128 v[124:127], v2 offset:1600
	scratch_load_dwordx4 v[120:123], off, off offset:768
	scratch_load_dwordx4 v[136:139], off, off offset:784
	scratch_load_dwordx4 v[144:147], off, off offset:800
	scratch_load_dwordx4 v[156:159], off, off offset:816
	scratch_load_dwordx4 v[160:163], off, off offset:832
	scratch_load_dwordx4 v[164:167], off, off offset:848
	scratch_load_dwordx4 v[168:171], off, off offset:864
	scratch_load_dwordx4 v[172:175], off, off offset:880
	scratch_load_dwordx4 v[176:179], off, off offset:896
	scratch_load_dwordx4 v[180:183], off, off offset:912
	scratch_load_dwordx4 v[196:199], off, off offset:928
	v_cmp_lt_u32_e32 vcc, 24, v242
	s_waitcnt vmcnt(31) lgkmcnt(14)
	v_mul_f64 v[200:201], v[188:189], v[142:143]
	s_waitcnt vmcnt(30)
	v_mul_f64 v[202:203], v[184:185], v[150:151]
	v_fmac_f64_e32 v[200:201], v[190:191], v[140:141]
	s_waitcnt vmcnt(29)
	v_mul_f64 v[204:205], v[192:193], v[154:155]
	v_fmac_f64_e32 v[202:203], v[186:187], v[148:149]
	v_add_f64 v[200:201], v[200:201], 0
	s_waitcnt vmcnt(28) lgkmcnt(13)
	v_mul_f64 v[206:207], v[68:69], v[6:7]
	v_fmac_f64_e32 v[204:205], v[194:195], v[152:153]
	v_add_f64 v[200:201], v[200:201], v[202:203]
	s_waitcnt vmcnt(27) lgkmcnt(12)
	;; [unrolled: 4-line block ×13, first 2 shown]
	v_mul_f64 v[230:231], v[128:129], v[54:55]
	v_fmac_f64_e32 v[228:229], v[134:135], v[48:49]
	v_add_f64 v[200:201], v[200:201], v[226:227]
	v_add_f64 v[200:201], v[200:201], v[228:229]
	v_fmac_f64_e32 v[230:231], v[130:131], v[52:53]
	v_add_f64 v[204:205], v[200:201], v[230:231]
	ds_read_b128 v[200:203], v2 offset:1616
	s_waitcnt vmcnt(15) lgkmcnt(1)
	v_mul_f64 v[206:207], v[124:125], v[58:59]
	v_fmac_f64_e32 v[206:207], v[126:127], v[56:57]
	v_add_f64 v[208:209], v[204:205], v[206:207]
	ds_read_b128 v[204:207], v2 offset:1632
	s_waitcnt vmcnt(14) lgkmcnt(1)
	v_mul_f64 v[210:211], v[200:201], v[62:63]
	;; [unrolled: 5-line block ×10, first 2 shown]
	v_fmac_f64_e32 v[246:247], v[234:235], v[160:161]
	v_mul_f64 v[142:143], v[190:191], v[142:143]
	v_add_f64 v[246:247], v[244:245], v[246:247]
	v_fma_f64 v[244:245], v[188:189], v[140:141], -v[142:143]
	ds_read_b128 v[140:143], v2 offset:1776
	s_waitcnt vmcnt(5) lgkmcnt(1)
	v_mul_f64 v[188:189], v[236:237], v[166:167]
	v_fmac_f64_e32 v[188:189], v[238:239], v[164:165]
	v_mul_f64 v[150:151], v[186:187], v[150:151]
	v_add_f64 v[188:189], v[246:247], v[188:189]
	v_fma_f64 v[246:247], v[184:185], v[148:149], -v[150:151]
	ds_read_b128 v[148:151], v2 offset:1792
	s_waitcnt vmcnt(4) lgkmcnt(1)
	v_mul_f64 v[184:185], v[140:141], v[170:171]
	v_fmac_f64_e32 v[184:185], v[142:143], v[168:169]
	v_add_f64 v[188:189], v[188:189], v[184:185]
	ds_read_b128 v[184:187], v2 offset:1808
	v_mul_f64 v[154:155], v[194:195], v[154:155]
	s_waitcnt vmcnt(3) lgkmcnt(1)
	v_mul_f64 v[190:191], v[148:149], v[174:175]
	v_fma_f64 v[250:251], v[192:193], v[152:153], -v[154:155]
	ds_read_b128 v[152:155], v2 offset:1824
	v_fmac_f64_e32 v[190:191], v[150:151], v[172:173]
	v_add_f64 v[248:249], v[188:189], v[190:191]
	ds_read_b128 v[188:191], v2 offset:1840
	s_waitcnt vmcnt(2) lgkmcnt(2)
	v_mul_f64 v[192:193], v[184:185], v[178:179]
	v_fmac_f64_e32 v[192:193], v[186:187], v[176:177]
	v_add_f64 v[2:3], v[248:249], v[192:193]
	s_waitcnt vmcnt(1) lgkmcnt(1)
	v_mul_f64 v[192:193], v[152:153], v[182:183]
	v_fmac_f64_e32 v[192:193], v[154:155], v[180:181]
	v_add_f64 v[2:3], v[2:3], v[192:193]
	;; [unrolled: 4-line block ×3, first 2 shown]
	scratch_load_dwordx4 v[192:195], off, off offset:416
	v_add_f64 v[244:245], v[244:245], 0
	v_add_f64 v[244:245], v[244:245], v[246:247]
	v_mul_f64 v[6:7], v[70:71], v[6:7]
	v_add_f64 v[244:245], v[244:245], v[250:251]
	v_fma_f64 v[4:5], v[68:69], v[4:5], -v[6:7]
	v_mul_f64 v[6:7], v[90:91], v[10:11]
	v_add_f64 v[4:5], v[244:245], v[4:5]
	v_fma_f64 v[6:7], v[88:89], v[8:9], -v[6:7]
	v_add_f64 v[4:5], v[4:5], v[6:7]
	v_mul_f64 v[6:7], v[86:87], v[14:15]
	v_fma_f64 v[6:7], v[84:85], v[12:13], -v[6:7]
	v_add_f64 v[4:5], v[4:5], v[6:7]
	v_mul_f64 v[6:7], v[82:83], v[18:19]
	;; [unrolled: 3-line block ×27, first 2 shown]
	v_fma_f64 v[6:7], v[188:189], v[196:197], -v[6:7]
	v_add_f64 v[4:5], v[4:5], v[6:7]
	s_waitcnt vmcnt(0)
	v_add_f64 v[4:5], v[192:193], -v[4:5]
	v_add_f64 v[6:7], v[194:195], -v[2:3]
	scratch_store_dwordx4 off, v[4:7], off offset:416
	s_and_saveexec_b64 s[0:1], vcc
	s_cbranch_execz .LBB57_313
; %bb.312:
	scratch_load_dwordx4 v[2:5], off, s61
	v_mov_b32_e32 v6, 0
	v_mov_b32_e32 v7, v6
	;; [unrolled: 1-line block ×4, first 2 shown]
	v_accvgpr_read_b32 v0, a117
	scratch_store_dwordx4 off, v[6:9], off offset:400
	s_waitcnt vmcnt(1)
	ds_write_b128 v0, v[2:5]
.LBB57_313:
	s_or_b64 exec, exec, s[0:1]
	s_waitcnt lgkmcnt(0)
	; wave barrier
	scratch_load_dwordx4 v[108:111], off, off offset:416
	scratch_load_dwordx4 v[116:119], off, off offset:432
	;; [unrolled: 1-line block ×33, first 2 shown]
	v_mov_b32_e32 v2, 0
	ds_read_b128 v[220:223], v2 offset:1328
	ds_read_b128 v[224:227], v2 offset:1344
	;; [unrolled: 1-line block ×16, first 2 shown]
	v_cmp_lt_u32_e32 vcc, 23, v242
	s_waitcnt vmcnt(32) lgkmcnt(14)
	v_mul_f64 v[180:181], v[220:221], v[110:111]
	s_waitcnt vmcnt(31)
	v_mul_f64 v[182:183], v[224:225], v[118:119]
	v_fmac_f64_e32 v[180:181], v[222:223], v[108:109]
	s_waitcnt vmcnt(30) lgkmcnt(13)
	v_mul_f64 v[184:185], v[234:235], v[122:123]
	v_fmac_f64_e32 v[182:183], v[226:227], v[116:117]
	v_add_f64 v[180:181], v[180:181], 0
	s_waitcnt vmcnt(29) lgkmcnt(12)
	v_mul_f64 v[186:187], v[244:245], v[126:127]
	v_fmac_f64_e32 v[184:185], v[236:237], v[120:121]
	v_add_f64 v[180:181], v[180:181], v[182:183]
	;; [unrolled: 4-line block ×13, first 2 shown]
	v_fmac_f64_e32 v[208:209], v[142:143], v[40:41]
	v_add_f64 v[180:181], v[180:181], v[206:207]
	v_add_f64 v[184:185], v[180:181], v[208:209]
	ds_read_b128 v[180:183], v2 offset:1584
	s_waitcnt vmcnt(17) lgkmcnt(1)
	v_mul_f64 v[186:187], v[136:137], v[46:47]
	v_fmac_f64_e32 v[186:187], v[138:139], v[44:45]
	v_add_f64 v[188:189], v[184:185], v[186:187]
	ds_read_b128 v[184:187], v2 offset:1600
	s_waitcnt vmcnt(16) lgkmcnt(1)
	v_mul_f64 v[190:191], v[180:181], v[50:51]
	v_fmac_f64_e32 v[190:191], v[182:183], v[48:49]
	;; [unrolled: 5-line block ×10, first 2 shown]
	v_mul_f64 v[110:111], v[222:223], v[110:111]
	v_add_f64 v[228:229], v[228:229], v[230:231]
	v_fma_f64 v[230:231], v[220:221], v[108:109], -v[110:111]
	ds_read_b128 v[108:111], v2 offset:1744
	s_waitcnt vmcnt(7) lgkmcnt(1)
	v_mul_f64 v[220:221], v[216:217], v[86:87]
	v_mul_f64 v[118:119], v[226:227], v[118:119]
	v_fmac_f64_e32 v[220:221], v[218:219], v[84:85]
	v_fma_f64 v[232:233], v[224:225], v[116:117], -v[118:119]
	ds_read_b128 v[116:119], v2 offset:1760
	s_waitcnt vmcnt(6) lgkmcnt(1)
	v_mul_f64 v[222:223], v[108:109], v[90:91]
	v_add_f64 v[220:221], v[228:229], v[220:221]
	v_fmac_f64_e32 v[222:223], v[110:111], v[88:89]
	v_add_f64 v[224:225], v[220:221], v[222:223]
	ds_read_b128 v[220:223], v2 offset:1776
	v_mul_f64 v[122:123], v[236:237], v[122:123]
	v_fma_f64 v[234:235], v[234:235], v[120:121], -v[122:123]
	ds_read_b128 v[120:123], v2 offset:1792
	s_waitcnt vmcnt(5) lgkmcnt(2)
	v_mul_f64 v[226:227], v[116:117], v[94:95]
	v_fmac_f64_e32 v[226:227], v[118:119], v[92:93]
	v_mul_f64 v[126:127], v[246:247], v[126:127]
	v_add_f64 v[224:225], v[224:225], v[226:227]
	s_waitcnt vmcnt(4) lgkmcnt(1)
	v_mul_f64 v[226:227], v[220:221], v[98:99]
	v_fma_f64 v[236:237], v[244:245], v[124:125], -v[126:127]
	ds_read_b128 v[124:127], v2 offset:1808
	v_fmac_f64_e32 v[226:227], v[222:223], v[96:97]
	v_add_f64 v[228:229], v[224:225], v[226:227]
	s_waitcnt vmcnt(3) lgkmcnt(1)
	v_mul_f64 v[238:239], v[120:121], v[102:103]
	ds_read_b128 v[224:227], v2 offset:1824
	v_fmac_f64_e32 v[238:239], v[122:123], v[100:101]
	v_mul_f64 v[130:131], v[250:251], v[130:131]
	v_add_f64 v[228:229], v[228:229], v[238:239]
	v_fma_f64 v[238:239], v[248:249], v[128:129], -v[130:131]
	ds_read_b128 v[128:131], v2 offset:1840
	s_waitcnt vmcnt(2) lgkmcnt(2)
	v_mul_f64 v[244:245], v[124:125], v[106:107]
	v_fmac_f64_e32 v[244:245], v[126:127], v[104:105]
	v_add_f64 v[228:229], v[228:229], v[244:245]
	s_waitcnt vmcnt(1) lgkmcnt(1)
	v_mul_f64 v[244:245], v[224:225], v[114:115]
	v_fmac_f64_e32 v[244:245], v[226:227], v[112:113]
	v_add_f64 v[228:229], v[228:229], v[244:245]
	;; [unrolled: 4-line block ×3, first 2 shown]
	scratch_load_dwordx4 v[244:247], off, off offset:400
	v_add_f64 v[230:231], v[230:231], 0
	v_add_f64 v[230:231], v[230:231], v[232:233]
	;; [unrolled: 1-line block ×4, first 2 shown]
	v_mul_f64 v[6:7], v[178:179], v[6:7]
	v_add_f64 v[230:231], v[230:231], v[238:239]
	v_fma_f64 v[4:5], v[176:177], v[4:5], -v[6:7]
	v_mul_f64 v[6:7], v[174:175], v[10:11]
	v_add_f64 v[4:5], v[230:231], v[4:5]
	v_fma_f64 v[6:7], v[172:173], v[8:9], -v[6:7]
	v_add_f64 v[4:5], v[4:5], v[6:7]
	v_mul_f64 v[6:7], v[170:171], v[14:15]
	v_fma_f64 v[6:7], v[168:169], v[12:13], -v[6:7]
	v_add_f64 v[4:5], v[4:5], v[6:7]
	v_mul_f64 v[6:7], v[166:167], v[18:19]
	;; [unrolled: 3-line block ×26, first 2 shown]
	v_fma_f64 v[6:7], v[128:129], v[132:133], -v[6:7]
	v_add_f64 v[4:5], v[4:5], v[6:7]
	s_waitcnt vmcnt(0)
	v_add_f64 v[4:5], v[244:245], -v[4:5]
	v_add_f64 v[6:7], v[246:247], -v[228:229]
	scratch_store_dwordx4 off, v[4:7], off offset:400
	s_and_saveexec_b64 s[0:1], vcc
	s_cbranch_execz .LBB57_315
; %bb.314:
	scratch_load_dwordx4 v[6:9], off, s60
	v_mov_b32_e32 v3, v2
	v_mov_b32_e32 v4, v2
	;; [unrolled: 1-line block ×3, first 2 shown]
	v_accvgpr_read_b32 v0, a117
	scratch_store_dwordx4 off, v[2:5], off offset:384
	s_waitcnt vmcnt(1)
	ds_write_b128 v0, v[6:9]
.LBB57_315:
	s_or_b64 exec, exec, s[0:1]
	s_waitcnt lgkmcnt(0)
	; wave barrier
	scratch_load_dwordx4 v[144:147], off, off offset:400
	scratch_load_dwordx4 v[152:155], off, off offset:416
	;; [unrolled: 1-line block ×16, first 2 shown]
	ds_read_b128 v[196:199], v2 offset:1312
	ds_read_b128 v[188:191], v2 offset:1328
	ds_read_b128 v[180:183], v2 offset:1344
	scratch_load_dwordx4 v[48:51], off, off offset:656
	ds_read_b128 v[192:195], v2 offset:1360
	ds_read_b128 v[184:187], v2 offset:1376
	ds_read_b128 v[64:67], v2 offset:1392
	scratch_load_dwordx4 v[52:55], off, off offset:672
	;; [unrolled: 4-line block ×5, first 2 shown]
	ds_read_b128 v[116:119], v2 offset:1552
	ds_read_b128 v[112:115], v2 offset:1568
	scratch_load_dwordx4 v[108:111], off, off offset:736
	scratch_load_dwordx4 v[120:123], off, off offset:752
	;; [unrolled: 1-line block ×12, first 2 shown]
	v_cmp_lt_u32_e32 vcc, 22, v242
	s_waitcnt vmcnt(32) lgkmcnt(14)
	v_mul_f64 v[204:205], v[196:197], v[146:147]
	s_waitcnt vmcnt(31)
	v_mul_f64 v[206:207], v[188:189], v[154:155]
	v_fmac_f64_e32 v[204:205], v[198:199], v[144:145]
	s_waitcnt vmcnt(30)
	v_mul_f64 v[208:209], v[180:181], v[158:159]
	v_fmac_f64_e32 v[206:207], v[190:191], v[152:153]
	v_add_f64 v[204:205], v[204:205], 0
	s_waitcnt vmcnt(29) lgkmcnt(13)
	v_mul_f64 v[210:211], v[192:193], v[162:163]
	v_fmac_f64_e32 v[208:209], v[182:183], v[156:157]
	v_add_f64 v[204:205], v[204:205], v[206:207]
	s_waitcnt vmcnt(28) lgkmcnt(12)
	;; [unrolled: 4-line block ×12, first 2 shown]
	v_mul_f64 v[232:233], v[96:97], v[42:43]
	v_fmac_f64_e32 v[230:231], v[102:103], v[36:37]
	v_add_f64 v[204:205], v[204:205], v[228:229]
	v_fmac_f64_e32 v[232:233], v[98:99], v[40:41]
	v_add_f64 v[204:205], v[204:205], v[230:231]
	s_waitcnt vmcnt(17) lgkmcnt(1)
	v_mul_f64 v[206:207], v[116:117], v[46:47]
	v_add_f64 v[204:205], v[204:205], v[232:233]
	v_fmac_f64_e32 v[206:207], v[118:119], v[44:45]
	s_waitcnt vmcnt(16) lgkmcnt(0)
	v_mul_f64 v[210:211], v[112:113], v[50:51]
	v_add_f64 v[208:209], v[204:205], v[206:207]
	ds_read_b128 v[204:207], v2 offset:1584
	v_fmac_f64_e32 v[210:211], v[114:115], v[48:49]
	v_add_f64 v[212:213], v[208:209], v[210:211]
	ds_read_b128 v[208:211], v2 offset:1600
	v_mul_f64 v[146:147], v[198:199], v[146:147]
	s_waitcnt vmcnt(15) lgkmcnt(1)
	v_mul_f64 v[214:215], v[204:205], v[54:55]
	v_fmac_f64_e32 v[214:215], v[206:207], v[52:53]
	v_add_f64 v[216:217], v[212:213], v[214:215]
	s_waitcnt vmcnt(14) lgkmcnt(0)
	v_mul_f64 v[218:219], v[208:209], v[58:59]
	ds_read_b128 v[212:215], v2 offset:1616
	v_fmac_f64_e32 v[218:219], v[210:211], v[56:57]
	v_add_f64 v[220:221], v[216:217], v[218:219]
	ds_read_b128 v[216:219], v2 offset:1632
	v_mul_f64 v[154:155], v[190:191], v[154:155]
	s_waitcnt vmcnt(13) lgkmcnt(1)
	v_mul_f64 v[222:223], v[212:213], v[62:63]
	v_fmac_f64_e32 v[222:223], v[214:215], v[60:61]
	v_add_f64 v[224:225], v[220:221], v[222:223]
	s_waitcnt vmcnt(12) lgkmcnt(0)
	v_mul_f64 v[226:227], v[216:217], v[94:95]
	ds_read_b128 v[220:223], v2 offset:1648
	v_fmac_f64_e32 v[226:227], v[218:219], v[92:93]
	v_add_f64 v[228:229], v[224:225], v[226:227]
	ds_read_b128 v[224:227], v2 offset:1664
	v_fma_f64 v[248:249], v[188:189], v[152:153], -v[154:155]
	s_waitcnt vmcnt(11) lgkmcnt(1)
	v_mul_f64 v[230:231], v[220:221], v[110:111]
	v_fmac_f64_e32 v[230:231], v[222:223], v[108:109]
	v_add_f64 v[232:233], v[228:229], v[230:231]
	s_waitcnt vmcnt(10) lgkmcnt(0)
	v_mul_f64 v[234:235], v[224:225], v[122:123]
	ds_read_b128 v[228:231], v2 offset:1680
	v_fmac_f64_e32 v[234:235], v[226:227], v[120:121]
	v_add_f64 v[236:237], v[232:233], v[234:235]
	ds_read_b128 v[232:235], v2 offset:1696
	ds_read_b128 v[152:155], v2 offset:1744
	s_waitcnt vmcnt(9) lgkmcnt(2)
	v_mul_f64 v[238:239], v[228:229], v[126:127]
	v_fmac_f64_e32 v[238:239], v[230:231], v[124:125]
	v_add_f64 v[244:245], v[236:237], v[238:239]
	s_waitcnt vmcnt(8) lgkmcnt(1)
	v_mul_f64 v[246:247], v[232:233], v[130:131]
	ds_read_b128 v[236:239], v2 offset:1712
	v_fmac_f64_e32 v[246:247], v[234:235], v[128:129]
	v_add_f64 v[244:245], v[244:245], v[246:247]
	v_fma_f64 v[246:247], v[196:197], v[144:145], -v[146:147]
	ds_read_b128 v[144:147], v2 offset:1728
	s_waitcnt vmcnt(7) lgkmcnt(1)
	v_mul_f64 v[196:197], v[236:237], v[134:135]
	v_fmac_f64_e32 v[196:197], v[238:239], v[132:133]
	v_add_f64 v[188:189], v[244:245], v[196:197]
	v_mul_f64 v[158:159], v[182:183], v[158:159]
	s_waitcnt vmcnt(6) lgkmcnt(0)
	v_mul_f64 v[190:191], v[144:145], v[138:139]
	v_fmac_f64_e32 v[190:191], v[146:147], v[136:137]
	v_add_f64 v[196:197], v[188:189], v[190:191]
	ds_read_b128 v[188:191], v2 offset:1760
	v_fma_f64 v[244:245], v[180:181], v[156:157], -v[158:159]
	ds_read_b128 v[156:159], v2 offset:1776
	s_waitcnt vmcnt(5)
	v_mul_f64 v[198:199], v[152:153], v[142:143]
	v_fmac_f64_e32 v[198:199], v[154:155], v[140:141]
	s_waitcnt vmcnt(4) lgkmcnt(1)
	v_mul_f64 v[180:181], v[188:189], v[150:151]
	v_add_f64 v[196:197], v[196:197], v[198:199]
	v_fmac_f64_e32 v[180:181], v[190:191], v[148:149]
	v_mul_f64 v[162:163], v[194:195], v[162:163]
	v_add_f64 v[198:199], v[196:197], v[180:181]
	v_fma_f64 v[196:197], v[192:193], v[160:161], -v[162:163]
	ds_read_b128 v[160:163], v2 offset:1792
	s_waitcnt vmcnt(3) lgkmcnt(1)
	v_mul_f64 v[192:193], v[156:157], v[166:167]
	ds_read_b128 v[180:183], v2 offset:1808
	v_fmac_f64_e32 v[192:193], v[158:159], v[164:165]
	v_mul_f64 v[170:171], v[186:187], v[170:171]
	v_add_f64 v[192:193], v[198:199], v[192:193]
	v_fma_f64 v[198:199], v[184:185], v[168:169], -v[170:171]
	ds_read_b128 v[168:171], v2 offset:1824
	s_waitcnt vmcnt(2) lgkmcnt(2)
	v_mul_f64 v[184:185], v[160:161], v[174:175]
	v_fmac_f64_e32 v[184:185], v[162:163], v[172:173]
	s_waitcnt vmcnt(1) lgkmcnt(1)
	v_mul_f64 v[186:187], v[180:181], v[178:179]
	v_add_f64 v[184:185], v[192:193], v[184:185]
	v_fmac_f64_e32 v[186:187], v[182:183], v[176:177]
	v_add_f64 v[184:185], v[184:185], v[186:187]
	s_waitcnt vmcnt(0) lgkmcnt(0)
	v_mul_f64 v[186:187], v[168:169], v[202:203]
	v_fmac_f64_e32 v[186:187], v[170:171], v[200:201]
	v_add_f64 v[250:251], v[184:185], v[186:187]
	scratch_load_dwordx4 v[184:187], off, off offset:928
	v_add_f64 v[246:247], v[246:247], 0
	v_add_f64 v[246:247], v[246:247], v[248:249]
	;; [unrolled: 1-line block ×3, first 2 shown]
	scratch_load_dwordx4 v[246:249], off, off offset:384
	v_add_f64 v[196:197], v[244:245], v[196:197]
	v_mul_f64 v[6:7], v[66:67], v[6:7]
	v_add_f64 v[196:197], v[196:197], v[198:199]
	v_fma_f64 v[4:5], v[64:65], v[4:5], -v[6:7]
	v_mul_f64 v[6:7], v[78:79], v[10:11]
	v_add_f64 v[4:5], v[196:197], v[4:5]
	v_fma_f64 v[6:7], v[76:77], v[8:9], -v[6:7]
	v_add_f64 v[4:5], v[4:5], v[6:7]
	v_mul_f64 v[6:7], v[74:75], v[14:15]
	v_fma_f64 v[6:7], v[72:73], v[12:13], -v[6:7]
	v_add_f64 v[4:5], v[4:5], v[6:7]
	v_mul_f64 v[6:7], v[70:71], v[18:19]
	;; [unrolled: 3-line block ×24, first 2 shown]
	ds_read_b128 v[192:195], v2 offset:1840
	v_fma_f64 v[6:7], v[160:161], v[172:173], -v[6:7]
	v_add_f64 v[4:5], v[4:5], v[6:7]
	v_mul_f64 v[6:7], v[182:183], v[178:179]
	v_fma_f64 v[6:7], v[180:181], v[176:177], -v[6:7]
	v_add_f64 v[4:5], v[4:5], v[6:7]
	v_mul_f64 v[6:7], v[170:171], v[202:203]
	v_fma_f64 v[6:7], v[168:169], v[200:201], -v[6:7]
	s_waitcnt vmcnt(1) lgkmcnt(0)
	v_mul_f64 v[2:3], v[192:193], v[186:187]
	v_add_f64 v[4:5], v[4:5], v[6:7]
	v_mul_f64 v[6:7], v[194:195], v[186:187]
	v_fmac_f64_e32 v[2:3], v[194:195], v[184:185]
	v_fma_f64 v[6:7], v[192:193], v[184:185], -v[6:7]
	v_add_f64 v[2:3], v[250:251], v[2:3]
	v_add_f64 v[4:5], v[4:5], v[6:7]
	s_waitcnt vmcnt(0)
	v_add_f64 v[4:5], v[246:247], -v[4:5]
	v_add_f64 v[6:7], v[248:249], -v[2:3]
	scratch_store_dwordx4 off, v[4:7], off offset:384
	s_and_saveexec_b64 s[0:1], vcc
	s_cbranch_execz .LBB57_317
; %bb.316:
	scratch_load_dwordx4 v[2:5], off, s59
	v_mov_b32_e32 v6, 0
	v_mov_b32_e32 v7, v6
	;; [unrolled: 1-line block ×4, first 2 shown]
	v_accvgpr_read_b32 v0, a117
	scratch_store_dwordx4 off, v[6:9], off offset:368
	s_waitcnt vmcnt(1)
	ds_write_b128 v0, v[2:5]
.LBB57_317:
	s_or_b64 exec, exec, s[0:1]
	s_waitcnt lgkmcnt(0)
	; wave barrier
	scratch_load_dwordx4 v[184:187], off, off offset:384
	scratch_load_dwordx4 v[188:191], off, off offset:400
	;; [unrolled: 1-line block ×32, first 2 shown]
	v_mov_b32_e32 v2, 0
	ds_read_b128 v[192:195], v2 offset:1296
	ds_read_b128 v[204:207], v2 offset:1312
	ds_read_b128 v[216:219], v2 offset:1328
	ds_read_b128 v[224:227], v2 offset:1344
	ds_read_b128 v[228:231], v2 offset:1360
	ds_read_b128 v[244:247], v2 offset:1376
	ds_read_b128 v[248:251], v2 offset:1392
	ds_read_b128 v[148:151], v2 offset:1408
	ds_read_b128 v[144:147], v2 offset:1424
	ds_read_b128 v[140:143], v2 offset:1440
	ds_read_b128 v[136:139], v2 offset:1456
	ds_read_b128 v[132:135], v2 offset:1472
	ds_read_b128 v[124:127], v2 offset:1488
	ds_read_b128 v[120:123], v2 offset:1504
	ds_read_b128 v[116:119], v2 offset:1520
	ds_read_b128 v[108:111], v2 offset:1536
	v_cmp_lt_u32_e32 vcc, 21, v242
	s_waitcnt vmcnt(31) lgkmcnt(14)
	v_mul_f64 v[104:105], v[192:193], v[186:187]
	s_waitcnt vmcnt(30)
	v_mul_f64 v[106:107], v[204:205], v[190:191]
	v_fmac_f64_e32 v[104:105], v[194:195], v[184:185]
	s_waitcnt vmcnt(29) lgkmcnt(13)
	v_mul_f64 v[112:113], v[216:217], v[198:199]
	v_fmac_f64_e32 v[106:107], v[206:207], v[188:189]
	v_add_f64 v[104:105], v[104:105], 0
	s_waitcnt vmcnt(28) lgkmcnt(12)
	v_mul_f64 v[114:115], v[224:225], v[202:203]
	v_fmac_f64_e32 v[112:113], v[218:219], v[196:197]
	v_add_f64 v[104:105], v[104:105], v[106:107]
	;; [unrolled: 4-line block ×10, first 2 shown]
	ds_read_b128 v[152:155], v2 offset:1552
	ds_read_b128 v[156:159], v2 offset:1568
	s_waitcnt vmcnt(19) lgkmcnt(5)
	v_mul_f64 v[164:165], v[124:125], v[26:27]
	v_fmac_f64_e32 v[162:163], v[134:135], v[20:21]
	v_add_f64 v[104:105], v[104:105], v[160:161]
	s_waitcnt vmcnt(18) lgkmcnt(4)
	v_mul_f64 v[166:167], v[120:121], v[30:31]
	v_fmac_f64_e32 v[164:165], v[126:127], v[24:25]
	v_add_f64 v[104:105], v[104:105], v[162:163]
	s_waitcnt vmcnt(17) lgkmcnt(3)
	v_mul_f64 v[168:169], v[116:117], v[34:35]
	v_fmac_f64_e32 v[166:167], v[122:123], v[28:29]
	v_add_f64 v[104:105], v[104:105], v[164:165]
	s_waitcnt vmcnt(16) lgkmcnt(2)
	v_mul_f64 v[170:171], v[108:109], v[38:39]
	v_fmac_f64_e32 v[168:169], v[118:119], v[32:33]
	v_add_f64 v[104:105], v[104:105], v[166:167]
	v_add_f64 v[112:113], v[104:105], v[168:169]
	v_fmac_f64_e32 v[170:171], v[110:111], v[36:37]
	scratch_load_dwordx4 v[104:107], off, off offset:896
	s_waitcnt vmcnt(16) lgkmcnt(1)
	v_mul_f64 v[114:115], v[152:153], v[42:43]
	v_add_f64 v[112:113], v[112:113], v[170:171]
	v_fmac_f64_e32 v[114:115], v[154:155], v[40:41]
	v_add_f64 v[128:129], v[112:113], v[114:115]
	scratch_load_dwordx4 v[112:115], off, off offset:912
	s_waitcnt vmcnt(16) lgkmcnt(0)
	v_mul_f64 v[130:131], v[156:157], v[46:47]
	v_fmac_f64_e32 v[130:131], v[158:159], v[44:45]
	v_add_f64 v[168:169], v[128:129], v[130:131]
	scratch_load_dwordx4 v[128:131], off, off offset:928
	ds_read_b128 v[160:163], v2 offset:1584
	ds_read_b128 v[164:167], v2 offset:1600
	v_mul_f64 v[186:187], v[194:195], v[186:187]
	v_fma_f64 v[252:253], v[192:193], v[184:185], -v[186:187]
	ds_read_b128 v[184:187], v2 offset:1680
	s_waitcnt vmcnt(16) lgkmcnt(2)
	v_mul_f64 v[170:171], v[160:161], v[50:51]
	v_fmac_f64_e32 v[170:171], v[162:163], v[48:49]
	s_waitcnt vmcnt(15) lgkmcnt(1)
	v_mul_f64 v[174:175], v[164:165], v[54:55]
	v_add_f64 v[172:173], v[168:169], v[170:171]
	ds_read_b128 v[168:171], v2 offset:1616
	v_fmac_f64_e32 v[174:175], v[166:167], v[52:53]
	v_add_f64 v[176:177], v[172:173], v[174:175]
	ds_read_b128 v[172:175], v2 offset:1632
	v_mul_f64 v[190:191], v[206:207], v[190:191]
	s_waitcnt vmcnt(14) lgkmcnt(1)
	v_mul_f64 v[178:179], v[168:169], v[58:59]
	v_fmac_f64_e32 v[178:179], v[170:171], v[56:57]
	v_add_f64 v[180:181], v[176:177], v[178:179]
	s_waitcnt vmcnt(13) lgkmcnt(0)
	v_mul_f64 v[182:183], v[172:173], v[62:63]
	ds_read_b128 v[176:179], v2 offset:1648
	v_fmac_f64_e32 v[182:183], v[174:175], v[60:61]
	v_add_f64 v[232:233], v[180:181], v[182:183]
	ds_read_b128 v[180:183], v2 offset:1664
	v_fma_f64 v[254:255], v[204:205], v[188:189], -v[190:191]
	s_waitcnt vmcnt(12) lgkmcnt(1)
	v_mul_f64 v[234:235], v[176:177], v[66:67]
	v_fmac_f64_e32 v[234:235], v[178:179], v[64:65]
	v_add_f64 v[232:233], v[232:233], v[234:235]
	s_waitcnt vmcnt(11) lgkmcnt(0)
	v_mul_f64 v[192:193], v[180:181], v[70:71]
	v_fmac_f64_e32 v[192:193], v[182:183], v[68:69]
	ds_read_b128 v[188:191], v2 offset:1696
	s_waitcnt vmcnt(10)
	v_mul_f64 v[194:195], v[184:185], v[74:75]
	v_add_f64 v[192:193], v[232:233], v[192:193]
	v_fmac_f64_e32 v[194:195], v[186:187], v[72:73]
	v_add_f64 v[204:205], v[192:193], v[194:195]
	ds_read_b128 v[192:195], v2 offset:1712
	v_mul_f64 v[198:199], v[218:219], v[198:199]
	v_fma_f64 v[240:241], v[216:217], v[196:197], -v[198:199]
	ds_read_b128 v[196:199], v2 offset:1728
	s_waitcnt vmcnt(9) lgkmcnt(2)
	v_mul_f64 v[206:207], v[188:189], v[78:79]
	v_fmac_f64_e32 v[206:207], v[190:191], v[76:77]
	v_add_f64 v[204:205], v[204:205], v[206:207]
	s_waitcnt vmcnt(8) lgkmcnt(1)
	v_mul_f64 v[206:207], v[192:193], v[82:83]
	v_fmac_f64_e32 v[206:207], v[194:195], v[80:81]
	v_mul_f64 v[202:203], v[226:227], v[202:203]
	v_add_f64 v[204:205], v[204:205], v[206:207]
	v_fma_f64 v[234:235], v[224:225], v[200:201], -v[202:203]
	ds_read_b128 v[200:203], v2 offset:1744
	s_waitcnt vmcnt(7) lgkmcnt(1)
	v_mul_f64 v[206:207], v[196:197], v[86:87]
	v_fmac_f64_e32 v[206:207], v[198:199], v[84:85]
	v_add_f64 v[216:217], v[204:205], v[206:207]
	ds_read_b128 v[204:207], v2 offset:1760
	v_mul_f64 v[210:211], v[230:231], v[210:211]
	v_fma_f64 v[236:237], v[228:229], v[208:209], -v[210:211]
	ds_read_b128 v[208:211], v2 offset:1776
	s_waitcnt vmcnt(6) lgkmcnt(2)
	v_mul_f64 v[218:219], v[200:201], v[90:91]
	v_fmac_f64_e32 v[218:219], v[202:203], v[88:89]
	v_add_f64 v[216:217], v[216:217], v[218:219]
	s_waitcnt vmcnt(5) lgkmcnt(1)
	v_mul_f64 v[218:219], v[204:205], v[94:95]
	v_fmac_f64_e32 v[218:219], v[206:207], v[92:93]
	v_mul_f64 v[214:215], v[246:247], v[214:215]
	v_fma_f64 v[238:239], v[244:245], v[212:213], -v[214:215]
	ds_read_b128 v[212:215], v2 offset:1792
	v_add_f64 v[216:217], v[216:217], v[218:219]
	s_waitcnt vmcnt(4) lgkmcnt(1)
	v_mul_f64 v[218:219], v[208:209], v[102:103]
	v_fmac_f64_e32 v[218:219], v[210:211], v[100:101]
	v_add_f64 v[224:225], v[216:217], v[218:219]
	ds_read_b128 v[216:219], v2 offset:1808
	v_mul_f64 v[222:223], v[250:251], v[222:223]
	v_fma_f64 v[244:245], v[248:249], v[220:221], -v[222:223]
	ds_read_b128 v[220:223], v2 offset:1824
	s_waitcnt vmcnt(3) lgkmcnt(2)
	v_mul_f64 v[226:227], v[212:213], v[98:99]
	v_fmac_f64_e32 v[226:227], v[214:215], v[96:97]
	v_add_f64 v[224:225], v[224:225], v[226:227]
	s_waitcnt vmcnt(2) lgkmcnt(1)
	v_mul_f64 v[226:227], v[216:217], v[106:107]
	v_fmac_f64_e32 v[226:227], v[218:219], v[104:105]
	v_add_f64 v[224:225], v[224:225], v[226:227]
	;; [unrolled: 4-line block ×3, first 2 shown]
	ds_read_b128 v[224:227], v2 offset:1840
	v_mul_f64 v[6:7], v[150:151], v[6:7]
	v_fma_f64 v[4:5], v[148:149], v[4:5], -v[6:7]
	v_mul_f64 v[6:7], v[146:147], v[10:11]
	v_fma_f64 v[6:7], v[144:145], v[8:9], -v[6:7]
	s_waitcnt vmcnt(0) lgkmcnt(0)
	v_mul_f64 v[230:231], v[224:225], v[130:131]
	v_fmac_f64_e32 v[230:231], v[226:227], v[128:129]
	v_add_f64 v[232:233], v[228:229], v[230:231]
	v_add_f64 v[228:229], v[252:253], 0
	;; [unrolled: 1-line block ×4, first 2 shown]
	scratch_load_dwordx4 v[228:231], off, off offset:368
	v_add_f64 v[234:235], v[246:247], v[234:235]
	v_add_f64 v[234:235], v[234:235], v[236:237]
	;; [unrolled: 1-line block ×6, first 2 shown]
	v_mul_f64 v[6:7], v[142:143], v[14:15]
	v_fma_f64 v[6:7], v[140:141], v[12:13], -v[6:7]
	v_add_f64 v[4:5], v[4:5], v[6:7]
	v_mul_f64 v[6:7], v[138:139], v[18:19]
	v_fma_f64 v[6:7], v[136:137], v[16:17], -v[6:7]
	v_add_f64 v[4:5], v[4:5], v[6:7]
	;; [unrolled: 3-line block ×26, first 2 shown]
	s_waitcnt vmcnt(0)
	v_add_f64 v[4:5], v[228:229], -v[4:5]
	v_add_f64 v[6:7], v[230:231], -v[232:233]
	scratch_store_dwordx4 off, v[4:7], off offset:368
	s_and_saveexec_b64 s[0:1], vcc
	s_cbranch_execz .LBB57_319
; %bb.318:
	scratch_load_dwordx4 v[6:9], off, s58
	v_mov_b32_e32 v3, v2
	v_mov_b32_e32 v4, v2
	;; [unrolled: 1-line block ×3, first 2 shown]
	v_accvgpr_read_b32 v0, a117
	scratch_store_dwordx4 off, v[2:5], off offset:352
	s_waitcnt vmcnt(1)
	ds_write_b128 v0, v[6:9]
.LBB57_319:
	s_or_b64 exec, exec, s[0:1]
	s_waitcnt lgkmcnt(0)
	; wave barrier
	scratch_load_dwordx4 v[140:143], off, off offset:368
	scratch_load_dwordx4 v[144:147], off, off offset:384
	;; [unrolled: 1-line block ×16, first 2 shown]
	ds_read_b128 v[208:211], v2 offset:1280
	ds_read_b128 v[200:203], v2 offset:1296
	;; [unrolled: 1-line block ×3, first 2 shown]
	scratch_load_dwordx4 v[40:43], off, off offset:624
	ds_read_b128 v[204:207], v2 offset:1328
	ds_read_b128 v[192:195], v2 offset:1344
	;; [unrolled: 1-line block ×3, first 2 shown]
	scratch_load_dwordx4 v[44:47], off, off offset:640
	ds_read_b128 v[196:199], v2 offset:1376
	ds_read_b128 v[64:67], v2 offset:1392
	;; [unrolled: 1-line block ×4, first 2 shown]
	scratch_load_dwordx4 v[48:51], off, off offset:656
	ds_read_b128 v[72:75], v2 offset:1440
	ds_read_b128 v[68:71], v2 offset:1456
	scratch_load_dwordx4 v[56:59], off, off offset:672
	ds_read_b128 v[92:95], v2 offset:1472
	ds_read_b128 v[88:91], v2 offset:1488
	;; [unrolled: 1-line block ×4, first 2 shown]
	scratch_load_dwordx4 v[76:79], off, off offset:688
	scratch_load_dwordx4 v[96:99], off, off offset:704
	;; [unrolled: 1-line block ×12, first 2 shown]
	ds_read_b128 v[168:171], v2 offset:1536
	v_accvgpr_write_b32 a116, v242
	v_cmp_lt_u32_e32 vcc, 20, v242
	s_waitcnt vmcnt(31) lgkmcnt(14)
	v_mul_f64 v[172:173], v[208:209], v[142:143]
	s_waitcnt vmcnt(30)
	v_mul_f64 v[174:175], v[200:201], v[146:147]
	v_fmac_f64_e32 v[172:173], v[210:211], v[140:141]
	s_waitcnt vmcnt(29)
	v_mul_f64 v[176:177], v[188:189], v[150:151]
	v_fmac_f64_e32 v[174:175], v[202:203], v[144:145]
	v_add_f64 v[172:173], v[172:173], 0
	s_waitcnt vmcnt(28) lgkmcnt(13)
	v_mul_f64 v[178:179], v[204:205], v[154:155]
	v_fmac_f64_e32 v[176:177], v[190:191], v[148:149]
	v_add_f64 v[172:173], v[172:173], v[174:175]
	s_waitcnt vmcnt(27) lgkmcnt(12)
	;; [unrolled: 4-line block ×10, first 2 shown]
	v_mul_f64 v[224:225], v[92:93], v[26:27]
	v_fmac_f64_e32 v[222:223], v[70:71], v[20:21]
	v_add_f64 v[172:173], v[172:173], v[220:221]
	ds_read_b128 v[212:215], v2 offset:1552
	s_waitcnt vmcnt(18) lgkmcnt(4)
	v_mul_f64 v[226:227], v[88:89], v[30:31]
	v_fmac_f64_e32 v[224:225], v[94:95], v[24:25]
	v_add_f64 v[172:173], v[172:173], v[222:223]
	ds_read_b128 v[216:219], v2 offset:1568
	ds_read_b128 v[220:223], v2 offset:1584
	s_waitcnt vmcnt(17) lgkmcnt(5)
	v_mul_f64 v[228:229], v[84:85], v[34:35]
	v_fmac_f64_e32 v[226:227], v[90:91], v[28:29]
	v_add_f64 v[172:173], v[172:173], v[224:225]
	s_waitcnt vmcnt(16) lgkmcnt(4)
	v_mul_f64 v[230:231], v[80:81], v[38:39]
	v_fmac_f64_e32 v[228:229], v[86:87], v[32:33]
	v_add_f64 v[172:173], v[172:173], v[226:227]
	v_add_f64 v[176:177], v[172:173], v[228:229]
	v_fmac_f64_e32 v[230:231], v[82:83], v[36:37]
	s_waitcnt vmcnt(15) lgkmcnt(3)
	v_mul_f64 v[178:179], v[168:169], v[42:43]
	v_add_f64 v[176:177], v[176:177], v[230:231]
	v_fmac_f64_e32 v[178:179], v[170:171], v[40:41]
	s_waitcnt vmcnt(14) lgkmcnt(2)
	v_mul_f64 v[182:183], v[212:213], v[46:47]
	;; [unrolled: 4-line block ×3, first 2 shown]
	v_add_f64 v[224:225], v[180:181], v[182:183]
	v_fmac_f64_e32 v[226:227], v[218:219], v[48:49]
	v_add_f64 v[228:229], v[224:225], v[226:227]
	ds_read_b128 v[224:227], v2 offset:1600
	s_waitcnt vmcnt(12) lgkmcnt(1)
	v_mul_f64 v[230:231], v[220:221], v[58:59]
	v_fmac_f64_e32 v[230:231], v[222:223], v[56:57]
	v_add_f64 v[232:233], v[228:229], v[230:231]
	ds_read_b128 v[228:231], v2 offset:1616
	s_waitcnt vmcnt(11) lgkmcnt(1)
	v_mul_f64 v[234:235], v[224:225], v[78:79]
	;; [unrolled: 5-line block ×4, first 2 shown]
	v_fmac_f64_e32 v[244:245], v[234:235], v[100:101]
	v_mul_f64 v[142:143], v[210:211], v[142:143]
	v_add_f64 v[240:241], v[240:241], v[244:245]
	v_fma_f64 v[244:245], v[208:209], v[140:141], -v[142:143]
	ds_read_b128 v[140:143], v2 offset:1664
	s_waitcnt vmcnt(8) lgkmcnt(1)
	v_mul_f64 v[208:209], v[236:237], v[106:107]
	v_fmac_f64_e32 v[208:209], v[238:239], v[104:105]
	v_mul_f64 v[146:147], v[202:203], v[146:147]
	v_add_f64 v[208:209], v[240:241], v[208:209]
	v_fma_f64 v[240:241], v[200:201], v[144:145], -v[146:147]
	ds_read_b128 v[144:147], v2 offset:1680
	s_waitcnt vmcnt(7) lgkmcnt(1)
	v_mul_f64 v[200:201], v[140:141], v[110:111]
	scratch_load_dwordx4 v[172:175], off, off offset:880
	v_fmac_f64_e32 v[200:201], v[142:143], v[108:109]
	v_add_f64 v[208:209], v[208:209], v[200:201]
	ds_read_b128 v[200:203], v2 offset:1696
	v_mul_f64 v[150:151], v[190:191], v[150:151]
	scratch_load_dwordx4 v[176:179], off, off offset:896
	scratch_load_dwordx4 v[180:183], off, off offset:912
	v_fma_f64 v[246:247], v[188:189], v[148:149], -v[150:151]
	ds_read_b128 v[148:151], v2 offset:1712
	s_waitcnt vmcnt(9) lgkmcnt(2)
	v_mul_f64 v[210:211], v[144:145], v[114:115]
	v_fmac_f64_e32 v[210:211], v[146:147], v[112:113]
	s_waitcnt vmcnt(8) lgkmcnt(1)
	v_mul_f64 v[188:189], v[200:201], v[118:119]
	v_add_f64 v[208:209], v[208:209], v[210:211]
	v_fmac_f64_e32 v[188:189], v[202:203], v[116:117]
	v_mul_f64 v[154:155], v[206:207], v[154:155]
	s_waitcnt vmcnt(7) lgkmcnt(0)
	v_mul_f64 v[190:191], v[148:149], v[122:123]
	v_add_f64 v[188:189], v[208:209], v[188:189]
	v_fma_f64 v[248:249], v[204:205], v[152:153], -v[154:155]
	ds_read_b128 v[152:155], v2 offset:1728
	v_fmac_f64_e32 v[190:191], v[150:151], v[120:121]
	v_add_f64 v[204:205], v[188:189], v[190:191]
	ds_read_b128 v[188:191], v2 offset:1744
	v_mul_f64 v[158:159], v[194:195], v[158:159]
	s_waitcnt vmcnt(6) lgkmcnt(1)
	v_mul_f64 v[206:207], v[152:153], v[126:127]
	v_fmac_f64_e32 v[206:207], v[154:155], v[124:125]
	v_fma_f64 v[250:251], v[192:193], v[156:157], -v[158:159]
	s_waitcnt vmcnt(5) lgkmcnt(0)
	v_mul_f64 v[192:193], v[188:189], v[130:131]
	v_add_f64 v[204:205], v[204:205], v[206:207]
	v_fmac_f64_e32 v[192:193], v[190:191], v[128:129]
	v_mul_f64 v[162:163], v[186:187], v[162:163]
	v_fma_f64 v[208:209], v[184:185], v[160:161], -v[162:163]
	v_add_f64 v[184:185], v[204:205], v[192:193]
	scratch_load_dwordx4 v[204:207], off, off offset:928
	v_add_f64 v[244:245], v[244:245], 0
	v_add_f64 v[240:241], v[244:245], v[240:241]
	;; [unrolled: 1-line block ×4, first 2 shown]
	scratch_load_dwordx4 v[246:249], off, off offset:352
	v_mul_f64 v[166:167], v[198:199], v[166:167]
	v_add_f64 v[244:245], v[240:241], v[250:251]
	v_fma_f64 v[210:211], v[196:197], v[164:165], -v[166:167]
	v_add_f64 v[208:209], v[244:245], v[208:209]
	v_mul_f64 v[6:7], v[66:67], v[6:7]
	v_add_f64 v[208:209], v[208:209], v[210:211]
	v_fma_f64 v[4:5], v[64:65], v[4:5], -v[6:7]
	v_mul_f64 v[6:7], v[62:63], v[10:11]
	v_add_f64 v[4:5], v[208:209], v[4:5]
	v_fma_f64 v[6:7], v[60:61], v[8:9], -v[6:7]
	v_add_f64 v[4:5], v[4:5], v[6:7]
	v_mul_f64 v[6:7], v[54:55], v[14:15]
	v_fma_f64 v[6:7], v[52:53], v[12:13], -v[6:7]
	v_add_f64 v[4:5], v[4:5], v[6:7]
	v_mul_f64 v[6:7], v[74:75], v[18:19]
	;; [unrolled: 3-line block ×12, first 2 shown]
	v_fma_f64 v[6:7], v[224:225], v[76:77], -v[6:7]
	ds_read_b128 v[156:159], v2 offset:1760
	ds_read_b128 v[160:163], v2 offset:1776
	v_add_f64 v[4:5], v[4:5], v[6:7]
	v_mul_f64 v[6:7], v[230:231], v[98:99]
	v_fma_f64 v[6:7], v[228:229], v[96:97], -v[6:7]
	v_add_f64 v[4:5], v[4:5], v[6:7]
	v_mul_f64 v[6:7], v[234:235], v[102:103]
	v_fma_f64 v[6:7], v[232:233], v[100:101], -v[6:7]
	v_add_f64 v[4:5], v[4:5], v[6:7]
	v_mul_f64 v[6:7], v[238:239], v[106:107]
	s_waitcnt vmcnt(6) lgkmcnt(1)
	v_mul_f64 v[186:187], v[156:157], v[138:139]
	v_fma_f64 v[6:7], v[236:237], v[104:105], -v[6:7]
	v_fmac_f64_e32 v[186:187], v[158:159], v[136:137]
	v_add_f64 v[4:5], v[4:5], v[6:7]
	v_mul_f64 v[6:7], v[142:143], v[110:111]
	v_add_f64 v[192:193], v[184:185], v[186:187]
	ds_read_b128 v[184:187], v2 offset:1792
	ds_read_b128 v[164:167], v2 offset:1808
	v_fma_f64 v[6:7], v[140:141], v[108:109], -v[6:7]
	v_add_f64 v[4:5], v[4:5], v[6:7]
	v_mul_f64 v[6:7], v[146:147], v[114:115]
	v_fma_f64 v[6:7], v[144:145], v[112:113], -v[6:7]
	s_waitcnt vmcnt(5) lgkmcnt(2)
	v_mul_f64 v[194:195], v[160:161], v[134:135]
	v_add_f64 v[4:5], v[4:5], v[6:7]
	v_mul_f64 v[6:7], v[202:203], v[118:119]
	v_fmac_f64_e32 v[194:195], v[162:163], v[132:133]
	v_fma_f64 v[6:7], v[200:201], v[116:117], -v[6:7]
	v_add_f64 v[192:193], v[192:193], v[194:195]
	s_waitcnt vmcnt(4) lgkmcnt(1)
	v_mul_f64 v[194:195], v[184:185], v[174:175]
	v_add_f64 v[4:5], v[4:5], v[6:7]
	v_mul_f64 v[6:7], v[150:151], v[122:123]
	v_fmac_f64_e32 v[194:195], v[186:187], v[172:173]
	v_fma_f64 v[6:7], v[148:149], v[120:121], -v[6:7]
	v_add_f64 v[192:193], v[192:193], v[194:195]
	;; [unrolled: 7-line block ×3, first 2 shown]
	ds_read_b128 v[192:195], v2 offset:1824
	v_add_f64 v[4:5], v[4:5], v[6:7]
	v_mul_f64 v[6:7], v[190:191], v[130:131]
	v_fma_f64 v[6:7], v[188:189], v[128:129], -v[6:7]
	v_add_f64 v[4:5], v[4:5], v[6:7]
	v_mul_f64 v[6:7], v[158:159], v[138:139]
	v_fma_f64 v[6:7], v[156:157], v[136:137], -v[6:7]
	v_add_f64 v[4:5], v[4:5], v[6:7]
	v_mul_f64 v[6:7], v[162:163], v[134:135]
	s_waitcnt vmcnt(2) lgkmcnt(0)
	v_mul_f64 v[198:199], v[192:193], v[182:183]
	v_fma_f64 v[6:7], v[160:161], v[132:133], -v[6:7]
	v_fmac_f64_e32 v[198:199], v[194:195], v[180:181]
	v_add_f64 v[4:5], v[4:5], v[6:7]
	v_mul_f64 v[6:7], v[186:187], v[174:175]
	v_add_f64 v[252:253], v[196:197], v[198:199]
	ds_read_b128 v[196:199], v2 offset:1840
	v_fma_f64 v[6:7], v[184:185], v[172:173], -v[6:7]
	v_add_f64 v[4:5], v[4:5], v[6:7]
	v_mul_f64 v[6:7], v[166:167], v[178:179]
	v_fma_f64 v[6:7], v[164:165], v[176:177], -v[6:7]
	v_add_f64 v[4:5], v[4:5], v[6:7]
	v_mul_f64 v[6:7], v[194:195], v[182:183]
	v_fma_f64 v[6:7], v[192:193], v[180:181], -v[6:7]
	s_waitcnt vmcnt(1) lgkmcnt(0)
	v_mul_f64 v[2:3], v[196:197], v[206:207]
	v_add_f64 v[4:5], v[4:5], v[6:7]
	v_mul_f64 v[6:7], v[198:199], v[206:207]
	v_fmac_f64_e32 v[2:3], v[198:199], v[204:205]
	v_fma_f64 v[6:7], v[196:197], v[204:205], -v[6:7]
	v_add_f64 v[2:3], v[252:253], v[2:3]
	v_add_f64 v[4:5], v[4:5], v[6:7]
	s_waitcnt vmcnt(0)
	v_add_f64 v[4:5], v[246:247], -v[4:5]
	v_add_f64 v[6:7], v[248:249], -v[2:3]
	scratch_store_dwordx4 off, v[4:7], off offset:352
	s_and_saveexec_b64 s[0:1], vcc
	s_cbranch_execz .LBB57_321
; %bb.320:
	scratch_load_dwordx4 v[2:5], off, s57
	v_mov_b32_e32 v6, 0
	v_mov_b32_e32 v7, v6
	;; [unrolled: 1-line block ×4, first 2 shown]
	v_accvgpr_read_b32 v0, a117
	scratch_store_dwordx4 off, v[6:9], off offset:336
	s_waitcnt vmcnt(1)
	ds_write_b128 v0, v[2:5]
.LBB57_321:
	s_or_b64 exec, exec, s[0:1]
	s_waitcnt lgkmcnt(0)
	; wave barrier
	scratch_load_dwordx4 v[168:171], off, off offset:352
	scratch_load_dwordx4 v[172:175], off, off offset:368
	scratch_load_dwordx4 v[180:183], off, off offset:384
	scratch_load_dwordx4 v[184:187], off, off offset:400
	scratch_load_dwordx4 v[192:195], off, off offset:416
	scratch_load_dwordx4 v[196:199], off, off offset:432
	scratch_load_dwordx4 v[204:207], off, off offset:448
	scratch_load_dwordx4 v[208:211], off, off offset:464
	scratch_load_dwordx4 v[216:219], off, off offset:480
	scratch_load_dwordx4 v[4:7], off, off offset:496
	scratch_load_dwordx4 v[8:11], off, off offset:512
	scratch_load_dwordx4 v[12:15], off, off offset:528
	scratch_load_dwordx4 v[16:19], off, off offset:544
	scratch_load_dwordx4 v[20:23], off, off offset:560
	scratch_load_dwordx4 v[24:27], off, off offset:576
	scratch_load_dwordx4 v[28:31], off, off offset:592
	scratch_load_dwordx4 v[32:35], off, off offset:608
	scratch_load_dwordx4 v[36:39], off, off offset:624
	scratch_load_dwordx4 v[40:43], off, off offset:640
	scratch_load_dwordx4 v[44:47], off, off offset:656
	scratch_load_dwordx4 v[48:51], off, off offset:672
	scratch_load_dwordx4 v[52:55], off, off offset:688
	scratch_load_dwordx4 v[56:59], off, off offset:704
	scratch_load_dwordx4 v[60:63], off, off offset:720
	scratch_load_dwordx4 v[64:67], off, off offset:736
	scratch_load_dwordx4 v[68:71], off, off offset:752
	scratch_load_dwordx4 v[72:75], off, off offset:768
	scratch_load_dwordx4 v[76:79], off, off offset:784
	scratch_load_dwordx4 v[80:83], off, off offset:800
	scratch_load_dwordx4 v[84:87], off, off offset:816
	scratch_load_dwordx4 v[92:95], off, off offset:832
	scratch_load_dwordx4 v[88:91], off, off offset:848
	v_mov_b32_e32 v2, 0
	ds_read_b128 v[176:179], v2 offset:1264
	ds_read_b128 v[188:191], v2 offset:1280
	;; [unrolled: 1-line block ×17, first 2 shown]
	v_accvgpr_read_b32 v0, a116
	v_cmp_lt_u32_e32 vcc, 19, v0
	s_waitcnt vmcnt(31) lgkmcnt(14)
	v_mul_f64 v[104:105], v[176:177], v[170:171]
	s_waitcnt vmcnt(30)
	v_mul_f64 v[106:107], v[188:189], v[174:175]
	v_fmac_f64_e32 v[104:105], v[178:179], v[168:169]
	s_waitcnt vmcnt(29)
	v_mul_f64 v[108:109], v[200:201], v[182:183]
	v_fmac_f64_e32 v[106:107], v[190:191], v[172:173]
	v_add_f64 v[104:105], v[104:105], 0
	s_waitcnt vmcnt(28) lgkmcnt(13)
	v_mul_f64 v[110:111], v[212:213], v[186:187]
	v_fmac_f64_e32 v[108:109], v[202:203], v[180:181]
	v_add_f64 v[104:105], v[104:105], v[106:107]
	s_waitcnt vmcnt(27) lgkmcnt(12)
	;; [unrolled: 4-line block ×12, first 2 shown]
	v_mul_f64 v[156:157], v[112:113], v[26:27]
	v_fmac_f64_e32 v[154:155], v[118:119], v[20:21]
	v_add_f64 v[104:105], v[104:105], v[152:153]
	v_fmac_f64_e32 v[156:157], v[114:115], v[24:25]
	v_add_f64 v[104:105], v[104:105], v[154:155]
	s_waitcnt vmcnt(16) lgkmcnt(1)
	v_mul_f64 v[106:107], v[100:101], v[30:31]
	v_add_f64 v[104:105], v[104:105], v[156:157]
	v_fmac_f64_e32 v[106:107], v[102:103], v[28:29]
	v_add_f64 v[108:109], v[104:105], v[106:107]
	ds_read_b128 v[144:147], v2 offset:1536
	ds_read_b128 v[148:151], v2 offset:1552
	scratch_load_dwordx4 v[104:107], off, off offset:864
	s_waitcnt vmcnt(16) lgkmcnt(2)
	v_mul_f64 v[110:111], v[96:97], v[34:35]
	v_fmac_f64_e32 v[110:111], v[98:99], v[32:33]
	v_add_f64 v[120:121], v[108:109], v[110:111]
	scratch_load_dwordx4 v[108:111], off, off offset:880
	s_waitcnt vmcnt(16) lgkmcnt(1)
	v_mul_f64 v[122:123], v[144:145], v[38:39]
	v_fmac_f64_e32 v[122:123], v[146:147], v[36:37]
	v_add_f64 v[132:133], v[120:121], v[122:123]
	s_waitcnt vmcnt(15) lgkmcnt(0)
	v_mul_f64 v[134:135], v[148:149], v[42:43]
	scratch_load_dwordx4 v[120:123], off, off offset:896
	v_fmac_f64_e32 v[134:135], v[150:151], v[40:41]
	v_add_f64 v[160:161], v[132:133], v[134:135]
	scratch_load_dwordx4 v[132:135], off, off offset:912
	ds_read_b128 v[152:155], v2 offset:1568
	ds_read_b128 v[156:159], v2 offset:1584
	v_mul_f64 v[170:171], v[178:179], v[170:171]
	v_fma_f64 v[240:241], v[176:177], v[168:169], -v[170:171]
	ds_read_b128 v[168:171], v2 offset:1632
	s_waitcnt vmcnt(16) lgkmcnt(2)
	v_mul_f64 v[162:163], v[152:153], v[46:47]
	v_fmac_f64_e32 v[162:163], v[154:155], v[44:45]
	s_waitcnt vmcnt(15) lgkmcnt(1)
	v_mul_f64 v[166:167], v[156:157], v[50:51]
	v_add_f64 v[164:165], v[160:161], v[162:163]
	ds_read_b128 v[160:163], v2 offset:1600
	v_fmac_f64_e32 v[166:167], v[158:159], v[48:49]
	v_add_f64 v[232:233], v[164:165], v[166:167]
	ds_read_b128 v[164:167], v2 offset:1616
	v_mul_f64 v[174:175], v[190:191], v[174:175]
	s_waitcnt vmcnt(14) lgkmcnt(1)
	v_mul_f64 v[234:235], v[160:161], v[54:55]
	v_fmac_f64_e32 v[234:235], v[162:163], v[52:53]
	v_add_f64 v[232:233], v[232:233], v[234:235]
	s_waitcnt vmcnt(13) lgkmcnt(0)
	v_mul_f64 v[176:177], v[164:165], v[58:59]
	v_fmac_f64_e32 v[176:177], v[166:167], v[56:57]
	v_fma_f64 v[252:253], v[188:189], v[172:173], -v[174:175]
	ds_read_b128 v[172:175], v2 offset:1648
	s_waitcnt vmcnt(12)
	v_mul_f64 v[178:179], v[168:169], v[62:63]
	v_add_f64 v[176:177], v[232:233], v[176:177]
	v_fmac_f64_e32 v[178:179], v[170:171], v[60:61]
	v_add_f64 v[188:189], v[176:177], v[178:179]
	ds_read_b128 v[176:179], v2 offset:1664
	v_mul_f64 v[182:183], v[202:203], v[182:183]
	v_fma_f64 v[254:255], v[200:201], v[180:181], -v[182:183]
	ds_read_b128 v[180:183], v2 offset:1680
	s_waitcnt vmcnt(11) lgkmcnt(2)
	v_mul_f64 v[190:191], v[172:173], v[66:67]
	v_fmac_f64_e32 v[190:191], v[174:175], v[64:65]
	v_add_f64 v[188:189], v[188:189], v[190:191]
	s_waitcnt vmcnt(10) lgkmcnt(1)
	v_mul_f64 v[190:191], v[176:177], v[70:71]
	v_fmac_f64_e32 v[190:191], v[178:179], v[68:69]
	v_mul_f64 v[186:187], v[214:215], v[186:187]
	v_fma_f64 v[242:243], v[212:213], v[184:185], -v[186:187]
	ds_read_b128 v[184:187], v2 offset:1696
	v_add_f64 v[188:189], v[188:189], v[190:191]
	s_waitcnt vmcnt(9) lgkmcnt(1)
	v_mul_f64 v[190:191], v[180:181], v[74:75]
	v_fmac_f64_e32 v[190:191], v[182:183], v[72:73]
	v_add_f64 v[200:201], v[188:189], v[190:191]
	ds_read_b128 v[188:191], v2 offset:1712
	v_mul_f64 v[194:195], v[222:223], v[194:195]
	v_fma_f64 v[232:233], v[220:221], v[192:193], -v[194:195]
	ds_read_b128 v[192:195], v2 offset:1728
	s_waitcnt vmcnt(8) lgkmcnt(2)
	v_mul_f64 v[202:203], v[184:185], v[78:79]
	v_fmac_f64_e32 v[202:203], v[186:187], v[76:77]
	v_add_f64 v[200:201], v[200:201], v[202:203]
	s_waitcnt vmcnt(7) lgkmcnt(1)
	v_mul_f64 v[202:203], v[188:189], v[82:83]
	v_fmac_f64_e32 v[202:203], v[190:191], v[80:81]
	v_mul_f64 v[198:199], v[226:227], v[198:199]
	v_add_f64 v[200:201], v[200:201], v[202:203]
	v_fma_f64 v[234:235], v[224:225], v[196:197], -v[198:199]
	ds_read_b128 v[196:199], v2 offset:1744
	s_waitcnt vmcnt(6) lgkmcnt(1)
	v_mul_f64 v[202:203], v[192:193], v[86:87]
	v_fmac_f64_e32 v[202:203], v[194:195], v[84:85]
	v_add_f64 v[212:213], v[200:201], v[202:203]
	ds_read_b128 v[200:203], v2 offset:1760
	v_mul_f64 v[206:207], v[230:231], v[206:207]
	v_fma_f64 v[236:237], v[228:229], v[204:205], -v[206:207]
	ds_read_b128 v[204:207], v2 offset:1776
	s_waitcnt vmcnt(5) lgkmcnt(2)
	v_mul_f64 v[214:215], v[196:197], v[94:95]
	v_fmac_f64_e32 v[214:215], v[198:199], v[92:93]
	v_add_f64 v[212:213], v[212:213], v[214:215]
	s_waitcnt vmcnt(4) lgkmcnt(1)
	v_mul_f64 v[214:215], v[200:201], v[90:91]
	v_fmac_f64_e32 v[214:215], v[202:203], v[88:89]
	v_mul_f64 v[210:211], v[246:247], v[210:211]
	v_fma_f64 v[238:239], v[244:245], v[208:209], -v[210:211]
	ds_read_b128 v[208:211], v2 offset:1792
	v_add_f64 v[212:213], v[212:213], v[214:215]
	s_waitcnt vmcnt(3) lgkmcnt(1)
	v_mul_f64 v[214:215], v[204:205], v[106:107]
	v_fmac_f64_e32 v[214:215], v[206:207], v[104:105]
	v_add_f64 v[220:221], v[212:213], v[214:215]
	ds_read_b128 v[212:215], v2 offset:1808
	v_mul_f64 v[218:219], v[250:251], v[218:219]
	v_fma_f64 v[244:245], v[248:249], v[216:217], -v[218:219]
	ds_read_b128 v[216:219], v2 offset:1824
	ds_read_b128 v[224:227], v2 offset:1840
	s_waitcnt vmcnt(2) lgkmcnt(3)
	v_mul_f64 v[222:223], v[208:209], v[110:111]
	v_fmac_f64_e32 v[222:223], v[210:211], v[108:109]
	v_add_f64 v[220:221], v[220:221], v[222:223]
	s_waitcnt vmcnt(1) lgkmcnt(2)
	v_mul_f64 v[222:223], v[212:213], v[122:123]
	v_fmac_f64_e32 v[222:223], v[214:215], v[120:121]
	v_add_f64 v[220:221], v[220:221], v[222:223]
	;; [unrolled: 4-line block ×3, first 2 shown]
	scratch_load_dwordx4 v[220:223], off, off offset:928
	v_mul_f64 v[6:7], v[142:143], v[6:7]
	v_fma_f64 v[4:5], v[140:141], v[4:5], -v[6:7]
	v_mul_f64 v[6:7], v[138:139], v[10:11]
	v_fma_f64 v[6:7], v[136:137], v[8:9], -v[6:7]
	s_waitcnt vmcnt(0) lgkmcnt(0)
	v_mul_f64 v[230:231], v[224:225], v[222:223]
	v_fmac_f64_e32 v[230:231], v[226:227], v[220:221]
	v_add_f64 v[248:249], v[228:229], v[230:231]
	v_add_f64 v[228:229], v[240:241], 0
	;; [unrolled: 1-line block ×6, first 2 shown]
	scratch_load_dwordx4 v[228:231], off, off offset:336
	v_add_f64 v[232:233], v[246:247], v[234:235]
	v_add_f64 v[232:233], v[232:233], v[236:237]
	;; [unrolled: 1-line block ×6, first 2 shown]
	v_mul_f64 v[6:7], v[130:131], v[14:15]
	v_fma_f64 v[6:7], v[128:129], v[12:13], -v[6:7]
	v_add_f64 v[4:5], v[4:5], v[6:7]
	v_mul_f64 v[6:7], v[126:127], v[18:19]
	v_fma_f64 v[6:7], v[124:125], v[16:17], -v[6:7]
	v_add_f64 v[4:5], v[4:5], v[6:7]
	;; [unrolled: 3-line block ×26, first 2 shown]
	s_waitcnt vmcnt(0)
	v_add_f64 v[4:5], v[228:229], -v[4:5]
	v_add_f64 v[6:7], v[230:231], -v[248:249]
	scratch_store_dwordx4 off, v[4:7], off offset:336
	s_and_saveexec_b64 s[0:1], vcc
	s_cbranch_execz .LBB57_323
; %bb.322:
	scratch_load_dwordx4 v[6:9], off, s56
	v_mov_b32_e32 v3, v2
	v_mov_b32_e32 v4, v2
	;; [unrolled: 1-line block ×3, first 2 shown]
	v_accvgpr_read_b32 v0, a117
	scratch_store_dwordx4 off, v[2:5], off offset:320
	s_waitcnt vmcnt(1)
	ds_write_b128 v0, v[6:9]
.LBB57_323:
	s_or_b64 exec, exec, s[0:1]
	s_waitcnt lgkmcnt(0)
	; wave barrier
	scratch_load_dwordx4 v[168:171], off, off offset:336
	scratch_load_dwordx4 v[172:175], off, off offset:352
	scratch_load_dwordx4 v[180:183], off, off offset:368
	scratch_load_dwordx4 v[184:187], off, off offset:384
	scratch_load_dwordx4 v[192:195], off, off offset:400
	scratch_load_dwordx4 v[196:199], off, off offset:416
	scratch_load_dwordx4 v[204:207], off, off offset:432
	scratch_load_dwordx4 v[208:211], off, off offset:448
	scratch_load_dwordx4 v[216:219], off, off offset:464
	scratch_load_dwordx4 v[4:7], off, off offset:480
	scratch_load_dwordx4 v[8:11], off, off offset:496
	scratch_load_dwordx4 v[12:15], off, off offset:512
	scratch_load_dwordx4 v[16:19], off, off offset:528
	scratch_load_dwordx4 v[20:23], off, off offset:544
	scratch_load_dwordx4 v[24:27], off, off offset:560
	scratch_load_dwordx4 v[28:31], off, off offset:576
	ds_read_b128 v[232:235], v2 offset:1248
	ds_read_b128 v[176:179], v2 offset:1264
	scratch_load_dwordx4 v[32:35], off, off offset:592
	ds_read_b128 v[236:239], v2 offset:1280
	ds_read_b128 v[188:191], v2 offset:1296
	;; [unrolled: 1-line block ×5, first 2 shown]
	scratch_load_dwordx4 v[36:39], off, off offset:608
	ds_read_b128 v[224:227], v2 offset:1360
	ds_read_b128 v[220:223], v2 offset:1376
	;; [unrolled: 1-line block ×3, first 2 shown]
	scratch_load_dwordx4 v[40:43], off, off offset:624
	ds_read_b128 v[64:67], v2 offset:1408
	ds_read_b128 v[60:63], v2 offset:1424
	;; [unrolled: 1-line block ×4, first 2 shown]
	scratch_load_dwordx4 v[48:51], off, off offset:640
	ds_read_b128 v[80:83], v2 offset:1472
	ds_read_b128 v[72:75], v2 offset:1488
	;; [unrolled: 1-line block ×3, first 2 shown]
	scratch_load_dwordx4 v[76:79], off, off offset:656
	scratch_load_dwordx4 v[84:87], off, off offset:672
	;; [unrolled: 1-line block ×12, first 2 shown]
	v_accvgpr_read_b32 v0, a116
	v_cmp_lt_u32_e32 vcc, 18, v0
	s_waitcnt vmcnt(31) lgkmcnt(14)
	v_mul_f64 v[128:129], v[232:233], v[170:171]
	s_waitcnt vmcnt(30)
	v_mul_f64 v[130:131], v[176:177], v[174:175]
	v_fmac_f64_e32 v[128:129], v[234:235], v[168:169]
	s_waitcnt vmcnt(29)
	v_mul_f64 v[132:133], v[236:237], v[182:183]
	v_fmac_f64_e32 v[130:131], v[178:179], v[172:173]
	v_add_f64 v[128:129], v[128:129], 0
	s_waitcnt vmcnt(28) lgkmcnt(13)
	v_mul_f64 v[134:135], v[188:189], v[186:187]
	v_fmac_f64_e32 v[132:133], v[238:239], v[180:181]
	v_add_f64 v[128:129], v[128:129], v[130:131]
	s_waitcnt vmcnt(27) lgkmcnt(12)
	;; [unrolled: 4-line block ×13, first 2 shown]
	v_mul_f64 v[158:159], v[72:73], v[30:31]
	v_fmac_f64_e32 v[156:157], v[82:83], v[24:25]
	v_add_f64 v[128:129], v[128:129], v[154:155]
	v_add_f64 v[128:129], v[128:129], v[156:157]
	v_fmac_f64_e32 v[158:159], v[74:75], v[28:29]
	v_add_f64 v[132:133], v[128:129], v[158:159]
	ds_read_b128 v[144:147], v2 offset:1520
	ds_read_b128 v[148:151], v2 offset:1536
	scratch_load_dwordx4 v[128:131], off, off offset:848
	s_waitcnt vmcnt(16) lgkmcnt(2)
	v_mul_f64 v[134:135], v[68:69], v[34:35]
	v_fmac_f64_e32 v[134:135], v[70:71], v[32:33]
	s_waitcnt vmcnt(15) lgkmcnt(1)
	v_mul_f64 v[138:139], v[144:145], v[38:39]
	v_add_f64 v[136:137], v[132:133], v[134:135]
	scratch_load_dwordx4 v[132:135], off, off offset:864
	v_fmac_f64_e32 v[138:139], v[146:147], v[36:37]
	v_add_f64 v[140:141], v[136:137], v[138:139]
	s_waitcnt vmcnt(15) lgkmcnt(0)
	v_mul_f64 v[142:143], v[148:149], v[42:43]
	scratch_load_dwordx4 v[136:139], off, off offset:880
	v_fmac_f64_e32 v[142:143], v[150:151], v[40:41]
	v_add_f64 v[160:161], v[140:141], v[142:143]
	scratch_load_dwordx4 v[140:143], off, off offset:896
	ds_read_b128 v[152:155], v2 offset:1552
	ds_read_b128 v[156:159], v2 offset:1568
	v_mul_f64 v[170:171], v[234:235], v[170:171]
	v_mul_f64 v[174:175], v[178:179], v[174:175]
	;; [unrolled: 1-line block ×3, first 2 shown]
	s_waitcnt vmcnt(16) lgkmcnt(1)
	v_mul_f64 v[162:163], v[152:153], v[50:51]
	v_fmac_f64_e32 v[162:163], v[154:155], v[48:49]
	v_add_f64 v[164:165], v[160:161], v[162:163]
	ds_read_b128 v[160:163], v2 offset:1584
	s_waitcnt vmcnt(15) lgkmcnt(1)
	v_mul_f64 v[166:167], v[156:157], v[78:79]
	v_fmac_f64_e32 v[166:167], v[158:159], v[76:77]
	v_add_f64 v[240:241], v[164:165], v[166:167]
	ds_read_b128 v[164:167], v2 offset:1600
	s_waitcnt vmcnt(14) lgkmcnt(1)
	v_mul_f64 v[242:243], v[160:161], v[86:87]
	v_fmac_f64_e32 v[242:243], v[162:163], v[84:85]
	v_add_f64 v[240:241], v[240:241], v[242:243]
	v_fma_f64 v[242:243], v[232:233], v[168:169], -v[170:171]
	ds_read_b128 v[168:171], v2 offset:1616
	s_waitcnt vmcnt(13) lgkmcnt(1)
	v_mul_f64 v[232:233], v[164:165], v[90:91]
	v_fmac_f64_e32 v[232:233], v[166:167], v[88:89]
	v_add_f64 v[232:233], v[240:241], v[232:233]
	v_fma_f64 v[240:241], v[176:177], v[172:173], -v[174:175]
	ds_read_b128 v[172:175], v2 offset:1632
	s_waitcnt vmcnt(12) lgkmcnt(1)
	v_mul_f64 v[176:177], v[168:169], v[94:95]
	v_fmac_f64_e32 v[176:177], v[170:171], v[92:93]
	v_add_f64 v[232:233], v[232:233], v[176:177]
	ds_read_b128 v[176:179], v2 offset:1648
	v_fma_f64 v[236:237], v[236:237], v[180:181], -v[182:183]
	ds_read_b128 v[180:183], v2 offset:1664
	s_waitcnt vmcnt(11) lgkmcnt(2)
	v_mul_f64 v[234:235], v[172:173], v[98:99]
	v_fmac_f64_e32 v[234:235], v[174:175], v[96:97]
	v_add_f64 v[232:233], v[232:233], v[234:235]
	s_waitcnt vmcnt(10) lgkmcnt(1)
	v_mul_f64 v[234:235], v[176:177], v[102:103]
	v_fmac_f64_e32 v[234:235], v[178:179], v[100:101]
	v_mul_f64 v[186:187], v[190:191], v[186:187]
	s_waitcnt vmcnt(9) lgkmcnt(0)
	v_mul_f64 v[190:191], v[180:181], v[106:107]
	v_fma_f64 v[238:239], v[188:189], v[184:185], -v[186:187]
	ds_read_b128 v[184:187], v2 offset:1680
	v_add_f64 v[188:189], v[232:233], v[234:235]
	v_fmac_f64_e32 v[190:191], v[182:183], v[104:105]
	v_add_f64 v[232:233], v[188:189], v[190:191]
	ds_read_b128 v[188:191], v2 offset:1696
	v_mul_f64 v[194:195], v[230:231], v[194:195]
	v_fma_f64 v[248:249], v[228:229], v[192:193], -v[194:195]
	ds_read_b128 v[192:195], v2 offset:1712
	s_waitcnt vmcnt(8) lgkmcnt(2)
	v_mul_f64 v[234:235], v[184:185], v[110:111]
	v_fmac_f64_e32 v[234:235], v[186:187], v[108:109]
	s_waitcnt vmcnt(7) lgkmcnt(1)
	v_mul_f64 v[228:229], v[188:189], v[114:115]
	v_mul_f64 v[198:199], v[202:203], v[198:199]
	v_add_f64 v[232:233], v[232:233], v[234:235]
	v_fmac_f64_e32 v[228:229], v[190:191], v[112:113]
	v_fma_f64 v[250:251], v[200:201], v[196:197], -v[198:199]
	ds_read_b128 v[196:199], v2 offset:1728
	s_waitcnt vmcnt(6) lgkmcnt(1)
	v_mul_f64 v[200:201], v[192:193], v[118:119]
	v_add_f64 v[228:229], v[232:233], v[228:229]
	v_fmac_f64_e32 v[200:201], v[194:195], v[116:117]
	v_add_f64 v[228:229], v[228:229], v[200:201]
	ds_read_b128 v[200:203], v2 offset:1744
	v_mul_f64 v[206:207], v[214:215], v[206:207]
	v_add_f64 v[242:243], v[242:243], 0
	v_fma_f64 v[252:253], v[212:213], v[204:205], -v[206:207]
	ds_read_b128 v[204:207], v2 offset:1760
	v_add_f64 v[240:241], v[242:243], v[240:241]
	v_add_f64 v[236:237], v[240:241], v[236:237]
	;; [unrolled: 1-line block ×3, first 2 shown]
	s_waitcnt vmcnt(5) lgkmcnt(2)
	v_mul_f64 v[230:231], v[196:197], v[126:127]
	v_add_f64 v[236:237], v[236:237], v[248:249]
	v_fmac_f64_e32 v[230:231], v[198:199], v[124:125]
	s_waitcnt vmcnt(4) lgkmcnt(1)
	v_mul_f64 v[212:213], v[200:201], v[122:123]
	v_add_f64 v[236:237], v[236:237], v[250:251]
	v_add_f64 v[228:229], v[228:229], v[230:231]
	v_fmac_f64_e32 v[212:213], v[202:203], v[120:121]
	v_mul_f64 v[210:211], v[226:227], v[210:211]
	v_add_f64 v[248:249], v[236:237], v[252:253]
	scratch_load_dwordx4 v[236:239], off, off offset:320
	s_waitcnt vmcnt(4) lgkmcnt(0)
	v_mul_f64 v[214:215], v[204:205], v[130:131]
	v_fma_f64 v[244:245], v[224:225], v[208:209], -v[210:211]
	ds_read_b128 v[208:211], v2 offset:1776
	v_add_f64 v[212:213], v[228:229], v[212:213]
	v_fmac_f64_e32 v[214:215], v[206:207], v[128:129]
	v_add_f64 v[224:225], v[212:213], v[214:215]
	ds_read_b128 v[212:215], v2 offset:1792
	v_mul_f64 v[218:219], v[222:223], v[218:219]
	v_fma_f64 v[246:247], v[220:221], v[216:217], -v[218:219]
	ds_read_b128 v[216:219], v2 offset:1808
	s_waitcnt vmcnt(3) lgkmcnt(2)
	v_mul_f64 v[220:221], v[208:209], v[134:135]
	v_fmac_f64_e32 v[220:221], v[210:211], v[132:133]
	s_waitcnt vmcnt(2) lgkmcnt(1)
	v_mul_f64 v[222:223], v[212:213], v[138:139]
	v_add_f64 v[220:221], v[224:225], v[220:221]
	v_fmac_f64_e32 v[222:223], v[214:215], v[136:137]
	v_add_f64 v[220:221], v[220:221], v[222:223]
	ds_read_b128 v[224:227], v2 offset:1824
	scratch_load_dwordx4 v[232:235], off, off offset:928
	s_waitcnt vmcnt(2) lgkmcnt(1)
	v_mul_f64 v[222:223], v[216:217], v[142:143]
	v_fmac_f64_e32 v[222:223], v[218:219], v[140:141]
	v_add_f64 v[228:229], v[220:221], v[222:223]
	scratch_load_dwordx4 v[220:223], off, off offset:912
	v_add_f64 v[240:241], v[248:249], v[244:245]
	v_mul_f64 v[6:7], v[46:47], v[6:7]
	v_add_f64 v[240:241], v[240:241], v[246:247]
	v_fma_f64 v[4:5], v[44:45], v[4:5], -v[6:7]
	v_mul_f64 v[6:7], v[66:67], v[10:11]
	v_add_f64 v[4:5], v[240:241], v[4:5]
	v_fma_f64 v[6:7], v[64:65], v[8:9], -v[6:7]
	v_add_f64 v[4:5], v[4:5], v[6:7]
	v_mul_f64 v[6:7], v[62:63], v[14:15]
	v_fma_f64 v[6:7], v[60:61], v[12:13], -v[6:7]
	v_add_f64 v[4:5], v[4:5], v[6:7]
	v_mul_f64 v[6:7], v[58:59], v[18:19]
	;; [unrolled: 3-line block ×24, first 2 shown]
	v_fma_f64 v[6:7], v[212:213], v[136:137], -v[6:7]
	s_waitcnt vmcnt(0) lgkmcnt(0)
	v_mul_f64 v[230:231], v[224:225], v[222:223]
	v_fmac_f64_e32 v[230:231], v[226:227], v[220:221]
	v_add_f64 v[254:255], v[228:229], v[230:231]
	ds_read_b128 v[228:231], v2 offset:1840
	v_add_f64 v[4:5], v[4:5], v[6:7]
	v_mul_f64 v[6:7], v[218:219], v[142:143]
	v_fma_f64 v[6:7], v[216:217], v[140:141], -v[6:7]
	v_add_f64 v[4:5], v[4:5], v[6:7]
	v_mul_f64 v[6:7], v[226:227], v[222:223]
	v_fma_f64 v[6:7], v[224:225], v[220:221], -v[6:7]
	s_waitcnt lgkmcnt(0)
	v_mul_f64 v[2:3], v[228:229], v[234:235]
	v_add_f64 v[4:5], v[4:5], v[6:7]
	v_mul_f64 v[6:7], v[230:231], v[234:235]
	v_fmac_f64_e32 v[2:3], v[230:231], v[232:233]
	v_fma_f64 v[6:7], v[228:229], v[232:233], -v[6:7]
	v_add_f64 v[2:3], v[254:255], v[2:3]
	v_add_f64 v[4:5], v[4:5], v[6:7]
	v_add_f64 v[4:5], v[236:237], -v[4:5]
	v_add_f64 v[6:7], v[238:239], -v[2:3]
	scratch_store_dwordx4 off, v[4:7], off offset:320
	s_and_saveexec_b64 s[0:1], vcc
	s_cbranch_execz .LBB57_325
; %bb.324:
	scratch_load_dwordx4 v[2:5], off, s55
	v_mov_b32_e32 v6, 0
	v_mov_b32_e32 v7, v6
	;; [unrolled: 1-line block ×4, first 2 shown]
	v_accvgpr_read_b32 v0, a117
	scratch_store_dwordx4 off, v[6:9], off offset:304
	s_waitcnt vmcnt(1)
	ds_write_b128 v0, v[2:5]
.LBB57_325:
	s_or_b64 exec, exec, s[0:1]
	s_waitcnt lgkmcnt(0)
	; wave barrier
	scratch_load_dwordx4 v[80:83], off, off offset:320
	scratch_load_dwordx4 v[84:87], off, off offset:336
	;; [unrolled: 1-line block ×31, first 2 shown]
	v_mov_b32_e32 v2, 0
	ds_read_b128 v[196:199], v2 offset:1232
	ds_read_b128 v[200:203], v2 offset:1248
	;; [unrolled: 1-line block ×20, first 2 shown]
	s_waitcnt vmcnt(30) lgkmcnt(14)
	v_mul_f64 v[140:141], v[196:197], v[82:83]
	s_waitcnt vmcnt(29)
	v_mul_f64 v[142:143], v[200:201], v[86:87]
	v_fmac_f64_e32 v[140:141], v[198:199], v[80:81]
	s_waitcnt vmcnt(28)
	v_mul_f64 v[152:153], v[204:205], v[90:91]
	v_fmac_f64_e32 v[142:143], v[202:203], v[84:85]
	v_add_f64 v[140:141], v[140:141], 0
	s_waitcnt vmcnt(27)
	v_mul_f64 v[154:155], v[208:209], v[94:95]
	v_fmac_f64_e32 v[152:153], v[206:207], v[88:89]
	v_add_f64 v[140:141], v[140:141], v[142:143]
	;; [unrolled: 4-line block ×4, first 2 shown]
	s_waitcnt vmcnt(24) lgkmcnt(13)
	v_mul_f64 v[164:165], v[220:221], v[106:107]
	v_fmac_f64_e32 v[162:163], v[218:219], v[100:101]
	v_add_f64 v[140:141], v[140:141], v[160:161]
	s_waitcnt vmcnt(23) lgkmcnt(12)
	v_mul_f64 v[166:167], v[224:225], v[110:111]
	v_fmac_f64_e32 v[164:165], v[222:223], v[104:105]
	v_add_f64 v[140:141], v[140:141], v[162:163]
	;; [unrolled: 4-line block ×8, first 2 shown]
	v_fmac_f64_e32 v[178:179], v[146:147], v[12:13]
	v_add_f64 v[140:141], v[140:141], v[176:177]
	v_add_f64 v[140:141], v[140:141], v[178:179]
	ds_read_b128 v[176:179], v2 offset:1504
	s_waitcnt vmcnt(16) lgkmcnt(6)
	v_mul_f64 v[180:181], v[136:137], v[18:19]
	s_waitcnt vmcnt(15) lgkmcnt(5)
	v_mul_f64 v[182:183], v[132:133], v[22:23]
	v_fmac_f64_e32 v[180:181], v[138:139], v[16:17]
	v_add_f64 v[152:153], v[140:141], v[180:181]
	v_fmac_f64_e32 v[182:183], v[134:135], v[20:21]
	scratch_load_dwordx4 v[140:143], off, off offset:816
	s_waitcnt vmcnt(15) lgkmcnt(4)
	v_mul_f64 v[154:155], v[128:129], v[26:27]
	v_add_f64 v[152:153], v[152:153], v[182:183]
	v_fmac_f64_e32 v[154:155], v[130:131], v[24:25]
	v_add_f64 v[160:161], v[152:153], v[154:155]
	ds_read_b128 v[180:183], v2 offset:1520
	s_waitcnt vmcnt(14) lgkmcnt(1)
	v_mul_f64 v[162:163], v[176:177], v[30:31]
	scratch_load_dwordx4 v[152:155], off, off offset:832
	v_fmac_f64_e32 v[162:163], v[178:179], v[28:29]
	v_add_f64 v[164:165], v[160:161], v[162:163]
	scratch_load_dwordx4 v[160:163], off, off offset:848
	s_waitcnt vmcnt(15) lgkmcnt(0)
	v_mul_f64 v[166:167], v[180:181], v[34:35]
	v_fmac_f64_e32 v[166:167], v[182:183], v[32:33]
	v_add_f64 v[168:169], v[164:165], v[166:167]
	s_waitcnt vmcnt(14)
	v_mul_f64 v[170:171], v[184:185], v[38:39]
	scratch_load_dwordx4 v[164:167], off, off offset:864
	v_fmac_f64_e32 v[170:171], v[186:187], v[36:37]
	v_add_f64 v[168:169], v[168:169], v[170:171]
	s_waitcnt vmcnt(14)
	v_mul_f64 v[170:171], v[188:189], v[42:43]
	scratch_load_dwordx4 v[172:175], off, off offset:880
	v_fmac_f64_e32 v[170:171], v[190:191], v[40:41]
	v_add_f64 v[232:233], v[168:169], v[170:171]
	scratch_load_dwordx4 v[168:171], off, off offset:896
	v_mul_f64 v[82:83], v[198:199], v[82:83]
	v_fma_f64 v[240:241], v[196:197], v[80:81], -v[82:83]
	ds_read_b128 v[196:199], v2 offset:1584
	s_waitcnt vmcnt(15)
	v_mul_f64 v[80:81], v[192:193], v[46:47]
	v_fmac_f64_e32 v[80:81], v[194:195], v[44:45]
	v_add_f64 v[232:233], v[232:233], v[80:81]
	v_mul_f64 v[80:81], v[202:203], v[86:87]
	v_fma_f64 v[242:243], v[200:201], v[84:85], -v[80:81]
	scratch_load_dwordx4 v[80:83], off, off offset:912
	ds_read_b128 v[84:87], v2 offset:1600
	v_mul_f64 v[90:91], v[206:207], v[90:91]
	v_fma_f64 v[252:253], v[204:205], v[88:89], -v[90:91]
	ds_read_b128 v[88:91], v2 offset:1616
	s_waitcnt vmcnt(15) lgkmcnt(2)
	v_mul_f64 v[200:201], v[196:197], v[50:51]
	v_fmac_f64_e32 v[200:201], v[198:199], v[48:49]
	s_waitcnt vmcnt(14) lgkmcnt(1)
	v_mul_f64 v[202:203], v[84:85], v[54:55]
	v_add_f64 v[200:201], v[232:233], v[200:201]
	v_fmac_f64_e32 v[202:203], v[86:87], v[52:53]
	v_mul_f64 v[94:95], v[210:211], v[94:95]
	v_fma_f64 v[254:255], v[208:209], v[92:93], -v[94:95]
	ds_read_b128 v[92:95], v2 offset:1632
	v_add_f64 v[200:201], v[200:201], v[202:203]
	s_waitcnt vmcnt(13) lgkmcnt(1)
	v_mul_f64 v[202:203], v[88:89], v[58:59]
	v_fmac_f64_e32 v[202:203], v[90:91], v[56:57]
	v_add_f64 v[204:205], v[200:201], v[202:203]
	ds_read_b128 v[200:203], v2 offset:1648
	v_mul_f64 v[98:99], v[214:215], v[98:99]
	v_fma_f64 v[232:233], v[212:213], v[96:97], -v[98:99]
	ds_read_b128 v[96:99], v2 offset:1664
	s_waitcnt vmcnt(12) lgkmcnt(2)
	v_mul_f64 v[206:207], v[92:93], v[62:63]
	v_fmac_f64_e32 v[206:207], v[94:95], v[60:61]
	v_add_f64 v[204:205], v[204:205], v[206:207]
	s_waitcnt vmcnt(11) lgkmcnt(1)
	v_mul_f64 v[206:207], v[200:201], v[66:67]
	v_fmac_f64_e32 v[206:207], v[202:203], v[64:65]
	v_mul_f64 v[102:103], v[218:219], v[102:103]
	v_add_f64 v[204:205], v[204:205], v[206:207]
	v_fma_f64 v[4:5], v[216:217], v[100:101], -v[102:103]
	ds_read_b128 v[100:103], v2 offset:1680
	s_waitcnt vmcnt(10) lgkmcnt(1)
	v_mul_f64 v[206:207], v[96:97], v[70:71]
	v_fmac_f64_e32 v[206:207], v[98:99], v[68:69]
	v_add_f64 v[208:209], v[204:205], v[206:207]
	ds_read_b128 v[204:207], v2 offset:1696
	v_mul_f64 v[106:107], v[222:223], v[106:107]
	v_fma_f64 v[0:1], v[220:221], v[104:105], -v[106:107]
	ds_read_b128 v[104:107], v2 offset:1712
	s_waitcnt vmcnt(9) lgkmcnt(2)
	v_mul_f64 v[210:211], v[100:101], v[74:75]
	v_fmac_f64_e32 v[210:211], v[102:103], v[72:73]
	v_add_f64 v[208:209], v[208:209], v[210:211]
	s_waitcnt vmcnt(8) lgkmcnt(1)
	v_mul_f64 v[210:211], v[204:205], v[78:79]
	v_fmac_f64_e32 v[210:211], v[206:207], v[76:77]
	v_mul_f64 v[6:7], v[226:227], v[110:111]
	v_fma_f64 v[6:7], v[224:225], v[108:109], -v[6:7]
	ds_read_b128 v[108:111], v2 offset:1728
	v_add_f64 v[208:209], v[208:209], v[210:211]
	s_waitcnt vmcnt(7) lgkmcnt(1)
	v_mul_f64 v[210:211], v[104:105], v[126:127]
	v_fmac_f64_e32 v[210:211], v[106:107], v[124:125]
	v_mul_f64 v[114:115], v[230:231], v[114:115]
	v_add_f64 v[212:213], v[208:209], v[210:211]
	ds_read_b128 v[208:211], v2 offset:1744
	v_fma_f64 v[112:113], v[228:229], v[112:113], -v[114:115]
	v_accvgpr_write_b32 a119, v113
	v_accvgpr_write_b32 a118, v112
	ds_read_b128 v[112:115], v2 offset:1760
	s_waitcnt vmcnt(6) lgkmcnt(2)
	v_mul_f64 v[214:215], v[108:109], v[142:143]
	v_fmac_f64_e32 v[214:215], v[110:111], v[140:141]
	v_add_f64 v[212:213], v[212:213], v[214:215]
	s_waitcnt vmcnt(5) lgkmcnt(1)
	v_mul_f64 v[214:215], v[208:209], v[154:155]
	v_fmac_f64_e32 v[214:215], v[210:211], v[152:153]
	v_mul_f64 v[118:119], v[246:247], v[118:119]
	v_add_f64 v[212:213], v[212:213], v[214:215]
	v_fma_f64 v[238:239], v[244:245], v[116:117], -v[118:119]
	ds_read_b128 v[116:119], v2 offset:1776
	s_waitcnt vmcnt(4) lgkmcnt(1)
	v_mul_f64 v[214:215], v[112:113], v[162:163]
	v_fmac_f64_e32 v[214:215], v[114:115], v[160:161]
	v_add_f64 v[216:217], v[212:213], v[214:215]
	ds_read_b128 v[212:215], v2 offset:1792
	v_mul_f64 v[122:123], v[250:251], v[122:123]
	v_fma_f64 v[244:245], v[248:249], v[120:121], -v[122:123]
	ds_read_b128 v[120:123], v2 offset:1808
	s_waitcnt vmcnt(3) lgkmcnt(2)
	v_mul_f64 v[218:219], v[116:117], v[166:167]
	v_fmac_f64_e32 v[218:219], v[118:119], v[164:165]
	v_add_f64 v[216:217], v[216:217], v[218:219]
	s_waitcnt vmcnt(2) lgkmcnt(1)
	v_mul_f64 v[218:219], v[212:213], v[174:175]
	v_fmac_f64_e32 v[218:219], v[214:215], v[172:173]
	v_add_f64 v[216:217], v[216:217], v[218:219]
	;; [unrolled: 4-line block ×3, first 2 shown]
	ds_read_b128 v[216:219], v2 offset:1824
	ds_read_b128 v[224:227], v2 offset:1840
	s_waitcnt vmcnt(0) lgkmcnt(1)
	v_mul_f64 v[222:223], v[216:217], v[82:83]
	v_fmac_f64_e32 v[222:223], v[218:219], v[80:81]
	v_add_f64 v[228:229], v[220:221], v[222:223]
	scratch_load_dwordx4 v[220:223], off, off offset:928
	s_waitcnt vmcnt(0) lgkmcnt(0)
	v_mul_f64 v[230:231], v[224:225], v[222:223]
	v_fmac_f64_e32 v[230:231], v[226:227], v[220:221]
	v_add_f64 v[248:249], v[228:229], v[230:231]
	v_add_f64 v[228:229], v[240:241], 0
	v_add_f64 v[228:229], v[228:229], v[242:243]
	v_add_f64 v[228:229], v[228:229], v[252:253]
	v_add_f64 v[228:229], v[228:229], v[254:255]
	v_add_f64 v[228:229], v[228:229], v[232:233]
	v_add_f64 v[4:5], v[228:229], v[4:5]
	scratch_load_dwordx4 v[228:231], off, off offset:304
	v_add_f64 v[246:247], v[4:5], v[0:1]
	v_accvgpr_read_b32 v4, a118
	v_add_f64 v[0:1], v[246:247], v[6:7]
	v_accvgpr_read_b32 v5, a119
	v_add_f64 v[0:1], v[0:1], v[4:5]
	v_add_f64 v[0:1], v[0:1], v[238:239]
	v_mul_f64 v[4:5], v[158:159], v[236:237]
	v_add_f64 v[0:1], v[0:1], v[244:245]
	v_fma_f64 v[4:5], v[156:157], v[234:235], -v[4:5]
	v_add_f64 v[0:1], v[0:1], v[4:5]
	v_mul_f64 v[4:5], v[150:151], v[10:11]
	v_fma_f64 v[4:5], v[148:149], v[8:9], -v[4:5]
	v_add_f64 v[0:1], v[0:1], v[4:5]
	v_mul_f64 v[4:5], v[146:147], v[14:15]
	;; [unrolled: 3-line block ×27, first 2 shown]
	v_fma_f64 v[4:5], v[224:225], v[220:221], -v[4:5]
	v_add_f64 v[0:1], v[0:1], v[4:5]
	s_waitcnt vmcnt(0)
	v_add_f64 v[4:5], v[228:229], -v[0:1]
	v_accvgpr_read_b32 v0, a116
	v_add_f64 v[6:7], v[230:231], -v[248:249]
	v_cmp_lt_u32_e32 vcc, 17, v0
	scratch_store_dwordx4 off, v[4:7], off offset:304
	s_and_saveexec_b64 s[0:1], vcc
	s_cbranch_execz .LBB57_327
; %bb.326:
	scratch_load_dwordx4 v[6:9], off, s54
	v_mov_b32_e32 v3, v2
	v_mov_b32_e32 v4, v2
	v_mov_b32_e32 v5, v2
	v_accvgpr_read_b32 v0, a117
	scratch_store_dwordx4 off, v[2:5], off offset:288
	s_waitcnt vmcnt(1)
	ds_write_b128 v0, v[6:9]
.LBB57_327:
	s_or_b64 exec, exec, s[0:1]
	s_waitcnt lgkmcnt(0)
	; wave barrier
	scratch_load_dwordx4 v[132:135], off, off offset:304
	scratch_load_dwordx4 v[160:163], off, off offset:320
	;; [unrolled: 1-line block ×16, first 2 shown]
	ds_read_b128 v[156:159], v2 offset:1216
	ds_read_b128 v[172:175], v2 offset:1232
	scratch_load_dwordx4 v[24:27], off, off offset:560
	ds_read_b128 v[232:235], v2 offset:1248
	ds_read_b128 v[228:231], v2 offset:1264
	scratch_load_dwordx4 v[28:31], off, off offset:576
	ds_read_b128 v[236:239], v2 offset:1280
	ds_read_b128 v[184:187], v2 offset:1296
	;; [unrolled: 1-line block ×5, first 2 shown]
	scratch_load_dwordx4 v[32:35], off, off offset:592
	ds_read_b128 v[220:223], v2 offset:1360
	ds_read_b128 v[216:219], v2 offset:1376
	ds_read_b128 v[40:43], v2 offset:1392
	scratch_load_dwordx4 v[36:39], off, off offset:608
	ds_read_b128 v[64:67], v2 offset:1408
	ds_read_b128 v[60:63], v2 offset:1424
	;; [unrolled: 1-line block ×5, first 2 shown]
	scratch_load_dwordx4 v[52:55], off, off offset:624
	scratch_load_dwordx4 v[68:71], off, off offset:640
	;; [unrolled: 1-line block ×11, first 2 shown]
	ds_read_b128 v[144:147], v2 offset:1520
	ds_read_b128 v[148:151], v2 offset:1536
	;; [unrolled: 1-line block ×3, first 2 shown]
	s_waitcnt vmcnt(30) lgkmcnt(14)
	v_mul_f64 v[0:1], v[156:157], v[134:135]
	s_waitcnt vmcnt(29)
	v_mul_f64 v[108:109], v[172:173], v[162:163]
	v_fmac_f64_e32 v[0:1], v[158:159], v[132:133]
	s_waitcnt vmcnt(28)
	v_mul_f64 v[110:111], v[232:233], v[166:167]
	v_fmac_f64_e32 v[108:109], v[174:175], v[160:161]
	v_add_f64 v[0:1], v[0:1], 0
	s_waitcnt vmcnt(27)
	v_mul_f64 v[112:113], v[228:229], v[170:171]
	v_fmac_f64_e32 v[110:111], v[234:235], v[164:165]
	v_add_f64 v[0:1], v[0:1], v[108:109]
	;; [unrolled: 4-line block ×4, first 2 shown]
	s_waitcnt vmcnt(24) lgkmcnt(13)
	v_mul_f64 v[118:119], v[224:225], v[190:191]
	v_fmac_f64_e32 v[116:117], v[186:187], v[180:181]
	v_add_f64 v[0:1], v[0:1], v[114:115]
	s_waitcnt vmcnt(23) lgkmcnt(12)
	v_mul_f64 v[120:121], v[196:197], v[194:195]
	v_fmac_f64_e32 v[118:119], v[226:227], v[188:189]
	v_add_f64 v[0:1], v[0:1], v[116:117]
	;; [unrolled: 4-line block ×9, first 2 shown]
	v_fmac_f64_e32 v[138:139], v[58:59], v[16:17]
	v_add_f64 v[0:1], v[0:1], v[136:137]
	v_add_f64 v[0:1], v[0:1], v[138:139]
	ds_read_b128 v[136:139], v2 offset:1488
	s_waitcnt vmcnt(15) lgkmcnt(5)
	v_mul_f64 v[140:141], v[48:49], v[22:23]
	v_fmac_f64_e32 v[140:141], v[50:51], v[20:21]
	s_waitcnt vmcnt(14) lgkmcnt(4)
	v_mul_f64 v[112:113], v[44:45], v[26:27]
	scratch_load_dwordx4 v[108:111], off, off offset:800
	v_add_f64 v[0:1], v[0:1], v[140:141]
	v_fmac_f64_e32 v[112:113], v[46:47], v[24:25]
	v_add_f64 v[0:1], v[0:1], v[112:113]
	scratch_load_dwordx4 v[112:115], off, off offset:816
	ds_read_b128 v[140:143], v2 offset:1504
	s_waitcnt vmcnt(15) lgkmcnt(1)
	v_mul_f64 v[116:117], v[136:137], v[30:31]
	v_fmac_f64_e32 v[116:117], v[138:139], v[28:29]
	v_add_f64 v[0:1], v[0:1], v[116:117]
	scratch_load_dwordx4 v[116:119], off, off offset:832
	s_waitcnt vmcnt(15) lgkmcnt(0)
	v_mul_f64 v[120:121], v[140:141], v[34:35]
	v_fmac_f64_e32 v[120:121], v[142:143], v[32:33]
	s_waitcnt vmcnt(14)
	v_mul_f64 v[124:125], v[144:145], v[38:39]
	v_add_f64 v[0:1], v[0:1], v[120:121]
	scratch_load_dwordx4 v[120:123], off, off offset:848
	v_fmac_f64_e32 v[124:125], v[146:147], v[36:37]
	v_add_f64 v[0:1], v[0:1], v[124:125]
	s_waitcnt vmcnt(14)
	v_mul_f64 v[124:125], v[148:149], v[54:55]
	scratch_load_dwordx4 v[128:131], off, off offset:864
	v_fmac_f64_e32 v[124:125], v[150:151], v[52:53]
	v_add_f64 v[0:1], v[0:1], v[124:125]
	scratch_load_dwordx4 v[124:127], off, off offset:880
	v_mul_f64 v[134:135], v[158:159], v[134:135]
	v_fma_f64 v[240:241], v[156:157], v[132:133], -v[134:135]
	ds_read_b128 v[156:159], v2 offset:1568
	s_waitcnt vmcnt(15)
	v_mul_f64 v[132:133], v[152:153], v[70:71]
	v_fmac_f64_e32 v[132:133], v[154:155], v[68:69]
	v_add_f64 v[0:1], v[0:1], v[132:133]
	v_mul_f64 v[132:133], v[174:175], v[162:163]
	v_fma_f64 v[242:243], v[172:173], v[160:161], -v[132:133]
	scratch_load_dwordx4 v[132:135], off, off offset:896
	ds_read_b128 v[160:163], v2 offset:1584
	v_mul_f64 v[166:167], v[234:235], v[166:167]
	v_fma_f64 v[248:249], v[232:233], v[164:165], -v[166:167]
	ds_read_b128 v[164:167], v2 offset:1600
	s_waitcnt vmcnt(15) lgkmcnt(2)
	v_mul_f64 v[172:173], v[156:157], v[74:75]
	v_fmac_f64_e32 v[172:173], v[158:159], v[72:73]
	v_add_f64 v[0:1], v[0:1], v[172:173]
	s_waitcnt vmcnt(14) lgkmcnt(1)
	v_mul_f64 v[172:173], v[160:161], v[78:79]
	v_fmac_f64_e32 v[172:173], v[162:163], v[76:77]
	v_mul_f64 v[170:171], v[230:231], v[170:171]
	v_fma_f64 v[250:251], v[228:229], v[168:169], -v[170:171]
	ds_read_b128 v[168:171], v2 offset:1616
	v_add_f64 v[0:1], v[0:1], v[172:173]
	s_waitcnt vmcnt(13) lgkmcnt(1)
	v_mul_f64 v[172:173], v[164:165], v[82:83]
	v_fmac_f64_e32 v[172:173], v[166:167], v[80:81]
	v_add_f64 v[0:1], v[0:1], v[172:173]
	ds_read_b128 v[172:175], v2 offset:1632
	v_mul_f64 v[178:179], v[238:239], v[178:179]
	v_fma_f64 v[236:237], v[236:237], v[176:177], -v[178:179]
	ds_read_b128 v[176:179], v2 offset:1648
	s_waitcnt vmcnt(12) lgkmcnt(2)
	v_mul_f64 v[228:229], v[168:169], v[86:87]
	v_fmac_f64_e32 v[228:229], v[170:171], v[84:85]
	v_add_f64 v[0:1], v[0:1], v[228:229]
	s_waitcnt vmcnt(11) lgkmcnt(1)
	v_mul_f64 v[228:229], v[172:173], v[90:91]
	v_mul_f64 v[182:183], v[186:187], v[182:183]
	v_fmac_f64_e32 v[228:229], v[174:175], v[88:89]
	v_fma_f64 v[238:239], v[184:185], v[180:181], -v[182:183]
	ds_read_b128 v[180:183], v2 offset:1664
	s_waitcnt vmcnt(10) lgkmcnt(1)
	v_mul_f64 v[184:185], v[176:177], v[94:95]
	v_add_f64 v[0:1], v[0:1], v[228:229]
	v_fmac_f64_e32 v[184:185], v[178:179], v[92:93]
	v_add_f64 v[0:1], v[0:1], v[184:185]
	ds_read_b128 v[184:187], v2 offset:1680
	v_mul_f64 v[190:191], v[226:227], v[190:191]
	v_fma_f64 v[252:253], v[224:225], v[188:189], -v[190:191]
	ds_read_b128 v[188:191], v2 offset:1696
	s_waitcnt vmcnt(9) lgkmcnt(2)
	v_mul_f64 v[228:229], v[180:181], v[98:99]
	v_fmac_f64_e32 v[228:229], v[182:183], v[96:97]
	s_waitcnt vmcnt(8) lgkmcnt(1)
	v_mul_f64 v[224:225], v[184:185], v[102:103]
	v_mul_f64 v[194:195], v[198:199], v[194:195]
	v_add_f64 v[0:1], v[0:1], v[228:229]
	v_fmac_f64_e32 v[224:225], v[186:187], v[100:101]
	v_fma_f64 v[254:255], v[196:197], v[192:193], -v[194:195]
	s_waitcnt vmcnt(7) lgkmcnt(0)
	v_mul_f64 v[196:197], v[188:189], v[106:107]
	ds_read_b128 v[192:195], v2 offset:1712
	v_add_f64 v[0:1], v[0:1], v[224:225]
	v_fmac_f64_e32 v[196:197], v[190:191], v[104:105]
	v_add_f64 v[0:1], v[0:1], v[196:197]
	ds_read_b128 v[196:199], v2 offset:1728
	v_mul_f64 v[202:203], v[210:211], v[202:203]
	v_fma_f64 v[244:245], v[208:209], v[200:201], -v[202:203]
	ds_read_b128 v[200:203], v2 offset:1744
	s_waitcnt vmcnt(6) lgkmcnt(2)
	v_mul_f64 v[224:225], v[192:193], v[110:111]
	v_fmac_f64_e32 v[224:225], v[194:195], v[108:109]
	s_waitcnt vmcnt(5) lgkmcnt(1)
	v_mul_f64 v[208:209], v[196:197], v[114:115]
	v_add_f64 v[0:1], v[0:1], v[224:225]
	v_fmac_f64_e32 v[208:209], v[198:199], v[112:113]
	v_add_f64 v[208:209], v[0:1], v[208:209]
	v_mul_f64 v[0:1], v[222:223], v[206:207]
	v_fma_f64 v[0:1], v[220:221], v[204:205], -v[0:1]
	ds_read_b128 v[204:207], v2 offset:1760
	s_waitcnt vmcnt(4) lgkmcnt(1)
	v_mul_f64 v[210:211], v[200:201], v[118:119]
	v_fmac_f64_e32 v[210:211], v[202:203], v[116:117]
	v_add_f64 v[220:221], v[208:209], v[210:211]
	ds_read_b128 v[208:211], v2 offset:1776
	v_mul_f64 v[214:215], v[218:219], v[214:215]
	v_fma_f64 v[246:247], v[216:217], v[212:213], -v[214:215]
	ds_read_b128 v[212:215], v2 offset:1792
	s_waitcnt vmcnt(3) lgkmcnt(2)
	v_mul_f64 v[216:217], v[204:205], v[122:123]
	v_fmac_f64_e32 v[216:217], v[206:207], v[120:121]
	s_waitcnt vmcnt(2) lgkmcnt(1)
	v_mul_f64 v[218:219], v[208:209], v[130:131]
	v_add_f64 v[216:217], v[220:221], v[216:217]
	v_fmac_f64_e32 v[218:219], v[210:211], v[128:129]
	v_add_f64 v[216:217], v[216:217], v[218:219]
	s_waitcnt vmcnt(1) lgkmcnt(0)
	v_mul_f64 v[218:219], v[212:213], v[126:127]
	v_fmac_f64_e32 v[218:219], v[214:215], v[124:125]
	v_add_f64 v[220:221], v[216:217], v[218:219]
	ds_read_b128 v[216:219], v2 offset:1808
	ds_read_b128 v[224:227], v2 offset:1824
	scratch_load_dwordx4 v[232:235], off, off offset:928
	v_accvgpr_write_b32 a119, v1
	v_accvgpr_write_b32 a118, v0
	s_waitcnt vmcnt(1) lgkmcnt(1)
	v_mul_f64 v[222:223], v[216:217], v[134:135]
	v_fmac_f64_e32 v[222:223], v[218:219], v[132:133]
	v_add_f64 v[228:229], v[220:221], v[222:223]
	scratch_load_dwordx4 v[220:223], off, off offset:912
	v_mul_f64 v[6:7], v[42:43], v[6:7]
	v_fma_f64 v[4:5], v[40:41], v[4:5], -v[6:7]
	s_waitcnt vmcnt(0) lgkmcnt(0)
	v_mul_f64 v[230:231], v[224:225], v[222:223]
	v_fmac_f64_e32 v[230:231], v[226:227], v[220:221]
	v_add_f64 v[0:1], v[228:229], v[230:231]
	ds_read_b128 v[228:231], v2 offset:1840
	s_waitcnt lgkmcnt(0)
	v_mul_f64 v[2:3], v[228:229], v[234:235]
	v_fmac_f64_e32 v[2:3], v[230:231], v[232:233]
	v_add_f64 v[2:3], v[0:1], v[2:3]
	v_add_f64 v[0:1], v[240:241], 0
	;; [unrolled: 1-line block ×7, first 2 shown]
	scratch_load_dwordx4 v[236:239], off, off offset:288
	v_add_f64 v[0:1], v[0:1], v[252:253]
	v_add_f64 v[0:1], v[0:1], v[254:255]
	;; [unrolled: 1-line block ×3, first 2 shown]
	v_accvgpr_read_b32 v0, a118
	v_accvgpr_read_b32 v1, a119
	v_add_f64 v[0:1], v[248:249], v[0:1]
	v_add_f64 v[0:1], v[0:1], v[246:247]
	;; [unrolled: 1-line block ×3, first 2 shown]
	v_mul_f64 v[4:5], v[66:67], v[10:11]
	v_fma_f64 v[4:5], v[64:65], v[8:9], -v[4:5]
	v_add_f64 v[0:1], v[0:1], v[4:5]
	v_mul_f64 v[4:5], v[62:63], v[14:15]
	v_fma_f64 v[4:5], v[60:61], v[12:13], -v[4:5]
	v_add_f64 v[0:1], v[0:1], v[4:5]
	;; [unrolled: 3-line block ×28, first 2 shown]
	s_waitcnt vmcnt(0)
	v_add_f64 v[4:5], v[236:237], -v[0:1]
	v_accvgpr_read_b32 v0, a116
	v_add_f64 v[6:7], v[238:239], -v[2:3]
	v_cmp_lt_u32_e32 vcc, 16, v0
	scratch_store_dwordx4 off, v[4:7], off offset:288
	s_and_saveexec_b64 s[0:1], vcc
	s_cbranch_execz .LBB57_329
; %bb.328:
	scratch_load_dwordx4 v[2:5], off, s53
	v_mov_b32_e32 v6, 0
	v_mov_b32_e32 v7, v6
	;; [unrolled: 1-line block ×4, first 2 shown]
	v_accvgpr_read_b32 v0, a117
	scratch_store_dwordx4 off, v[6:9], off offset:272
	s_waitcnt vmcnt(1)
	ds_write_b128 v0, v[2:5]
.LBB57_329:
	s_or_b64 exec, exec, s[0:1]
	s_waitcnt lgkmcnt(0)
	; wave barrier
	scratch_load_dwordx4 v[112:115], off, off offset:288
	scratch_load_dwordx4 v[116:119], off, off offset:304
	;; [unrolled: 1-line block ×30, first 2 shown]
	v_mov_b32_e32 v2, 0
	ds_read_b128 v[144:147], v2 offset:1200
	ds_read_b128 v[156:159], v2 offset:1216
	;; [unrolled: 1-line block ×20, first 2 shown]
	s_waitcnt vmcnt(29) lgkmcnt(14)
	v_mul_f64 v[0:1], v[144:145], v[114:115]
	s_waitcnt vmcnt(28)
	v_mul_f64 v[88:89], v[156:157], v[118:119]
	v_fmac_f64_e32 v[0:1], v[146:147], v[112:113]
	s_waitcnt vmcnt(27)
	v_mul_f64 v[90:91], v[168:169], v[122:123]
	v_fmac_f64_e32 v[88:89], v[158:159], v[116:117]
	v_add_f64 v[0:1], v[0:1], 0
	s_waitcnt vmcnt(26)
	v_mul_f64 v[92:93], v[180:181], v[154:155]
	v_fmac_f64_e32 v[90:91], v[170:171], v[120:121]
	v_add_f64 v[0:1], v[0:1], v[88:89]
	;; [unrolled: 4-line block ×4, first 2 shown]
	s_waitcnt vmcnt(23) lgkmcnt(13)
	v_mul_f64 v[98:99], v[212:213], v[174:175]
	v_fmac_f64_e32 v[96:97], v[206:207], v[164:165]
	v_add_f64 v[0:1], v[0:1], v[94:95]
	s_waitcnt vmcnt(22) lgkmcnt(12)
	v_mul_f64 v[100:101], v[216:217], v[178:179]
	v_fmac_f64_e32 v[98:99], v[214:215], v[172:173]
	v_add_f64 v[0:1], v[0:1], v[96:97]
	;; [unrolled: 4-line block ×9, first 2 shown]
	v_fmac_f64_e32 v[126:127], v[82:83], v[8:9]
	v_add_f64 v[0:1], v[0:1], v[124:125]
	scratch_load_dwordx4 v[88:91], off, off offset:768
	s_waitcnt vmcnt(15) lgkmcnt(4)
	v_mul_f64 v[128:129], v[76:77], v[236:237]
	v_add_f64 v[0:1], v[0:1], v[126:127]
	ds_read_b128 v[124:127], v2 offset:1472
	v_fmac_f64_e32 v[128:129], v[78:79], v[234:235]
	v_add_f64 v[0:1], v[0:1], v[128:129]
	ds_read_b128 v[128:131], v2 offset:1488
	s_waitcnt vmcnt(14) lgkmcnt(5)
	v_mul_f64 v[92:93], v[72:73], v[18:19]
	v_fmac_f64_e32 v[92:93], v[74:75], v[16:17]
	v_add_f64 v[0:1], v[0:1], v[92:93]
	s_waitcnt vmcnt(13) lgkmcnt(1)
	v_mul_f64 v[96:97], v[124:125], v[22:23]
	scratch_load_dwordx4 v[92:95], off, off offset:784
	v_fmac_f64_e32 v[96:97], v[126:127], v[20:21]
	v_add_f64 v[0:1], v[0:1], v[96:97]
	s_waitcnt vmcnt(13) lgkmcnt(0)
	v_mul_f64 v[100:101], v[128:129], v[26:27]
	scratch_load_dwordx4 v[96:99], off, off offset:800
	v_fmac_f64_e32 v[100:101], v[130:131], v[24:25]
	v_add_f64 v[0:1], v[0:1], v[100:101]
	scratch_load_dwordx4 v[100:103], off, off offset:816
	s_waitcnt vmcnt(14)
	v_mul_f64 v[104:105], v[132:133], v[30:31]
	v_fmac_f64_e32 v[104:105], v[134:135], v[28:29]
	v_add_f64 v[0:1], v[0:1], v[104:105]
	s_waitcnt vmcnt(13)
	v_mul_f64 v[104:105], v[136:137], v[34:35]
	v_fmac_f64_e32 v[104:105], v[138:139], v[32:33]
	v_add_f64 v[0:1], v[0:1], v[104:105]
	scratch_load_dwordx4 v[104:107], off, off offset:832
	s_waitcnt vmcnt(13)
	v_mul_f64 v[108:109], v[140:141], v[38:39]
	v_fmac_f64_e32 v[108:109], v[142:143], v[36:37]
	v_add_f64 v[0:1], v[0:1], v[108:109]
	scratch_load_dwordx4 v[108:111], off, off offset:848
	v_mul_f64 v[114:115], v[146:147], v[114:115]
	v_fma_f64 v[240:241], v[144:145], v[112:113], -v[114:115]
	v_mul_f64 v[112:113], v[158:159], v[118:119]
	ds_read_b128 v[148:151], v2 offset:1552
	ds_read_b128 v[144:147], v2 offset:1568
	v_fma_f64 v[242:243], v[156:157], v[116:117], -v[112:113]
	scratch_load_dwordx4 v[116:119], off, off offset:864
	scratch_load_dwordx4 v[112:115], off, off offset:880
	v_mul_f64 v[122:123], v[170:171], v[122:123]
	v_fma_f64 v[252:253], v[168:169], v[120:121], -v[122:123]
	scratch_load_dwordx4 v[120:123], off, off offset:896
	s_waitcnt vmcnt(16) lgkmcnt(1)
	v_mul_f64 v[156:157], v[148:149], v[42:43]
	v_fmac_f64_e32 v[156:157], v[150:151], v[40:41]
	v_mul_f64 v[154:155], v[182:183], v[154:155]
	v_add_f64 v[0:1], v[0:1], v[156:157]
	v_fma_f64 v[254:255], v[180:181], v[152:153], -v[154:155]
	ds_read_b128 v[152:155], v2 offset:1584
	s_waitcnt vmcnt(15) lgkmcnt(1)
	v_mul_f64 v[156:157], v[144:145], v[46:47]
	v_fmac_f64_e32 v[156:157], v[146:147], v[44:45]
	v_add_f64 v[0:1], v[0:1], v[156:157]
	ds_read_b128 v[156:159], v2 offset:1600
	v_mul_f64 v[162:163], v[194:195], v[162:163]
	v_fma_f64 v[232:233], v[192:193], v[160:161], -v[162:163]
	ds_read_b128 v[160:163], v2 offset:1616
	s_waitcnt vmcnt(14) lgkmcnt(2)
	v_mul_f64 v[168:169], v[152:153], v[50:51]
	v_fmac_f64_e32 v[168:169], v[154:155], v[48:49]
	v_mul_f64 v[166:167], v[206:207], v[166:167]
	v_add_f64 v[0:1], v[0:1], v[168:169]
	s_waitcnt vmcnt(13) lgkmcnt(1)
	v_mul_f64 v[168:169], v[156:157], v[54:55]
	v_fma_f64 v[12:13], v[204:205], v[164:165], -v[166:167]
	ds_read_b128 v[164:167], v2 offset:1632
	v_accvgpr_write_b32 a121, v7
	v_fmac_f64_e32 v[168:169], v[158:159], v[52:53]
	v_accvgpr_write_b32 a120, v6
	v_accvgpr_write_b32 a119, v5
	;; [unrolled: 1-line block ×3, first 2 shown]
	v_add_f64 v[0:1], v[0:1], v[168:169]
	s_waitcnt vmcnt(12) lgkmcnt(1)
	v_mul_f64 v[6:7], v[160:161], v[58:59]
	ds_read_b128 v[168:171], v2 offset:1648
	v_fmac_f64_e32 v[6:7], v[162:163], v[56:57]
	v_accvgpr_write_b32 a125, v11
	v_add_f64 v[0:1], v[0:1], v[6:7]
	v_mul_f64 v[6:7], v[214:215], v[174:175]
	v_accvgpr_write_b32 a124, v10
	v_accvgpr_write_b32 a123, v9
	;; [unrolled: 1-line block ×3, first 2 shown]
	v_fma_f64 v[8:9], v[212:213], v[172:173], -v[6:7]
	s_waitcnt vmcnt(11) lgkmcnt(1)
	v_mul_f64 v[6:7], v[164:165], v[62:63]
	v_fmac_f64_e32 v[6:7], v[166:167], v[60:61]
	ds_read_b128 v[172:175], v2 offset:1664
	v_add_f64 v[0:1], v[0:1], v[6:7]
	s_waitcnt vmcnt(10) lgkmcnt(1)
	v_mul_f64 v[6:7], v[168:169], v[66:67]
	v_fmac_f64_e32 v[6:7], v[170:171], v[64:65]
	v_add_f64 v[0:1], v[0:1], v[6:7]
	v_mul_f64 v[6:7], v[218:219], v[178:179]
	v_fma_f64 v[10:11], v[216:217], v[176:177], -v[6:7]
	ds_read_b128 v[176:179], v2 offset:1680
	ds_read_b128 v[180:183], v2 offset:1696
	s_waitcnt vmcnt(9) lgkmcnt(2)
	v_mul_f64 v[6:7], v[172:173], v[70:71]
	v_fmac_f64_e32 v[6:7], v[174:175], v[68:69]
	v_add_f64 v[0:1], v[0:1], v[6:7]
	s_waitcnt vmcnt(8) lgkmcnt(1)
	v_mul_f64 v[6:7], v[176:177], v[90:91]
	v_fmac_f64_e32 v[6:7], v[178:179], v[88:89]
	v_add_f64 v[0:1], v[0:1], v[6:7]
	v_mul_f64 v[6:7], v[222:223], v[186:187]
	v_fma_f64 v[4:5], v[220:221], v[184:185], -v[6:7]
	ds_read_b128 v[184:187], v2 offset:1712
	v_mul_f64 v[6:7], v[226:227], v[190:191]
	v_fma_f64 v[6:7], v[224:225], v[188:189], -v[6:7]
	ds_read_b128 v[188:191], v2 offset:1728
	s_waitcnt vmcnt(7) lgkmcnt(2)
	v_mul_f64 v[14:15], v[180:181], v[94:95]
	v_fmac_f64_e32 v[14:15], v[182:183], v[92:93]
	v_add_f64 v[0:1], v[0:1], v[14:15]
	s_waitcnt vmcnt(6) lgkmcnt(1)
	v_mul_f64 v[14:15], v[184:185], v[98:99]
	v_fmac_f64_e32 v[14:15], v[186:187], v[96:97]
	v_add_f64 v[0:1], v[0:1], v[14:15]
	s_waitcnt vmcnt(5) lgkmcnt(0)
	v_mul_f64 v[14:15], v[188:189], v[102:103]
	ds_read_b128 v[192:195], v2 offset:1744
	v_fmac_f64_e32 v[14:15], v[190:191], v[100:101]
	v_add_f64 v[14:15], v[0:1], v[14:15]
	v_mul_f64 v[0:1], v[230:231], v[198:199]
	v_fma_f64 v[0:1], v[228:229], v[196:197], -v[0:1]
	ds_read_b128 v[196:199], v2 offset:1760
	v_mul_f64 v[202:203], v[246:247], v[202:203]
	s_waitcnt vmcnt(4) lgkmcnt(1)
	v_mul_f64 v[204:205], v[192:193], v[106:107]
	v_fma_f64 v[238:239], v[244:245], v[200:201], -v[202:203]
	ds_read_b128 v[200:203], v2 offset:1776
	v_fmac_f64_e32 v[204:205], v[194:195], v[104:105]
	v_add_f64 v[14:15], v[14:15], v[204:205]
	ds_read_b128 v[204:207], v2 offset:1792
	s_waitcnt vmcnt(3) lgkmcnt(2)
	v_mul_f64 v[212:213], v[196:197], v[110:111]
	v_mul_f64 v[210:211], v[250:251], v[210:211]
	v_fmac_f64_e32 v[212:213], v[198:199], v[108:109]
	v_fma_f64 v[244:245], v[248:249], v[208:209], -v[210:211]
	ds_read_b128 v[208:211], v2 offset:1808
	ds_read_b128 v[216:219], v2 offset:1824
	v_add_f64 v[14:15], v[14:15], v[212:213]
	s_waitcnt vmcnt(2) lgkmcnt(3)
	v_mul_f64 v[212:213], v[200:201], v[118:119]
	v_fmac_f64_e32 v[212:213], v[202:203], v[116:117]
	v_add_f64 v[14:15], v[14:15], v[212:213]
	s_waitcnt vmcnt(1) lgkmcnt(2)
	v_mul_f64 v[212:213], v[204:205], v[114:115]
	v_fmac_f64_e32 v[212:213], v[206:207], v[112:113]
	;; [unrolled: 4-line block ×3, first 2 shown]
	v_add_f64 v[14:15], v[14:15], v[212:213]
	scratch_load_dwordx4 v[212:215], off, off offset:912
	ds_read_b128 v[224:227], v2 offset:1840
	s_waitcnt vmcnt(0) lgkmcnt(1)
	v_mul_f64 v[220:221], v[216:217], v[214:215]
	v_fmac_f64_e32 v[220:221], v[218:219], v[212:213]
	v_add_f64 v[14:15], v[14:15], v[220:221]
	scratch_load_dwordx4 v[220:223], off, off offset:928
	s_waitcnt vmcnt(0) lgkmcnt(0)
	v_mul_f64 v[228:229], v[224:225], v[222:223]
	v_fmac_f64_e32 v[228:229], v[226:227], v[220:221]
	v_add_f64 v[248:249], v[14:15], v[228:229]
	scratch_load_dwordx4 v[228:231], off, off offset:272
	v_add_f64 v[14:15], v[240:241], 0
	v_add_f64 v[14:15], v[14:15], v[242:243]
	;; [unrolled: 1-line block ×10, first 2 shown]
	v_accvgpr_read_b32 v6, a118
	v_accvgpr_read_b32 v8, a120
	;; [unrolled: 1-line block ×3, first 2 shown]
	v_add_f64 v[0:1], v[4:5], v[0:1]
	v_accvgpr_read_b32 v7, a119
	v_mul_f64 v[4:5], v[86:87], v[8:9]
	v_add_f64 v[0:1], v[0:1], v[238:239]
	v_fma_f64 v[4:5], v[84:85], v[6:7], -v[4:5]
	v_accvgpr_read_b32 v6, a122
	v_add_f64 v[0:1], v[0:1], v[244:245]
	v_accvgpr_read_b32 v8, a124
	v_accvgpr_read_b32 v9, a125
	v_add_f64 v[0:1], v[0:1], v[4:5]
	v_accvgpr_read_b32 v7, a123
	v_mul_f64 v[4:5], v[82:83], v[8:9]
	v_fma_f64 v[4:5], v[80:81], v[6:7], -v[4:5]
	v_add_f64 v[0:1], v[0:1], v[4:5]
	v_mul_f64 v[4:5], v[78:79], v[236:237]
	v_fma_f64 v[4:5], v[76:77], v[234:235], -v[4:5]
	v_add_f64 v[0:1], v[0:1], v[4:5]
	;; [unrolled: 3-line block ×27, first 2 shown]
	s_waitcnt vmcnt(0)
	v_add_f64 v[4:5], v[228:229], -v[0:1]
	v_accvgpr_read_b32 v0, a116
	v_add_f64 v[6:7], v[230:231], -v[248:249]
	v_cmp_lt_u32_e32 vcc, 15, v0
	scratch_store_dwordx4 off, v[4:7], off offset:272
	s_and_saveexec_b64 s[0:1], vcc
	s_cbranch_execz .LBB57_331
; %bb.330:
	scratch_load_dwordx4 v[6:9], off, s52
	v_mov_b32_e32 v3, v2
	v_mov_b32_e32 v4, v2
	;; [unrolled: 1-line block ×3, first 2 shown]
	v_accvgpr_read_b32 v0, a117
	scratch_store_dwordx4 off, v[2:5], off offset:256
	s_waitcnt vmcnt(1)
	ds_write_b128 v0, v[6:9]
.LBB57_331:
	s_or_b64 exec, exec, s[0:1]
	s_waitcnt lgkmcnt(0)
	; wave barrier
	scratch_load_dwordx4 v[88:91], off, off offset:272
	scratch_load_dwordx4 v[92:95], off, off offset:288
	;; [unrolled: 1-line block ×17, first 2 shown]
	ds_read_b128 v[212:215], v2 offset:1184
	ds_read_b128 v[204:207], v2 offset:1200
	;; [unrolled: 1-line block ×3, first 2 shown]
	scratch_load_dwordx4 v[20:23], off, off offset:544
	ds_read_b128 v[216:219], v2 offset:1232
	ds_read_b128 v[208:211], v2 offset:1248
	;; [unrolled: 1-line block ×5, first 2 shown]
	scratch_load_dwordx4 v[24:27], off, off offset:560
	ds_read_b128 v[180:183], v2 offset:1312
	ds_read_b128 v[160:163], v2 offset:1328
	;; [unrolled: 1-line block ×3, first 2 shown]
	scratch_load_dwordx4 v[28:31], off, off offset:576
	ds_read_b128 v[172:175], v2 offset:1360
	ds_read_b128 v[148:151], v2 offset:1376
	;; [unrolled: 1-line block ×5, first 2 shown]
	scratch_load_dwordx4 v[36:39], off, off offset:592
	ds_read_b128 v[48:51], v2 offset:1440
	scratch_load_dwordx4 v[52:55], off, off offset:608
	scratch_load_dwordx4 v[56:59], off, off offset:624
	;; [unrolled: 1-line block ×9, first 2 shown]
	ds_read_b128 v[140:143], v2 offset:1456
	ds_read_b128 v[232:235], v2 offset:1520
	;; [unrolled: 1-line block ×3, first 2 shown]
	s_waitcnt vmcnt(29) lgkmcnt(14)
	v_mul_f64 v[0:1], v[212:213], v[90:91]
	s_waitcnt vmcnt(28)
	v_mul_f64 v[152:153], v[204:205], v[94:95]
	v_fmac_f64_e32 v[0:1], v[214:215], v[88:89]
	s_waitcnt vmcnt(27)
	v_mul_f64 v[154:155], v[196:197], v[98:99]
	v_fmac_f64_e32 v[152:153], v[206:207], v[92:93]
	v_add_f64 v[0:1], v[0:1], 0
	s_waitcnt vmcnt(26)
	v_mul_f64 v[164:165], v[216:217], v[102:103]
	v_fmac_f64_e32 v[154:155], v[198:199], v[96:97]
	v_add_f64 v[0:1], v[0:1], v[152:153]
	;; [unrolled: 4-line block ×4, first 2 shown]
	s_waitcnt vmcnt(23) lgkmcnt(13)
	v_mul_f64 v[170:171], v[184:185], v[114:115]
	v_fmac_f64_e32 v[168:169], v[202:203], v[108:109]
	v_add_f64 v[0:1], v[0:1], v[166:167]
	s_waitcnt vmcnt(22) lgkmcnt(12)
	v_mul_f64 v[176:177], v[156:157], v[118:119]
	v_fmac_f64_e32 v[170:171], v[186:187], v[112:113]
	v_add_f64 v[0:1], v[0:1], v[168:169]
	;; [unrolled: 4-line block ×10, first 2 shown]
	v_fmac_f64_e32 v[224:225], v[34:35], v[12:13]
	v_add_f64 v[0:1], v[0:1], v[222:223]
	ds_read_b128 v[220:223], v2 offset:1472
	v_add_f64 v[0:1], v[0:1], v[224:225]
	ds_read_b128 v[224:227], v2 offset:1488
	s_waitcnt vmcnt(13) lgkmcnt(5)
	v_mul_f64 v[164:165], v[48:49], v[18:19]
	scratch_load_dwordx4 v[152:155], off, off offset:752
	v_fmac_f64_e32 v[164:165], v[50:51], v[16:17]
	s_waitcnt vmcnt(13) lgkmcnt(4)
	v_mul_f64 v[168:169], v[140:141], v[22:23]
	v_add_f64 v[0:1], v[0:1], v[164:165]
	v_fmac_f64_e32 v[168:169], v[142:143], v[20:21]
	scratch_load_dwordx4 v[164:167], off, off offset:768
	v_add_f64 v[0:1], v[0:1], v[168:169]
	s_waitcnt vmcnt(13) lgkmcnt(1)
	v_mul_f64 v[176:177], v[220:221], v[26:27]
	scratch_load_dwordx4 v[168:171], off, off offset:784
	v_fmac_f64_e32 v[176:177], v[222:223], v[24:25]
	s_waitcnt vmcnt(13) lgkmcnt(0)
	v_mul_f64 v[188:189], v[224:225], v[30:31]
	v_add_f64 v[0:1], v[0:1], v[176:177]
	scratch_load_dwordx4 v[176:179], off, off offset:800
	v_fmac_f64_e32 v[188:189], v[226:227], v[28:29]
	v_add_f64 v[0:1], v[0:1], v[188:189]
	s_waitcnt vmcnt(13)
	v_mul_f64 v[188:189], v[228:229], v[38:39]
	v_fmac_f64_e32 v[188:189], v[230:231], v[36:37]
	v_add_f64 v[0:1], v[0:1], v[188:189]
	scratch_load_dwordx4 v[188:191], off, off offset:816
	s_waitcnt vmcnt(13)
	v_mul_f64 v[192:193], v[232:233], v[54:55]
	v_fmac_f64_e32 v[192:193], v[234:235], v[52:53]
	v_mul_f64 v[90:91], v[214:215], v[90:91]
	v_add_f64 v[0:1], v[0:1], v[192:193]
	scratch_load_dwordx4 v[192:195], off, off offset:832
	v_fma_f64 v[240:241], v[212:213], v[88:89], -v[90:91]
	v_mul_f64 v[88:89], v[206:207], v[94:95]
	ds_read_b128 v[236:239], v2 offset:1536
	ds_read_b128 v[212:215], v2 offset:1552
	v_fma_f64 v[242:243], v[204:205], v[92:93], -v[88:89]
	scratch_load_dwordx4 v[92:95], off, off offset:848
	scratch_load_dwordx4 v[88:91], off, off offset:864
	v_mul_f64 v[98:99], v[198:199], v[98:99]
	v_fma_f64 v[248:249], v[196:197], v[96:97], -v[98:99]
	scratch_load_dwordx4 v[96:99], off, off offset:880
	s_waitcnt vmcnt(16) lgkmcnt(1)
	v_mul_f64 v[204:205], v[236:237], v[58:59]
	v_mul_f64 v[102:103], v[218:219], v[102:103]
	v_fmac_f64_e32 v[204:205], v[238:239], v[56:57]
	v_fma_f64 v[216:217], v[216:217], v[100:101], -v[102:103]
	ds_read_b128 v[100:103], v2 offset:1568
	s_waitcnt vmcnt(15) lgkmcnt(1)
	v_mul_f64 v[196:197], v[212:213], v[62:63]
	v_add_f64 v[0:1], v[0:1], v[204:205]
	v_fmac_f64_e32 v[196:197], v[214:215], v[60:61]
	v_add_f64 v[0:1], v[0:1], v[196:197]
	ds_read_b128 v[196:199], v2 offset:1584
	v_mul_f64 v[106:107], v[210:211], v[106:107]
	v_fma_f64 v[218:219], v[208:209], v[104:105], -v[106:107]
	ds_read_b128 v[104:107], v2 offset:1600
	s_waitcnt vmcnt(14) lgkmcnt(2)
	v_mul_f64 v[204:205], v[100:101], v[66:67]
	v_fmac_f64_e32 v[204:205], v[102:103], v[64:65]
	v_add_f64 v[0:1], v[0:1], v[204:205]
	s_waitcnt vmcnt(13) lgkmcnt(1)
	v_mul_f64 v[204:205], v[196:197], v[70:71]
	v_mul_f64 v[110:111], v[202:203], v[110:111]
	v_fmac_f64_e32 v[204:205], v[198:199], v[68:69]
	v_fma_f64 v[250:251], v[200:201], v[108:109], -v[110:111]
	ds_read_b128 v[108:111], v2 offset:1616
	s_waitcnt vmcnt(12) lgkmcnt(1)
	v_mul_f64 v[200:201], v[104:105], v[74:75]
	v_add_f64 v[0:1], v[0:1], v[204:205]
	v_fmac_f64_e32 v[200:201], v[106:107], v[72:73]
	v_add_f64 v[0:1], v[0:1], v[200:201]
	ds_read_b128 v[200:203], v2 offset:1632
	v_mul_f64 v[114:115], v[186:187], v[114:115]
	v_fma_f64 v[252:253], v[184:185], v[112:113], -v[114:115]
	ds_read_b128 v[112:115], v2 offset:1648
	s_waitcnt vmcnt(11) lgkmcnt(2)
	v_mul_f64 v[184:185], v[108:109], v[78:79]
	v_fmac_f64_e32 v[184:185], v[110:111], v[76:77]
	v_add_f64 v[0:1], v[0:1], v[184:185]
	s_waitcnt vmcnt(10) lgkmcnt(1)
	v_mul_f64 v[184:185], v[200:201], v[82:83]
	v_mul_f64 v[118:119], v[158:159], v[118:119]
	v_fmac_f64_e32 v[184:185], v[202:203], v[80:81]
	v_fma_f64 v[254:255], v[156:157], v[116:117], -v[118:119]
	s_waitcnt vmcnt(9) lgkmcnt(0)
	v_mul_f64 v[156:157], v[112:113], v[86:87]
	v_add_f64 v[0:1], v[0:1], v[184:185]
	ds_read_b128 v[116:119], v2 offset:1664
	v_fmac_f64_e32 v[156:157], v[114:115], v[84:85]
	v_add_f64 v[0:1], v[0:1], v[156:157]
	ds_read_b128 v[156:159], v2 offset:1680
	v_mul_f64 v[122:123], v[182:183], v[122:123]
	v_fma_f64 v[244:245], v[180:181], v[120:121], -v[122:123]
	ds_read_b128 v[120:123], v2 offset:1696
	v_accvgpr_write_b32 a121, v7
	v_mul_f64 v[126:127], v[162:163], v[126:127]
	v_accvgpr_write_b32 a120, v6
	v_accvgpr_write_b32 a119, v5
	;; [unrolled: 1-line block ×3, first 2 shown]
	v_fma_f64 v[4:5], v[160:161], v[124:125], -v[126:127]
	ds_read_b128 v[124:127], v2 offset:1712
	s_waitcnt vmcnt(8) lgkmcnt(3)
	v_mul_f64 v[184:185], v[116:117], v[154:155]
	v_fmac_f64_e32 v[184:185], v[118:119], v[152:153]
	s_waitcnt vmcnt(7) lgkmcnt(2)
	v_mul_f64 v[180:181], v[156:157], v[166:167]
	v_add_f64 v[0:1], v[0:1], v[184:185]
	v_fmac_f64_e32 v[180:181], v[158:159], v[164:165]
	s_waitcnt vmcnt(6) lgkmcnt(1)
	v_mul_f64 v[6:7], v[120:121], v[170:171]
	ds_read_b128 v[160:163], v2 offset:1728
	v_add_f64 v[0:1], v[0:1], v[180:181]
	v_fmac_f64_e32 v[6:7], v[122:123], v[168:169]
	v_add_f64 v[0:1], v[0:1], v[6:7]
	s_waitcnt vmcnt(5) lgkmcnt(1)
	v_mul_f64 v[6:7], v[124:125], v[178:179]
	v_fmac_f64_e32 v[6:7], v[126:127], v[176:177]
	v_add_f64 v[0:1], v[0:1], v[6:7]
	v_mul_f64 v[6:7], v[146:147], v[130:131]
	v_fma_f64 v[6:7], v[144:145], v[128:129], -v[6:7]
	ds_read_b128 v[128:131], v2 offset:1744
	s_waitcnt vmcnt(4) lgkmcnt(1)
	v_mul_f64 v[144:145], v[160:161], v[190:191]
	v_fmac_f64_e32 v[144:145], v[162:163], v[188:189]
	v_add_f64 v[180:181], v[0:1], v[144:145]
	v_mul_f64 v[0:1], v[174:175], v[134:135]
	v_fma_f64 v[0:1], v[172:173], v[132:133], -v[0:1]
	ds_read_b128 v[132:135], v2 offset:1760
	ds_read_b128 v[144:147], v2 offset:1776
	v_mul_f64 v[138:139], v[150:151], v[138:139]
	v_fma_f64 v[246:247], v[148:149], v[136:137], -v[138:139]
	ds_read_b128 v[136:139], v2 offset:1792
	s_waitcnt vmcnt(3) lgkmcnt(3)
	v_mul_f64 v[172:173], v[128:129], v[194:195]
	v_fmac_f64_e32 v[172:173], v[130:131], v[192:193]
	s_waitcnt vmcnt(2) lgkmcnt(2)
	v_mul_f64 v[148:149], v[132:133], v[94:95]
	v_add_f64 v[172:173], v[180:181], v[172:173]
	v_fmac_f64_e32 v[148:149], v[134:135], v[92:93]
	s_waitcnt vmcnt(1) lgkmcnt(1)
	v_mul_f64 v[150:151], v[144:145], v[90:91]
	v_add_f64 v[148:149], v[172:173], v[148:149]
	v_fmac_f64_e32 v[150:151], v[146:147], v[88:89]
	v_add_f64 v[148:149], v[148:149], v[150:151]
	ds_read_b128 v[172:175], v2 offset:1808
	scratch_load_dwordx4 v[208:211], off, off offset:928
	s_waitcnt vmcnt(1) lgkmcnt(1)
	v_mul_f64 v[150:151], v[136:137], v[98:99]
	v_fmac_f64_e32 v[150:151], v[138:139], v[96:97]
	v_add_f64 v[180:181], v[148:149], v[150:151]
	scratch_load_dwordx4 v[148:151], off, off offset:896
	ds_read_b128 v[184:187], v2 offset:1824
	v_accvgpr_write_b32 a123, v1
	v_accvgpr_write_b32 a122, v0
	s_waitcnt vmcnt(0) lgkmcnt(1)
	v_mul_f64 v[182:183], v[172:173], v[150:151]
	v_fmac_f64_e32 v[182:183], v[174:175], v[148:149]
	v_add_f64 v[204:205], v[180:181], v[182:183]
	scratch_load_dwordx4 v[180:183], off, off offset:912
	s_waitcnt vmcnt(0) lgkmcnt(0)
	v_mul_f64 v[206:207], v[184:185], v[182:183]
	v_fmac_f64_e32 v[206:207], v[186:187], v[180:181]
	v_add_f64 v[0:1], v[204:205], v[206:207]
	ds_read_b128 v[204:207], v2 offset:1840
	s_waitcnt lgkmcnt(0)
	v_mul_f64 v[2:3], v[204:205], v[210:211]
	v_fmac_f64_e32 v[2:3], v[206:207], v[208:209]
	v_add_f64 v[2:3], v[0:1], v[2:3]
	v_add_f64 v[0:1], v[240:241], 0
	;; [unrolled: 1-line block ×6, first 2 shown]
	scratch_load_dwordx4 v[216:219], off, off offset:256
	v_add_f64 v[0:1], v[0:1], v[250:251]
	v_add_f64 v[0:1], v[0:1], v[252:253]
	;; [unrolled: 1-line block ×6, first 2 shown]
	v_accvgpr_read_b32 v0, a122
	v_accvgpr_read_b32 v243, a121
	;; [unrolled: 1-line block ×4, first 2 shown]
	v_add_f64 v[0:1], v[248:249], v[0:1]
	v_accvgpr_read_b32 v241, a119
	v_accvgpr_read_b32 v240, a118
	v_mul_f64 v[4:5], v[46:47], v[242:243]
	v_add_f64 v[0:1], v[0:1], v[246:247]
	v_fma_f64 v[4:5], v[44:45], v[240:241], -v[4:5]
	v_add_f64 v[0:1], v[0:1], v[4:5]
	v_mul_f64 v[4:5], v[42:43], v[10:11]
	v_fma_f64 v[4:5], v[40:41], v[8:9], -v[4:5]
	v_add_f64 v[0:1], v[0:1], v[4:5]
	v_mul_f64 v[4:5], v[34:35], v[14:15]
	;; [unrolled: 3-line block ×28, first 2 shown]
	v_fma_f64 v[4:5], v[204:205], v[208:209], -v[4:5]
	v_add_f64 v[0:1], v[0:1], v[4:5]
	s_waitcnt vmcnt(0)
	v_add_f64 v[4:5], v[216:217], -v[0:1]
	v_accvgpr_read_b32 v0, a116
	v_add_f64 v[6:7], v[218:219], -v[2:3]
	v_cmp_lt_u32_e32 vcc, 14, v0
	scratch_store_dwordx4 off, v[4:7], off offset:256
	s_and_saveexec_b64 s[0:1], vcc
	s_cbranch_execz .LBB57_333
; %bb.332:
	scratch_load_dwordx4 v[2:5], off, s51
	v_mov_b32_e32 v6, 0
	v_mov_b32_e32 v7, v6
	;; [unrolled: 1-line block ×4, first 2 shown]
	v_accvgpr_read_b32 v0, a117
	scratch_store_dwordx4 off, v[6:9], off offset:240
	s_waitcnt vmcnt(1)
	ds_write_b128 v0, v[2:5]
.LBB57_333:
	s_or_b64 exec, exec, s[0:1]
	s_waitcnt lgkmcnt(0)
	; wave barrier
	scratch_load_dwordx4 v[96:99], off, off offset:256
	scratch_load_dwordx4 v[100:103], off, off offset:272
	;; [unrolled: 1-line block ×30, first 2 shown]
	v_mov_b32_e32 v2, 0
	ds_read_b128 v[136:139], v2 offset:1168
	ds_read_b128 v[144:147], v2 offset:1184
	;; [unrolled: 1-line block ×20, first 2 shown]
	s_waitcnt vmcnt(29) lgkmcnt(14)
	v_mul_f64 v[0:1], v[136:137], v[98:99]
	s_waitcnt vmcnt(28)
	v_mul_f64 v[72:73], v[144:145], v[102:103]
	v_fmac_f64_e32 v[0:1], v[138:139], v[96:97]
	s_waitcnt vmcnt(27)
	v_mul_f64 v[74:75], v[148:149], v[106:107]
	v_fmac_f64_e32 v[72:73], v[146:147], v[100:101]
	v_add_f64 v[0:1], v[0:1], 0
	s_waitcnt vmcnt(26)
	v_mul_f64 v[76:77], v[164:165], v[110:111]
	v_fmac_f64_e32 v[74:75], v[150:151], v[104:105]
	v_add_f64 v[0:1], v[0:1], v[72:73]
	;; [unrolled: 4-line block ×4, first 2 shown]
	s_waitcnt vmcnt(23) lgkmcnt(13)
	v_mul_f64 v[82:83], v[200:201], v[158:159]
	v_fmac_f64_e32 v[80:81], v[190:191], v[152:153]
	v_add_f64 v[0:1], v[0:1], v[78:79]
	s_waitcnt vmcnt(22) lgkmcnt(12)
	v_mul_f64 v[84:85], v[208:209], v[162:163]
	v_fmac_f64_e32 v[82:83], v[202:203], v[156:157]
	v_add_f64 v[0:1], v[0:1], v[80:81]
	;; [unrolled: 4-line block ×9, first 2 shown]
	s_waitcnt vmcnt(14) lgkmcnt(4)
	v_mul_f64 v[120:121], v[68:69], v[6:7]
	v_fmac_f64_e32 v[118:119], v[250:251], v[204:205]
	v_accvgpr_write_b32 a121, v7
	v_add_f64 v[0:1], v[0:1], v[116:117]
	v_fmac_f64_e32 v[120:121], v[70:71], v[4:5]
	v_accvgpr_write_b32 a120, v6
	v_accvgpr_write_b32 a119, v5
	;; [unrolled: 1-line block ×3, first 2 shown]
	v_add_f64 v[0:1], v[0:1], v[118:119]
	ds_read_b128 v[116:119], v2 offset:1440
	s_waitcnt vmcnt(13)
	v_mov_b64_e32 v[4:5], v[8:9]
	v_mov_b64_e32 v[6:7], v[10:11]
	s_waitcnt lgkmcnt(4)
	v_mul_f64 v[76:77], v[64:65], v[6:7]
	scratch_load_dwordx4 v[72:75], off, off offset:736
	v_add_f64 v[0:1], v[0:1], v[120:121]
	v_fmac_f64_e32 v[76:77], v[66:67], v[4:5]
	s_waitcnt vmcnt(13)
	v_mov_b64_e32 v[4:5], v[12:13]
	v_add_f64 v[0:1], v[0:1], v[76:77]
	v_mov_b64_e32 v[6:7], v[14:15]
	scratch_load_dwordx4 v[76:79], off, off offset:752
	ds_read_b128 v[120:123], v2 offset:1456
	s_waitcnt lgkmcnt(1)
	v_mul_f64 v[80:81], v[116:117], v[6:7]
	v_fmac_f64_e32 v[80:81], v[118:119], v[4:5]
	v_add_f64 v[0:1], v[0:1], v[80:81]
	scratch_load_dwordx4 v[80:83], off, off offset:768
	s_waitcnt vmcnt(14) lgkmcnt(0)
	v_mul_f64 v[84:85], v[120:121], v[236:237]
	v_fmac_f64_e32 v[84:85], v[122:123], v[234:235]
	s_waitcnt vmcnt(13)
	v_mul_f64 v[88:89], v[124:125], v[22:23]
	v_add_f64 v[0:1], v[0:1], v[84:85]
	v_fmac_f64_e32 v[88:89], v[126:127], v[20:21]
	scratch_load_dwordx4 v[84:87], off, off offset:784
	v_add_f64 v[0:1], v[0:1], v[88:89]
	s_waitcnt vmcnt(13)
	v_mul_f64 v[88:89], v[128:129], v[26:27]
	v_fmac_f64_e32 v[88:89], v[130:131], v[24:25]
	v_add_f64 v[0:1], v[0:1], v[88:89]
	scratch_load_dwordx4 v[88:91], off, off offset:800
	s_waitcnt vmcnt(13)
	v_mul_f64 v[92:93], v[132:133], v[30:31]
	v_fmac_f64_e32 v[92:93], v[134:135], v[28:29]
	v_add_f64 v[0:1], v[0:1], v[92:93]
	scratch_load_dwordx4 v[92:95], off, off offset:816
	v_mul_f64 v[98:99], v[138:139], v[98:99]
	v_fma_f64 v[240:241], v[136:137], v[96:97], -v[98:99]
	v_mul_f64 v[96:97], v[146:147], v[102:103]
	ds_read_b128 v[140:143], v2 offset:1520
	ds_read_b128 v[136:139], v2 offset:1536
	v_fma_f64 v[242:243], v[144:145], v[100:101], -v[96:97]
	scratch_load_dwordx4 v[100:103], off, off offset:832
	scratch_load_dwordx4 v[96:99], off, off offset:848
	s_waitcnt vmcnt(15) lgkmcnt(1)
	v_mul_f64 v[144:145], v[140:141], v[34:35]
	v_fmac_f64_e32 v[144:145], v[142:143], v[32:33]
	v_mul_f64 v[106:107], v[150:151], v[106:107]
	v_add_f64 v[0:1], v[0:1], v[144:145]
	s_waitcnt vmcnt(14) lgkmcnt(0)
	v_mul_f64 v[144:145], v[136:137], v[38:39]
	v_fma_f64 v[252:253], v[148:149], v[104:105], -v[106:107]
	v_mul_f64 v[104:105], v[166:167], v[110:111]
	v_fmac_f64_e32 v[144:145], v[138:139], v[36:37]
	v_fma_f64 v[254:255], v[164:165], v[108:109], -v[104:105]
	scratch_load_dwordx4 v[104:107], off, off offset:864
	v_add_f64 v[0:1], v[0:1], v[144:145]
	ds_read_b128 v[144:147], v2 offset:1552
	ds_read_b128 v[148:151], v2 offset:1568
	v_mul_f64 v[108:109], v[178:179], v[114:115]
	v_fma_f64 v[232:233], v[176:177], v[112:113], -v[108:109]
	scratch_load_dwordx4 v[108:111], off, off offset:880
	s_waitcnt vmcnt(15) lgkmcnt(1)
	v_mul_f64 v[112:113], v[144:145], v[42:43]
	v_fmac_f64_e32 v[112:113], v[146:147], v[40:41]
	v_add_f64 v[0:1], v[0:1], v[112:113]
	v_mul_f64 v[112:113], v[190:191], v[154:155]
	v_fma_f64 v[16:17], v[188:189], v[152:153], -v[112:113]
	scratch_load_dwordx4 v[112:115], off, off offset:896
	ds_read_b128 v[152:155], v2 offset:1584
	s_waitcnt vmcnt(15) lgkmcnt(1)
	v_mul_f64 v[6:7], v[148:149], v[46:47]
	v_fmac_f64_e32 v[6:7], v[150:151], v[44:45]
	v_accvgpr_write_b32 a129, v15
	v_add_f64 v[0:1], v[0:1], v[6:7]
	v_mul_f64 v[6:7], v[202:203], v[158:159]
	v_accvgpr_write_b32 a128, v14
	v_accvgpr_write_b32 a127, v13
	;; [unrolled: 1-line block ×3, first 2 shown]
	v_fma_f64 v[12:13], v[200:201], v[156:157], -v[6:7]
	ds_read_b128 v[156:159], v2 offset:1600
	s_waitcnt vmcnt(14) lgkmcnt(1)
	v_mul_f64 v[6:7], v[152:153], v[50:51]
	v_fmac_f64_e32 v[6:7], v[154:155], v[48:49]
	v_accvgpr_write_b32 a125, v11
	v_add_f64 v[0:1], v[0:1], v[6:7]
	v_mul_f64 v[6:7], v[210:211], v[162:163]
	v_accvgpr_write_b32 a124, v10
	v_accvgpr_write_b32 a123, v9
	;; [unrolled: 1-line block ×3, first 2 shown]
	v_fma_f64 v[10:11], v[208:209], v[160:161], -v[6:7]
	ds_read_b128 v[160:163], v2 offset:1616
	ds_read_b128 v[164:167], v2 offset:1632
	s_waitcnt vmcnt(13) lgkmcnt(2)
	v_mul_f64 v[6:7], v[156:157], v[54:55]
	v_fmac_f64_e32 v[6:7], v[158:159], v[52:53]
	v_add_f64 v[0:1], v[0:1], v[6:7]
	s_waitcnt vmcnt(12) lgkmcnt(1)
	v_mul_f64 v[6:7], v[160:161], v[62:63]
	v_fmac_f64_e32 v[6:7], v[162:163], v[60:61]
	v_add_f64 v[0:1], v[0:1], v[6:7]
	v_mul_f64 v[6:7], v[214:215], v[170:171]
	v_fma_f64 v[8:9], v[212:213], v[168:169], -v[6:7]
	s_waitcnt vmcnt(11) lgkmcnt(0)
	v_mul_f64 v[6:7], v[164:165], v[58:59]
	v_fmac_f64_e32 v[6:7], v[166:167], v[56:57]
	ds_read_b128 v[168:171], v2 offset:1648
	v_add_f64 v[0:1], v[0:1], v[6:7]
	v_mul_f64 v[6:7], v[218:219], v[174:175]
	v_fma_f64 v[14:15], v[216:217], v[172:173], -v[6:7]
	ds_read_b128 v[172:175], v2 offset:1664
	s_waitcnt vmcnt(10) lgkmcnt(1)
	v_mul_f64 v[6:7], v[168:169], v[74:75]
	ds_read_b128 v[176:179], v2 offset:1680
	v_fmac_f64_e32 v[6:7], v[170:171], v[72:73]
	v_add_f64 v[0:1], v[0:1], v[6:7]
	s_waitcnt vmcnt(9) lgkmcnt(1)
	v_mul_f64 v[6:7], v[172:173], v[78:79]
	v_fmac_f64_e32 v[6:7], v[174:175], v[76:77]
	v_add_f64 v[0:1], v[0:1], v[6:7]
	v_mul_f64 v[6:7], v[222:223], v[182:183]
	v_fma_f64 v[4:5], v[220:221], v[180:181], -v[6:7]
	ds_read_b128 v[180:183], v2 offset:1696
	s_waitcnt vmcnt(8) lgkmcnt(1)
	v_mul_f64 v[6:7], v[176:177], v[82:83]
	v_fmac_f64_e32 v[6:7], v[178:179], v[80:81]
	v_add_f64 v[0:1], v[0:1], v[6:7]
	v_mul_f64 v[6:7], v[226:227], v[186:187]
	v_fma_f64 v[6:7], v[224:225], v[184:185], -v[6:7]
	ds_read_b128 v[184:187], v2 offset:1712
	ds_read_b128 v[188:191], v2 offset:1728
	s_waitcnt vmcnt(7) lgkmcnt(2)
	v_mul_f64 v[18:19], v[180:181], v[86:87]
	v_fmac_f64_e32 v[18:19], v[182:183], v[84:85]
	v_add_f64 v[0:1], v[0:1], v[18:19]
	s_waitcnt vmcnt(6) lgkmcnt(1)
	v_mul_f64 v[18:19], v[184:185], v[90:91]
	v_fmac_f64_e32 v[18:19], v[186:187], v[88:89]
	v_add_f64 v[18:19], v[0:1], v[18:19]
	v_mul_f64 v[0:1], v[230:231], v[194:195]
	v_fma_f64 v[0:1], v[228:229], v[192:193], -v[0:1]
	ds_read_b128 v[192:195], v2 offset:1744
	s_waitcnt vmcnt(5) lgkmcnt(1)
	v_mul_f64 v[200:201], v[188:189], v[94:95]
	v_fmac_f64_e32 v[200:201], v[190:191], v[92:93]
	v_mul_f64 v[198:199], v[246:247], v[198:199]
	v_fma_f64 v[238:239], v[244:245], v[196:197], -v[198:199]
	ds_read_b128 v[196:199], v2 offset:1760
	v_add_f64 v[18:19], v[18:19], v[200:201]
	s_waitcnt vmcnt(4) lgkmcnt(1)
	v_mul_f64 v[200:201], v[192:193], v[102:103]
	v_fmac_f64_e32 v[200:201], v[194:195], v[100:101]
	v_add_f64 v[18:19], v[18:19], v[200:201]
	ds_read_b128 v[200:203], v2 offset:1776
	v_mul_f64 v[206:207], v[250:251], v[206:207]
	v_fma_f64 v[244:245], v[248:249], v[204:205], -v[206:207]
	ds_read_b128 v[204:207], v2 offset:1792
	s_waitcnt vmcnt(3) lgkmcnt(2)
	v_mul_f64 v[208:209], v[196:197], v[98:99]
	v_fmac_f64_e32 v[208:209], v[198:199], v[96:97]
	v_add_f64 v[18:19], v[18:19], v[208:209]
	s_waitcnt vmcnt(2) lgkmcnt(1)
	v_mul_f64 v[208:209], v[200:201], v[106:107]
	v_fmac_f64_e32 v[208:209], v[202:203], v[104:105]
	v_add_f64 v[18:19], v[18:19], v[208:209]
	;; [unrolled: 4-line block ×3, first 2 shown]
	ds_read_b128 v[208:211], v2 offset:1808
	ds_read_b128 v[216:219], v2 offset:1824
	;; [unrolled: 1-line block ×3, first 2 shown]
	s_waitcnt vmcnt(0) lgkmcnt(2)
	v_mul_f64 v[212:213], v[208:209], v[114:115]
	v_fmac_f64_e32 v[212:213], v[210:211], v[112:113]
	v_add_f64 v[18:19], v[18:19], v[212:213]
	scratch_load_dwordx4 v[212:215], off, off offset:912
	s_waitcnt vmcnt(0) lgkmcnt(1)
	v_mul_f64 v[220:221], v[216:217], v[214:215]
	v_fmac_f64_e32 v[220:221], v[218:219], v[212:213]
	v_add_f64 v[18:19], v[18:19], v[220:221]
	scratch_load_dwordx4 v[220:223], off, off offset:928
	;; [unrolled: 5-line block ×3, first 2 shown]
	v_add_f64 v[18:19], v[240:241], 0
	v_add_f64 v[18:19], v[18:19], v[242:243]
	;; [unrolled: 1-line block ×12, first 2 shown]
	v_accvgpr_read_b32 v6, a118
	v_accvgpr_read_b32 v8, a120
	;; [unrolled: 1-line block ×3, first 2 shown]
	v_add_f64 v[0:1], v[4:5], v[0:1]
	v_accvgpr_read_b32 v7, a119
	v_mul_f64 v[4:5], v[70:71], v[8:9]
	v_add_f64 v[0:1], v[0:1], v[238:239]
	v_fma_f64 v[4:5], v[68:69], v[6:7], -v[4:5]
	v_accvgpr_read_b32 v6, a122
	v_add_f64 v[0:1], v[0:1], v[244:245]
	v_accvgpr_read_b32 v8, a124
	v_accvgpr_read_b32 v9, a125
	v_add_f64 v[0:1], v[0:1], v[4:5]
	v_accvgpr_read_b32 v7, a123
	v_mul_f64 v[4:5], v[66:67], v[8:9]
	v_fma_f64 v[4:5], v[64:65], v[6:7], -v[4:5]
	v_accvgpr_read_b32 v6, a126
	v_accvgpr_read_b32 v8, a128
	;; [unrolled: 1-line block ×3, first 2 shown]
	v_add_f64 v[0:1], v[0:1], v[4:5]
	v_accvgpr_read_b32 v7, a127
	v_mul_f64 v[4:5], v[118:119], v[8:9]
	v_fma_f64 v[4:5], v[116:117], v[6:7], -v[4:5]
	v_add_f64 v[0:1], v[0:1], v[4:5]
	v_mul_f64 v[4:5], v[122:123], v[236:237]
	v_fma_f64 v[4:5], v[120:121], v[234:235], -v[4:5]
	v_add_f64 v[0:1], v[0:1], v[4:5]
	;; [unrolled: 3-line block ×26, first 2 shown]
	s_waitcnt vmcnt(0)
	v_add_f64 v[4:5], v[228:229], -v[0:1]
	v_accvgpr_read_b32 v0, a116
	v_add_f64 v[6:7], v[230:231], -v[248:249]
	v_cmp_lt_u32_e32 vcc, 13, v0
	scratch_store_dwordx4 off, v[4:7], off offset:240
	s_and_saveexec_b64 s[0:1], vcc
	s_cbranch_execz .LBB57_335
; %bb.334:
	scratch_load_dwordx4 v[6:9], off, s50
	v_mov_b32_e32 v3, v2
	v_mov_b32_e32 v4, v2
	;; [unrolled: 1-line block ×3, first 2 shown]
	v_accvgpr_read_b32 v0, a117
	scratch_store_dwordx4 off, v[2:5], off offset:224
	s_waitcnt vmcnt(1)
	ds_write_b128 v0, v[6:9]
.LBB57_335:
	s_or_b64 exec, exec, s[0:1]
	s_waitcnt lgkmcnt(0)
	; wave barrier
	scratch_load_dwordx4 v[72:75], off, off offset:240
	scratch_load_dwordx4 v[76:79], off, off offset:256
	;; [unrolled: 1-line block ×17, first 2 shown]
	ds_read_b128 v[176:179], v2 offset:1152
	ds_read_b128 v[192:195], v2 offset:1168
	;; [unrolled: 1-line block ×3, first 2 shown]
	scratch_load_dwordx4 v[20:23], off, off offset:512
	ds_read_b128 v[236:239], v2 offset:1200
	ds_read_b128 v[232:235], v2 offset:1216
	;; [unrolled: 1-line block ×5, first 2 shown]
	scratch_load_dwordx4 v[168:171], off, off offset:528
	ds_read_b128 v[224:227], v2 offset:1280
	ds_read_b128 v[212:215], v2 offset:1296
	;; [unrolled: 1-line block ×3, first 2 shown]
	scratch_load_dwordx4 v[12:15], off, off offset:544
	ds_read_b128 v[216:219], v2 offset:1328
	ds_read_b128 v[204:207], v2 offset:1344
	;; [unrolled: 1-line block ×5, first 2 shown]
	scratch_load_dwordx4 v[28:31], off, off offset:560
	ds_read_b128 v[32:35], v2 offset:1408
	scratch_load_dwordx4 v[36:39], off, off offset:576
	scratch_load_dwordx4 v[40:43], off, off offset:592
	;; [unrolled: 1-line block ×9, first 2 shown]
	ds_read_b128 v[132:135], v2 offset:1424
	s_waitcnt lgkmcnt(2)
	v_accvgpr_write_b32 a125, v19
	v_accvgpr_write_b32 a124, v18
	;; [unrolled: 1-line block ×4, first 2 shown]
	ds_read_b128 v[172:175], v2 offset:1488
	s_waitcnt vmcnt(29)
	v_mul_f64 v[0:1], v[176:177], v[74:75]
	s_waitcnt vmcnt(28)
	v_mul_f64 v[136:137], v[192:193], v[78:79]
	v_fmac_f64_e32 v[0:1], v[178:179], v[72:73]
	s_waitcnt vmcnt(27)
	v_mul_f64 v[138:139], v[188:189], v[82:83]
	v_fmac_f64_e32 v[136:137], v[194:195], v[76:77]
	v_add_f64 v[0:1], v[0:1], 0
	s_waitcnt vmcnt(26)
	v_mul_f64 v[140:141], v[236:237], v[86:87]
	v_fmac_f64_e32 v[138:139], v[190:191], v[80:81]
	v_add_f64 v[0:1], v[0:1], v[136:137]
	;; [unrolled: 4-line block ×14, first 2 shown]
	v_fmac_f64_e32 v[164:165], v[18:19], v[4:5]
	v_add_f64 v[0:1], v[0:1], v[162:163]
	s_waitcnt vmcnt(13) lgkmcnt(2)
	v_mul_f64 v[140:141], v[32:33], v[26:27]
	scratch_load_dwordx4 v[136:139], off, off offset:720
	v_add_f64 v[0:1], v[0:1], v[164:165]
	v_fmac_f64_e32 v[140:141], v[34:35], v[24:25]
	v_add_f64 v[0:1], v[0:1], v[140:141]
	ds_read_b128 v[160:163], v2 offset:1440
	scratch_load_dwordx4 v[140:143], off, off offset:736
	ds_read_b128 v[164:167], v2 offset:1456
	s_waitcnt vmcnt(13)
	v_mov_b64_e32 v[16:17], v[168:169]
	v_mov_b64_e32 v[18:19], v[170:171]
	ds_read_b128 v[168:171], v2 offset:1472
	s_waitcnt lgkmcnt(4)
	v_mul_f64 v[144:145], v[132:133], v[22:23]
	v_fmac_f64_e32 v[144:145], v[134:135], v[20:21]
	s_waitcnt lgkmcnt(2)
	v_mul_f64 v[148:149], v[160:161], v[18:19]
	v_add_f64 v[0:1], v[0:1], v[144:145]
	v_fmac_f64_e32 v[148:149], v[162:163], v[16:17]
	s_waitcnt vmcnt(12) lgkmcnt(1)
	v_mul_f64 v[152:153], v[164:165], v[14:15]
	scratch_load_dwordx4 v[144:147], off, off offset:752
	v_add_f64 v[0:1], v[0:1], v[148:149]
	v_fmac_f64_e32 v[152:153], v[166:167], v[12:13]
	scratch_load_dwordx4 v[148:151], off, off offset:768
	v_add_f64 v[0:1], v[0:1], v[152:153]
	s_waitcnt vmcnt(13) lgkmcnt(0)
	v_mul_f64 v[152:153], v[168:169], v[30:31]
	v_fmac_f64_e32 v[152:153], v[170:171], v[28:29]
	v_add_f64 v[0:1], v[0:1], v[152:153]
	scratch_load_dwordx4 v[152:155], off, off offset:784
	s_waitcnt vmcnt(13)
	v_mul_f64 v[156:157], v[172:173], v[38:39]
	v_fmac_f64_e32 v[156:157], v[174:175], v[36:37]
	v_mul_f64 v[74:75], v[178:179], v[74:75]
	v_add_f64 v[0:1], v[0:1], v[156:157]
	scratch_load_dwordx4 v[156:159], off, off offset:800
	v_fma_f64 v[240:241], v[176:177], v[72:73], -v[74:75]
	v_mul_f64 v[72:73], v[194:195], v[78:79]
	ds_read_b128 v[180:183], v2 offset:1504
	ds_read_b128 v[176:179], v2 offset:1520
	v_fma_f64 v[242:243], v[192:193], v[76:77], -v[72:73]
	scratch_load_dwordx4 v[76:79], off, off offset:816
	scratch_load_dwordx4 v[72:75], off, off offset:832
	v_mul_f64 v[82:83], v[190:191], v[82:83]
	v_fma_f64 v[248:249], v[188:189], v[80:81], -v[82:83]
	v_mul_f64 v[80:81], v[238:239], v[86:87]
	v_fma_f64 v[236:237], v[236:237], v[84:85], -v[80:81]
	scratch_load_dwordx4 v[80:83], off, off offset:848
	ds_read_b128 v[188:191], v2 offset:1536
	v_mul_f64 v[84:85], v[234:235], v[90:91]
	s_waitcnt vmcnt(16) lgkmcnt(2)
	v_mul_f64 v[192:193], v[180:181], v[42:43]
	v_fma_f64 v[238:239], v[232:233], v[88:89], -v[84:85]
	scratch_load_dwordx4 v[84:87], off, off offset:864
	v_fmac_f64_e32 v[192:193], v[182:183], v[40:41]
	v_add_f64 v[0:1], v[0:1], v[192:193]
	s_waitcnt vmcnt(16) lgkmcnt(1)
	v_mul_f64 v[192:193], v[176:177], v[46:47]
	v_fmac_f64_e32 v[192:193], v[178:179], v[44:45]
	v_add_f64 v[0:1], v[0:1], v[192:193]
	ds_read_b128 v[192:195], v2 offset:1552
	s_waitcnt vmcnt(15) lgkmcnt(1)
	v_mul_f64 v[88:89], v[188:189], v[50:51]
	v_fmac_f64_e32 v[88:89], v[190:191], v[48:49]
	v_add_f64 v[0:1], v[0:1], v[88:89]
	v_mul_f64 v[88:89], v[230:231], v[94:95]
	v_fma_f64 v[250:251], v[228:229], v[92:93], -v[88:89]
	scratch_load_dwordx4 v[88:91], off, off offset:880
	scratch_load_dwordx4 v[232:235], off, off offset:928
	ds_read_b128 v[92:95], v2 offset:1568
	v_mul_f64 v[98:99], v[222:223], v[98:99]
	v_fma_f64 v[252:253], v[220:221], v[96:97], -v[98:99]
	ds_read_b128 v[96:99], v2 offset:1584
	v_mul_f64 v[102:103], v[210:211], v[102:103]
	s_waitcnt vmcnt(16) lgkmcnt(2)
	v_mul_f64 v[228:229], v[192:193], v[54:55]
	v_fma_f64 v[254:255], v[208:209], v[100:101], -v[102:103]
	ds_read_b128 v[100:103], v2 offset:1600
	ds_read_b128 v[208:211], v2 offset:1616
	v_fmac_f64_e32 v[228:229], v[194:195], v[52:53]
	s_waitcnt vmcnt(15) lgkmcnt(3)
	v_mul_f64 v[220:221], v[92:93], v[58:59]
	v_add_f64 v[0:1], v[0:1], v[228:229]
	v_fmac_f64_e32 v[220:221], v[94:95], v[56:57]
	v_mul_f64 v[106:107], v[226:227], v[106:107]
	v_add_f64 v[0:1], v[0:1], v[220:221]
	s_waitcnt vmcnt(14) lgkmcnt(2)
	v_mul_f64 v[220:221], v[96:97], v[62:63]
	v_fma_f64 v[244:245], v[224:225], v[104:105], -v[106:107]
	ds_read_b128 v[104:107], v2 offset:1632
	v_fmac_f64_e32 v[220:221], v[98:99], v[60:61]
	v_mul_f64 v[110:111], v[214:215], v[110:111]
	v_add_f64 v[0:1], v[0:1], v[220:221]
	s_waitcnt vmcnt(13) lgkmcnt(2)
	v_mul_f64 v[220:221], v[100:101], v[70:71]
	v_fma_f64 v[8:9], v[212:213], v[108:109], -v[110:111]
	ds_read_b128 v[108:111], v2 offset:1648
	v_fmac_f64_e32 v[220:221], v[102:103], v[68:69]
	v_accvgpr_write_b32 a121, v7
	v_add_f64 v[0:1], v[0:1], v[220:221]
	s_waitcnt vmcnt(12) lgkmcnt(2)
	v_mul_f64 v[220:221], v[208:209], v[66:67]
	v_accvgpr_write_b32 a120, v6
	v_accvgpr_write_b32 a119, v5
	;; [unrolled: 1-line block ×3, first 2 shown]
	v_fmac_f64_e32 v[220:221], v[210:211], v[64:65]
	s_waitcnt vmcnt(11) lgkmcnt(1)
	v_mul_f64 v[6:7], v[104:105], v[138:139]
	v_add_f64 v[0:1], v[0:1], v[220:221]
	v_fmac_f64_e32 v[6:7], v[106:107], v[136:137]
	v_add_f64 v[0:1], v[0:1], v[6:7]
	s_waitcnt vmcnt(10) lgkmcnt(0)
	v_mul_f64 v[6:7], v[108:109], v[142:143]
	v_fmac_f64_e32 v[6:7], v[110:111], v[140:141]
	ds_read_b128 v[212:215], v2 offset:1664
	v_add_f64 v[0:1], v[0:1], v[6:7]
	v_mul_f64 v[6:7], v[202:203], v[114:115]
	v_fma_f64 v[6:7], v[200:201], v[112:113], -v[6:7]
	ds_read_b128 v[112:115], v2 offset:1680
	v_mul_f64 v[118:119], v[218:219], v[118:119]
	v_fma_f64 v[4:5], v[216:217], v[116:117], -v[118:119]
	ds_read_b128 v[116:119], v2 offset:1696
	s_waitcnt vmcnt(9) lgkmcnt(2)
	v_mul_f64 v[200:201], v[212:213], v[146:147]
	v_fmac_f64_e32 v[200:201], v[214:215], v[144:145]
	s_waitcnt vmcnt(8) lgkmcnt(1)
	v_mul_f64 v[10:11], v[112:113], v[150:151]
	v_add_f64 v[0:1], v[0:1], v[200:201]
	v_fmac_f64_e32 v[10:11], v[114:115], v[148:149]
	v_add_f64 v[0:1], v[0:1], v[10:11]
	ds_read_b128 v[200:203], v2 offset:1712
	s_waitcnt vmcnt(7) lgkmcnt(1)
	v_mul_f64 v[10:11], v[116:117], v[154:155]
	v_fmac_f64_e32 v[10:11], v[118:119], v[152:153]
	v_add_f64 v[10:11], v[0:1], v[10:11]
	v_mul_f64 v[0:1], v[206:207], v[122:123]
	v_fma_f64 v[0:1], v[204:205], v[120:121], -v[0:1]
	ds_read_b128 v[120:123], v2 offset:1728
	v_mul_f64 v[126:127], v[198:199], v[126:127]
	v_fma_f64 v[124:125], v[196:197], v[124:125], -v[126:127]
	s_waitcnt vmcnt(6) lgkmcnt(1)
	v_mul_f64 v[204:205], v[200:201], v[158:159]
	v_accvgpr_write_b32 a127, v125
	v_fmac_f64_e32 v[204:205], v[202:203], v[156:157]
	v_accvgpr_write_b32 a126, v124
	ds_read_b128 v[124:127], v2 offset:1744
	s_waitcnt vmcnt(5) lgkmcnt(1)
	v_mul_f64 v[196:197], v[120:121], v[78:79]
	v_add_f64 v[10:11], v[10:11], v[204:205]
	v_fmac_f64_e32 v[196:197], v[122:123], v[76:77]
	v_add_f64 v[10:11], v[10:11], v[196:197]
	ds_read_b128 v[196:199], v2 offset:1760
	v_mul_f64 v[130:131], v[186:187], v[130:131]
	v_fma_f64 v[246:247], v[184:185], v[128:129], -v[130:131]
	ds_read_b128 v[128:131], v2 offset:1776
	s_waitcnt vmcnt(4) lgkmcnt(2)
	v_mul_f64 v[184:185], v[124:125], v[74:75]
	v_fmac_f64_e32 v[184:185], v[126:127], v[72:73]
	v_add_f64 v[10:11], v[10:11], v[184:185]
	s_waitcnt vmcnt(3) lgkmcnt(1)
	v_mul_f64 v[184:185], v[196:197], v[82:83]
	v_fmac_f64_e32 v[184:185], v[198:199], v[80:81]
	v_add_f64 v[10:11], v[10:11], v[184:185]
	;; [unrolled: 4-line block ×3, first 2 shown]
	ds_read_b128 v[184:187], v2 offset:1792
	ds_read_b128 v[216:219], v2 offset:1808
	;; [unrolled: 1-line block ×3, first 2 shown]
	s_waitcnt vmcnt(1) lgkmcnt(2)
	v_mul_f64 v[204:205], v[184:185], v[90:91]
	v_fmac_f64_e32 v[204:205], v[186:187], v[88:89]
	v_add_f64 v[10:11], v[10:11], v[204:205]
	scratch_load_dwordx4 v[204:207], off, off offset:896
	s_waitcnt vmcnt(0) lgkmcnt(1)
	v_mul_f64 v[220:221], v[216:217], v[206:207]
	v_fmac_f64_e32 v[220:221], v[218:219], v[204:205]
	v_add_f64 v[10:11], v[10:11], v[220:221]
	scratch_load_dwordx4 v[220:223], off, off offset:912
	s_waitcnt vmcnt(0) lgkmcnt(0)
	v_mul_f64 v[228:229], v[224:225], v[222:223]
	v_fmac_f64_e32 v[228:229], v[226:227], v[220:221]
	v_add_f64 v[10:11], v[10:11], v[228:229]
	ds_read_b128 v[228:231], v2 offset:1840
	s_waitcnt lgkmcnt(0)
	v_mul_f64 v[2:3], v[228:229], v[234:235]
	v_fmac_f64_e32 v[2:3], v[230:231], v[232:233]
	v_add_f64 v[2:3], v[10:11], v[2:3]
	v_add_f64 v[10:11], v[240:241], 0
	;; [unrolled: 1-line block ×6, first 2 shown]
	scratch_load_dwordx4 v[236:239], off, off offset:224
	v_add_f64 v[10:11], v[10:11], v[250:251]
	v_add_f64 v[10:11], v[10:11], v[252:253]
	;; [unrolled: 1-line block ×8, first 2 shown]
	v_accvgpr_read_b32 v0, a126
	v_accvgpr_read_b32 v6, a118
	;; [unrolled: 1-line block ×7, first 2 shown]
	v_add_f64 v[0:1], v[248:249], v[0:1]
	v_accvgpr_read_b32 v7, a119
	v_accvgpr_read_b32 v241, a123
	v_accvgpr_read_b32 v240, a122
	v_mul_f64 v[4:5], v[242:243], v[8:9]
	v_add_f64 v[0:1], v[0:1], v[246:247]
	v_fma_f64 v[4:5], v[240:241], v[6:7], -v[4:5]
	v_add_f64 v[0:1], v[0:1], v[4:5]
	v_mul_f64 v[4:5], v[34:35], v[26:27]
	v_fma_f64 v[4:5], v[32:33], v[24:25], -v[4:5]
	v_add_f64 v[0:1], v[0:1], v[4:5]
	v_mul_f64 v[4:5], v[134:135], v[22:23]
	;; [unrolled: 3-line block ×28, first 2 shown]
	v_fma_f64 v[4:5], v[228:229], v[232:233], -v[4:5]
	v_add_f64 v[0:1], v[0:1], v[4:5]
	s_waitcnt vmcnt(0)
	v_add_f64 v[4:5], v[236:237], -v[0:1]
	v_accvgpr_read_b32 v0, a116
	v_add_f64 v[6:7], v[238:239], -v[2:3]
	v_cmp_lt_u32_e32 vcc, 12, v0
	scratch_store_dwordx4 off, v[4:7], off offset:224
	s_and_saveexec_b64 s[0:1], vcc
	s_cbranch_execz .LBB57_337
; %bb.336:
	scratch_load_dwordx4 v[2:5], off, s49
	v_mov_b32_e32 v6, 0
	v_mov_b32_e32 v7, v6
	;; [unrolled: 1-line block ×4, first 2 shown]
	v_accvgpr_read_b32 v0, a117
	scratch_store_dwordx4 off, v[6:9], off offset:208
	s_waitcnt vmcnt(1)
	ds_write_b128 v0, v[2:5]
.LBB57_337:
	s_or_b64 exec, exec, s[0:1]
	s_waitcnt lgkmcnt(0)
	; wave barrier
	scratch_load_dwordx4 v[80:83], off, off offset:224
	scratch_load_dwordx4 v[84:87], off, off offset:240
	;; [unrolled: 1-line block ×29, first 2 shown]
	v_mov_b32_e32 v2, 0
	ds_read_b128 v[132:135], v2 offset:1136
	ds_read_b128 v[136:139], v2 offset:1152
	ds_read_b128 v[140:143], v2 offset:1168
	ds_read_b128 v[148:151], v2 offset:1184
	ds_read_b128 v[160:163], v2 offset:1200
	ds_read_b128 v[172:175], v2 offset:1216
	ds_read_b128 v[184:187], v2 offset:1232
	ds_read_b128 v[196:199], v2 offset:1248
	ds_read_b128 v[204:207], v2 offset:1264
	ds_read_b128 v[208:211], v2 offset:1280
	ds_read_b128 v[212:215], v2 offset:1296
	ds_read_b128 v[216:219], v2 offset:1312
	ds_read_b128 v[220:223], v2 offset:1328
	ds_read_b128 v[224:227], v2 offset:1344
	ds_read_b128 v[228:231], v2 offset:1360
	ds_read_b128 v[244:247], v2 offset:1376
	ds_read_b128 v[248:251], v2 offset:1392
	ds_read_b128 v[52:55], v2 offset:1408
	ds_read_b128 v[116:119], v2 offset:1456
	ds_read_b128 v[120:123], v2 offset:1472
	ds_read_b128 v[124:127], v2 offset:1488
	ds_read_b128 v[128:131], v2 offset:1504
	s_waitcnt vmcnt(28) lgkmcnt(14)
	v_mul_f64 v[0:1], v[132:133], v[82:83]
	s_waitcnt vmcnt(27)
	v_mul_f64 v[56:57], v[136:137], v[86:87]
	v_fmac_f64_e32 v[0:1], v[134:135], v[80:81]
	s_waitcnt vmcnt(26)
	v_mul_f64 v[58:59], v[140:141], v[90:91]
	v_fmac_f64_e32 v[56:57], v[138:139], v[84:85]
	v_add_f64 v[0:1], v[0:1], 0
	s_waitcnt vmcnt(25)
	v_mul_f64 v[60:61], v[148:149], v[94:95]
	v_fmac_f64_e32 v[58:59], v[142:143], v[88:89]
	v_add_f64 v[0:1], v[0:1], v[56:57]
	;; [unrolled: 4-line block ×6, first 2 shown]
	s_waitcnt vmcnt(20) lgkmcnt(13)
	v_mul_f64 v[70:71], v[204:205], v[154:155]
	v_fmac_f64_e32 v[68:69], v[198:199], v[144:145]
	v_add_f64 v[0:1], v[0:1], v[66:67]
	s_waitcnt vmcnt(19) lgkmcnt(12)
	v_mul_f64 v[72:73], v[208:209], v[158:159]
	v_fmac_f64_e32 v[70:71], v[206:207], v[152:153]
	v_add_f64 v[0:1], v[0:1], v[68:69]
	;; [unrolled: 4-line block ×8, first 2 shown]
	v_fmac_f64_e32 v[112:113], v[246:247], v[192:193]
	v_add_f64 v[0:1], v[0:1], v[110:111]
	s_waitcnt vmcnt(12) lgkmcnt(5)
	v_mul_f64 v[60:61], v[248:249], v[202:203]
	scratch_load_dwordx4 v[56:59], off, off offset:688
	ds_read_b128 v[108:111], v2 offset:1424
	v_add_f64 v[0:1], v[0:1], v[112:113]
	v_fmac_f64_e32 v[60:61], v[250:251], v[200:201]
	v_add_f64 v[0:1], v[0:1], v[60:61]
	s_waitcnt vmcnt(12) lgkmcnt(5)
	v_mul_f64 v[64:65], v[52:53], v[6:7]
	scratch_load_dwordx4 v[60:63], off, off offset:704
	v_accvgpr_write_b32 a121, v7
	v_fmac_f64_e32 v[64:65], v[54:55], v[4:5]
	v_accvgpr_write_b32 a120, v6
	v_accvgpr_write_b32 a119, v5
	;; [unrolled: 1-line block ×3, first 2 shown]
	ds_read_b128 v[112:115], v2 offset:1440
	s_waitcnt vmcnt(12)
	v_mov_b64_e32 v[4:5], v[8:9]
	v_mov_b64_e32 v[6:7], v[10:11]
	s_waitcnt lgkmcnt(1)
	v_mul_f64 v[68:69], v[108:109], v[6:7]
	v_fmac_f64_e32 v[68:69], v[110:111], v[4:5]
	s_waitcnt vmcnt(11)
	v_mov_b64_e32 v[4:5], v[12:13]
	v_add_f64 v[0:1], v[0:1], v[64:65]
	v_mov_b64_e32 v[6:7], v[14:15]
	scratch_load_dwordx4 v[64:67], off, off offset:720
	v_add_f64 v[0:1], v[0:1], v[68:69]
	s_waitcnt lgkmcnt(0)
	v_mul_f64 v[68:69], v[112:113], v[6:7]
	v_fmac_f64_e32 v[68:69], v[114:115], v[4:5]
	s_waitcnt vmcnt(11)
	v_mov_b64_e32 v[4:5], v[16:17]
	v_add_f64 v[0:1], v[0:1], v[68:69]
	scratch_load_dwordx4 v[68:71], off, off offset:736
	v_mov_b64_e32 v[6:7], v[18:19]
	v_mul_f64 v[76:77], v[116:117], v[6:7]
	scratch_load_dwordx4 v[72:75], off, off offset:752
	v_fmac_f64_e32 v[76:77], v[118:119], v[4:5]
	v_add_f64 v[0:1], v[0:1], v[76:77]
	s_waitcnt vmcnt(12)
	v_mul_f64 v[76:77], v[120:121], v[236:237]
	v_fmac_f64_e32 v[76:77], v[122:123], v[234:235]
	v_add_f64 v[0:1], v[0:1], v[76:77]
	scratch_load_dwordx4 v[76:79], off, off offset:768
	v_mul_f64 v[82:83], v[134:135], v[82:83]
	v_fma_f64 v[240:241], v[132:133], v[80:81], -v[82:83]
	scratch_load_dwordx4 v[80:83], off, off offset:784
	v_mul_f64 v[86:87], v[138:139], v[86:87]
	v_fma_f64 v[242:243], v[136:137], v[84:85], -v[86:87]
	scratch_load_dwordx4 v[84:87], off, off offset:800
	v_mul_f64 v[90:91], v[142:143], v[90:91]
	s_waitcnt vmcnt(14)
	v_mul_f64 v[132:133], v[124:125], v[26:27]
	v_fma_f64 v[252:253], v[140:141], v[88:89], -v[90:91]
	scratch_load_dwordx4 v[88:91], off, off offset:816
	v_fmac_f64_e32 v[132:133], v[126:127], v[24:25]
	s_waitcnt vmcnt(14)
	v_mul_f64 v[136:137], v[128:129], v[30:31]
	v_mul_f64 v[94:95], v[150:151], v[94:95]
	v_add_f64 v[0:1], v[0:1], v[132:133]
	v_fmac_f64_e32 v[136:137], v[130:131], v[28:29]
	v_fma_f64 v[254:255], v[148:149], v[92:93], -v[94:95]
	v_mul_f64 v[92:93], v[162:163], v[98:99]
	ds_read_b128 v[132:135], v2 offset:1520
	v_add_f64 v[0:1], v[0:1], v[136:137]
	ds_read_b128 v[136:139], v2 offset:1536
	v_fma_f64 v[232:233], v[160:161], v[96:97], -v[92:93]
	scratch_load_dwordx4 v[96:99], off, off offset:832
	scratch_load_dwordx4 v[92:95], off, off offset:848
	v_mul_f64 v[102:103], v[174:175], v[102:103]
	v_fma_f64 v[20:21], v[172:173], v[100:101], -v[102:103]
	scratch_load_dwordx4 v[100:103], off, off offset:864
	v_accvgpr_write_b32 a133, v19
	v_mul_f64 v[6:7], v[186:187], v[106:107]
	v_accvgpr_write_b32 a132, v18
	v_accvgpr_write_b32 a131, v17
	v_accvgpr_write_b32 a130, v16
	v_fma_f64 v[16:17], v[184:185], v[104:105], -v[6:7]
	scratch_load_dwordx4 v[104:107], off, off offset:880
	s_waitcnt vmcnt(17) lgkmcnt(1)
	v_mul_f64 v[140:141], v[132:133], v[34:35]
	v_fmac_f64_e32 v[140:141], v[134:135], v[32:33]
	v_add_f64 v[0:1], v[0:1], v[140:141]
	ds_read_b128 v[140:143], v2 offset:1552
	v_accvgpr_write_b32 a129, v15
	v_mul_f64 v[6:7], v[198:199], v[146:147]
	v_accvgpr_write_b32 a128, v14
	v_accvgpr_write_b32 a127, v13
	;; [unrolled: 1-line block ×3, first 2 shown]
	v_fma_f64 v[12:13], v[196:197], v[144:145], -v[6:7]
	ds_read_b128 v[144:147], v2 offset:1568
	s_waitcnt vmcnt(16) lgkmcnt(2)
	v_mul_f64 v[148:149], v[136:137], v[38:39]
	v_fmac_f64_e32 v[148:149], v[138:139], v[36:37]
	v_add_f64 v[0:1], v[0:1], v[148:149]
	s_waitcnt vmcnt(15) lgkmcnt(1)
	v_mul_f64 v[6:7], v[140:141], v[42:43]
	ds_read_b128 v[148:151], v2 offset:1584
	v_fmac_f64_e32 v[6:7], v[142:143], v[40:41]
	v_add_f64 v[0:1], v[0:1], v[6:7]
	s_waitcnt vmcnt(14) lgkmcnt(1)
	v_mul_f64 v[6:7], v[144:145], v[46:47]
	v_fmac_f64_e32 v[6:7], v[146:147], v[44:45]
	v_accvgpr_write_b32 a125, v11
	v_add_f64 v[0:1], v[0:1], v[6:7]
	v_mul_f64 v[6:7], v[206:207], v[154:155]
	v_accvgpr_write_b32 a124, v10
	v_accvgpr_write_b32 a123, v9
	;; [unrolled: 1-line block ×3, first 2 shown]
	v_fma_f64 v[10:11], v[204:205], v[152:153], -v[6:7]
	ds_read_b128 v[152:155], v2 offset:1600
	s_waitcnt vmcnt(13) lgkmcnt(1)
	v_mul_f64 v[6:7], v[148:149], v[50:51]
	v_fmac_f64_e32 v[6:7], v[150:151], v[48:49]
	v_add_f64 v[0:1], v[0:1], v[6:7]
	v_mul_f64 v[6:7], v[210:211], v[158:159]
	v_fma_f64 v[14:15], v[208:209], v[156:157], -v[6:7]
	ds_read_b128 v[156:159], v2 offset:1616
	ds_read_b128 v[160:163], v2 offset:1632
	s_waitcnt vmcnt(12) lgkmcnt(2)
	v_mul_f64 v[6:7], v[152:153], v[58:59]
	v_fmac_f64_e32 v[6:7], v[154:155], v[56:57]
	v_add_f64 v[0:1], v[0:1], v[6:7]
	s_waitcnt vmcnt(11) lgkmcnt(1)
	v_mul_f64 v[6:7], v[156:157], v[62:63]
	v_fmac_f64_e32 v[6:7], v[158:159], v[60:61]
	v_add_f64 v[0:1], v[0:1], v[6:7]
	v_mul_f64 v[6:7], v[214:215], v[166:167]
	v_fma_f64 v[8:9], v[212:213], v[164:165], -v[6:7]
	ds_read_b128 v[164:167], v2 offset:1648
	v_mul_f64 v[18:19], v[218:219], v[170:171]
	v_fma_f64 v[18:19], v[216:217], v[168:169], -v[18:19]
	ds_read_b128 v[168:171], v2 offset:1664
	s_waitcnt vmcnt(10) lgkmcnt(2)
	v_mul_f64 v[6:7], v[160:161], v[66:67]
	v_fmac_f64_e32 v[6:7], v[162:163], v[64:65]
	v_add_f64 v[0:1], v[0:1], v[6:7]
	s_waitcnt vmcnt(9) lgkmcnt(1)
	v_mul_f64 v[6:7], v[164:165], v[70:71]
	ds_read_b128 v[172:175], v2 offset:1680
	v_fmac_f64_e32 v[6:7], v[166:167], v[68:69]
	v_add_f64 v[0:1], v[0:1], v[6:7]
	s_waitcnt vmcnt(8) lgkmcnt(1)
	v_mul_f64 v[6:7], v[168:169], v[74:75]
	v_fmac_f64_e32 v[6:7], v[170:171], v[72:73]
	v_add_f64 v[0:1], v[0:1], v[6:7]
	v_mul_f64 v[6:7], v[222:223], v[178:179]
	v_fma_f64 v[4:5], v[220:221], v[176:177], -v[6:7]
	ds_read_b128 v[176:179], v2 offset:1696
	s_waitcnt vmcnt(7) lgkmcnt(1)
	v_mul_f64 v[6:7], v[172:173], v[78:79]
	v_fmac_f64_e32 v[6:7], v[174:175], v[76:77]
	v_add_f64 v[0:1], v[0:1], v[6:7]
	v_mul_f64 v[6:7], v[226:227], v[182:183]
	v_fma_f64 v[6:7], v[224:225], v[180:181], -v[6:7]
	ds_read_b128 v[180:183], v2 offset:1712
	ds_read_b128 v[184:187], v2 offset:1728
	s_waitcnt vmcnt(6) lgkmcnt(2)
	v_mul_f64 v[22:23], v[176:177], v[82:83]
	v_fmac_f64_e32 v[22:23], v[178:179], v[80:81]
	v_add_f64 v[0:1], v[0:1], v[22:23]
	s_waitcnt vmcnt(5) lgkmcnt(1)
	v_mul_f64 v[22:23], v[180:181], v[86:87]
	v_fmac_f64_e32 v[22:23], v[182:183], v[84:85]
	v_add_f64 v[22:23], v[0:1], v[22:23]
	v_mul_f64 v[0:1], v[230:231], v[190:191]
	v_fma_f64 v[0:1], v[228:229], v[188:189], -v[0:1]
	ds_read_b128 v[188:191], v2 offset:1744
	s_waitcnt vmcnt(4) lgkmcnt(1)
	v_mul_f64 v[196:197], v[184:185], v[90:91]
	v_fmac_f64_e32 v[196:197], v[186:187], v[88:89]
	v_mul_f64 v[194:195], v[246:247], v[194:195]
	v_fma_f64 v[238:239], v[244:245], v[192:193], -v[194:195]
	ds_read_b128 v[192:195], v2 offset:1760
	v_add_f64 v[22:23], v[22:23], v[196:197]
	s_waitcnt vmcnt(3) lgkmcnt(1)
	v_mul_f64 v[196:197], v[188:189], v[98:99]
	v_fmac_f64_e32 v[196:197], v[190:191], v[96:97]
	v_add_f64 v[22:23], v[22:23], v[196:197]
	ds_read_b128 v[196:199], v2 offset:1776
	v_mul_f64 v[202:203], v[250:251], v[202:203]
	v_fma_f64 v[244:245], v[248:249], v[200:201], -v[202:203]
	ds_read_b128 v[200:203], v2 offset:1792
	s_waitcnt vmcnt(2) lgkmcnt(2)
	v_mul_f64 v[204:205], v[192:193], v[94:95]
	v_fmac_f64_e32 v[204:205], v[194:195], v[92:93]
	v_add_f64 v[22:23], v[22:23], v[204:205]
	s_waitcnt vmcnt(1) lgkmcnt(1)
	v_mul_f64 v[204:205], v[196:197], v[102:103]
	v_fmac_f64_e32 v[204:205], v[198:199], v[100:101]
	v_add_f64 v[22:23], v[22:23], v[204:205]
	;; [unrolled: 4-line block ×3, first 2 shown]
	scratch_load_dwordx4 v[204:207], off, off offset:896
	ds_read_b128 v[208:211], v2 offset:1808
	ds_read_b128 v[216:219], v2 offset:1824
	;; [unrolled: 1-line block ×3, first 2 shown]
	s_waitcnt vmcnt(0) lgkmcnt(2)
	v_mul_f64 v[212:213], v[208:209], v[206:207]
	v_fmac_f64_e32 v[212:213], v[210:211], v[204:205]
	v_add_f64 v[22:23], v[22:23], v[212:213]
	scratch_load_dwordx4 v[212:215], off, off offset:912
	s_waitcnt vmcnt(0) lgkmcnt(1)
	v_mul_f64 v[220:221], v[216:217], v[214:215]
	v_fmac_f64_e32 v[220:221], v[218:219], v[212:213]
	v_add_f64 v[22:23], v[22:23], v[220:221]
	scratch_load_dwordx4 v[220:223], off, off offset:928
	;; [unrolled: 5-line block ×3, first 2 shown]
	v_add_f64 v[22:23], v[240:241], 0
	v_add_f64 v[22:23], v[22:23], v[242:243]
	;; [unrolled: 1-line block ×14, first 2 shown]
	v_accvgpr_read_b32 v6, a118
	v_accvgpr_read_b32 v8, a120
	;; [unrolled: 1-line block ×3, first 2 shown]
	v_add_f64 v[0:1], v[4:5], v[0:1]
	v_accvgpr_read_b32 v7, a119
	v_mul_f64 v[4:5], v[54:55], v[8:9]
	v_add_f64 v[0:1], v[0:1], v[238:239]
	v_fma_f64 v[4:5], v[52:53], v[6:7], -v[4:5]
	v_accvgpr_read_b32 v6, a122
	v_add_f64 v[0:1], v[0:1], v[244:245]
	v_accvgpr_read_b32 v8, a124
	v_accvgpr_read_b32 v9, a125
	v_add_f64 v[0:1], v[0:1], v[4:5]
	v_accvgpr_read_b32 v7, a123
	v_mul_f64 v[4:5], v[110:111], v[8:9]
	v_fma_f64 v[4:5], v[108:109], v[6:7], -v[4:5]
	v_accvgpr_read_b32 v6, a126
	v_accvgpr_read_b32 v8, a128
	v_accvgpr_read_b32 v9, a129
	v_add_f64 v[0:1], v[0:1], v[4:5]
	v_accvgpr_read_b32 v7, a127
	v_mul_f64 v[4:5], v[114:115], v[8:9]
	v_fma_f64 v[4:5], v[112:113], v[6:7], -v[4:5]
	v_accvgpr_read_b32 v6, a130
	v_accvgpr_read_b32 v8, a132
	;; [unrolled: 1-line block ×3, first 2 shown]
	v_add_f64 v[0:1], v[0:1], v[4:5]
	v_accvgpr_read_b32 v7, a131
	v_mul_f64 v[4:5], v[118:119], v[8:9]
	v_fma_f64 v[4:5], v[116:117], v[6:7], -v[4:5]
	v_add_f64 v[0:1], v[0:1], v[4:5]
	v_mul_f64 v[4:5], v[122:123], v[236:237]
	v_fma_f64 v[4:5], v[120:121], v[234:235], -v[4:5]
	v_add_f64 v[0:1], v[0:1], v[4:5]
	;; [unrolled: 3-line block ×25, first 2 shown]
	s_waitcnt vmcnt(0)
	v_add_f64 v[4:5], v[228:229], -v[0:1]
	v_accvgpr_read_b32 v0, a116
	v_add_f64 v[6:7], v[230:231], -v[248:249]
	v_cmp_lt_u32_e32 vcc, 11, v0
	scratch_store_dwordx4 off, v[4:7], off offset:208
	s_and_saveexec_b64 s[0:1], vcc
	s_cbranch_execz .LBB57_339
; %bb.338:
	scratch_load_dwordx4 v[6:9], off, s48
	v_mov_b32_e32 v3, v2
	v_mov_b32_e32 v4, v2
	;; [unrolled: 1-line block ×3, first 2 shown]
	v_accvgpr_read_b32 v0, a117
	scratch_store_dwordx4 off, v[2:5], off offset:192
	s_waitcnt vmcnt(1)
	ds_write_b128 v0, v[6:9]
.LBB57_339:
	s_or_b64 exec, exec, s[0:1]
	s_waitcnt lgkmcnt(0)
	; wave barrier
	scratch_load_dwordx4 v[80:83], off, off offset:208
	scratch_load_dwordx4 v[84:87], off, off offset:224
	;; [unrolled: 1-line block ×17, first 2 shown]
	ds_read_b128 v[136:139], v2 offset:1120
	ds_read_b128 v[132:135], v2 offset:1136
	scratch_load_dwordx4 v[4:7], off, off offset:480
	ds_read_b128 v[236:239], v2 offset:1152
	ds_read_b128 v[228:231], v2 offset:1168
	ds_read_b128 v[224:227], v2 offset:1184
	ds_read_b128 v[148:151], v2 offset:1200
	ds_read_b128 v[140:143], v2 offset:1216
	scratch_load_dwordx4 v[8:11], off, off offset:496
	ds_read_b128 v[232:235], v2 offset:1232
	ds_read_b128 v[216:219], v2 offset:1248
	;; [unrolled: 1-line block ×3, first 2 shown]
	scratch_load_dwordx4 v[12:15], off, off offset:512
	ds_read_b128 v[220:223], v2 offset:1280
	ds_read_b128 v[172:175], v2 offset:1296
	;; [unrolled: 1-line block ×5, first 2 shown]
	scratch_load_dwordx4 v[16:19], off, off offset:528
	ds_read_b128 v[208:211], v2 offset:1360
	ds_read_b128 v[204:207], v2 offset:1376
	;; [unrolled: 1-line block ×3, first 2 shown]
	scratch_load_dwordx4 v[24:27], off, off offset:544
	scratch_load_dwordx4 v[28:31], off, off offset:560
	;; [unrolled: 1-line block ×8, first 2 shown]
	ds_read_b128 v[116:119], v2 offset:1440
	ds_read_b128 v[120:123], v2 offset:1456
	ds_read_b128 v[124:127], v2 offset:1472
	ds_read_b128 v[128:131], v2 offset:1488
	s_waitcnt vmcnt(28) lgkmcnt(14)
	v_mul_f64 v[0:1], v[136:137], v[82:83]
	s_waitcnt vmcnt(27)
	v_mul_f64 v[56:57], v[132:133], v[86:87]
	v_fmac_f64_e32 v[0:1], v[138:139], v[80:81]
	s_waitcnt vmcnt(26)
	v_mul_f64 v[58:59], v[236:237], v[90:91]
	v_fmac_f64_e32 v[56:57], v[134:135], v[84:85]
	v_add_f64 v[0:1], v[0:1], 0
	s_waitcnt vmcnt(25)
	v_mul_f64 v[60:61], v[228:229], v[94:95]
	v_fmac_f64_e32 v[58:59], v[238:239], v[88:89]
	v_add_f64 v[0:1], v[0:1], v[56:57]
	;; [unrolled: 4-line block ×6, first 2 shown]
	s_waitcnt vmcnt(20) lgkmcnt(13)
	v_mul_f64 v[70:71], v[216:217], v[154:155]
	v_fmac_f64_e32 v[68:69], v[234:235], v[144:145]
	v_add_f64 v[0:1], v[0:1], v[66:67]
	s_waitcnt vmcnt(19) lgkmcnt(12)
	v_mul_f64 v[72:73], v[160:161], v[158:159]
	v_fmac_f64_e32 v[70:71], v[218:219], v[152:153]
	v_add_f64 v[0:1], v[0:1], v[68:69]
	;; [unrolled: 4-line block ×7, first 2 shown]
	v_fmac_f64_e32 v[110:111], v[198:199], v[188:189]
	v_add_f64 v[0:1], v[0:1], v[108:109]
	s_waitcnt vmcnt(13) lgkmcnt(6)
	v_mul_f64 v[112:113], v[208:209], v[194:195]
	v_add_f64 v[0:1], v[0:1], v[110:111]
	scratch_load_dwordx4 v[56:59], off, off offset:672
	scratch_load_dwordx4 v[60:63], off, off offset:688
	ds_read_b128 v[108:111], v2 offset:1408
	s_waitcnt vmcnt(14) lgkmcnt(6)
	v_mul_f64 v[114:115], v[204:205], v[202:203]
	v_fmac_f64_e32 v[112:113], v[210:211], v[192:193]
	v_add_f64 v[0:1], v[0:1], v[112:113]
	v_fmac_f64_e32 v[114:115], v[206:207], v[200:201]
	s_waitcnt vmcnt(13) lgkmcnt(5)
	v_mul_f64 v[64:65], v[20:21], v[6:7]
	v_accvgpr_write_b32 a121, v7
	v_add_f64 v[0:1], v[0:1], v[114:115]
	v_fmac_f64_e32 v[64:65], v[22:23], v[4:5]
	v_accvgpr_write_b32 a120, v6
	v_accvgpr_write_b32 a119, v5
	;; [unrolled: 1-line block ×3, first 2 shown]
	ds_read_b128 v[112:115], v2 offset:1424
	s_waitcnt vmcnt(12)
	v_mov_b64_e32 v[4:5], v[8:9]
	v_mov_b64_e32 v[6:7], v[10:11]
	s_waitcnt lgkmcnt(1)
	v_mul_f64 v[68:69], v[108:109], v[6:7]
	v_fmac_f64_e32 v[68:69], v[110:111], v[4:5]
	s_waitcnt vmcnt(11)
	v_mov_b64_e32 v[4:5], v[12:13]
	v_add_f64 v[0:1], v[0:1], v[64:65]
	v_mov_b64_e32 v[6:7], v[14:15]
	v_add_f64 v[0:1], v[0:1], v[68:69]
	s_waitcnt lgkmcnt(0)
	v_mul_f64 v[68:69], v[112:113], v[6:7]
	scratch_load_dwordx4 v[64:67], off, off offset:704
	v_fmac_f64_e32 v[68:69], v[114:115], v[4:5]
	v_add_f64 v[0:1], v[0:1], v[68:69]
	scratch_load_dwordx4 v[68:71], off, off offset:720
	scratch_load_dwordx4 v[72:75], off, off offset:736
	s_waitcnt vmcnt(13)
	v_mul_f64 v[76:77], v[116:117], v[18:19]
	v_fmac_f64_e32 v[76:77], v[118:119], v[16:17]
	v_add_f64 v[0:1], v[0:1], v[76:77]
	s_waitcnt vmcnt(12)
	v_mul_f64 v[76:77], v[120:121], v[26:27]
	v_fmac_f64_e32 v[76:77], v[122:123], v[24:25]
	v_add_f64 v[0:1], v[0:1], v[76:77]
	scratch_load_dwordx4 v[76:79], off, off offset:752
	v_mul_f64 v[82:83], v[138:139], v[82:83]
	v_fma_f64 v[240:241], v[136:137], v[80:81], -v[82:83]
	scratch_load_dwordx4 v[80:83], off, off offset:768
	v_mul_f64 v[86:87], v[134:135], v[86:87]
	v_fma_f64 v[242:243], v[132:133], v[84:85], -v[86:87]
	scratch_load_dwordx4 v[84:87], off, off offset:784
	s_waitcnt vmcnt(14)
	v_mul_f64 v[136:137], v[124:125], v[30:31]
	v_mul_f64 v[90:91], v[238:239], v[90:91]
	v_fmac_f64_e32 v[136:137], v[126:127], v[28:29]
	v_fma_f64 v[236:237], v[236:237], v[88:89], -v[90:91]
	scratch_load_dwordx4 v[88:91], off, off offset:800
	v_add_f64 v[0:1], v[0:1], v[136:137]
	s_waitcnt vmcnt(14)
	v_mul_f64 v[136:137], v[128:129], v[34:35]
	v_mul_f64 v[94:95], v[230:231], v[94:95]
	v_fmac_f64_e32 v[136:137], v[130:131], v[32:33]
	v_fma_f64 v[238:239], v[228:229], v[92:93], -v[94:95]
	v_mul_f64 v[92:93], v[226:227], v[98:99]
	ds_read_b128 v[132:135], v2 offset:1504
	v_add_f64 v[0:1], v[0:1], v[136:137]
	ds_read_b128 v[136:139], v2 offset:1520
	v_fma_f64 v[248:249], v[224:225], v[96:97], -v[92:93]
	scratch_load_dwordx4 v[96:99], off, off offset:816
	scratch_load_dwordx4 v[92:95], off, off offset:832
	v_mul_f64 v[102:103], v[150:151], v[102:103]
	v_fma_f64 v[250:251], v[148:149], v[100:101], -v[102:103]
	scratch_load_dwordx4 v[100:103], off, off offset:848
	v_mul_f64 v[106:107], v[142:143], v[106:107]
	v_fma_f64 v[252:253], v[140:141], v[104:105], -v[106:107]
	v_mul_f64 v[104:105], v[234:235], v[146:147]
	v_fma_f64 v[254:255], v[232:233], v[144:145], -v[104:105]
	scratch_load_dwordx4 v[104:107], off, off offset:864
	ds_read_b128 v[140:143], v2 offset:1536
	ds_read_b128 v[144:147], v2 offset:1552
	s_waitcnt vmcnt(17) lgkmcnt(3)
	v_mul_f64 v[228:229], v[132:133], v[38:39]
	v_fmac_f64_e32 v[228:229], v[134:135], v[36:37]
	s_waitcnt vmcnt(16) lgkmcnt(2)
	v_mul_f64 v[224:225], v[136:137], v[42:43]
	v_add_f64 v[0:1], v[0:1], v[228:229]
	v_fmac_f64_e32 v[224:225], v[138:139], v[40:41]
	s_waitcnt vmcnt(15) lgkmcnt(1)
	v_mul_f64 v[148:149], v[140:141], v[46:47]
	v_add_f64 v[0:1], v[0:1], v[224:225]
	v_fmac_f64_e32 v[148:149], v[142:143], v[44:45]
	v_add_f64 v[0:1], v[0:1], v[148:149]
	ds_read_b128 v[148:151], v2 offset:1568
	v_mul_f64 v[154:155], v[218:219], v[154:155]
	v_fma_f64 v[244:245], v[216:217], v[152:153], -v[154:155]
	ds_read_b128 v[152:155], v2 offset:1584
	v_accvgpr_write_b32 a129, v15
	v_mul_f64 v[158:159], v[162:163], v[158:159]
	v_accvgpr_write_b32 a128, v14
	v_accvgpr_write_b32 a127, v13
	;; [unrolled: 1-line block ×3, first 2 shown]
	v_fma_f64 v[12:13], v[160:161], v[156:157], -v[158:159]
	ds_read_b128 v[156:159], v2 offset:1600
	ds_read_b128 v[160:163], v2 offset:1616
	s_waitcnt vmcnt(14) lgkmcnt(4)
	v_mul_f64 v[224:225], v[144:145], v[50:51]
	v_fmac_f64_e32 v[224:225], v[146:147], v[48:49]
	s_waitcnt vmcnt(13) lgkmcnt(3)
	v_mul_f64 v[216:217], v[148:149], v[54:55]
	v_add_f64 v[0:1], v[0:1], v[224:225]
	v_fmac_f64_e32 v[216:217], v[150:151], v[52:53]
	s_waitcnt vmcnt(12) lgkmcnt(2)
	v_mul_f64 v[6:7], v[152:153], v[58:59]
	v_add_f64 v[0:1], v[0:1], v[216:217]
	v_fmac_f64_e32 v[6:7], v[154:155], v[56:57]
	v_add_f64 v[0:1], v[0:1], v[6:7]
	s_waitcnt vmcnt(11) lgkmcnt(1)
	v_mul_f64 v[6:7], v[156:157], v[62:63]
	v_fmac_f64_e32 v[6:7], v[158:159], v[60:61]
	v_accvgpr_write_b32 a125, v11
	v_add_f64 v[0:1], v[0:1], v[6:7]
	v_mul_f64 v[6:7], v[222:223], v[166:167]
	v_accvgpr_write_b32 a124, v10
	v_accvgpr_write_b32 a123, v9
	;; [unrolled: 1-line block ×3, first 2 shown]
	v_fma_f64 v[8:9], v[220:221], v[164:165], -v[6:7]
	ds_read_b128 v[164:167], v2 offset:1632
	v_mul_f64 v[170:171], v[174:175], v[170:171]
	v_fma_f64 v[6:7], v[172:173], v[168:169], -v[170:171]
	ds_read_b128 v[168:171], v2 offset:1648
	s_waitcnt vmcnt(10) lgkmcnt(2)
	v_mul_f64 v[216:217], v[160:161], v[66:67]
	v_fmac_f64_e32 v[216:217], v[162:163], v[64:65]
	s_waitcnt vmcnt(9) lgkmcnt(1)
	v_mul_f64 v[10:11], v[164:165], v[70:71]
	v_add_f64 v[0:1], v[0:1], v[216:217]
	v_fmac_f64_e32 v[10:11], v[166:167], v[68:69]
	v_add_f64 v[0:1], v[0:1], v[10:11]
	s_waitcnt vmcnt(8) lgkmcnt(0)
	v_mul_f64 v[10:11], v[168:169], v[74:75]
	v_fmac_f64_e32 v[10:11], v[170:171], v[72:73]
	ds_read_b128 v[172:175], v2 offset:1664
	v_add_f64 v[0:1], v[0:1], v[10:11]
	v_mul_f64 v[10:11], v[214:215], v[178:179]
	v_fma_f64 v[10:11], v[212:213], v[176:177], -v[10:11]
	ds_read_b128 v[176:179], v2 offset:1680
	v_mul_f64 v[182:183], v[186:187], v[182:183]
	v_fma_f64 v[4:5], v[184:185], v[180:181], -v[182:183]
	ds_read_b128 v[180:183], v2 offset:1696
	ds_read_b128 v[184:187], v2 offset:1712
	s_waitcnt vmcnt(7) lgkmcnt(3)
	v_mul_f64 v[212:213], v[172:173], v[78:79]
	v_fmac_f64_e32 v[212:213], v[174:175], v[76:77]
	s_waitcnt vmcnt(6) lgkmcnt(2)
	v_mul_f64 v[14:15], v[176:177], v[82:83]
	v_add_f64 v[0:1], v[0:1], v[212:213]
	v_fmac_f64_e32 v[14:15], v[178:179], v[80:81]
	v_add_f64 v[0:1], v[0:1], v[14:15]
	s_waitcnt vmcnt(5) lgkmcnt(1)
	v_mul_f64 v[14:15], v[180:181], v[86:87]
	v_fmac_f64_e32 v[14:15], v[182:183], v[84:85]
	v_add_f64 v[14:15], v[0:1], v[14:15]
	v_mul_f64 v[0:1], v[198:199], v[190:191]
	v_fma_f64 v[0:1], v[196:197], v[188:189], -v[0:1]
	ds_read_b128 v[188:191], v2 offset:1728
	v_mul_f64 v[194:195], v[210:211], v[194:195]
	s_waitcnt vmcnt(4) lgkmcnt(1)
	v_mul_f64 v[196:197], v[184:185], v[90:91]
	v_fma_f64 v[192:193], v[208:209], v[192:193], -v[194:195]
	v_fmac_f64_e32 v[196:197], v[186:187], v[88:89]
	v_accvgpr_write_b32 a130, v192
	v_accvgpr_write_b32 a131, v193
	ds_read_b128 v[192:195], v2 offset:1744
	v_add_f64 v[14:15], v[14:15], v[196:197]
	s_waitcnt vmcnt(3) lgkmcnt(1)
	v_mul_f64 v[196:197], v[188:189], v[98:99]
	v_fmac_f64_e32 v[196:197], v[190:191], v[96:97]
	v_add_f64 v[14:15], v[14:15], v[196:197]
	ds_read_b128 v[196:199], v2 offset:1760
	v_mul_f64 v[202:203], v[206:207], v[202:203]
	v_fma_f64 v[246:247], v[204:205], v[200:201], -v[202:203]
	ds_read_b128 v[200:203], v2 offset:1776
	s_waitcnt vmcnt(2) lgkmcnt(2)
	v_mul_f64 v[204:205], v[192:193], v[94:95]
	v_fmac_f64_e32 v[204:205], v[194:195], v[92:93]
	v_add_f64 v[14:15], v[14:15], v[204:205]
	s_waitcnt vmcnt(1) lgkmcnt(1)
	v_mul_f64 v[204:205], v[196:197], v[102:103]
	v_fmac_f64_e32 v[204:205], v[198:199], v[100:101]
	v_add_f64 v[14:15], v[14:15], v[204:205]
	;; [unrolled: 4-line block ×3, first 2 shown]
	scratch_load_dwordx4 v[204:207], off, off offset:880
	scratch_load_dwordx4 v[232:235], off, off offset:928
	ds_read_b128 v[208:211], v2 offset:1792
	ds_read_b128 v[216:219], v2 offset:1808
	;; [unrolled: 1-line block ×3, first 2 shown]
	s_waitcnt vmcnt(1) lgkmcnt(2)
	v_mul_f64 v[212:213], v[208:209], v[206:207]
	v_fmac_f64_e32 v[212:213], v[210:211], v[204:205]
	v_add_f64 v[14:15], v[14:15], v[212:213]
	scratch_load_dwordx4 v[212:215], off, off offset:896
	s_waitcnt vmcnt(0) lgkmcnt(1)
	v_mul_f64 v[220:221], v[216:217], v[214:215]
	v_fmac_f64_e32 v[220:221], v[218:219], v[212:213]
	v_add_f64 v[14:15], v[14:15], v[220:221]
	scratch_load_dwordx4 v[220:223], off, off offset:912
	s_waitcnt vmcnt(0) lgkmcnt(0)
	v_mul_f64 v[228:229], v[224:225], v[222:223]
	v_fmac_f64_e32 v[228:229], v[226:227], v[220:221]
	v_add_f64 v[14:15], v[14:15], v[228:229]
	ds_read_b128 v[228:231], v2 offset:1840
	s_waitcnt lgkmcnt(0)
	v_mul_f64 v[2:3], v[228:229], v[234:235]
	v_fmac_f64_e32 v[2:3], v[230:231], v[232:233]
	v_add_f64 v[2:3], v[14:15], v[2:3]
	v_add_f64 v[14:15], v[240:241], 0
	;; [unrolled: 1-line block ×5, first 2 shown]
	scratch_load_dwordx4 v[236:239], off, off offset:192
	v_add_f64 v[14:15], v[14:15], v[248:249]
	v_add_f64 v[14:15], v[14:15], v[250:251]
	;; [unrolled: 1-line block ×10, first 2 shown]
	v_accvgpr_read_b32 v6, a118
	v_add_f64 v[248:249], v[4:5], v[0:1]
	v_accvgpr_read_b32 v0, a130
	v_accvgpr_read_b32 v8, a120
	;; [unrolled: 1-line block ×5, first 2 shown]
	v_mul_f64 v[4:5], v[22:23], v[8:9]
	v_add_f64 v[0:1], v[248:249], v[0:1]
	v_fma_f64 v[4:5], v[20:21], v[6:7], -v[4:5]
	v_accvgpr_read_b32 v6, a122
	v_add_f64 v[0:1], v[0:1], v[246:247]
	v_accvgpr_read_b32 v8, a124
	v_accvgpr_read_b32 v9, a125
	v_add_f64 v[0:1], v[0:1], v[4:5]
	v_accvgpr_read_b32 v7, a123
	v_mul_f64 v[4:5], v[110:111], v[8:9]
	v_fma_f64 v[4:5], v[108:109], v[6:7], -v[4:5]
	v_accvgpr_read_b32 v6, a126
	v_accvgpr_read_b32 v8, a128
	v_accvgpr_read_b32 v9, a129
	v_add_f64 v[0:1], v[0:1], v[4:5]
	v_accvgpr_read_b32 v7, a127
	v_mul_f64 v[4:5], v[114:115], v[8:9]
	v_fma_f64 v[4:5], v[112:113], v[6:7], -v[4:5]
	v_add_f64 v[0:1], v[0:1], v[4:5]
	v_mul_f64 v[4:5], v[118:119], v[18:19]
	v_fma_f64 v[4:5], v[116:117], v[16:17], -v[4:5]
	v_add_f64 v[0:1], v[0:1], v[4:5]
	;; [unrolled: 3-line block ×27, first 2 shown]
	s_waitcnt vmcnt(0)
	v_add_f64 v[4:5], v[236:237], -v[0:1]
	v_accvgpr_read_b32 v0, a116
	v_add_f64 v[6:7], v[238:239], -v[2:3]
	v_cmp_lt_u32_e32 vcc, 10, v0
	scratch_store_dwordx4 off, v[4:7], off offset:192
	s_and_saveexec_b64 s[0:1], vcc
	s_cbranch_execz .LBB57_341
; %bb.340:
	scratch_load_dwordx4 v[2:5], off, s47
	v_mov_b32_e32 v6, 0
	v_mov_b32_e32 v7, v6
	;; [unrolled: 1-line block ×4, first 2 shown]
	v_accvgpr_read_b32 v0, a117
	scratch_store_dwordx4 off, v[6:9], off offset:176
	s_waitcnt vmcnt(1)
	ds_write_b128 v0, v[2:5]
.LBB57_341:
	s_or_b64 exec, exec, s[0:1]
	s_waitcnt lgkmcnt(0)
	; wave barrier
	scratch_load_dwordx4 v[68:71], off, off offset:192
	scratch_load_dwordx4 v[72:75], off, off offset:208
	;; [unrolled: 1-line block ×28, first 2 shown]
	v_mov_b32_e32 v2, 0
	ds_read_b128 v[124:127], v2 offset:1104
	ds_read_b128 v[128:131], v2 offset:1120
	ds_read_b128 v[132:135], v2 offset:1136
	ds_read_b128 v[136:139], v2 offset:1152
	ds_read_b128 v[140:143], v2 offset:1168
	ds_read_b128 v[156:159], v2 offset:1184
	ds_read_b128 v[168:171], v2 offset:1200
	ds_read_b128 v[180:183], v2 offset:1216
	ds_read_b128 v[192:195], v2 offset:1232
	ds_read_b128 v[200:203], v2 offset:1248
	ds_read_b128 v[204:207], v2 offset:1264
	ds_read_b128 v[208:211], v2 offset:1280
	ds_read_b128 v[212:215], v2 offset:1296
	ds_read_b128 v[216:219], v2 offset:1312
	ds_read_b128 v[220:223], v2 offset:1328
	ds_read_b128 v[224:227], v2 offset:1344
	ds_read_b128 v[228:231], v2 offset:1360
	ds_read_b128 v[244:247], v2 offset:1376
	ds_read_b128 v[248:251], v2 offset:1392
	ds_read_b128 v[104:107], v2 offset:1424
	ds_read_b128 v[108:111], v2 offset:1440
	ds_read_b128 v[116:119], v2 offset:1456
	ds_read_b128 v[120:123], v2 offset:1472
	s_waitcnt vmcnt(27) lgkmcnt(14)
	v_mul_f64 v[0:1], v[124:125], v[70:71]
	s_waitcnt vmcnt(26)
	v_mul_f64 v[40:41], v[128:129], v[74:75]
	v_fmac_f64_e32 v[0:1], v[126:127], v[68:69]
	s_waitcnt vmcnt(25)
	v_mul_f64 v[42:43], v[132:133], v[78:79]
	v_fmac_f64_e32 v[40:41], v[130:131], v[72:73]
	v_add_f64 v[0:1], v[0:1], 0
	s_waitcnt vmcnt(24)
	v_mul_f64 v[44:45], v[136:137], v[82:83]
	v_fmac_f64_e32 v[42:43], v[134:135], v[76:77]
	v_add_f64 v[0:1], v[0:1], v[40:41]
	;; [unrolled: 4-line block ×7, first 2 shown]
	s_waitcnt vmcnt(18) lgkmcnt(13)
	v_mul_f64 v[56:57], v[200:201], v[146:147]
	v_fmac_f64_e32 v[54:55], v[194:195], v[112:113]
	v_add_f64 v[0:1], v[0:1], v[52:53]
	s_waitcnt vmcnt(17) lgkmcnt(12)
	v_mul_f64 v[58:59], v[204:205], v[150:151]
	v_fmac_f64_e32 v[56:57], v[202:203], v[144:145]
	v_add_f64 v[0:1], v[0:1], v[54:55]
	;; [unrolled: 4-line block ×7, first 2 shown]
	scratch_load_dwordx4 v[40:43], off, off offset:640
	scratch_load_dwordx4 v[44:47], off, off offset:656
	s_waitcnt vmcnt(13) lgkmcnt(6)
	v_mul_f64 v[102:103], v[228:229], v[186:187]
	v_fmac_f64_e32 v[100:101], v[226:227], v[176:177]
	v_add_f64 v[0:1], v[0:1], v[66:67]
	v_add_f64 v[0:1], v[0:1], v[100:101]
	v_fmac_f64_e32 v[102:103], v[230:231], v[184:185]
	v_add_f64 v[0:1], v[0:1], v[102:103]
	ds_read_b128 v[100:103], v2 offset:1408
	s_waitcnt vmcnt(12) lgkmcnt(6)
	v_mul_f64 v[48:49], v[244:245], v[190:191]
	v_fmac_f64_e32 v[48:49], v[246:247], v[188:189]
	v_add_f64 v[0:1], v[0:1], v[48:49]
	s_waitcnt vmcnt(11) lgkmcnt(5)
	v_mul_f64 v[48:49], v[248:249], v[198:199]
	v_fmac_f64_e32 v[48:49], v[250:251], v[196:197]
	v_add_f64 v[0:1], v[0:1], v[48:49]
	scratch_load_dwordx4 v[48:51], off, off offset:672
	scratch_load_dwordx4 v[52:55], off, off offset:688
	s_waitcnt vmcnt(12) lgkmcnt(0)
	v_mul_f64 v[56:57], v[100:101], v[6:7]
	v_accvgpr_write_b32 a121, v7
	v_fmac_f64_e32 v[56:57], v[102:103], v[4:5]
	v_accvgpr_write_b32 a120, v6
	v_accvgpr_write_b32 a119, v5
	;; [unrolled: 1-line block ×3, first 2 shown]
	s_waitcnt vmcnt(11)
	v_mov_b64_e32 v[4:5], v[8:9]
	v_mov_b64_e32 v[6:7], v[10:11]
	v_add_f64 v[0:1], v[0:1], v[56:57]
	v_mul_f64 v[56:57], v[104:105], v[6:7]
	v_fmac_f64_e32 v[56:57], v[106:107], v[4:5]
	v_add_f64 v[0:1], v[0:1], v[56:57]
	scratch_load_dwordx4 v[56:59], off, off offset:704
	s_waitcnt vmcnt(11)
	v_mov_b64_e32 v[4:5], v[12:13]
	v_mov_b64_e32 v[6:7], v[14:15]
	v_mul_f64 v[60:61], v[108:109], v[6:7]
	v_fmac_f64_e32 v[60:61], v[110:111], v[4:5]
	s_waitcnt vmcnt(10)
	v_mov_b64_e32 v[4:5], v[16:17]
	v_mov_b64_e32 v[6:7], v[18:19]
	v_add_f64 v[0:1], v[0:1], v[60:61]
	scratch_load_dwordx4 v[60:63], off, off offset:720
	v_mul_f64 v[64:65], v[116:117], v[6:7]
	v_fmac_f64_e32 v[64:65], v[118:119], v[4:5]
	v_add_f64 v[0:1], v[0:1], v[64:65]
	scratch_load_dwordx4 v[64:67], off, off offset:736
	v_mul_f64 v[70:71], v[126:127], v[70:71]
	s_waitcnt vmcnt(11)
	v_mov_b64_e32 v[4:5], v[20:21]
	v_fma_f64 v[240:241], v[124:125], v[68:69], -v[70:71]
	v_mov_b64_e32 v[6:7], v[22:23]
	scratch_load_dwordx4 v[68:71], off, off offset:752
	v_mul_f64 v[124:125], v[120:121], v[6:7]
	v_mul_f64 v[74:75], v[130:131], v[74:75]
	v_fmac_f64_e32 v[124:125], v[122:123], v[4:5]
	v_fma_f64 v[242:243], v[128:129], v[72:73], -v[74:75]
	scratch_load_dwordx4 v[72:75], off, off offset:768
	v_mul_f64 v[78:79], v[134:135], v[78:79]
	v_add_f64 v[0:1], v[0:1], v[124:125]
	ds_read_b128 v[124:127], v2 offset:1488
	ds_read_b128 v[128:131], v2 offset:1504
	v_fma_f64 v[252:253], v[132:133], v[76:77], -v[78:79]
	v_mul_f64 v[76:77], v[138:139], v[82:83]
	v_fma_f64 v[254:255], v[136:137], v[80:81], -v[76:77]
	scratch_load_dwordx4 v[76:79], off, off offset:784
	s_waitcnt vmcnt(13) lgkmcnt(1)
	v_mul_f64 v[132:133], v[124:125], v[236:237]
	v_fmac_f64_e32 v[132:133], v[126:127], v[234:235]
	v_add_f64 v[0:1], v[0:1], v[132:133]
	s_waitcnt vmcnt(12) lgkmcnt(0)
	v_mul_f64 v[132:133], v[128:129], v[30:31]
	scratch_load_dwordx4 v[80:83], off, off offset:800
	v_fmac_f64_e32 v[132:133], v[130:131], v[28:29]
	v_mul_f64 v[86:87], v[142:143], v[86:87]
	v_add_f64 v[0:1], v[0:1], v[132:133]
	v_fma_f64 v[232:233], v[140:141], v[84:85], -v[86:87]
	ds_read_b128 v[132:135], v2 offset:1520
	v_mul_f64 v[84:85], v[158:159], v[90:91]
	v_fma_f64 v[24:25], v[156:157], v[88:89], -v[84:85]
	scratch_load_dwordx4 v[88:91], off, off offset:816
	scratch_load_dwordx4 v[84:87], off, off offset:832
	v_accvgpr_write_b32 a137, v23
	v_mul_f64 v[6:7], v[170:171], v[94:95]
	v_accvgpr_write_b32 a136, v22
	v_accvgpr_write_b32 a135, v21
	;; [unrolled: 1-line block ×3, first 2 shown]
	v_fma_f64 v[20:21], v[168:169], v[92:93], -v[6:7]
	s_waitcnt vmcnt(14) lgkmcnt(0)
	v_mul_f64 v[6:7], v[132:133], v[34:35]
	v_fmac_f64_e32 v[6:7], v[134:135], v[32:33]
	v_accvgpr_write_b32 a133, v19
	v_add_f64 v[0:1], v[0:1], v[6:7]
	v_mul_f64 v[6:7], v[182:183], v[98:99]
	v_accvgpr_write_b32 a132, v18
	v_accvgpr_write_b32 a131, v17
	;; [unrolled: 1-line block ×3, first 2 shown]
	ds_read_b128 v[136:139], v2 offset:1536
	v_fma_f64 v[16:17], v[180:181], v[96:97], -v[6:7]
	scratch_load_dwordx4 v[96:99], off, off offset:848
	scratch_load_dwordx4 v[92:95], off, off offset:864
	v_accvgpr_write_b32 a129, v15
	v_mul_f64 v[6:7], v[194:195], v[114:115]
	v_accvgpr_write_b32 a128, v14
	v_accvgpr_write_b32 a127, v13
	;; [unrolled: 1-line block ×3, first 2 shown]
	v_fma_f64 v[12:13], v[192:193], v[112:113], -v[6:7]
	scratch_load_dwordx4 v[112:115], off, off offset:880
	ds_read_b128 v[140:143], v2 offset:1552
	s_waitcnt vmcnt(16) lgkmcnt(1)
	v_mul_f64 v[6:7], v[136:137], v[38:39]
	v_fmac_f64_e32 v[6:7], v[138:139], v[36:37]
	v_add_f64 v[0:1], v[0:1], v[6:7]
	v_mul_f64 v[6:7], v[202:203], v[146:147]
	v_fma_f64 v[14:15], v[200:201], v[144:145], -v[6:7]
	ds_read_b128 v[144:147], v2 offset:1568
	s_waitcnt vmcnt(15) lgkmcnt(1)
	v_mul_f64 v[6:7], v[140:141], v[42:43]
	v_fmac_f64_e32 v[6:7], v[142:143], v[40:41]
	v_accvgpr_write_b32 a125, v11
	v_add_f64 v[0:1], v[0:1], v[6:7]
	v_mul_f64 v[6:7], v[206:207], v[150:151]
	v_accvgpr_write_b32 a124, v10
	v_accvgpr_write_b32 a123, v9
	;; [unrolled: 1-line block ×3, first 2 shown]
	v_fma_f64 v[10:11], v[204:205], v[148:149], -v[6:7]
	ds_read_b128 v[148:151], v2 offset:1584
	v_mul_f64 v[18:19], v[210:211], v[154:155]
	v_fma_f64 v[18:19], v[208:209], v[152:153], -v[18:19]
	ds_read_b128 v[152:155], v2 offset:1600
	s_waitcnt vmcnt(14) lgkmcnt(2)
	v_mul_f64 v[6:7], v[144:145], v[46:47]
	v_fmac_f64_e32 v[6:7], v[146:147], v[44:45]
	v_add_f64 v[0:1], v[0:1], v[6:7]
	s_waitcnt vmcnt(13) lgkmcnt(1)
	v_mul_f64 v[6:7], v[148:149], v[50:51]
	ds_read_b128 v[156:159], v2 offset:1616
	v_fmac_f64_e32 v[6:7], v[150:151], v[48:49]
	v_add_f64 v[0:1], v[0:1], v[6:7]
	s_waitcnt vmcnt(12) lgkmcnt(1)
	v_mul_f64 v[6:7], v[152:153], v[54:55]
	v_fmac_f64_e32 v[6:7], v[154:155], v[52:53]
	v_add_f64 v[0:1], v[0:1], v[6:7]
	v_mul_f64 v[6:7], v[214:215], v[162:163]
	v_fma_f64 v[8:9], v[212:213], v[160:161], -v[6:7]
	ds_read_b128 v[160:163], v2 offset:1632
	s_waitcnt vmcnt(11) lgkmcnt(1)
	v_mul_f64 v[6:7], v[156:157], v[58:59]
	v_fmac_f64_e32 v[6:7], v[158:159], v[56:57]
	v_add_f64 v[0:1], v[0:1], v[6:7]
	v_mul_f64 v[6:7], v[218:219], v[166:167]
	v_fma_f64 v[22:23], v[216:217], v[164:165], -v[6:7]
	ds_read_b128 v[164:167], v2 offset:1648
	ds_read_b128 v[168:171], v2 offset:1664
	s_waitcnt vmcnt(10) lgkmcnt(2)
	v_mul_f64 v[6:7], v[160:161], v[62:63]
	v_fmac_f64_e32 v[6:7], v[162:163], v[60:61]
	v_add_f64 v[0:1], v[0:1], v[6:7]
	s_waitcnt vmcnt(9) lgkmcnt(1)
	v_mul_f64 v[6:7], v[164:165], v[66:67]
	v_fmac_f64_e32 v[6:7], v[166:167], v[64:65]
	v_add_f64 v[0:1], v[0:1], v[6:7]
	v_mul_f64 v[6:7], v[222:223], v[174:175]
	v_fma_f64 v[4:5], v[220:221], v[172:173], -v[6:7]
	ds_read_b128 v[172:175], v2 offset:1680
	v_mul_f64 v[6:7], v[226:227], v[178:179]
	v_fma_f64 v[6:7], v[224:225], v[176:177], -v[6:7]
	ds_read_b128 v[176:179], v2 offset:1696
	s_waitcnt vmcnt(8) lgkmcnt(2)
	v_mul_f64 v[26:27], v[168:169], v[70:71]
	v_fmac_f64_e32 v[26:27], v[170:171], v[68:69]
	v_add_f64 v[0:1], v[0:1], v[26:27]
	s_waitcnt vmcnt(7) lgkmcnt(1)
	v_mul_f64 v[26:27], v[172:173], v[74:75]
	v_fmac_f64_e32 v[26:27], v[174:175], v[72:73]
	v_add_f64 v[0:1], v[0:1], v[26:27]
	s_waitcnt vmcnt(6) lgkmcnt(0)
	v_mul_f64 v[26:27], v[176:177], v[78:79]
	v_fmac_f64_e32 v[26:27], v[178:179], v[76:77]
	ds_read_b128 v[180:183], v2 offset:1712
	v_add_f64 v[26:27], v[0:1], v[26:27]
	v_mul_f64 v[0:1], v[230:231], v[186:187]
	v_fma_f64 v[0:1], v[228:229], v[184:185], -v[0:1]
	ds_read_b128 v[184:187], v2 offset:1728
	s_waitcnt vmcnt(5) lgkmcnt(1)
	v_mul_f64 v[192:193], v[180:181], v[82:83]
	v_fmac_f64_e32 v[192:193], v[182:183], v[80:81]
	v_mul_f64 v[190:191], v[246:247], v[190:191]
	v_add_f64 v[26:27], v[26:27], v[192:193]
	v_fma_f64 v[238:239], v[244:245], v[188:189], -v[190:191]
	ds_read_b128 v[188:191], v2 offset:1744
	s_waitcnt vmcnt(4) lgkmcnt(1)
	v_mul_f64 v[192:193], v[184:185], v[90:91]
	v_fmac_f64_e32 v[192:193], v[186:187], v[88:89]
	v_add_f64 v[26:27], v[26:27], v[192:193]
	ds_read_b128 v[192:195], v2 offset:1760
	v_mul_f64 v[198:199], v[250:251], v[198:199]
	v_fma_f64 v[244:245], v[248:249], v[196:197], -v[198:199]
	ds_read_b128 v[196:199], v2 offset:1776
	ds_read_b128 v[208:211], v2 offset:1808
	s_waitcnt vmcnt(3) lgkmcnt(3)
	v_mul_f64 v[200:201], v[188:189], v[86:87]
	v_fmac_f64_e32 v[200:201], v[190:191], v[84:85]
	v_add_f64 v[26:27], v[26:27], v[200:201]
	s_waitcnt vmcnt(2) lgkmcnt(2)
	v_mul_f64 v[200:201], v[192:193], v[98:99]
	v_fmac_f64_e32 v[200:201], v[194:195], v[96:97]
	v_add_f64 v[26:27], v[26:27], v[200:201]
	;; [unrolled: 4-line block ×3, first 2 shown]
	ds_read_b128 v[200:203], v2 offset:1792
	ds_read_b128 v[216:219], v2 offset:1824
	;; [unrolled: 1-line block ×3, first 2 shown]
	s_waitcnt vmcnt(0) lgkmcnt(2)
	v_mul_f64 v[204:205], v[200:201], v[114:115]
	v_fmac_f64_e32 v[204:205], v[202:203], v[112:113]
	v_add_f64 v[26:27], v[26:27], v[204:205]
	scratch_load_dwordx4 v[204:207], off, off offset:896
	s_waitcnt vmcnt(0)
	v_mul_f64 v[212:213], v[208:209], v[206:207]
	v_fmac_f64_e32 v[212:213], v[210:211], v[204:205]
	v_add_f64 v[26:27], v[26:27], v[212:213]
	scratch_load_dwordx4 v[212:215], off, off offset:912
	s_waitcnt vmcnt(0) lgkmcnt(1)
	v_mul_f64 v[220:221], v[216:217], v[214:215]
	v_fmac_f64_e32 v[220:221], v[218:219], v[212:213]
	v_add_f64 v[26:27], v[26:27], v[220:221]
	scratch_load_dwordx4 v[220:223], off, off offset:928
	s_waitcnt vmcnt(0) lgkmcnt(0)
	v_mul_f64 v[228:229], v[224:225], v[222:223]
	v_fmac_f64_e32 v[228:229], v[226:227], v[220:221]
	v_add_f64 v[248:249], v[26:27], v[228:229]
	scratch_load_dwordx4 v[228:231], off, off offset:176
	v_add_f64 v[26:27], v[240:241], 0
	v_add_f64 v[26:27], v[26:27], v[242:243]
	;; [unrolled: 1-line block ×16, first 2 shown]
	v_accvgpr_read_b32 v6, a118
	v_accvgpr_read_b32 v8, a120
	;; [unrolled: 1-line block ×3, first 2 shown]
	v_add_f64 v[0:1], v[4:5], v[0:1]
	v_accvgpr_read_b32 v7, a119
	v_mul_f64 v[4:5], v[102:103], v[8:9]
	v_add_f64 v[0:1], v[0:1], v[238:239]
	v_fma_f64 v[4:5], v[100:101], v[6:7], -v[4:5]
	v_accvgpr_read_b32 v6, a122
	v_add_f64 v[0:1], v[0:1], v[244:245]
	v_accvgpr_read_b32 v8, a124
	v_accvgpr_read_b32 v9, a125
	v_add_f64 v[0:1], v[0:1], v[4:5]
	v_accvgpr_read_b32 v7, a123
	v_mul_f64 v[4:5], v[106:107], v[8:9]
	v_fma_f64 v[4:5], v[104:105], v[6:7], -v[4:5]
	v_accvgpr_read_b32 v6, a126
	v_accvgpr_read_b32 v8, a128
	v_accvgpr_read_b32 v9, a129
	v_add_f64 v[0:1], v[0:1], v[4:5]
	v_accvgpr_read_b32 v7, a127
	v_mul_f64 v[4:5], v[110:111], v[8:9]
	v_fma_f64 v[4:5], v[108:109], v[6:7], -v[4:5]
	v_accvgpr_read_b32 v6, a130
	;; [unrolled: 7-line block ×3, first 2 shown]
	v_accvgpr_read_b32 v8, a136
	v_accvgpr_read_b32 v9, a137
	v_add_f64 v[0:1], v[0:1], v[4:5]
	v_accvgpr_read_b32 v7, a135
	v_mul_f64 v[4:5], v[122:123], v[8:9]
	v_fma_f64 v[4:5], v[120:121], v[6:7], -v[4:5]
	v_add_f64 v[0:1], v[0:1], v[4:5]
	v_mul_f64 v[4:5], v[126:127], v[236:237]
	v_fma_f64 v[4:5], v[124:125], v[234:235], -v[4:5]
	v_add_f64 v[0:1], v[0:1], v[4:5]
	v_mul_f64 v[4:5], v[130:131], v[30:31]
	v_fma_f64 v[4:5], v[128:129], v[28:29], -v[4:5]
	v_add_f64 v[0:1], v[0:1], v[4:5]
	v_mul_f64 v[4:5], v[134:135], v[34:35]
	v_fma_f64 v[4:5], v[132:133], v[32:33], -v[4:5]
	v_add_f64 v[0:1], v[0:1], v[4:5]
	v_mul_f64 v[4:5], v[138:139], v[38:39]
	v_fma_f64 v[4:5], v[136:137], v[36:37], -v[4:5]
	v_add_f64 v[0:1], v[0:1], v[4:5]
	v_mul_f64 v[4:5], v[142:143], v[42:43]
	v_fma_f64 v[4:5], v[140:141], v[40:41], -v[4:5]
	v_add_f64 v[0:1], v[0:1], v[4:5]
	v_mul_f64 v[4:5], v[146:147], v[46:47]
	v_fma_f64 v[4:5], v[144:145], v[44:45], -v[4:5]
	v_add_f64 v[0:1], v[0:1], v[4:5]
	v_mul_f64 v[4:5], v[150:151], v[50:51]
	v_fma_f64 v[4:5], v[148:149], v[48:49], -v[4:5]
	v_add_f64 v[0:1], v[0:1], v[4:5]
	v_mul_f64 v[4:5], v[154:155], v[54:55]
	v_fma_f64 v[4:5], v[152:153], v[52:53], -v[4:5]
	v_add_f64 v[0:1], v[0:1], v[4:5]
	v_mul_f64 v[4:5], v[158:159], v[58:59]
	v_fma_f64 v[4:5], v[156:157], v[56:57], -v[4:5]
	v_add_f64 v[0:1], v[0:1], v[4:5]
	v_mul_f64 v[4:5], v[162:163], v[62:63]
	v_fma_f64 v[4:5], v[160:161], v[60:61], -v[4:5]
	v_add_f64 v[0:1], v[0:1], v[4:5]
	v_mul_f64 v[4:5], v[166:167], v[66:67]
	v_fma_f64 v[4:5], v[164:165], v[64:65], -v[4:5]
	v_add_f64 v[0:1], v[0:1], v[4:5]
	v_mul_f64 v[4:5], v[170:171], v[70:71]
	v_fma_f64 v[4:5], v[168:169], v[68:69], -v[4:5]
	v_add_f64 v[0:1], v[0:1], v[4:5]
	v_mul_f64 v[4:5], v[174:175], v[74:75]
	v_fma_f64 v[4:5], v[172:173], v[72:73], -v[4:5]
	v_add_f64 v[0:1], v[0:1], v[4:5]
	v_mul_f64 v[4:5], v[178:179], v[78:79]
	v_fma_f64 v[4:5], v[176:177], v[76:77], -v[4:5]
	v_add_f64 v[0:1], v[0:1], v[4:5]
	v_mul_f64 v[4:5], v[182:183], v[82:83]
	v_fma_f64 v[4:5], v[180:181], v[80:81], -v[4:5]
	v_add_f64 v[0:1], v[0:1], v[4:5]
	v_mul_f64 v[4:5], v[186:187], v[90:91]
	v_fma_f64 v[4:5], v[184:185], v[88:89], -v[4:5]
	v_add_f64 v[0:1], v[0:1], v[4:5]
	v_mul_f64 v[4:5], v[190:191], v[86:87]
	v_fma_f64 v[4:5], v[188:189], v[84:85], -v[4:5]
	v_add_f64 v[0:1], v[0:1], v[4:5]
	v_mul_f64 v[4:5], v[194:195], v[98:99]
	v_fma_f64 v[4:5], v[192:193], v[96:97], -v[4:5]
	v_add_f64 v[0:1], v[0:1], v[4:5]
	v_mul_f64 v[4:5], v[198:199], v[94:95]
	v_fma_f64 v[4:5], v[196:197], v[92:93], -v[4:5]
	v_add_f64 v[0:1], v[0:1], v[4:5]
	v_mul_f64 v[4:5], v[202:203], v[114:115]
	v_fma_f64 v[4:5], v[200:201], v[112:113], -v[4:5]
	v_add_f64 v[0:1], v[0:1], v[4:5]
	v_mul_f64 v[4:5], v[210:211], v[206:207]
	v_fma_f64 v[4:5], v[208:209], v[204:205], -v[4:5]
	v_add_f64 v[0:1], v[0:1], v[4:5]
	v_mul_f64 v[4:5], v[218:219], v[214:215]
	v_fma_f64 v[4:5], v[216:217], v[212:213], -v[4:5]
	v_add_f64 v[0:1], v[0:1], v[4:5]
	v_mul_f64 v[4:5], v[226:227], v[222:223]
	v_fma_f64 v[4:5], v[224:225], v[220:221], -v[4:5]
	v_add_f64 v[0:1], v[0:1], v[4:5]
	s_waitcnt vmcnt(0)
	v_add_f64 v[4:5], v[228:229], -v[0:1]
	v_accvgpr_read_b32 v0, a116
	v_add_f64 v[6:7], v[230:231], -v[248:249]
	v_cmp_lt_u32_e32 vcc, 9, v0
	scratch_store_dwordx4 off, v[4:7], off offset:176
	s_and_saveexec_b64 s[0:1], vcc
	s_cbranch_execz .LBB57_343
; %bb.342:
	scratch_load_dwordx4 v[6:9], off, s46
	v_mov_b32_e32 v3, v2
	v_mov_b32_e32 v4, v2
	;; [unrolled: 1-line block ×3, first 2 shown]
	v_accvgpr_read_b32 v0, a117
	scratch_store_dwordx4 off, v[2:5], off offset:160
	s_waitcnt vmcnt(1)
	ds_write_b128 v0, v[6:9]
.LBB57_343:
	s_or_b64 exec, exec, s[0:1]
	s_waitcnt lgkmcnt(0)
	; wave barrier
	scratch_load_dwordx4 v[40:43], off, off offset:176
	scratch_load_dwordx4 v[44:47], off, off offset:192
	;; [unrolled: 1-line block ×18, first 2 shown]
	ds_read_b128 v[164:167], v2 offset:1088
	ds_read_b128 v[232:235], v2 offset:1104
	;; [unrolled: 1-line block ×6, first 2 shown]
	scratch_load_dwordx4 v[140:143], off, off offset:464
	ds_read_b128 v[224:227], v2 offset:1184
	ds_read_b128 v[212:215], v2 offset:1200
	;; [unrolled: 1-line block ×3, first 2 shown]
	scratch_load_dwordx4 v[4:7], off, off offset:480
	ds_read_b128 v[228:231], v2 offset:1232
	ds_read_b128 v[216:219], v2 offset:1248
	;; [unrolled: 1-line block ×5, first 2 shown]
	scratch_load_dwordx4 v[8:11], off, off offset:496
	ds_read_b128 v[208:211], v2 offset:1312
	ds_read_b128 v[196:199], v2 offset:1328
	;; [unrolled: 1-line block ×3, first 2 shown]
	scratch_load_dwordx4 v[12:15], off, off offset:512
	ds_read_b128 v[200:203], v2 offset:1360
	scratch_load_dwordx4 v[16:19], off, off offset:528
	scratch_load_dwordx4 v[20:23], off, off offset:544
	;; [unrolled: 1-line block ×7, first 2 shown]
	ds_read_b128 v[236:239], v2 offset:1376
	ds_read_b128 v[156:159], v2 offset:1440
	;; [unrolled: 1-line block ×4, first 2 shown]
	s_waitcnt vmcnt(28) lgkmcnt(14)
	v_mul_f64 v[0:1], v[164:165], v[42:43]
	s_waitcnt vmcnt(27)
	v_mul_f64 v[108:109], v[232:233], v[46:47]
	v_fmac_f64_e32 v[0:1], v[166:167], v[40:41]
	s_waitcnt vmcnt(26)
	v_mul_f64 v[110:111], v[168:169], v[50:51]
	v_fmac_f64_e32 v[108:109], v[234:235], v[44:45]
	v_add_f64 v[0:1], v[0:1], 0
	s_waitcnt vmcnt(25)
	v_mul_f64 v[116:117], v[220:221], v[54:55]
	v_fmac_f64_e32 v[110:111], v[170:171], v[48:49]
	v_add_f64 v[0:1], v[0:1], v[108:109]
	;; [unrolled: 4-line block ×6, first 2 shown]
	s_waitcnt vmcnt(20) lgkmcnt(13)
	v_mul_f64 v[126:127], v[180:181], v[78:79]
	v_fmac_f64_e32 v[124:125], v[214:215], v[68:69]
	v_add_f64 v[0:1], v[0:1], v[122:123]
	s_waitcnt vmcnt(19) lgkmcnt(12)
	v_mul_f64 v[128:129], v[228:229], v[82:83]
	v_fmac_f64_e32 v[126:127], v[182:183], v[76:77]
	v_add_f64 v[0:1], v[0:1], v[124:125]
	s_waitcnt vmcnt(18) lgkmcnt(11)
	v_mul_f64 v[130:131], v[216:217], v[86:87]
	v_fmac_f64_e32 v[128:129], v[230:231], v[80:81]
	v_add_f64 v[0:1], v[0:1], v[126:127]
	s_waitcnt vmcnt(17) lgkmcnt(10)
	v_mul_f64 v[132:133], v[188:189], v[90:91]
	v_fmac_f64_e32 v[130:131], v[218:219], v[84:85]
	v_add_f64 v[0:1], v[0:1], v[128:129]
	s_waitcnt vmcnt(16) lgkmcnt(9)
	v_mul_f64 v[134:135], v[204:205], v[94:95]
	v_fmac_f64_e32 v[132:133], v[190:191], v[88:89]
	v_add_f64 v[0:1], v[0:1], v[130:131]
	s_waitcnt vmcnt(15) lgkmcnt(8)
	v_mul_f64 v[144:145], v[192:193], v[98:99]
	v_fmac_f64_e32 v[134:135], v[206:207], v[92:93]
	v_add_f64 v[0:1], v[0:1], v[132:133]
	s_waitcnt vmcnt(14) lgkmcnt(7)
	v_mul_f64 v[146:147], v[208:209], v[102:103]
	v_fmac_f64_e32 v[144:145], v[194:195], v[96:97]
	v_add_f64 v[0:1], v[0:1], v[134:135]
	s_waitcnt vmcnt(13) lgkmcnt(6)
	v_mul_f64 v[148:149], v[196:197], v[106:107]
	v_fmac_f64_e32 v[146:147], v[210:211], v[100:101]
	v_add_f64 v[0:1], v[0:1], v[144:145]
	s_waitcnt vmcnt(12) lgkmcnt(5)
	v_mul_f64 v[150:151], v[184:185], v[114:115]
	v_fmac_f64_e32 v[148:149], v[198:199], v[104:105]
	v_add_f64 v[0:1], v[0:1], v[146:147]
	v_add_f64 v[0:1], v[0:1], v[148:149]
	v_fmac_f64_e32 v[150:151], v[186:187], v[112:113]
	s_waitcnt vmcnt(11) lgkmcnt(4)
	v_mul_f64 v[116:117], v[200:201], v[138:139]
	v_add_f64 v[0:1], v[0:1], v[150:151]
	v_fmac_f64_e32 v[116:117], v[202:203], v[136:137]
	v_add_f64 v[0:1], v[0:1], v[116:117]
	ds_read_b128 v[144:147], v2 offset:1392
	s_waitcnt vmcnt(10) lgkmcnt(4)
	v_mul_f64 v[116:117], v[236:237], v[142:143]
	scratch_load_dwordx4 v[108:111], off, off offset:640
	v_fmac_f64_e32 v[116:117], v[238:239], v[140:141]
	v_add_f64 v[0:1], v[0:1], v[116:117]
	scratch_load_dwordx4 v[116:119], off, off offset:656
	ds_read_b128 v[148:151], v2 offset:1408
	scratch_load_dwordx4 v[120:123], off, off offset:672
	s_waitcnt vmcnt(12) lgkmcnt(1)
	v_mul_f64 v[124:125], v[144:145], v[6:7]
	v_fmac_f64_e32 v[124:125], v[146:147], v[4:5]
	v_add_f64 v[0:1], v[0:1], v[124:125]
	s_waitcnt vmcnt(11) lgkmcnt(0)
	v_mul_f64 v[124:125], v[148:149], v[10:11]
	v_fmac_f64_e32 v[124:125], v[150:151], v[8:9]
	s_waitcnt vmcnt(10)
	v_mul_f64 v[128:129], v[152:153], v[14:15]
	v_add_f64 v[0:1], v[0:1], v[124:125]
	scratch_load_dwordx4 v[124:127], off, off offset:688
	v_fmac_f64_e32 v[128:129], v[154:155], v[12:13]
	v_add_f64 v[0:1], v[0:1], v[128:129]
	scratch_load_dwordx4 v[128:131], off, off offset:704
	s_waitcnt vmcnt(11)
	v_mul_f64 v[132:133], v[156:157], v[18:19]
	v_fmac_f64_e32 v[132:133], v[158:159], v[16:17]
	v_add_f64 v[0:1], v[0:1], v[132:133]
	scratch_load_dwordx4 v[132:135], off, off offset:720
	v_mul_f64 v[42:43], v[166:167], v[42:43]
	v_fma_f64 v[240:241], v[164:165], v[40:41], -v[42:43]
	scratch_load_dwordx4 v[40:43], off, off offset:736
	v_mul_f64 v[46:47], v[234:235], v[46:47]
	v_fma_f64 v[242:243], v[232:233], v[44:45], -v[46:47]
	scratch_load_dwordx4 v[44:47], off, off offset:752
	v_mul_f64 v[50:51], v[170:171], v[50:51]
	v_fma_f64 v[248:249], v[168:169], v[48:49], -v[50:51]
	v_mul_f64 v[48:49], v[222:223], v[54:55]
	v_fma_f64 v[250:251], v[220:221], v[52:53], -v[48:49]
	scratch_load_dwordx4 v[48:51], off, off offset:768
	scratch_load_dwordx4 v[52:55], off, off offset:784
	s_waitcnt vmcnt(15)
	v_mul_f64 v[164:165], v[160:161], v[22:23]
	v_fmac_f64_e32 v[164:165], v[162:163], v[20:21]
	v_add_f64 v[0:1], v[0:1], v[164:165]
	ds_read_b128 v[164:167], v2 offset:1472
	ds_read_b128 v[168:171], v2 offset:1488
	v_mul_f64 v[58:59], v[174:175], v[58:59]
	v_fma_f64 v[252:253], v[172:173], v[56:57], -v[58:59]
	ds_read_b128 v[172:175], v2 offset:1504
	v_mul_f64 v[56:57], v[178:179], v[62:63]
	v_fma_f64 v[254:255], v[176:177], v[60:61], -v[56:57]
	scratch_load_dwordx4 v[60:63], off, off offset:800
	scratch_load_dwordx4 v[56:59], off, off offset:816
	s_waitcnt vmcnt(16) lgkmcnt(2)
	v_mul_f64 v[232:233], v[164:165], v[34:35]
	v_fmac_f64_e32 v[232:233], v[166:167], v[32:33]
	s_waitcnt vmcnt(15) lgkmcnt(1)
	v_mul_f64 v[220:221], v[168:169], v[38:39]
	v_mul_f64 v[66:67], v[226:227], v[66:67]
	v_add_f64 v[0:1], v[0:1], v[232:233]
	v_fmac_f64_e32 v[220:221], v[170:171], v[36:37]
	v_fma_f64 v[244:245], v[224:225], v[64:65], -v[66:67]
	s_waitcnt vmcnt(14) lgkmcnt(0)
	v_mul_f64 v[64:65], v[172:173], v[30:31]
	v_add_f64 v[0:1], v[0:1], v[220:221]
	v_fmac_f64_e32 v[64:65], v[174:175], v[28:29]
	v_accvgpr_write_b32 a145, v23
	v_add_f64 v[0:1], v[0:1], v[64:65]
	v_mul_f64 v[64:65], v[214:215], v[70:71]
	v_accvgpr_write_b32 a144, v22
	v_accvgpr_write_b32 a143, v21
	;; [unrolled: 1-line block ×3, first 2 shown]
	ds_read_b128 v[176:179], v2 offset:1520
	v_fma_f64 v[20:21], v[212:213], v[68:69], -v[64:65]
	scratch_load_dwordx4 v[68:71], off, off offset:832
	scratch_load_dwordx4 v[64:67], off, off offset:848
	v_accvgpr_write_b32 a129, v7
	v_accvgpr_write_b32 a128, v6
	v_accvgpr_write_b32 a127, v5
	v_accvgpr_write_b32 a126, v4
	v_accvgpr_write_b32 a141, v19
	v_mul_f64 v[6:7], v[182:183], v[78:79]
	v_accvgpr_write_b32 a140, v18
	v_accvgpr_write_b32 a139, v17
	;; [unrolled: 1-line block ×3, first 2 shown]
	v_fma_f64 v[16:17], v[180:181], v[76:77], -v[6:7]
	s_waitcnt vmcnt(15) lgkmcnt(0)
	v_mul_f64 v[76:77], v[176:177], v[26:27]
	v_fmac_f64_e32 v[76:77], v[178:179], v[24:25]
	v_accvgpr_write_b32 a137, v15
	v_add_f64 v[0:1], v[0:1], v[76:77]
	v_mul_f64 v[76:77], v[230:231], v[82:83]
	v_accvgpr_write_b32 a136, v14
	v_accvgpr_write_b32 a135, v13
	v_accvgpr_write_b32 a134, v12
	v_fma_f64 v[12:13], v[228:229], v[80:81], -v[76:77]
	scratch_load_dwordx4 v[76:79], off, off offset:864
	scratch_load_dwordx4 v[232:235], off, off offset:928
	ds_read_b128 v[180:183], v2 offset:1536
	ds_read_b128 v[80:83], v2 offset:1552
	v_accvgpr_write_b32 a133, v11
	v_accvgpr_write_b32 a132, v10
	;; [unrolled: 1-line block ×4, first 2 shown]
	s_waitcnt vmcnt(16) lgkmcnt(1)
	v_mul_f64 v[10:11], v[180:181], v[74:75]
	v_fmac_f64_e32 v[10:11], v[182:183], v[72:73]
	v_add_f64 v[0:1], v[0:1], v[10:11]
	v_mul_f64 v[10:11], v[218:219], v[86:87]
	v_fma_f64 v[10:11], v[216:217], v[84:85], -v[10:11]
	ds_read_b128 v[84:87], v2 offset:1568
	v_mul_f64 v[90:91], v[190:191], v[90:91]
	v_fma_f64 v[8:9], v[188:189], v[88:89], -v[90:91]
	ds_read_b128 v[88:91], v2 offset:1584
	s_waitcnt vmcnt(15) lgkmcnt(2)
	v_mul_f64 v[212:213], v[80:81], v[110:111]
	v_fmac_f64_e32 v[212:213], v[82:83], v[108:109]
	s_waitcnt vmcnt(14) lgkmcnt(1)
	v_mul_f64 v[14:15], v[84:85], v[118:119]
	v_add_f64 v[0:1], v[0:1], v[212:213]
	v_fmac_f64_e32 v[14:15], v[86:87], v[116:117]
	v_add_f64 v[0:1], v[0:1], v[14:15]
	s_waitcnt vmcnt(13) lgkmcnt(0)
	v_mul_f64 v[14:15], v[88:89], v[122:123]
	v_fmac_f64_e32 v[14:15], v[90:91], v[120:121]
	ds_read_b128 v[188:191], v2 offset:1600
	v_add_f64 v[0:1], v[0:1], v[14:15]
	v_mul_f64 v[14:15], v[206:207], v[94:95]
	v_fma_f64 v[14:15], v[204:205], v[92:93], -v[14:15]
	ds_read_b128 v[92:95], v2 offset:1616
	v_mul_f64 v[98:99], v[194:195], v[98:99]
	v_fma_f64 v[6:7], v[192:193], v[96:97], -v[98:99]
	ds_read_b128 v[96:99], v2 offset:1632
	ds_read_b128 v[192:195], v2 offset:1648
	s_waitcnt vmcnt(12) lgkmcnt(3)
	v_mul_f64 v[204:205], v[188:189], v[126:127]
	v_fmac_f64_e32 v[204:205], v[190:191], v[124:125]
	s_waitcnt vmcnt(11) lgkmcnt(2)
	v_mul_f64 v[18:19], v[92:93], v[130:131]
	v_add_f64 v[0:1], v[0:1], v[204:205]
	v_fmac_f64_e32 v[18:19], v[94:95], v[128:129]
	v_add_f64 v[0:1], v[0:1], v[18:19]
	s_waitcnt vmcnt(10) lgkmcnt(1)
	v_mul_f64 v[18:19], v[96:97], v[134:135]
	v_fmac_f64_e32 v[18:19], v[98:99], v[132:133]
	v_add_f64 v[0:1], v[0:1], v[18:19]
	v_mul_f64 v[18:19], v[210:211], v[102:103]
	v_fma_f64 v[18:19], v[208:209], v[100:101], -v[18:19]
	ds_read_b128 v[100:103], v2 offset:1664
	v_mul_f64 v[106:107], v[198:199], v[106:107]
	v_fma_f64 v[4:5], v[196:197], v[104:105], -v[106:107]
	ds_read_b128 v[104:107], v2 offset:1680
	s_waitcnt vmcnt(9) lgkmcnt(2)
	v_mul_f64 v[204:205], v[192:193], v[42:43]
	v_fmac_f64_e32 v[204:205], v[194:195], v[40:41]
	s_waitcnt vmcnt(8) lgkmcnt(1)
	v_mul_f64 v[22:23], v[100:101], v[46:47]
	v_add_f64 v[0:1], v[0:1], v[204:205]
	v_fmac_f64_e32 v[22:23], v[102:103], v[44:45]
	v_add_f64 v[0:1], v[0:1], v[22:23]
	s_waitcnt vmcnt(7) lgkmcnt(0)
	v_mul_f64 v[22:23], v[104:105], v[50:51]
	ds_read_b128 v[196:199], v2 offset:1696
	v_fmac_f64_e32 v[22:23], v[106:107], v[48:49]
	v_add_f64 v[0:1], v[0:1], v[22:23]
	v_mul_f64 v[22:23], v[186:187], v[114:115]
	v_fma_f64 v[22:23], v[184:185], v[112:113], -v[22:23]
	ds_read_b128 v[112:115], v2 offset:1712
	s_waitcnt vmcnt(6) lgkmcnt(1)
	v_mul_f64 v[184:185], v[196:197], v[54:55]
	v_fmac_f64_e32 v[184:185], v[198:199], v[52:53]
	v_add_f64 v[184:185], v[0:1], v[184:185]
	v_mul_f64 v[0:1], v[202:203], v[138:139]
	v_fma_f64 v[0:1], v[200:201], v[136:137], -v[0:1]
	ds_read_b128 v[136:139], v2 offset:1728
	s_waitcnt vmcnt(5) lgkmcnt(1)
	v_mul_f64 v[186:187], v[112:113], v[62:63]
	v_fmac_f64_e32 v[186:187], v[114:115], v[60:61]
	v_add_f64 v[200:201], v[184:185], v[186:187]
	ds_read_b128 v[184:187], v2 offset:1744
	v_mul_f64 v[142:143], v[238:239], v[142:143]
	v_fma_f64 v[246:247], v[236:237], v[140:141], -v[142:143]
	ds_read_b128 v[140:143], v2 offset:1760
	ds_read_b128 v[208:211], v2 offset:1792
	s_waitcnt vmcnt(4) lgkmcnt(3)
	v_mul_f64 v[202:203], v[136:137], v[58:59]
	v_fmac_f64_e32 v[202:203], v[138:139], v[56:57]
	v_add_f64 v[200:201], v[200:201], v[202:203]
	s_waitcnt vmcnt(3) lgkmcnt(2)
	v_mul_f64 v[202:203], v[184:185], v[70:71]
	v_fmac_f64_e32 v[202:203], v[186:187], v[68:69]
	v_add_f64 v[200:201], v[200:201], v[202:203]
	;; [unrolled: 4-line block ×3, first 2 shown]
	ds_read_b128 v[200:203], v2 offset:1776
	ds_read_b128 v[216:219], v2 offset:1808
	ds_read_b128 v[224:227], v2 offset:1824
	s_waitcnt vmcnt(1) lgkmcnt(2)
	v_mul_f64 v[206:207], v[200:201], v[78:79]
	v_fmac_f64_e32 v[206:207], v[202:203], v[76:77]
	v_add_f64 v[212:213], v[204:205], v[206:207]
	scratch_load_dwordx4 v[204:207], off, off offset:880
	s_waitcnt vmcnt(0)
	v_mul_f64 v[214:215], v[208:209], v[206:207]
	v_fmac_f64_e32 v[214:215], v[210:211], v[204:205]
	v_add_f64 v[220:221], v[212:213], v[214:215]
	scratch_load_dwordx4 v[212:215], off, off offset:896
	s_waitcnt vmcnt(0) lgkmcnt(1)
	v_mul_f64 v[222:223], v[216:217], v[214:215]
	v_fmac_f64_e32 v[222:223], v[218:219], v[212:213]
	v_add_f64 v[228:229], v[220:221], v[222:223]
	scratch_load_dwordx4 v[220:223], off, off offset:912
	s_waitcnt vmcnt(0) lgkmcnt(0)
	v_mul_f64 v[230:231], v[224:225], v[222:223]
	v_fmac_f64_e32 v[230:231], v[226:227], v[220:221]
	v_add_f64 v[236:237], v[228:229], v[230:231]
	ds_read_b128 v[228:231], v2 offset:1840
	s_waitcnt lgkmcnt(0)
	v_mul_f64 v[2:3], v[228:229], v[234:235]
	v_fmac_f64_e32 v[2:3], v[230:231], v[232:233]
	v_add_f64 v[2:3], v[236:237], v[2:3]
	v_add_f64 v[236:237], v[240:241], 0
	;; [unrolled: 1-line block ×9, first 2 shown]
	scratch_load_dwordx4 v[236:239], off, off offset:160
	v_add_f64 v[16:17], v[20:21], v[16:17]
	v_add_f64 v[12:13], v[16:17], v[12:13]
	;; [unrolled: 1-line block ×8, first 2 shown]
	v_accvgpr_read_b32 v6, a126
	v_accvgpr_read_b32 v8, a128
	v_accvgpr_read_b32 v9, a129
	v_add_f64 v[248:249], v[4:5], v[22:23]
	v_accvgpr_read_b32 v7, a127
	v_mul_f64 v[4:5], v[146:147], v[8:9]
	v_add_f64 v[0:1], v[248:249], v[0:1]
	v_fma_f64 v[4:5], v[144:145], v[6:7], -v[4:5]
	v_accvgpr_read_b32 v6, a130
	v_add_f64 v[0:1], v[0:1], v[246:247]
	v_accvgpr_read_b32 v8, a132
	v_accvgpr_read_b32 v9, a133
	v_add_f64 v[0:1], v[0:1], v[4:5]
	v_accvgpr_read_b32 v7, a131
	v_mul_f64 v[4:5], v[150:151], v[8:9]
	v_fma_f64 v[4:5], v[148:149], v[6:7], -v[4:5]
	v_accvgpr_read_b32 v6, a134
	v_accvgpr_read_b32 v8, a136
	v_accvgpr_read_b32 v9, a137
	v_add_f64 v[0:1], v[0:1], v[4:5]
	v_accvgpr_read_b32 v7, a135
	v_mul_f64 v[4:5], v[154:155], v[8:9]
	v_fma_f64 v[4:5], v[152:153], v[6:7], -v[4:5]
	v_accvgpr_read_b32 v6, a138
	;; [unrolled: 7-line block ×3, first 2 shown]
	v_accvgpr_read_b32 v8, a144
	v_accvgpr_read_b32 v9, a145
	v_add_f64 v[0:1], v[0:1], v[4:5]
	v_accvgpr_read_b32 v7, a143
	v_mul_f64 v[4:5], v[162:163], v[8:9]
	v_fma_f64 v[4:5], v[160:161], v[6:7], -v[4:5]
	v_add_f64 v[0:1], v[0:1], v[4:5]
	v_mul_f64 v[4:5], v[166:167], v[34:35]
	v_fma_f64 v[4:5], v[164:165], v[32:33], -v[4:5]
	v_add_f64 v[0:1], v[0:1], v[4:5]
	;; [unrolled: 3-line block ×25, first 2 shown]
	s_waitcnt vmcnt(0)
	v_add_f64 v[4:5], v[236:237], -v[0:1]
	v_accvgpr_read_b32 v0, a116
	v_add_f64 v[6:7], v[238:239], -v[2:3]
	v_cmp_lt_u32_e32 vcc, 8, v0
	scratch_store_dwordx4 off, v[4:7], off offset:160
	s_and_saveexec_b64 s[0:1], vcc
	s_cbranch_execz .LBB57_345
; %bb.344:
	scratch_load_dwordx4 v[2:5], off, s45
	v_mov_b32_e32 v6, 0
	v_mov_b32_e32 v7, v6
	;; [unrolled: 1-line block ×4, first 2 shown]
	v_accvgpr_read_b32 v0, a117
	scratch_store_dwordx4 off, v[6:9], off offset:144
	s_waitcnt vmcnt(1)
	ds_write_b128 v0, v[2:5]
.LBB57_345:
	s_or_b64 exec, exec, s[0:1]
	s_waitcnt lgkmcnt(0)
	; wave barrier
	scratch_load_dwordx4 v[56:59], off, off offset:160
	scratch_load_dwordx4 v[60:63], off, off offset:176
	scratch_load_dwordx4 v[64:67], off, off offset:192
	scratch_load_dwordx4 v[68:71], off, off offset:208
	scratch_load_dwordx4 v[72:75], off, off offset:224
	scratch_load_dwordx4 v[76:79], off, off offset:240
	scratch_load_dwordx4 v[80:83], off, off offset:256
	scratch_load_dwordx4 v[84:87], off, off offset:272
	scratch_load_dwordx4 v[92:95], off, off offset:288
	scratch_load_dwordx4 v[96:99], off, off offset:304
	scratch_load_dwordx4 v[100:103], off, off offset:320
	scratch_load_dwordx4 v[136:139], off, off offset:336
	scratch_load_dwordx4 v[144:147], off, off offset:352
	scratch_load_dwordx4 v[148:151], off, off offset:368
	scratch_load_dwordx4 v[156:159], off, off offset:384
	scratch_load_dwordx4 v[160:163], off, off offset:400
	scratch_load_dwordx4 v[168:171], off, off offset:416
	scratch_load_dwordx4 v[172:175], off, off offset:432
	scratch_load_dwordx4 v[180:183], off, off offset:448
	scratch_load_dwordx4 v[184:187], off, off offset:464
	scratch_load_dwordx4 v[192:195], off, off offset:480
	scratch_load_dwordx4 v[4:7], off, off offset:496
	scratch_load_dwordx4 v[8:11], off, off offset:512
	scratch_load_dwordx4 v[12:15], off, off offset:528
	scratch_load_dwordx4 v[16:19], off, off offset:544
	scratch_load_dwordx4 v[20:23], off, off offset:560
	scratch_load_dwordx4 v[24:27], off, off offset:576
	scratch_load_dwordx4 v[234:237], off, off offset:592
	v_mov_b32_e32 v2, 0
	ds_read_b128 v[116:119], v2 offset:1072
	ds_read_b128 v[120:123], v2 offset:1088
	;; [unrolled: 1-line block ×22, first 2 shown]
	s_waitcnt vmcnt(27) lgkmcnt(14)
	v_mul_f64 v[0:1], v[116:117], v[58:59]
	s_waitcnt vmcnt(26)
	v_mul_f64 v[32:33], v[120:121], v[62:63]
	v_fmac_f64_e32 v[0:1], v[118:119], v[56:57]
	s_waitcnt vmcnt(25)
	v_mul_f64 v[34:35], v[124:125], v[66:67]
	v_fmac_f64_e32 v[32:33], v[122:123], v[60:61]
	v_add_f64 v[0:1], v[0:1], 0
	v_fmac_f64_e32 v[34:35], v[126:127], v[64:65]
	v_add_f64 v[0:1], v[0:1], v[32:33]
	v_add_f64 v[0:1], v[0:1], v[34:35]
	scratch_load_dwordx4 v[32:35], off, off offset:608
	s_waitcnt vmcnt(25)
	v_mul_f64 v[36:37], v[128:129], v[70:71]
	s_waitcnt vmcnt(24)
	v_mul_f64 v[38:39], v[132:133], v[74:75]
	v_fmac_f64_e32 v[36:37], v[130:131], v[68:69]
	s_waitcnt vmcnt(23)
	v_mul_f64 v[40:41], v[140:141], v[78:79]
	v_fmac_f64_e32 v[38:39], v[134:135], v[72:73]
	v_add_f64 v[0:1], v[0:1], v[36:37]
	s_waitcnt vmcnt(22)
	v_mul_f64 v[42:43], v[152:153], v[82:83]
	v_fmac_f64_e32 v[40:41], v[142:143], v[76:77]
	v_add_f64 v[0:1], v[0:1], v[38:39]
	;; [unrolled: 4-line block ×3, first 2 shown]
	s_waitcnt vmcnt(20) lgkmcnt(13)
	v_mul_f64 v[46:47], v[176:177], v[94:95]
	v_fmac_f64_e32 v[44:45], v[166:167], v[84:85]
	v_add_f64 v[0:1], v[0:1], v[42:43]
	s_waitcnt vmcnt(19) lgkmcnt(12)
	v_mul_f64 v[48:49], v[188:189], v[98:99]
	v_fmac_f64_e32 v[46:47], v[178:179], v[92:93]
	v_add_f64 v[0:1], v[0:1], v[44:45]
	;; [unrolled: 4-line block ×9, first 2 shown]
	v_add_f64 v[0:1], v[0:1], v[104:105]
	v_fmac_f64_e32 v[106:107], v[222:223], v[168:169]
	s_waitcnt vmcnt(11) lgkmcnt(4)
	v_mul_f64 v[40:41], v[224:225], v[174:175]
	v_add_f64 v[0:1], v[0:1], v[106:107]
	v_fmac_f64_e32 v[40:41], v[226:227], v[172:173]
	scratch_load_dwordx4 v[36:39], off, off offset:624
	v_add_f64 v[0:1], v[0:1], v[40:41]
	s_waitcnt vmcnt(11) lgkmcnt(3)
	v_mul_f64 v[40:41], v[228:229], v[182:183]
	v_fmac_f64_e32 v[40:41], v[230:231], v[180:181]
	s_waitcnt vmcnt(10) lgkmcnt(2)
	v_mul_f64 v[44:45], v[244:245], v[186:187]
	v_add_f64 v[0:1], v[0:1], v[40:41]
	v_fmac_f64_e32 v[44:45], v[246:247], v[184:185]
	scratch_load_dwordx4 v[40:43], off, off offset:640
	ds_read_b128 v[88:91], v2 offset:1408
	v_add_f64 v[0:1], v[0:1], v[44:45]
	s_waitcnt vmcnt(10) lgkmcnt(2)
	v_mul_f64 v[44:45], v[248:249], v[194:195]
	v_fmac_f64_e32 v[44:45], v[250:251], v[192:193]
	v_add_f64 v[0:1], v[0:1], v[44:45]
	scratch_load_dwordx4 v[44:47], off, off offset:656
	ds_read_b128 v[104:107], v2 offset:1424
	s_waitcnt vmcnt(10) lgkmcnt(1)
	v_mul_f64 v[48:49], v[88:89], v[6:7]
	v_accvgpr_write_b32 a121, v7
	v_fmac_f64_e32 v[48:49], v[90:91], v[4:5]
	v_accvgpr_write_b32 a120, v6
	v_accvgpr_write_b32 a119, v5
	;; [unrolled: 1-line block ×3, first 2 shown]
	s_waitcnt vmcnt(9)
	v_mov_b64_e32 v[4:5], v[8:9]
	v_add_f64 v[0:1], v[0:1], v[48:49]
	scratch_load_dwordx4 v[48:51], off, off offset:672
	v_mov_b64_e32 v[6:7], v[10:11]
	s_waitcnt lgkmcnt(0)
	v_mul_f64 v[52:53], v[104:105], v[6:7]
	v_fmac_f64_e32 v[52:53], v[106:107], v[4:5]
	v_add_f64 v[0:1], v[0:1], v[52:53]
	scratch_load_dwordx4 v[52:55], off, off offset:688
	v_mul_f64 v[58:59], v[118:119], v[58:59]
	s_waitcnt vmcnt(10)
	v_mov_b64_e32 v[4:5], v[12:13]
	v_fma_f64 v[240:241], v[116:117], v[56:57], -v[58:59]
	scratch_load_dwordx4 v[56:59], off, off offset:704
	v_mov_b64_e32 v[6:7], v[14:15]
	v_mul_f64 v[112:113], v[108:109], v[6:7]
	v_fmac_f64_e32 v[112:113], v[110:111], v[4:5]
	v_add_f64 v[0:1], v[0:1], v[112:113]
	ds_read_b128 v[112:115], v2 offset:1456
	ds_read_b128 v[116:119], v2 offset:1472
	v_mul_f64 v[62:63], v[122:123], v[62:63]
	v_fma_f64 v[242:243], v[120:121], v[60:61], -v[62:63]
	scratch_load_dwordx4 v[60:63], off, off offset:720
	s_waitcnt vmcnt(11)
	v_mov_b64_e32 v[4:5], v[16:17]
	v_mul_f64 v[66:67], v[126:127], v[66:67]
	v_mov_b64_e32 v[6:7], v[18:19]
	v_fma_f64 v[252:253], v[124:125], v[64:65], -v[66:67]
	scratch_load_dwordx4 v[64:67], off, off offset:736
	s_waitcnt lgkmcnt(1)
	v_mul_f64 v[120:121], v[112:113], v[6:7]
	v_fmac_f64_e32 v[120:121], v[114:115], v[4:5]
	s_waitcnt vmcnt(11)
	v_mov_b64_e32 v[4:5], v[20:21]
	v_mov_b64_e32 v[6:7], v[22:23]
	v_add_f64 v[0:1], v[0:1], v[120:121]
	s_waitcnt lgkmcnt(0)
	v_mul_f64 v[120:121], v[116:117], v[6:7]
	v_fmac_f64_e32 v[120:121], v[118:119], v[4:5]
	v_mul_f64 v[70:71], v[130:131], v[70:71]
	v_add_f64 v[0:1], v[0:1], v[120:121]
	v_fma_f64 v[254:255], v[128:129], v[68:69], -v[70:71]
	scratch_load_dwordx4 v[68:71], off, off offset:752
	ds_read_b128 v[120:123], v2 offset:1488
	ds_read_b128 v[124:127], v2 offset:1504
	v_mul_f64 v[74:75], v[134:135], v[74:75]
	v_accvgpr_write_b32 a125, v11
	v_fma_f64 v[232:233], v[132:133], v[72:73], -v[74:75]
	scratch_load_dwordx4 v[72:75], off, off offset:768
	v_accvgpr_write_b32 a124, v10
	v_accvgpr_write_b32 a123, v9
	;; [unrolled: 1-line block ×3, first 2 shown]
	v_mul_f64 v[78:79], v[142:143], v[78:79]
	s_waitcnt vmcnt(12)
	v_mov_b64_e32 v[8:9], v[24:25]
	v_fma_f64 v[28:29], v[140:141], v[76:77], -v[78:79]
	v_mov_b64_e32 v[10:11], v[26:27]
	scratch_load_dwordx4 v[76:79], off, off offset:784
	s_waitcnt lgkmcnt(1)
	v_mul_f64 v[6:7], v[120:121], v[10:11]
	v_fmac_f64_e32 v[6:7], v[122:123], v[8:9]
	v_accvgpr_write_b32 a141, v27
	v_add_f64 v[0:1], v[0:1], v[6:7]
	v_mul_f64 v[6:7], v[154:155], v[82:83]
	v_accvgpr_write_b32 a140, v26
	v_accvgpr_write_b32 a139, v25
	;; [unrolled: 1-line block ×3, first 2 shown]
	v_fma_f64 v[24:25], v[152:153], v[80:81], -v[6:7]
	s_waitcnt vmcnt(12) lgkmcnt(0)
	v_mul_f64 v[6:7], v[124:125], v[236:237]
	v_fmac_f64_e32 v[6:7], v[126:127], v[234:235]
	scratch_load_dwordx4 v[80:83], off, off offset:800
	v_accvgpr_write_b32 a137, v23
	v_add_f64 v[0:1], v[0:1], v[6:7]
	v_mul_f64 v[6:7], v[166:167], v[86:87]
	v_accvgpr_write_b32 a136, v22
	v_accvgpr_write_b32 a135, v21
	;; [unrolled: 1-line block ×3, first 2 shown]
	v_fma_f64 v[20:21], v[164:165], v[84:85], -v[6:7]
	scratch_load_dwordx4 v[84:87], off, off offset:816
	ds_read_b128 v[132:135], v2 offset:1520
	ds_read_b128 v[128:131], v2 offset:1536
	v_accvgpr_write_b32 a133, v19
	v_mul_f64 v[6:7], v[178:179], v[94:95]
	v_accvgpr_write_b32 a129, v15
	v_accvgpr_write_b32 a132, v18
	;; [unrolled: 1-line block ×4, first 2 shown]
	v_fma_f64 v[16:17], v[176:177], v[92:93], -v[6:7]
	v_mul_f64 v[6:7], v[190:191], v[98:99]
	v_accvgpr_write_b32 a128, v14
	v_accvgpr_write_b32 a127, v13
	;; [unrolled: 1-line block ×3, first 2 shown]
	v_fma_f64 v[14:15], v[188:189], v[96:97], -v[6:7]
	scratch_load_dwordx4 v[96:99], off, off offset:832
	scratch_load_dwordx4 v[92:95], off, off offset:848
	s_waitcnt vmcnt(15) lgkmcnt(1)
	v_mul_f64 v[6:7], v[132:133], v[34:35]
	v_fmac_f64_e32 v[6:7], v[134:135], v[32:33]
	v_add_f64 v[0:1], v[0:1], v[6:7]
	v_mul_f64 v[6:7], v[198:199], v[102:103]
	v_fma_f64 v[12:13], v[196:197], v[100:101], -v[6:7]
	scratch_load_dwordx4 v[100:103], off, off offset:864
	v_mul_f64 v[6:7], v[202:203], v[138:139]
	v_fma_f64 v[18:19], v[200:201], v[136:137], -v[6:7]
	ds_read_b128 v[136:139], v2 offset:1552
	ds_read_b128 v[140:143], v2 offset:1568
	s_waitcnt vmcnt(15) lgkmcnt(2)
	v_mul_f64 v[6:7], v[128:129], v[38:39]
	v_fmac_f64_e32 v[6:7], v[130:131], v[36:37]
	v_add_f64 v[0:1], v[0:1], v[6:7]
	s_waitcnt vmcnt(14) lgkmcnt(1)
	v_mul_f64 v[6:7], v[136:137], v[42:43]
	v_fmac_f64_e32 v[6:7], v[138:139], v[40:41]
	v_add_f64 v[0:1], v[0:1], v[6:7]
	v_mul_f64 v[6:7], v[206:207], v[146:147]
	v_fma_f64 v[10:11], v[204:205], v[144:145], -v[6:7]
	ds_read_b128 v[144:147], v2 offset:1584
	s_waitcnt vmcnt(13) lgkmcnt(1)
	v_mul_f64 v[6:7], v[140:141], v[46:47]
	v_fmac_f64_e32 v[6:7], v[142:143], v[44:45]
	v_add_f64 v[0:1], v[0:1], v[6:7]
	v_mul_f64 v[6:7], v[210:211], v[150:151]
	v_fma_f64 v[22:23], v[208:209], v[148:149], -v[6:7]
	ds_read_b128 v[148:151], v2 offset:1600
	s_waitcnt vmcnt(12) lgkmcnt(1)
	v_mul_f64 v[6:7], v[144:145], v[50:51]
	ds_read_b128 v[152:155], v2 offset:1616
	v_fmac_f64_e32 v[6:7], v[146:147], v[48:49]
	v_add_f64 v[0:1], v[0:1], v[6:7]
	v_mul_f64 v[6:7], v[214:215], v[158:159]
	v_fma_f64 v[8:9], v[212:213], v[156:157], -v[6:7]
	s_waitcnt vmcnt(11) lgkmcnt(1)
	v_mul_f64 v[6:7], v[148:149], v[54:55]
	v_fmac_f64_e32 v[6:7], v[150:151], v[52:53]
	ds_read_b128 v[156:159], v2 offset:1632
	v_add_f64 v[0:1], v[0:1], v[6:7]
	s_waitcnt vmcnt(10) lgkmcnt(1)
	v_mul_f64 v[6:7], v[152:153], v[58:59]
	v_fmac_f64_e32 v[6:7], v[154:155], v[56:57]
	v_add_f64 v[0:1], v[0:1], v[6:7]
	v_mul_f64 v[6:7], v[218:219], v[162:163]
	v_fma_f64 v[26:27], v[216:217], v[160:161], -v[6:7]
	ds_read_b128 v[160:163], v2 offset:1648
	ds_read_b128 v[164:167], v2 offset:1664
	s_waitcnt vmcnt(9) lgkmcnt(2)
	v_mul_f64 v[6:7], v[156:157], v[62:63]
	v_fmac_f64_e32 v[6:7], v[158:159], v[60:61]
	v_add_f64 v[0:1], v[0:1], v[6:7]
	s_waitcnt vmcnt(8) lgkmcnt(1)
	v_mul_f64 v[6:7], v[160:161], v[66:67]
	v_fmac_f64_e32 v[6:7], v[162:163], v[64:65]
	v_add_f64 v[0:1], v[0:1], v[6:7]
	v_mul_f64 v[6:7], v[222:223], v[170:171]
	v_fma_f64 v[4:5], v[220:221], v[168:169], -v[6:7]
	ds_read_b128 v[168:171], v2 offset:1680
	v_mul_f64 v[6:7], v[226:227], v[174:175]
	v_fma_f64 v[6:7], v[224:225], v[172:173], -v[6:7]
	ds_read_b128 v[172:175], v2 offset:1696
	s_waitcnt vmcnt(7) lgkmcnt(2)
	v_mul_f64 v[30:31], v[164:165], v[70:71]
	v_fmac_f64_e32 v[30:31], v[166:167], v[68:69]
	v_add_f64 v[0:1], v[0:1], v[30:31]
	s_waitcnt vmcnt(6) lgkmcnt(1)
	v_mul_f64 v[30:31], v[168:169], v[74:75]
	v_fmac_f64_e32 v[30:31], v[170:171], v[72:73]
	v_add_f64 v[0:1], v[0:1], v[30:31]
	s_waitcnt vmcnt(5) lgkmcnt(0)
	v_mul_f64 v[30:31], v[172:173], v[78:79]
	ds_read_b128 v[176:179], v2 offset:1712
	v_fmac_f64_e32 v[30:31], v[174:175], v[76:77]
	v_add_f64 v[30:31], v[0:1], v[30:31]
	v_mul_f64 v[0:1], v[230:231], v[182:183]
	v_fma_f64 v[0:1], v[228:229], v[180:181], -v[0:1]
	ds_read_b128 v[180:183], v2 offset:1728
	v_mul_f64 v[186:187], v[246:247], v[186:187]
	s_waitcnt vmcnt(4) lgkmcnt(1)
	v_mul_f64 v[188:189], v[176:177], v[82:83]
	v_fma_f64 v[238:239], v[244:245], v[184:185], -v[186:187]
	ds_read_b128 v[184:187], v2 offset:1744
	v_fmac_f64_e32 v[188:189], v[178:179], v[80:81]
	v_add_f64 v[30:31], v[30:31], v[188:189]
	ds_read_b128 v[188:191], v2 offset:1760
	s_waitcnt vmcnt(3) lgkmcnt(2)
	v_mul_f64 v[196:197], v[180:181], v[86:87]
	v_mul_f64 v[194:195], v[250:251], v[194:195]
	v_fmac_f64_e32 v[196:197], v[182:183], v[84:85]
	v_fma_f64 v[244:245], v[248:249], v[192:193], -v[194:195]
	ds_read_b128 v[192:195], v2 offset:1776
	ds_read_b128 v[200:203], v2 offset:1792
	v_add_f64 v[30:31], v[30:31], v[196:197]
	s_waitcnt vmcnt(2) lgkmcnt(3)
	v_mul_f64 v[196:197], v[184:185], v[98:99]
	v_fmac_f64_e32 v[196:197], v[186:187], v[96:97]
	v_add_f64 v[30:31], v[30:31], v[196:197]
	s_waitcnt vmcnt(1) lgkmcnt(2)
	v_mul_f64 v[196:197], v[188:189], v[94:95]
	v_fmac_f64_e32 v[196:197], v[190:191], v[92:93]
	v_add_f64 v[30:31], v[30:31], v[196:197]
	s_waitcnt vmcnt(0) lgkmcnt(1)
	v_mul_f64 v[196:197], v[192:193], v[102:103]
	v_fmac_f64_e32 v[196:197], v[194:195], v[100:101]
	v_add_f64 v[30:31], v[30:31], v[196:197]
	scratch_load_dwordx4 v[196:199], off, off offset:880
	ds_read_b128 v[208:211], v2 offset:1808
	ds_read_b128 v[216:219], v2 offset:1824
	;; [unrolled: 1-line block ×3, first 2 shown]
	s_waitcnt vmcnt(0) lgkmcnt(3)
	v_mul_f64 v[204:205], v[200:201], v[198:199]
	v_fmac_f64_e32 v[204:205], v[202:203], v[196:197]
	v_add_f64 v[30:31], v[30:31], v[204:205]
	scratch_load_dwordx4 v[204:207], off, off offset:896
	s_waitcnt vmcnt(0) lgkmcnt(2)
	v_mul_f64 v[212:213], v[208:209], v[206:207]
	v_fmac_f64_e32 v[212:213], v[210:211], v[204:205]
	v_add_f64 v[30:31], v[30:31], v[212:213]
	scratch_load_dwordx4 v[212:215], off, off offset:912
	;; [unrolled: 5-line block ×3, first 2 shown]
	s_waitcnt vmcnt(0) lgkmcnt(0)
	v_mul_f64 v[228:229], v[224:225], v[222:223]
	v_fmac_f64_e32 v[228:229], v[226:227], v[220:221]
	v_add_f64 v[248:249], v[30:31], v[228:229]
	v_add_f64 v[30:31], v[240:241], 0
	;; [unrolled: 1-line block ×3, first 2 shown]
	scratch_load_dwordx4 v[228:231], off, off offset:144
	v_add_f64 v[30:31], v[30:31], v[252:253]
	v_add_f64 v[30:31], v[30:31], v[254:255]
	;; [unrolled: 1-line block ×16, first 2 shown]
	v_accvgpr_read_b32 v6, a118
	v_accvgpr_read_b32 v8, a120
	;; [unrolled: 1-line block ×3, first 2 shown]
	v_add_f64 v[0:1], v[4:5], v[0:1]
	v_accvgpr_read_b32 v7, a119
	v_mul_f64 v[4:5], v[90:91], v[8:9]
	v_add_f64 v[0:1], v[0:1], v[238:239]
	v_fma_f64 v[4:5], v[88:89], v[6:7], -v[4:5]
	v_accvgpr_read_b32 v6, a122
	v_add_f64 v[0:1], v[0:1], v[244:245]
	v_accvgpr_read_b32 v8, a124
	v_accvgpr_read_b32 v9, a125
	v_add_f64 v[0:1], v[0:1], v[4:5]
	v_accvgpr_read_b32 v7, a123
	v_mul_f64 v[4:5], v[106:107], v[8:9]
	v_fma_f64 v[4:5], v[104:105], v[6:7], -v[4:5]
	v_accvgpr_read_b32 v6, a126
	v_accvgpr_read_b32 v8, a128
	v_accvgpr_read_b32 v9, a129
	v_add_f64 v[0:1], v[0:1], v[4:5]
	v_accvgpr_read_b32 v7, a127
	v_mul_f64 v[4:5], v[110:111], v[8:9]
	v_fma_f64 v[4:5], v[108:109], v[6:7], -v[4:5]
	v_accvgpr_read_b32 v6, a130
	;; [unrolled: 7-line block ×4, first 2 shown]
	v_accvgpr_read_b32 v8, a140
	v_accvgpr_read_b32 v9, a141
	v_add_f64 v[0:1], v[0:1], v[4:5]
	v_accvgpr_read_b32 v7, a139
	v_mul_f64 v[4:5], v[122:123], v[8:9]
	v_fma_f64 v[4:5], v[120:121], v[6:7], -v[4:5]
	v_add_f64 v[0:1], v[0:1], v[4:5]
	v_mul_f64 v[4:5], v[126:127], v[236:237]
	v_fma_f64 v[4:5], v[124:125], v[234:235], -v[4:5]
	v_add_f64 v[0:1], v[0:1], v[4:5]
	v_mul_f64 v[4:5], v[134:135], v[34:35]
	v_fma_f64 v[4:5], v[132:133], v[32:33], -v[4:5]
	v_add_f64 v[0:1], v[0:1], v[4:5]
	v_mul_f64 v[4:5], v[130:131], v[38:39]
	v_fma_f64 v[4:5], v[128:129], v[36:37], -v[4:5]
	v_add_f64 v[0:1], v[0:1], v[4:5]
	v_mul_f64 v[4:5], v[138:139], v[42:43]
	v_fma_f64 v[4:5], v[136:137], v[40:41], -v[4:5]
	v_add_f64 v[0:1], v[0:1], v[4:5]
	v_mul_f64 v[4:5], v[142:143], v[46:47]
	v_fma_f64 v[4:5], v[140:141], v[44:45], -v[4:5]
	v_add_f64 v[0:1], v[0:1], v[4:5]
	v_mul_f64 v[4:5], v[146:147], v[50:51]
	v_fma_f64 v[4:5], v[144:145], v[48:49], -v[4:5]
	v_add_f64 v[0:1], v[0:1], v[4:5]
	v_mul_f64 v[4:5], v[150:151], v[54:55]
	v_fma_f64 v[4:5], v[148:149], v[52:53], -v[4:5]
	v_add_f64 v[0:1], v[0:1], v[4:5]
	v_mul_f64 v[4:5], v[154:155], v[58:59]
	v_fma_f64 v[4:5], v[152:153], v[56:57], -v[4:5]
	v_add_f64 v[0:1], v[0:1], v[4:5]
	v_mul_f64 v[4:5], v[158:159], v[62:63]
	v_fma_f64 v[4:5], v[156:157], v[60:61], -v[4:5]
	v_add_f64 v[0:1], v[0:1], v[4:5]
	v_mul_f64 v[4:5], v[162:163], v[66:67]
	v_fma_f64 v[4:5], v[160:161], v[64:65], -v[4:5]
	v_add_f64 v[0:1], v[0:1], v[4:5]
	v_mul_f64 v[4:5], v[166:167], v[70:71]
	v_fma_f64 v[4:5], v[164:165], v[68:69], -v[4:5]
	v_add_f64 v[0:1], v[0:1], v[4:5]
	v_mul_f64 v[4:5], v[170:171], v[74:75]
	v_fma_f64 v[4:5], v[168:169], v[72:73], -v[4:5]
	v_add_f64 v[0:1], v[0:1], v[4:5]
	v_mul_f64 v[4:5], v[174:175], v[78:79]
	v_fma_f64 v[4:5], v[172:173], v[76:77], -v[4:5]
	v_add_f64 v[0:1], v[0:1], v[4:5]
	v_mul_f64 v[4:5], v[178:179], v[82:83]
	v_fma_f64 v[4:5], v[176:177], v[80:81], -v[4:5]
	v_add_f64 v[0:1], v[0:1], v[4:5]
	v_mul_f64 v[4:5], v[182:183], v[86:87]
	v_fma_f64 v[4:5], v[180:181], v[84:85], -v[4:5]
	v_add_f64 v[0:1], v[0:1], v[4:5]
	v_mul_f64 v[4:5], v[186:187], v[98:99]
	v_fma_f64 v[4:5], v[184:185], v[96:97], -v[4:5]
	v_add_f64 v[0:1], v[0:1], v[4:5]
	v_mul_f64 v[4:5], v[190:191], v[94:95]
	v_fma_f64 v[4:5], v[188:189], v[92:93], -v[4:5]
	v_add_f64 v[0:1], v[0:1], v[4:5]
	v_mul_f64 v[4:5], v[194:195], v[102:103]
	v_fma_f64 v[4:5], v[192:193], v[100:101], -v[4:5]
	v_add_f64 v[0:1], v[0:1], v[4:5]
	v_mul_f64 v[4:5], v[202:203], v[198:199]
	v_fma_f64 v[4:5], v[200:201], v[196:197], -v[4:5]
	v_add_f64 v[0:1], v[0:1], v[4:5]
	v_mul_f64 v[4:5], v[210:211], v[206:207]
	v_fma_f64 v[4:5], v[208:209], v[204:205], -v[4:5]
	v_add_f64 v[0:1], v[0:1], v[4:5]
	v_mul_f64 v[4:5], v[218:219], v[214:215]
	v_fma_f64 v[4:5], v[216:217], v[212:213], -v[4:5]
	v_add_f64 v[0:1], v[0:1], v[4:5]
	v_mul_f64 v[4:5], v[226:227], v[222:223]
	v_fma_f64 v[4:5], v[224:225], v[220:221], -v[4:5]
	v_add_f64 v[0:1], v[0:1], v[4:5]
	s_waitcnt vmcnt(0)
	v_add_f64 v[4:5], v[228:229], -v[0:1]
	v_accvgpr_read_b32 v0, a116
	v_add_f64 v[6:7], v[230:231], -v[248:249]
	v_cmp_lt_u32_e32 vcc, 7, v0
	scratch_store_dwordx4 off, v[4:7], off offset:144
	s_and_saveexec_b64 s[0:1], vcc
	s_cbranch_execz .LBB57_347
; %bb.346:
	scratch_load_dwordx4 v[6:9], off, s44
	v_mov_b32_e32 v3, v2
	v_mov_b32_e32 v4, v2
	;; [unrolled: 1-line block ×3, first 2 shown]
	v_accvgpr_read_b32 v0, a117
	scratch_store_dwordx4 off, v[2:5], off offset:128
	s_waitcnt vmcnt(1)
	ds_write_b128 v0, v[6:9]
.LBB57_347:
	s_or_b64 exec, exec, s[0:1]
	s_waitcnt lgkmcnt(0)
	; wave barrier
	scratch_load_dwordx4 v[56:59], off, off offset:144
	scratch_load_dwordx4 v[60:63], off, off offset:160
	;; [unrolled: 1-line block ×18, first 2 shown]
	ds_read_b128 v[116:119], v2 offset:1056
	ds_read_b128 v[220:223], v2 offset:1072
	;; [unrolled: 1-line block ×6, first 2 shown]
	scratch_load_dwordx4 v[180:183], off, off offset:432
	ds_read_b128 v[204:207], v2 offset:1152
	ds_read_b128 v[132:135], v2 offset:1168
	scratch_load_dwordx4 v[184:187], off, off offset:448
	ds_read_b128 v[224:227], v2 offset:1184
	ds_read_b128 v[216:219], v2 offset:1200
	;; [unrolled: 1-line block ×5, first 2 shown]
	scratch_load_dwordx4 v[192:195], off, off offset:464
	ds_read_b128 v[200:203], v2 offset:1264
	ds_read_b128 v[164:167], v2 offset:1280
	scratch_load_dwordx4 v[4:7], off, off offset:480
	ds_read_b128 v[212:215], v2 offset:1296
	ds_read_b128 v[188:191], v2 offset:1312
	;; [unrolled: 1-line block ×3, first 2 shown]
	scratch_load_dwordx4 v[8:11], off, off offset:496
	scratch_load_dwordx4 v[12:15], off, off offset:512
	;; [unrolled: 1-line block ×6, first 2 shown]
	ds_read_b128 v[228:231], v2 offset:1344
	ds_read_b128 v[232:235], v2 offset:1360
	;; [unrolled: 1-line block ×4, first 2 shown]
	s_waitcnt vmcnt(27) lgkmcnt(14)
	v_mul_f64 v[0:1], v[116:117], v[58:59]
	s_waitcnt vmcnt(26)
	v_mul_f64 v[32:33], v[220:221], v[62:63]
	v_fmac_f64_e32 v[0:1], v[118:119], v[56:57]
	s_waitcnt vmcnt(25)
	v_mul_f64 v[34:35], v[208:209], v[66:67]
	v_fmac_f64_e32 v[32:33], v[222:223], v[60:61]
	v_add_f64 v[0:1], v[0:1], 0
	v_fmac_f64_e32 v[34:35], v[210:211], v[64:65]
	v_add_f64 v[0:1], v[0:1], v[32:33]
	v_add_f64 v[0:1], v[0:1], v[34:35]
	scratch_load_dwordx4 v[32:35], off, off offset:592
	s_waitcnt vmcnt(25)
	v_mul_f64 v[36:37], v[120:121], v[70:71]
	s_waitcnt vmcnt(24)
	v_mul_f64 v[38:39], v[128:129], v[74:75]
	v_fmac_f64_e32 v[36:37], v[122:123], v[68:69]
	s_waitcnt vmcnt(23)
	v_mul_f64 v[40:41], v[124:125], v[78:79]
	v_fmac_f64_e32 v[38:39], v[130:131], v[72:73]
	v_add_f64 v[0:1], v[0:1], v[36:37]
	s_waitcnt vmcnt(22)
	v_mul_f64 v[42:43], v[204:205], v[82:83]
	v_fmac_f64_e32 v[40:41], v[126:127], v[76:77]
	v_add_f64 v[0:1], v[0:1], v[38:39]
	;; [unrolled: 4-line block ×3, first 2 shown]
	s_waitcnt vmcnt(20) lgkmcnt(13)
	v_mul_f64 v[46:47], v[224:225], v[94:95]
	v_fmac_f64_e32 v[44:45], v[134:135], v[84:85]
	v_add_f64 v[0:1], v[0:1], v[42:43]
	s_waitcnt vmcnt(19) lgkmcnt(12)
	v_mul_f64 v[48:49], v[216:217], v[98:99]
	v_fmac_f64_e32 v[46:47], v[226:227], v[92:93]
	v_add_f64 v[0:1], v[0:1], v[44:45]
	;; [unrolled: 4-line block ×9, first 2 shown]
	v_fmac_f64_e32 v[106:107], v[190:191], v[168:169]
	v_add_f64 v[0:1], v[0:1], v[104:105]
	s_waitcnt vmcnt(11) lgkmcnt(4)
	v_mul_f64 v[40:41], v[176:177], v[174:175]
	v_add_f64 v[0:1], v[0:1], v[106:107]
	v_fmac_f64_e32 v[40:41], v[178:179], v[172:173]
	scratch_load_dwordx4 v[36:39], off, off offset:608
	v_add_f64 v[0:1], v[0:1], v[40:41]
	s_waitcnt vmcnt(11) lgkmcnt(3)
	v_mul_f64 v[40:41], v[228:229], v[182:183]
	v_fmac_f64_e32 v[40:41], v[230:231], v[180:181]
	v_add_f64 v[0:1], v[0:1], v[40:41]
	scratch_load_dwordx4 v[40:43], off, off offset:624
	ds_read_b128 v[88:91], v2 offset:1392
	s_waitcnt vmcnt(11) lgkmcnt(3)
	v_mul_f64 v[44:45], v[232:233], v[186:187]
	v_fmac_f64_e32 v[44:45], v[234:235], v[184:185]
	v_add_f64 v[0:1], v[0:1], v[44:45]
	s_waitcnt vmcnt(10) lgkmcnt(2)
	v_mul_f64 v[44:45], v[236:237], v[194:195]
	v_fmac_f64_e32 v[44:45], v[238:239], v[192:193]
	s_waitcnt vmcnt(9) lgkmcnt(0)
	v_mul_f64 v[48:49], v[88:89], v[6:7]
	ds_read_b128 v[104:107], v2 offset:1408
	v_add_f64 v[0:1], v[0:1], v[44:45]
	scratch_load_dwordx4 v[44:47], off, off offset:640
	v_fmac_f64_e32 v[48:49], v[90:91], v[4:5]
	v_accvgpr_write_b32 a121, v7
	v_add_f64 v[0:1], v[0:1], v[48:49]
	scratch_load_dwordx4 v[48:51], off, off offset:656
	v_accvgpr_write_b32 a120, v6
	v_accvgpr_write_b32 a119, v5
	;; [unrolled: 1-line block ×3, first 2 shown]
	s_waitcnt vmcnt(10)
	v_mov_b64_e32 v[4:5], v[8:9]
	v_mov_b64_e32 v[6:7], v[10:11]
	s_waitcnt lgkmcnt(0)
	v_mul_f64 v[52:53], v[104:105], v[6:7]
	v_fmac_f64_e32 v[52:53], v[106:107], v[4:5]
	v_add_f64 v[0:1], v[0:1], v[52:53]
	scratch_load_dwordx4 v[52:55], off, off offset:672
	v_mul_f64 v[58:59], v[118:119], v[58:59]
	v_fma_f64 v[240:241], v[116:117], v[56:57], -v[58:59]
	scratch_load_dwordx4 v[56:59], off, off offset:688
	v_mul_f64 v[62:63], v[222:223], v[62:63]
	v_fma_f64 v[242:243], v[220:221], v[60:61], -v[62:63]
	scratch_load_dwordx4 v[60:63], off, off offset:704
	s_waitcnt vmcnt(12)
	v_mov_b64_e32 v[4:5], v[12:13]
	v_mul_f64 v[66:67], v[210:211], v[66:67]
	v_mov_b64_e32 v[6:7], v[14:15]
	v_fma_f64 v[248:249], v[208:209], v[64:65], -v[66:67]
	scratch_load_dwordx4 v[64:67], off, off offset:720
	v_mul_f64 v[112:113], v[108:109], v[6:7]
	v_fmac_f64_e32 v[112:113], v[110:111], v[4:5]
	v_add_f64 v[0:1], v[0:1], v[112:113]
	ds_read_b128 v[112:115], v2 offset:1440
	ds_read_b128 v[116:119], v2 offset:1456
	s_waitcnt vmcnt(12)
	v_mov_b64_e32 v[4:5], v[16:17]
	v_mul_f64 v[70:71], v[122:123], v[70:71]
	v_mov_b64_e32 v[6:7], v[18:19]
	v_fma_f64 v[250:251], v[120:121], v[68:69], -v[70:71]
	scratch_load_dwordx4 v[68:71], off, off offset:736
	v_mul_f64 v[74:75], v[130:131], v[74:75]
	s_waitcnt lgkmcnt(1)
	v_mul_f64 v[220:221], v[112:113], v[6:7]
	v_fma_f64 v[252:253], v[128:129], v[72:73], -v[74:75]
	scratch_load_dwordx4 v[72:75], off, off offset:752
	v_fmac_f64_e32 v[220:221], v[114:115], v[4:5]
	s_waitcnt vmcnt(13)
	v_mov_b64_e32 v[4:5], v[20:21]
	ds_read_b128 v[120:123], v2 offset:1472
	v_mul_f64 v[78:79], v[126:127], v[78:79]
	v_mov_b64_e32 v[6:7], v[22:23]
	v_fma_f64 v[254:255], v[124:125], v[76:77], -v[78:79]
	scratch_load_dwordx4 v[76:79], off, off offset:768
	s_waitcnt lgkmcnt(1)
	v_mul_f64 v[208:209], v[116:117], v[6:7]
	ds_read_b128 v[124:127], v2 offset:1488
	v_fmac_f64_e32 v[208:209], v[118:119], v[4:5]
	s_waitcnt vmcnt(13)
	v_mov_b64_e32 v[4:5], v[24:25]
	v_mul_f64 v[82:83], v[206:207], v[82:83]
	v_mov_b64_e32 v[6:7], v[26:27]
	v_fma_f64 v[244:245], v[204:205], v[80:81], -v[82:83]
	scratch_load_dwordx4 v[80:83], off, off offset:784
	v_add_f64 v[0:1], v[0:1], v[220:221]
	s_waitcnt lgkmcnt(1)
	v_mul_f64 v[128:129], v[120:121], v[6:7]
	v_add_f64 v[0:1], v[0:1], v[208:209]
	v_fmac_f64_e32 v[128:129], v[122:123], v[4:5]
	v_add_f64 v[0:1], v[0:1], v[128:129]
	s_waitcnt vmcnt(13) lgkmcnt(0)
	v_mul_f64 v[128:129], v[124:125], v[30:31]
	v_accvgpr_write_b32 a141, v27
	v_fmac_f64_e32 v[128:129], v[126:127], v[28:29]
	v_mul_f64 v[86:87], v[134:135], v[86:87]
	v_accvgpr_write_b32 a140, v26
	v_accvgpr_write_b32 a139, v25
	;; [unrolled: 1-line block ×3, first 2 shown]
	v_add_f64 v[0:1], v[0:1], v[128:129]
	v_fma_f64 v[24:25], v[132:133], v[84:85], -v[86:87]
	scratch_load_dwordx4 v[84:87], off, off offset:800
	ds_read_b128 v[132:135], v2 offset:1504
	ds_read_b128 v[128:131], v2 offset:1520
	v_accvgpr_write_b32 a137, v23
	v_mul_f64 v[6:7], v[226:227], v[94:95]
	v_accvgpr_write_b32 a133, v19
	v_accvgpr_write_b32 a136, v22
	;; [unrolled: 1-line block ×4, first 2 shown]
	v_fma_f64 v[20:21], v[224:225], v[92:93], -v[6:7]
	v_mul_f64 v[92:93], v[218:219], v[98:99]
	v_accvgpr_write_b32 a125, v11
	v_accvgpr_write_b32 a132, v18
	;; [unrolled: 1-line block ×4, first 2 shown]
	v_fma_f64 v[16:17], v[216:217], v[96:97], -v[92:93]
	scratch_load_dwordx4 v[96:99], off, off offset:816
	scratch_load_dwordx4 v[92:95], off, off offset:832
	v_accvgpr_write_b32 a124, v10
	v_accvgpr_write_b32 a123, v9
	;; [unrolled: 1-line block ×3, first 2 shown]
	s_waitcnt vmcnt(15) lgkmcnt(1)
	v_mul_f64 v[10:11], v[132:133], v[34:35]
	v_fmac_f64_e32 v[10:11], v[134:135], v[32:33]
	v_accvgpr_write_b32 a129, v15
	v_add_f64 v[0:1], v[0:1], v[10:11]
	v_mul_f64 v[10:11], v[198:199], v[102:103]
	v_accvgpr_write_b32 a128, v14
	v_accvgpr_write_b32 a127, v13
	;; [unrolled: 1-line block ×3, first 2 shown]
	v_fma_f64 v[12:13], v[196:197], v[100:101], -v[10:11]
	scratch_load_dwordx4 v[100:103], off, off offset:848
	v_mul_f64 v[138:139], v[142:143], v[138:139]
	v_fma_f64 v[10:11], v[140:141], v[136:137], -v[138:139]
	ds_read_b128 v[136:139], v2 offset:1536
	ds_read_b128 v[140:143], v2 offset:1552
	s_waitcnt vmcnt(15) lgkmcnt(2)
	v_mul_f64 v[14:15], v[128:129], v[38:39]
	v_fmac_f64_e32 v[14:15], v[130:131], v[36:37]
	v_add_f64 v[0:1], v[0:1], v[14:15]
	s_waitcnt vmcnt(14) lgkmcnt(1)
	v_mul_f64 v[14:15], v[136:137], v[42:43]
	v_fmac_f64_e32 v[14:15], v[138:139], v[40:41]
	v_add_f64 v[0:1], v[0:1], v[14:15]
	v_mul_f64 v[14:15], v[154:155], v[146:147]
	v_fma_f64 v[14:15], v[152:153], v[144:145], -v[14:15]
	ds_read_b128 v[144:147], v2 offset:1568
	s_waitcnt vmcnt(13) lgkmcnt(1)
	v_mul_f64 v[152:153], v[140:141], v[46:47]
	v_mul_f64 v[150:151], v[202:203], v[150:151]
	v_fmac_f64_e32 v[152:153], v[142:143], v[44:45]
	v_fma_f64 v[8:9], v[200:201], v[148:149], -v[150:151]
	ds_read_b128 v[148:151], v2 offset:1584
	s_waitcnt vmcnt(12) lgkmcnt(1)
	v_mul_f64 v[18:19], v[144:145], v[50:51]
	v_add_f64 v[0:1], v[0:1], v[152:153]
	v_fmac_f64_e32 v[18:19], v[146:147], v[48:49]
	v_add_f64 v[0:1], v[0:1], v[18:19]
	ds_read_b128 v[152:155], v2 offset:1600
	v_mul_f64 v[18:19], v[166:167], v[158:159]
	v_fma_f64 v[18:19], v[164:165], v[156:157], -v[18:19]
	ds_read_b128 v[156:159], v2 offset:1616
	v_mul_f64 v[162:163], v[214:215], v[162:163]
	s_waitcnt vmcnt(11) lgkmcnt(2)
	v_mul_f64 v[164:165], v[148:149], v[54:55]
	v_fma_f64 v[6:7], v[212:213], v[160:161], -v[162:163]
	ds_read_b128 v[160:163], v2 offset:1632
	v_fmac_f64_e32 v[164:165], v[150:151], v[52:53]
	v_add_f64 v[0:1], v[0:1], v[164:165]
	s_waitcnt vmcnt(10) lgkmcnt(2)
	v_mul_f64 v[164:165], v[152:153], v[58:59]
	v_fmac_f64_e32 v[164:165], v[154:155], v[56:57]
	s_waitcnt vmcnt(9) lgkmcnt(1)
	v_mul_f64 v[22:23], v[156:157], v[62:63]
	v_add_f64 v[0:1], v[0:1], v[164:165]
	v_fmac_f64_e32 v[22:23], v[158:159], v[60:61]
	v_add_f64 v[0:1], v[0:1], v[22:23]
	ds_read_b128 v[164:167], v2 offset:1648
	s_waitcnt vmcnt(8) lgkmcnt(1)
	v_mul_f64 v[22:23], v[160:161], v[66:67]
	v_fmac_f64_e32 v[22:23], v[162:163], v[64:65]
	v_add_f64 v[0:1], v[0:1], v[22:23]
	v_mul_f64 v[22:23], v[190:191], v[170:171]
	v_fma_f64 v[22:23], v[188:189], v[168:169], -v[22:23]
	ds_read_b128 v[168:171], v2 offset:1664
	v_mul_f64 v[174:175], v[178:179], v[174:175]
	v_fma_f64 v[4:5], v[176:177], v[172:173], -v[174:175]
	ds_read_b128 v[172:175], v2 offset:1680
	s_waitcnt vmcnt(7) lgkmcnt(2)
	v_mul_f64 v[188:189], v[164:165], v[70:71]
	v_fmac_f64_e32 v[188:189], v[166:167], v[68:69]
	s_waitcnt vmcnt(6) lgkmcnt(1)
	v_mul_f64 v[26:27], v[168:169], v[74:75]
	ds_read_b128 v[176:179], v2 offset:1696
	v_add_f64 v[0:1], v[0:1], v[188:189]
	v_fmac_f64_e32 v[26:27], v[170:171], v[72:73]
	v_add_f64 v[0:1], v[0:1], v[26:27]
	s_waitcnt vmcnt(5) lgkmcnt(1)
	v_mul_f64 v[26:27], v[172:173], v[78:79]
	v_fmac_f64_e32 v[26:27], v[174:175], v[76:77]
	v_add_f64 v[0:1], v[0:1], v[26:27]
	v_mul_f64 v[26:27], v[230:231], v[182:183]
	v_fma_f64 v[26:27], v[228:229], v[180:181], -v[26:27]
	ds_read_b128 v[180:183], v2 offset:1712
	s_waitcnt vmcnt(4) lgkmcnt(1)
	v_mul_f64 v[188:189], v[176:177], v[82:83]
	v_fmac_f64_e32 v[188:189], v[178:179], v[80:81]
	v_add_f64 v[196:197], v[0:1], v[188:189]
	v_mul_f64 v[0:1], v[234:235], v[186:187]
	v_fma_f64 v[0:1], v[232:233], v[184:185], -v[0:1]
	ds_read_b128 v[184:187], v2 offset:1728
	ds_read_b128 v[188:191], v2 offset:1744
	s_waitcnt vmcnt(3) lgkmcnt(2)
	v_mul_f64 v[198:199], v[180:181], v[86:87]
	v_mul_f64 v[194:195], v[238:239], v[194:195]
	v_fmac_f64_e32 v[198:199], v[182:183], v[84:85]
	v_fma_f64 v[246:247], v[236:237], v[192:193], -v[194:195]
	ds_read_b128 v[192:195], v2 offset:1760
	ds_read_b128 v[200:203], v2 offset:1776
	v_add_f64 v[196:197], v[196:197], v[198:199]
	s_waitcnt vmcnt(2) lgkmcnt(3)
	v_mul_f64 v[198:199], v[184:185], v[98:99]
	v_fmac_f64_e32 v[198:199], v[186:187], v[96:97]
	v_add_f64 v[196:197], v[196:197], v[198:199]
	s_waitcnt vmcnt(1) lgkmcnt(2)
	v_mul_f64 v[198:199], v[188:189], v[94:95]
	v_fmac_f64_e32 v[198:199], v[190:191], v[92:93]
	v_add_f64 v[196:197], v[196:197], v[198:199]
	scratch_load_dwordx4 v[232:235], off, off offset:928
	s_waitcnt vmcnt(1) lgkmcnt(1)
	v_mul_f64 v[198:199], v[192:193], v[102:103]
	v_fmac_f64_e32 v[198:199], v[194:195], v[100:101]
	v_add_f64 v[204:205], v[196:197], v[198:199]
	scratch_load_dwordx4 v[196:199], off, off offset:864
	ds_read_b128 v[208:211], v2 offset:1792
	ds_read_b128 v[216:219], v2 offset:1808
	;; [unrolled: 1-line block ×3, first 2 shown]
	s_waitcnt vmcnt(0) lgkmcnt(3)
	v_mul_f64 v[206:207], v[200:201], v[198:199]
	v_fmac_f64_e32 v[206:207], v[202:203], v[196:197]
	v_add_f64 v[212:213], v[204:205], v[206:207]
	scratch_load_dwordx4 v[204:207], off, off offset:880
	s_waitcnt vmcnt(0) lgkmcnt(2)
	v_mul_f64 v[214:215], v[208:209], v[206:207]
	v_fmac_f64_e32 v[214:215], v[210:211], v[204:205]
	v_add_f64 v[220:221], v[212:213], v[214:215]
	scratch_load_dwordx4 v[212:215], off, off offset:896
	;; [unrolled: 5-line block ×3, first 2 shown]
	s_waitcnt vmcnt(0) lgkmcnt(0)
	v_mul_f64 v[230:231], v[224:225], v[222:223]
	v_fmac_f64_e32 v[230:231], v[226:227], v[220:221]
	v_add_f64 v[236:237], v[228:229], v[230:231]
	ds_read_b128 v[228:231], v2 offset:1840
	s_waitcnt lgkmcnt(0)
	v_mul_f64 v[2:3], v[228:229], v[234:235]
	v_fmac_f64_e32 v[2:3], v[230:231], v[232:233]
	v_add_f64 v[2:3], v[236:237], v[2:3]
	v_add_f64 v[236:237], v[240:241], 0
	;; [unrolled: 1-line block ×9, first 2 shown]
	scratch_load_dwordx4 v[236:239], off, off offset:128
	v_add_f64 v[20:21], v[24:25], v[20:21]
	v_add_f64 v[16:17], v[20:21], v[16:17]
	;; [unrolled: 1-line block ×10, first 2 shown]
	v_accvgpr_read_b32 v6, a118
	v_accvgpr_read_b32 v8, a120
	;; [unrolled: 1-line block ×3, first 2 shown]
	v_add_f64 v[248:249], v[4:5], v[26:27]
	v_accvgpr_read_b32 v7, a119
	v_mul_f64 v[4:5], v[90:91], v[8:9]
	v_add_f64 v[0:1], v[248:249], v[0:1]
	v_fma_f64 v[4:5], v[88:89], v[6:7], -v[4:5]
	v_accvgpr_read_b32 v6, a122
	v_add_f64 v[0:1], v[0:1], v[246:247]
	v_accvgpr_read_b32 v8, a124
	v_accvgpr_read_b32 v9, a125
	v_add_f64 v[0:1], v[0:1], v[4:5]
	v_accvgpr_read_b32 v7, a123
	v_mul_f64 v[4:5], v[106:107], v[8:9]
	v_fma_f64 v[4:5], v[104:105], v[6:7], -v[4:5]
	v_accvgpr_read_b32 v6, a126
	v_accvgpr_read_b32 v8, a128
	v_accvgpr_read_b32 v9, a129
	v_add_f64 v[0:1], v[0:1], v[4:5]
	v_accvgpr_read_b32 v7, a127
	v_mul_f64 v[4:5], v[110:111], v[8:9]
	v_fma_f64 v[4:5], v[108:109], v[6:7], -v[4:5]
	v_accvgpr_read_b32 v6, a130
	;; [unrolled: 7-line block ×4, first 2 shown]
	v_accvgpr_read_b32 v8, a140
	v_accvgpr_read_b32 v9, a141
	v_add_f64 v[0:1], v[0:1], v[4:5]
	v_accvgpr_read_b32 v7, a139
	v_mul_f64 v[4:5], v[122:123], v[8:9]
	v_fma_f64 v[4:5], v[120:121], v[6:7], -v[4:5]
	v_add_f64 v[0:1], v[0:1], v[4:5]
	v_mul_f64 v[4:5], v[126:127], v[30:31]
	v_fma_f64 v[4:5], v[124:125], v[28:29], -v[4:5]
	v_add_f64 v[0:1], v[0:1], v[4:5]
	;; [unrolled: 3-line block ×24, first 2 shown]
	s_waitcnt vmcnt(0)
	v_add_f64 v[4:5], v[236:237], -v[0:1]
	v_accvgpr_read_b32 v0, a116
	v_add_f64 v[6:7], v[238:239], -v[2:3]
	v_cmp_lt_u32_e32 vcc, 6, v0
	scratch_store_dwordx4 off, v[4:7], off offset:128
	s_and_saveexec_b64 s[0:1], vcc
	s_cbranch_execz .LBB57_349
; %bb.348:
	scratch_load_dwordx4 v[2:5], off, s43
	v_mov_b32_e32 v6, 0
	v_mov_b32_e32 v7, v6
	;; [unrolled: 1-line block ×4, first 2 shown]
	v_accvgpr_read_b32 v0, a117
	scratch_store_dwordx4 off, v[6:9], off offset:112
	s_waitcnt vmcnt(1)
	ds_write_b128 v0, v[2:5]
.LBB57_349:
	s_or_b64 exec, exec, s[0:1]
	s_waitcnt lgkmcnt(0)
	; wave barrier
	scratch_load_dwordx4 v[48:51], off, off offset:128
	scratch_load_dwordx4 v[52:55], off, off offset:144
	;; [unrolled: 1-line block ×28, first 2 shown]
	v_mov_b32_e32 v2, 0
	ds_read_b128 v[104:107], v2 offset:1040
	ds_read_b128 v[112:115], v2 offset:1056
	;; [unrolled: 1-line block ×18, first 2 shown]
	scratch_load_dwordx4 a[118:121], off, off offset:576
	scratch_load_dwordx4 a[122:125], off, off offset:592
	ds_read_b128 v[220:223], v2 offset:1328
	ds_read_b128 v[224:227], v2 offset:1344
	ds_read_b128 v[228:231], v2 offset:1360
	ds_read_b128 v[244:247], v2 offset:1376
	scratch_load_dwordx4 v[234:237], off, off offset:608
	ds_read_b128 v[248:251], v2 offset:1392
	s_waitcnt vmcnt(30) lgkmcnt(14)
	v_mul_f64 v[0:1], v[104:105], v[50:51]
	s_waitcnt vmcnt(29)
	v_mul_f64 v[24:25], v[112:113], v[54:55]
	v_fmac_f64_e32 v[0:1], v[106:107], v[48:49]
	s_waitcnt vmcnt(28)
	v_mul_f64 v[26:27], v[116:117], v[58:59]
	v_fmac_f64_e32 v[24:25], v[114:115], v[52:53]
	v_add_f64 v[0:1], v[0:1], 0
	s_waitcnt vmcnt(27)
	v_mul_f64 v[28:29], v[120:121], v[62:63]
	v_fmac_f64_e32 v[26:27], v[118:119], v[56:57]
	v_add_f64 v[0:1], v[0:1], v[24:25]
	;; [unrolled: 4-line block ×7, first 2 shown]
	s_waitcnt vmcnt(21) lgkmcnt(13)
	v_mul_f64 v[40:41], v[172:173], v[86:87]
	v_fmac_f64_e32 v[38:39], v[162:163], v[80:81]
	v_add_f64 v[0:1], v[0:1], v[36:37]
	s_waitcnt vmcnt(20) lgkmcnt(12)
	v_mul_f64 v[42:43], v[184:185], v[94:95]
	v_fmac_f64_e32 v[40:41], v[174:175], v[84:85]
	v_add_f64 v[0:1], v[0:1], v[38:39]
	;; [unrolled: 4-line block ×8, first 2 shown]
	v_add_f64 v[0:1], v[0:1], v[96:97]
	v_fmac_f64_e32 v[98:99], v[214:215], v[152:153]
	s_waitcnt vmcnt(13) lgkmcnt(5)
	v_mul_f64 v[32:33], v[216:217], v[158:159]
	v_add_f64 v[0:1], v[0:1], v[98:99]
	v_fmac_f64_e32 v[32:33], v[218:219], v[156:157]
	v_add_f64 v[0:1], v[0:1], v[32:33]
	s_waitcnt vmcnt(12) lgkmcnt(4)
	v_mul_f64 v[32:33], v[220:221], v[166:167]
	v_fmac_f64_e32 v[32:33], v[222:223], v[164:165]
	s_waitcnt vmcnt(11) lgkmcnt(3)
	v_mul_f64 v[36:37], v[224:225], v[170:171]
	v_add_f64 v[0:1], v[0:1], v[32:33]
	v_fmac_f64_e32 v[36:37], v[226:227], v[168:169]
	v_add_f64 v[0:1], v[0:1], v[36:37]
	s_waitcnt vmcnt(10) lgkmcnt(2)
	v_mul_f64 v[36:37], v[228:229], v[178:179]
	v_fmac_f64_e32 v[36:37], v[230:231], v[176:177]
	v_add_f64 v[0:1], v[0:1], v[36:37]
	scratch_load_dwordx4 v[36:39], off, off offset:624
	s_waitcnt vmcnt(10) lgkmcnt(1)
	v_mul_f64 v[40:41], v[244:245], v[182:183]
	v_fmac_f64_e32 v[40:41], v[246:247], v[180:181]
	v_add_f64 v[0:1], v[0:1], v[40:41]
	scratch_load_dwordx4 v[40:43], off, off offset:640
	ds_read_b128 v[88:91], v2 offset:1408
	s_waitcnt vmcnt(10) lgkmcnt(1)
	v_mul_f64 v[44:45], v[248:249], v[190:191]
	v_fmac_f64_e32 v[44:45], v[250:251], v[188:189]
	v_add_f64 v[0:1], v[0:1], v[44:45]
	scratch_load_dwordx4 v[44:47], off, off offset:656
	v_mul_f64 v[50:51], v[106:107], v[50:51]
	v_fma_f64 v[240:241], v[104:105], v[48:49], -v[50:51]
	scratch_load_dwordx4 v[48:51], off, off offset:672
	s_waitcnt vmcnt(11) lgkmcnt(0)
	v_mul_f64 v[96:97], v[88:89], v[6:7]
	v_mul_f64 v[54:55], v[114:115], v[54:55]
	v_fmac_f64_e32 v[96:97], v[90:91], v[4:5]
	v_fma_f64 v[242:243], v[112:113], v[52:53], -v[54:55]
	scratch_load_dwordx4 v[52:55], off, off offset:688
	v_add_f64 v[0:1], v[0:1], v[96:97]
	ds_read_b128 v[96:99], v2 offset:1424
	ds_read_b128 v[104:107], v2 offset:1440
	v_accvgpr_write_b32 a129, v7
	v_accvgpr_write_b32 a128, v6
	;; [unrolled: 1-line block ×4, first 2 shown]
	s_waitcnt vmcnt(11)
	v_mov_b64_e32 v[4:5], v[8:9]
	v_mov_b64_e32 v[6:7], v[10:11]
	v_mul_f64 v[58:59], v[118:119], v[58:59]
	s_waitcnt lgkmcnt(1)
	v_mul_f64 v[112:113], v[96:97], v[6:7]
	v_fma_f64 v[252:253], v[116:117], v[56:57], -v[58:59]
	scratch_load_dwordx4 v[56:59], off, off offset:704
	v_fmac_f64_e32 v[112:113], v[98:99], v[4:5]
	s_waitcnt vmcnt(11)
	v_mov_b64_e32 v[4:5], v[12:13]
	v_mul_f64 v[62:63], v[122:123], v[62:63]
	v_mov_b64_e32 v[6:7], v[14:15]
	v_fma_f64 v[254:255], v[120:121], v[60:61], -v[62:63]
	scratch_load_dwordx4 v[60:63], off, off offset:720
	v_add_f64 v[0:1], v[0:1], v[112:113]
	s_waitcnt lgkmcnt(0)
	v_mul_f64 v[112:113], v[104:105], v[6:7]
	v_fmac_f64_e32 v[112:113], v[106:107], v[4:5]
	v_mul_f64 v[66:67], v[126:127], v[66:67]
	v_add_f64 v[0:1], v[0:1], v[112:113]
	ds_read_b128 v[112:115], v2 offset:1456
	ds_read_b128 v[116:119], v2 offset:1472
	v_fma_f64 v[232:233], v[124:125], v[64:65], -v[66:67]
	scratch_load_dwordx4 v[64:67], off, off offset:736
	v_accvgpr_write_b32 a133, v11
	v_accvgpr_write_b32 a132, v10
	;; [unrolled: 1-line block ×4, first 2 shown]
	s_waitcnt vmcnt(12)
	v_mov_b64_e32 v[8:9], v[16:17]
	v_mov_b64_e32 v[10:11], v[18:19]
	v_mul_f64 v[70:71], v[130:131], v[70:71]
	s_waitcnt lgkmcnt(1)
	v_mul_f64 v[6:7], v[112:113], v[10:11]
	v_fma_f64 v[32:33], v[128:129], v[68:69], -v[70:71]
	scratch_load_dwordx4 v[68:71], off, off offset:752
	v_fmac_f64_e32 v[6:7], v[114:115], v[8:9]
	v_add_f64 v[0:1], v[0:1], v[6:7]
	v_mul_f64 v[6:7], v[134:135], v[74:75]
	v_fma_f64 v[28:29], v[132:133], v[72:73], -v[6:7]
	s_waitcnt vmcnt(12)
	v_mov_b64_e32 v[8:9], v[20:21]
	scratch_load_dwordx4 v[72:75], off, off offset:768
	v_mov_b64_e32 v[10:11], v[22:23]
	s_waitcnt lgkmcnt(0)
	v_mul_f64 v[6:7], v[116:117], v[10:11]
	v_fmac_f64_e32 v[6:7], v[118:119], v[8:9]
	v_add_f64 v[0:1], v[0:1], v[6:7]
	v_mul_f64 v[6:7], v[150:151], v[78:79]
	v_fma_f64 v[24:25], v[148:149], v[76:77], -v[6:7]
	scratch_load_dwordx4 v[76:79], off, off offset:784
	ds_read_b128 v[124:127], v2 offset:1488
	ds_read_b128 v[120:123], v2 offset:1504
	v_accvgpr_write_b32 a145, v23
	v_mul_f64 v[6:7], v[162:163], v[82:83]
	v_accvgpr_write_b32 a141, v19
	v_accvgpr_write_b32 a144, v22
	;; [unrolled: 1-line block ×4, first 2 shown]
	v_fma_f64 v[20:21], v[160:161], v[80:81], -v[6:7]
	v_mul_f64 v[6:7], v[174:175], v[86:87]
	s_waitcnt vmcnt(13)
	v_accvgpr_read_b32 v8, a118
	v_accvgpr_write_b32 a140, v18
	v_accvgpr_write_b32 a139, v17
	;; [unrolled: 1-line block ×3, first 2 shown]
	v_fma_f64 v[16:17], v[172:173], v[84:85], -v[6:7]
	scratch_load_dwordx4 v[84:87], off, off offset:800
	scratch_load_dwordx4 v[80:83], off, off offset:816
	v_accvgpr_read_b32 v10, a120
	v_accvgpr_read_b32 v11, a121
	;; [unrolled: 1-line block ×3, first 2 shown]
	s_waitcnt lgkmcnt(1)
	v_mul_f64 v[6:7], v[124:125], v[10:11]
	v_fmac_f64_e32 v[6:7], v[126:127], v[8:9]
	s_waitcnt vmcnt(14)
	v_accvgpr_read_b32 v8, a122
	v_accvgpr_read_b32 v10, a124
	;; [unrolled: 1-line block ×3, first 2 shown]
	v_add_f64 v[0:1], v[0:1], v[6:7]
	v_accvgpr_read_b32 v9, a123
	s_waitcnt lgkmcnt(0)
	v_mul_f64 v[6:7], v[120:121], v[10:11]
	v_fmac_f64_e32 v[6:7], v[122:123], v[8:9]
	v_accvgpr_write_b32 a137, v15
	v_add_f64 v[0:1], v[0:1], v[6:7]
	v_mul_f64 v[6:7], v[186:187], v[94:95]
	v_accvgpr_write_b32 a136, v14
	v_accvgpr_write_b32 a135, v13
	;; [unrolled: 1-line block ×3, first 2 shown]
	v_fma_f64 v[14:15], v[184:185], v[92:93], -v[6:7]
	scratch_load_dwordx4 v[92:95], off, off offset:832
	v_mul_f64 v[6:7], v[194:195], v[102:103]
	v_fma_f64 v[18:19], v[192:193], v[100:101], -v[6:7]
	scratch_load_dwordx4 v[100:103], off, off offset:848
	v_mul_f64 v[6:7], v[198:199], v[110:111]
	v_fma_f64 v[12:13], v[196:197], v[108:109], -v[6:7]
	scratch_load_dwordx4 v[108:111], off, off offset:864
	ds_read_b128 v[128:131], v2 offset:1520
	ds_read_b128 v[132:135], v2 offset:1536
	;; [unrolled: 1-line block ×5, first 2 shown]
	s_waitcnt vmcnt(16) lgkmcnt(4)
	v_mul_f64 v[6:7], v[128:129], v[236:237]
	v_fmac_f64_e32 v[6:7], v[130:131], v[234:235]
	v_add_f64 v[0:1], v[0:1], v[6:7]
	v_mul_f64 v[6:7], v[202:203], v[138:139]
	v_fma_f64 v[22:23], v[200:201], v[136:137], -v[6:7]
	ds_read_b128 v[136:139], v2 offset:1552
	s_waitcnt vmcnt(15) lgkmcnt(4)
	v_mul_f64 v[6:7], v[132:133], v[38:39]
	v_fmac_f64_e32 v[6:7], v[134:135], v[36:37]
	v_add_f64 v[0:1], v[0:1], v[6:7]
	v_mul_f64 v[6:7], v[206:207], v[142:143]
	v_fma_f64 v[10:11], v[204:205], v[140:141], -v[6:7]
	ds_read_b128 v[140:143], v2 offset:1568
	;; [unrolled: 7-line block ×3, first 2 shown]
	s_waitcnt vmcnt(13) lgkmcnt(1)
	v_mul_f64 v[6:7], v[140:141], v[46:47]
	v_fmac_f64_e32 v[6:7], v[142:143], v[44:45]
	v_add_f64 v[0:1], v[0:1], v[6:7]
	v_mul_f64 v[182:183], v[246:247], v[182:183]
	s_waitcnt vmcnt(12) lgkmcnt(0)
	v_mul_f64 v[6:7], v[144:145], v[50:51]
	v_fmac_f64_e32 v[6:7], v[146:147], v[48:49]
	v_add_f64 v[0:1], v[0:1], v[6:7]
	v_mul_f64 v[6:7], v[214:215], v[154:155]
	v_fma_f64 v[8:9], v[212:213], v[152:153], -v[6:7]
	s_waitcnt vmcnt(11)
	v_mul_f64 v[6:7], v[148:149], v[54:55]
	v_fmac_f64_e32 v[6:7], v[150:151], v[52:53]
	ds_read_b128 v[152:155], v2 offset:1616
	v_add_f64 v[0:1], v[0:1], v[6:7]
	v_mul_f64 v[6:7], v[218:219], v[158:159]
	v_fma_f64 v[30:31], v[216:217], v[156:157], -v[6:7]
	ds_read_b128 v[156:159], v2 offset:1632
	s_waitcnt vmcnt(10) lgkmcnt(1)
	v_mul_f64 v[6:7], v[152:153], v[58:59]
	v_fmac_f64_e32 v[6:7], v[154:155], v[56:57]
	v_add_f64 v[0:1], v[0:1], v[6:7]
	s_waitcnt vmcnt(5)
	v_mul_f64 v[184:185], v[172:173], v[78:79]
	s_waitcnt lgkmcnt(0)
	v_mul_f64 v[6:7], v[156:157], v[62:63]
	v_fmac_f64_e32 v[6:7], v[158:159], v[60:61]
	v_add_f64 v[0:1], v[0:1], v[6:7]
	v_mul_f64 v[6:7], v[222:223], v[166:167]
	v_fma_f64 v[4:5], v[220:221], v[164:165], -v[6:7]
	ds_read_b128 v[164:167], v2 offset:1664
	v_mul_f64 v[6:7], v[160:161], v[66:67]
	v_fmac_f64_e32 v[6:7], v[162:163], v[64:65]
	v_add_f64 v[0:1], v[0:1], v[6:7]
	v_mul_f64 v[6:7], v[226:227], v[170:171]
	v_fma_f64 v[6:7], v[224:225], v[168:169], -v[6:7]
	ds_read_b128 v[168:171], v2 offset:1680
	s_waitcnt lgkmcnt(1)
	v_mul_f64 v[34:35], v[164:165], v[70:71]
	v_fmac_f64_e32 v[34:35], v[166:167], v[68:69]
	v_add_f64 v[0:1], v[0:1], v[34:35]
	v_fmac_f64_e32 v[184:185], v[174:175], v[76:77]
	s_waitcnt lgkmcnt(0)
	v_mul_f64 v[34:35], v[168:169], v[74:75]
	v_fmac_f64_e32 v[34:35], v[170:171], v[72:73]
	v_add_f64 v[34:35], v[0:1], v[34:35]
	v_mul_f64 v[0:1], v[230:231], v[178:179]
	v_fma_f64 v[0:1], v[228:229], v[176:177], -v[0:1]
	ds_read_b128 v[176:179], v2 offset:1712
	v_fma_f64 v[238:239], v[244:245], v[180:181], -v[182:183]
	ds_read_b128 v[180:183], v2 offset:1728
	v_add_f64 v[34:35], v[34:35], v[184:185]
	v_mul_f64 v[190:191], v[250:251], v[190:191]
	s_waitcnt vmcnt(4) lgkmcnt(1)
	v_mul_f64 v[184:185], v[176:177], v[86:87]
	v_fmac_f64_e32 v[184:185], v[178:179], v[84:85]
	v_add_f64 v[34:35], v[34:35], v[184:185]
	ds_read_b128 v[184:187], v2 offset:1744
	v_fma_f64 v[244:245], v[248:249], v[188:189], -v[190:191]
	ds_read_b128 v[188:191], v2 offset:1760
	s_waitcnt vmcnt(3) lgkmcnt(2)
	v_mul_f64 v[192:193], v[180:181], v[82:83]
	v_fmac_f64_e32 v[192:193], v[182:183], v[80:81]
	v_add_f64 v[34:35], v[34:35], v[192:193]
	s_waitcnt vmcnt(2) lgkmcnt(1)
	v_mul_f64 v[192:193], v[184:185], v[94:95]
	v_fmac_f64_e32 v[192:193], v[186:187], v[92:93]
	v_add_f64 v[34:35], v[34:35], v[192:193]
	;; [unrolled: 4-line block ×3, first 2 shown]
	ds_read_b128 v[192:195], v2 offset:1776
	ds_read_b128 v[200:203], v2 offset:1792
	;; [unrolled: 1-line block ×5, first 2 shown]
	s_waitcnt vmcnt(0) lgkmcnt(4)
	v_mul_f64 v[196:197], v[192:193], v[110:111]
	v_fmac_f64_e32 v[196:197], v[194:195], v[108:109]
	v_add_f64 v[34:35], v[34:35], v[196:197]
	scratch_load_dwordx4 v[196:199], off, off offset:880
	s_waitcnt vmcnt(0) lgkmcnt(3)
	v_mul_f64 v[204:205], v[200:201], v[198:199]
	v_fmac_f64_e32 v[204:205], v[202:203], v[196:197]
	v_add_f64 v[34:35], v[34:35], v[204:205]
	scratch_load_dwordx4 v[204:207], off, off offset:896
	;; [unrolled: 5-line block ×4, first 2 shown]
	s_waitcnt vmcnt(0) lgkmcnt(0)
	v_mul_f64 v[228:229], v[224:225], v[222:223]
	v_fmac_f64_e32 v[228:229], v[226:227], v[220:221]
	v_add_f64 v[248:249], v[34:35], v[228:229]
	v_add_f64 v[34:35], v[240:241], 0
	;; [unrolled: 1-line block ×6, first 2 shown]
	scratch_load_dwordx4 v[228:231], off, off offset:112
	v_add_f64 v[32:33], v[34:35], v[32:33]
	v_add_f64 v[28:29], v[32:33], v[28:29]
	;; [unrolled: 1-line block ×15, first 2 shown]
	v_accvgpr_read_b32 v6, a126
	v_accvgpr_read_b32 v8, a128
	;; [unrolled: 1-line block ×3, first 2 shown]
	v_add_f64 v[0:1], v[4:5], v[0:1]
	v_accvgpr_read_b32 v7, a127
	v_mul_f64 v[4:5], v[90:91], v[8:9]
	v_add_f64 v[0:1], v[0:1], v[238:239]
	v_fma_f64 v[4:5], v[88:89], v[6:7], -v[4:5]
	v_accvgpr_read_b32 v6, a130
	v_add_f64 v[0:1], v[0:1], v[244:245]
	v_accvgpr_read_b32 v8, a132
	v_accvgpr_read_b32 v9, a133
	v_add_f64 v[0:1], v[0:1], v[4:5]
	v_accvgpr_read_b32 v7, a131
	v_mul_f64 v[4:5], v[98:99], v[8:9]
	v_fma_f64 v[4:5], v[96:97], v[6:7], -v[4:5]
	v_accvgpr_read_b32 v6, a134
	v_accvgpr_read_b32 v8, a136
	v_accvgpr_read_b32 v9, a137
	v_add_f64 v[0:1], v[0:1], v[4:5]
	v_accvgpr_read_b32 v7, a135
	v_mul_f64 v[4:5], v[106:107], v[8:9]
	v_fma_f64 v[4:5], v[104:105], v[6:7], -v[4:5]
	v_accvgpr_read_b32 v6, a138
	;; [unrolled: 7-line block ×5, first 2 shown]
	v_accvgpr_read_b32 v8, a124
	v_accvgpr_read_b32 v9, a125
	v_add_f64 v[0:1], v[0:1], v[4:5]
	v_accvgpr_read_b32 v7, a123
	v_mul_f64 v[4:5], v[122:123], v[8:9]
	v_fma_f64 v[4:5], v[120:121], v[6:7], -v[4:5]
	v_add_f64 v[0:1], v[0:1], v[4:5]
	v_mul_f64 v[4:5], v[130:131], v[236:237]
	v_fma_f64 v[4:5], v[128:129], v[234:235], -v[4:5]
	v_add_f64 v[0:1], v[0:1], v[4:5]
	;; [unrolled: 3-line block ×22, first 2 shown]
	s_waitcnt vmcnt(0)
	v_add_f64 v[4:5], v[228:229], -v[0:1]
	v_accvgpr_read_b32 v0, a116
	v_add_f64 v[6:7], v[230:231], -v[248:249]
	v_cmp_lt_u32_e32 vcc, 5, v0
	scratch_store_dwordx4 off, v[4:7], off offset:112
	s_and_saveexec_b64 s[0:1], vcc
	s_cbranch_execz .LBB57_351
; %bb.350:
	scratch_load_dwordx4 v[6:9], off, s42
	v_mov_b32_e32 v3, v2
	v_mov_b32_e32 v4, v2
	;; [unrolled: 1-line block ×3, first 2 shown]
	v_accvgpr_read_b32 v0, a117
	scratch_store_dwordx4 off, v[2:5], off offset:96
	s_waitcnt vmcnt(1)
	ds_write_b128 v0, v[6:9]
.LBB57_351:
	s_or_b64 exec, exec, s[0:1]
	s_waitcnt lgkmcnt(0)
	; wave barrier
	scratch_load_dwordx4 v[48:51], off, off offset:112
	scratch_load_dwordx4 v[52:55], off, off offset:128
	scratch_load_dwordx4 v[56:59], off, off offset:144
	scratch_load_dwordx4 v[60:63], off, off offset:160
	scratch_load_dwordx4 v[64:67], off, off offset:176
	scratch_load_dwordx4 v[68:71], off, off offset:192
	scratch_load_dwordx4 v[72:75], off, off offset:208
	scratch_load_dwordx4 v[76:79], off, off offset:224
	scratch_load_dwordx4 v[80:83], off, off offset:240
	scratch_load_dwordx4 v[84:87], off, off offset:256
	scratch_load_dwordx4 v[92:95], off, off offset:272
	scratch_load_dwordx4 v[100:103], off, off offset:288
	scratch_load_dwordx4 v[108:111], off, off offset:304
	scratch_load_dwordx4 v[136:139], off, off offset:320
	scratch_load_dwordx4 v[140:143], off, off offset:336
	scratch_load_dwordx4 v[144:147], off, off offset:352
	scratch_load_dwordx4 v[152:155], off, off offset:368
	scratch_load_dwordx4 v[156:159], off, off offset:384
	ds_read_b128 v[104:107], v2 offset:1024
	ds_read_b128 v[208:211], v2 offset:1040
	;; [unrolled: 1-line block ×6, first 2 shown]
	scratch_load_dwordx4 v[164:167], off, off offset:400
	ds_read_b128 v[192:195], v2 offset:1120
	ds_read_b128 v[124:127], v2 offset:1136
	scratch_load_dwordx4 v[168:171], off, off offset:416
	ds_read_b128 v[212:215], v2 offset:1152
	ds_read_b128 v[204:207], v2 offset:1168
	ds_read_b128 v[128:131], v2 offset:1184
	ds_read_b128 v[132:135], v2 offset:1200
	ds_read_b128 v[148:151], v2 offset:1216
	scratch_load_dwordx4 v[176:179], off, off offset:432
	ds_read_b128 v[200:203], v2 offset:1232
	ds_read_b128 v[172:175], v2 offset:1248
	scratch_load_dwordx4 v[180:183], off, off offset:448
	ds_read_b128 v[216:219], v2 offset:1264
	ds_read_b128 v[184:187], v2 offset:1280
	;; [unrolled: 1-line block ×3, first 2 shown]
	scratch_load_dwordx4 v[188:191], off, off offset:464
	scratch_load_dwordx4 v[4:7], off, off offset:480
	;; [unrolled: 1-line block ×8, first 2 shown]
	ds_read_b128 v[220:223], v2 offset:1312
	ds_read_b128 v[224:227], v2 offset:1328
	;; [unrolled: 1-line block ×5, first 2 shown]
	s_waitcnt vmcnt(29) lgkmcnt(14)
	v_mul_f64 v[0:1], v[104:105], v[50:51]
	s_waitcnt vmcnt(28)
	v_mul_f64 v[24:25], v[208:209], v[54:55]
	v_fmac_f64_e32 v[0:1], v[106:107], v[48:49]
	s_waitcnt vmcnt(27)
	v_mul_f64 v[26:27], v[196:197], v[58:59]
	v_fmac_f64_e32 v[24:25], v[210:211], v[52:53]
	v_add_f64 v[0:1], v[0:1], 0
	s_waitcnt vmcnt(26)
	v_mul_f64 v[28:29], v[112:113], v[62:63]
	v_fmac_f64_e32 v[26:27], v[198:199], v[56:57]
	v_add_f64 v[0:1], v[0:1], v[24:25]
	;; [unrolled: 4-line block ×7, first 2 shown]
	s_waitcnt vmcnt(20) lgkmcnt(13)
	v_mul_f64 v[40:41], v[204:205], v[86:87]
	v_fmac_f64_e32 v[38:39], v[214:215], v[80:81]
	v_add_f64 v[0:1], v[0:1], v[36:37]
	s_waitcnt vmcnt(19) lgkmcnt(12)
	v_mul_f64 v[42:43], v[128:129], v[94:95]
	v_fmac_f64_e32 v[40:41], v[206:207], v[84:85]
	v_add_f64 v[0:1], v[0:1], v[38:39]
	;; [unrolled: 4-line block ×8, first 2 shown]
	v_fmac_f64_e32 v[98:99], v[186:187], v[152:153]
	v_add_f64 v[0:1], v[0:1], v[96:97]
	s_waitcnt vmcnt(12) lgkmcnt(5)
	v_mul_f64 v[32:33], v[160:161], v[158:159]
	v_add_f64 v[0:1], v[0:1], v[98:99]
	v_fmac_f64_e32 v[32:33], v[162:163], v[156:157]
	v_add_f64 v[0:1], v[0:1], v[32:33]
	s_waitcnt vmcnt(11) lgkmcnt(4)
	v_mul_f64 v[32:33], v[220:221], v[166:167]
	v_fmac_f64_e32 v[32:33], v[222:223], v[164:165]
	v_add_f64 v[0:1], v[0:1], v[32:33]
	scratch_load_dwordx4 v[32:35], off, off offset:592
	s_waitcnt vmcnt(11) lgkmcnt(3)
	v_mul_f64 v[36:37], v[224:225], v[170:171]
	v_fmac_f64_e32 v[36:37], v[226:227], v[168:169]
	v_add_f64 v[0:1], v[0:1], v[36:37]
	s_waitcnt vmcnt(10) lgkmcnt(2)
	v_mul_f64 v[36:37], v[228:229], v[178:179]
	v_fmac_f64_e32 v[36:37], v[230:231], v[176:177]
	v_add_f64 v[0:1], v[0:1], v[36:37]
	scratch_load_dwordx4 v[36:39], off, off offset:608
	s_waitcnt vmcnt(10) lgkmcnt(1)
	v_mul_f64 v[40:41], v[232:233], v[182:183]
	v_fmac_f64_e32 v[40:41], v[234:235], v[180:181]
	ds_read_b128 v[88:91], v2 offset:1392
	s_waitcnt vmcnt(9) lgkmcnt(1)
	v_mul_f64 v[44:45], v[236:237], v[190:191]
	v_add_f64 v[0:1], v[0:1], v[40:41]
	scratch_load_dwordx4 v[40:43], off, off offset:624
	v_fmac_f64_e32 v[44:45], v[238:239], v[188:189]
	v_add_f64 v[0:1], v[0:1], v[44:45]
	scratch_load_dwordx4 v[44:47], off, off offset:640
	v_mul_f64 v[50:51], v[106:107], v[50:51]
	v_fma_f64 v[240:241], v[104:105], v[48:49], -v[50:51]
	scratch_load_dwordx4 v[48:51], off, off offset:656
	s_waitcnt vmcnt(11) lgkmcnt(0)
	v_mul_f64 v[96:97], v[88:89], v[6:7]
	v_mul_f64 v[54:55], v[210:211], v[54:55]
	v_fmac_f64_e32 v[96:97], v[90:91], v[4:5]
	v_fma_f64 v[242:243], v[208:209], v[52:53], -v[54:55]
	scratch_load_dwordx4 v[52:55], off, off offset:672
	v_mul_f64 v[58:59], v[198:199], v[58:59]
	v_add_f64 v[0:1], v[0:1], v[96:97]
	ds_read_b128 v[96:99], v2 offset:1408
	ds_read_b128 v[104:107], v2 offset:1424
	v_fma_f64 v[248:249], v[196:197], v[56:57], -v[58:59]
	scratch_load_dwordx4 v[56:59], off, off offset:688
	v_mul_f64 v[62:63], v[114:115], v[62:63]
	v_accvgpr_write_b32 a129, v7
	v_fma_f64 v[250:251], v[112:113], v[60:61], -v[62:63]
	scratch_load_dwordx4 v[60:63], off, off offset:704
	v_accvgpr_write_b32 a128, v6
	v_accvgpr_write_b32 a127, v5
	;; [unrolled: 1-line block ×3, first 2 shown]
	s_waitcnt vmcnt(13)
	v_mov_b64_e32 v[4:5], v[8:9]
	v_mov_b64_e32 v[6:7], v[10:11]
	s_waitcnt lgkmcnt(1)
	v_mul_f64 v[208:209], v[96:97], v[6:7]
	v_fmac_f64_e32 v[208:209], v[98:99], v[4:5]
	s_waitcnt vmcnt(12)
	v_mov_b64_e32 v[4:5], v[12:13]
	ds_read_b128 v[112:115], v2 offset:1440
	v_mov_b64_e32 v[6:7], v[14:15]
	s_waitcnt lgkmcnt(1)
	v_mul_f64 v[196:197], v[104:105], v[6:7]
	v_mul_f64 v[66:67], v[122:123], v[66:67]
	;; [unrolled: 1-line block ×3, first 2 shown]
	v_fmac_f64_e32 v[196:197], v[106:107], v[4:5]
	v_fma_f64 v[252:253], v[120:121], v[64:65], -v[66:67]
	scratch_load_dwordx4 v[64:67], off, off offset:720
	v_fma_f64 v[254:255], v[116:117], v[68:69], -v[70:71]
	ds_read_b128 v[116:119], v2 offset:1456
	s_waitcnt vmcnt(12)
	v_mov_b64_e32 v[4:5], v[16:17]
	v_mov_b64_e32 v[6:7], v[18:19]
	scratch_load_dwordx4 v[68:71], off, off offset:736
	s_waitcnt lgkmcnt(1)
	v_mul_f64 v[120:121], v[112:113], v[6:7]
	v_mul_f64 v[74:75], v[194:195], v[74:75]
	v_add_f64 v[0:1], v[0:1], v[208:209]
	v_fmac_f64_e32 v[120:121], v[114:115], v[4:5]
	v_fma_f64 v[244:245], v[192:193], v[72:73], -v[74:75]
	s_waitcnt vmcnt(12)
	v_mov_b64_e32 v[4:5], v[20:21]
	scratch_load_dwordx4 v[72:75], off, off offset:752
	v_add_f64 v[0:1], v[0:1], v[196:197]
	v_mov_b64_e32 v[6:7], v[22:23]
	v_add_f64 v[0:1], v[0:1], v[120:121]
	s_waitcnt lgkmcnt(0)
	v_mul_f64 v[120:121], v[116:117], v[6:7]
	v_fmac_f64_e32 v[120:121], v[118:119], v[4:5]
	v_mul_f64 v[78:79], v[126:127], v[78:79]
	v_add_f64 v[0:1], v[0:1], v[120:121]
	v_fma_f64 v[28:29], v[124:125], v[76:77], -v[78:79]
	scratch_load_dwordx4 v[76:79], off, off offset:768
	ds_read_b128 v[124:127], v2 offset:1472
	ds_read_b128 v[120:123], v2 offset:1488
	v_mul_f64 v[6:7], v[214:215], v[82:83]
	v_fma_f64 v[24:25], v[212:213], v[80:81], -v[6:7]
	s_waitcnt vmcnt(13)
	v_accvgpr_read_b32 v4, a118
	v_accvgpr_write_b32 a133, v11
	v_accvgpr_write_b32 a145, v23
	v_mul_f64 v[80:81], v[206:207], v[86:87]
	v_accvgpr_read_b32 v6, a120
	v_accvgpr_read_b32 v7, a121
	v_accvgpr_write_b32 a132, v10
	v_accvgpr_write_b32 a131, v9
	;; [unrolled: 1-line block ×6, first 2 shown]
	v_fma_f64 v[20:21], v[204:205], v[84:85], -v[80:81]
	scratch_load_dwordx4 v[84:87], off, off offset:784
	v_accvgpr_read_b32 v5, a119
	s_waitcnt lgkmcnt(1)
	v_mul_f64 v[10:11], v[124:125], v[6:7]
	v_fmac_f64_e32 v[10:11], v[126:127], v[4:5]
	s_waitcnt vmcnt(13)
	v_accvgpr_read_b32 v4, a122
	v_accvgpr_read_b32 v6, a124
	;; [unrolled: 1-line block ×3, first 2 shown]
	v_add_f64 v[0:1], v[0:1], v[10:11]
	v_accvgpr_read_b32 v5, a123
	s_waitcnt lgkmcnt(0)
	v_mul_f64 v[10:11], v[120:121], v[6:7]
	v_fmac_f64_e32 v[10:11], v[122:123], v[4:5]
	v_accvgpr_write_b32 a141, v19
	scratch_load_dwordx4 v[80:83], off, off offset:800
	v_add_f64 v[0:1], v[0:1], v[10:11]
	v_mul_f64 v[10:11], v[130:131], v[94:95]
	v_accvgpr_write_b32 a137, v15
	v_accvgpr_write_b32 a140, v18
	;; [unrolled: 1-line block ×4, first 2 shown]
	v_fma_f64 v[16:17], v[128:129], v[92:93], -v[10:11]
	v_mul_f64 v[92:93], v[134:135], v[102:103]
	v_accvgpr_write_b32 a136, v14
	v_accvgpr_write_b32 a135, v13
	;; [unrolled: 1-line block ×3, first 2 shown]
	v_fma_f64 v[12:13], v[132:133], v[100:101], -v[92:93]
	scratch_load_dwordx4 v[92:95], off, off offset:816
	ds_read_b128 v[128:131], v2 offset:1504
	ds_read_b128 v[132:135], v2 offset:1520
	scratch_load_dwordx4 v[100:103], off, off offset:832
	v_mul_f64 v[14:15], v[150:151], v[110:111]
	v_fma_f64 v[14:15], v[148:149], v[108:109], -v[14:15]
	s_waitcnt vmcnt(15) lgkmcnt(1)
	v_mul_f64 v[108:109], v[128:129], v[34:35]
	v_fmac_f64_e32 v[108:109], v[130:131], v[32:33]
	v_add_f64 v[0:1], v[0:1], v[108:109]
	v_mul_f64 v[108:109], v[202:203], v[138:139]
	v_fma_f64 v[10:11], v[200:201], v[136:137], -v[108:109]
	scratch_load_dwordx4 v[108:111], off, off offset:848
	s_waitcnt vmcnt(15) lgkmcnt(0)
	v_mul_f64 v[18:19], v[132:133], v[38:39]
	v_fmac_f64_e32 v[18:19], v[134:135], v[36:37]
	ds_read_b128 v[136:139], v2 offset:1536
	v_add_f64 v[0:1], v[0:1], v[18:19]
	v_mul_f64 v[18:19], v[174:175], v[142:143]
	v_fma_f64 v[18:19], v[172:173], v[140:141], -v[18:19]
	ds_read_b128 v[140:143], v2 offset:1552
	v_mul_f64 v[146:147], v[218:219], v[146:147]
	v_fma_f64 v[8:9], v[216:217], v[144:145], -v[146:147]
	ds_read_b128 v[144:147], v2 offset:1568
	s_waitcnt vmcnt(14) lgkmcnt(2)
	v_mul_f64 v[148:149], v[136:137], v[42:43]
	v_fmac_f64_e32 v[148:149], v[138:139], v[40:41]
	s_waitcnt vmcnt(13) lgkmcnt(1)
	v_mul_f64 v[22:23], v[140:141], v[46:47]
	v_add_f64 v[0:1], v[0:1], v[148:149]
	v_fmac_f64_e32 v[22:23], v[142:143], v[44:45]
	ds_read_b128 v[148:151], v2 offset:1584
	v_add_f64 v[0:1], v[0:1], v[22:23]
	s_waitcnt vmcnt(12) lgkmcnt(1)
	v_mul_f64 v[22:23], v[144:145], v[50:51]
	v_fmac_f64_e32 v[22:23], v[146:147], v[48:49]
	v_add_f64 v[0:1], v[0:1], v[22:23]
	v_mul_f64 v[22:23], v[186:187], v[154:155]
	v_fma_f64 v[22:23], v[184:185], v[152:153], -v[22:23]
	ds_read_b128 v[152:155], v2 offset:1600
	v_mul_f64 v[158:159], v[162:163], v[158:159]
	v_fma_f64 v[6:7], v[160:161], v[156:157], -v[158:159]
	ds_read_b128 v[156:159], v2 offset:1616
	s_waitcnt vmcnt(11) lgkmcnt(2)
	v_mul_f64 v[172:173], v[148:149], v[54:55]
	v_fmac_f64_e32 v[172:173], v[150:151], v[52:53]
	s_waitcnt vmcnt(10) lgkmcnt(1)
	v_mul_f64 v[26:27], v[152:153], v[58:59]
	v_add_f64 v[0:1], v[0:1], v[172:173]
	v_fmac_f64_e32 v[26:27], v[154:155], v[56:57]
	v_add_f64 v[0:1], v[0:1], v[26:27]
	s_waitcnt vmcnt(9) lgkmcnt(0)
	v_mul_f64 v[26:27], v[156:157], v[62:63]
	v_fmac_f64_e32 v[26:27], v[158:159], v[60:61]
	ds_read_b128 v[160:163], v2 offset:1632
	v_add_f64 v[0:1], v[0:1], v[26:27]
	v_mul_f64 v[26:27], v[222:223], v[166:167]
	v_fma_f64 v[26:27], v[220:221], v[164:165], -v[26:27]
	ds_read_b128 v[164:167], v2 offset:1648
	v_mul_f64 v[170:171], v[226:227], v[170:171]
	v_fma_f64 v[4:5], v[224:225], v[168:169], -v[170:171]
	ds_read_b128 v[168:171], v2 offset:1664
	s_waitcnt vmcnt(8) lgkmcnt(2)
	v_mul_f64 v[172:173], v[160:161], v[66:67]
	v_fmac_f64_e32 v[172:173], v[162:163], v[64:65]
	s_waitcnt vmcnt(7) lgkmcnt(1)
	v_mul_f64 v[30:31], v[164:165], v[70:71]
	v_add_f64 v[0:1], v[0:1], v[172:173]
	v_fmac_f64_e32 v[30:31], v[166:167], v[68:69]
	v_add_f64 v[0:1], v[0:1], v[30:31]
	ds_read_b128 v[172:175], v2 offset:1680
	s_waitcnt vmcnt(6) lgkmcnt(1)
	v_mul_f64 v[30:31], v[168:169], v[74:75]
	v_fmac_f64_e32 v[30:31], v[170:171], v[72:73]
	v_add_f64 v[30:31], v[0:1], v[30:31]
	v_mul_f64 v[0:1], v[230:231], v[178:179]
	v_fma_f64 v[0:1], v[228:229], v[176:177], -v[0:1]
	ds_read_b128 v[176:179], v2 offset:1696
	v_mul_f64 v[182:183], v[234:235], v[182:183]
	s_waitcnt vmcnt(5) lgkmcnt(1)
	v_mul_f64 v[184:185], v[172:173], v[78:79]
	v_fma_f64 v[180:181], v[232:233], v[180:181], -v[182:183]
	v_fmac_f64_e32 v[184:185], v[174:175], v[76:77]
	v_accvgpr_write_b32 a146, v180
	v_mul_f64 v[190:191], v[238:239], v[190:191]
	v_accvgpr_write_b32 a147, v181
	ds_read_b128 v[180:183], v2 offset:1712
	v_add_f64 v[30:31], v[30:31], v[184:185]
	v_fma_f64 v[246:247], v[236:237], v[188:189], -v[190:191]
	scratch_load_dwordx4 v[236:239], off, off offset:96
	s_waitcnt vmcnt(5) lgkmcnt(1)
	v_mul_f64 v[184:185], v[176:177], v[86:87]
	v_fmac_f64_e32 v[184:185], v[178:179], v[84:85]
	v_add_f64 v[30:31], v[30:31], v[184:185]
	ds_read_b128 v[184:187], v2 offset:1728
	ds_read_b128 v[188:191], v2 offset:1744
	s_waitcnt vmcnt(4) lgkmcnt(2)
	v_mul_f64 v[192:193], v[180:181], v[82:83]
	v_fmac_f64_e32 v[192:193], v[182:183], v[80:81]
	v_add_f64 v[30:31], v[30:31], v[192:193]
	s_waitcnt vmcnt(3) lgkmcnt(1)
	v_mul_f64 v[192:193], v[184:185], v[94:95]
	v_fmac_f64_e32 v[192:193], v[186:187], v[92:93]
	v_add_f64 v[30:31], v[30:31], v[192:193]
	;; [unrolled: 4-line block ×3, first 2 shown]
	ds_read_b128 v[192:195], v2 offset:1760
	ds_read_b128 v[200:203], v2 offset:1776
	scratch_load_dwordx4 v[232:235], off, off offset:928
	ds_read_b128 v[208:211], v2 offset:1792
	ds_read_b128 v[216:219], v2 offset:1808
	s_waitcnt vmcnt(2) lgkmcnt(3)
	v_mul_f64 v[196:197], v[192:193], v[110:111]
	v_fmac_f64_e32 v[196:197], v[194:195], v[108:109]
	v_add_f64 v[30:31], v[30:31], v[196:197]
	scratch_load_dwordx4 v[196:199], off, off offset:864
	ds_read_b128 v[224:227], v2 offset:1824
	s_waitcnt vmcnt(0) lgkmcnt(3)
	v_mul_f64 v[204:205], v[200:201], v[198:199]
	v_fmac_f64_e32 v[204:205], v[202:203], v[196:197]
	v_add_f64 v[30:31], v[30:31], v[204:205]
	scratch_load_dwordx4 v[204:207], off, off offset:880
	s_waitcnt vmcnt(0) lgkmcnt(2)
	v_mul_f64 v[212:213], v[208:209], v[206:207]
	v_fmac_f64_e32 v[212:213], v[210:211], v[204:205]
	v_add_f64 v[30:31], v[30:31], v[212:213]
	scratch_load_dwordx4 v[212:215], off, off offset:896
	;; [unrolled: 5-line block ×3, first 2 shown]
	s_waitcnt vmcnt(0) lgkmcnt(0)
	v_mul_f64 v[228:229], v[224:225], v[222:223]
	v_fmac_f64_e32 v[228:229], v[226:227], v[220:221]
	v_add_f64 v[30:31], v[30:31], v[228:229]
	ds_read_b128 v[228:231], v2 offset:1840
	s_waitcnt lgkmcnt(0)
	v_mul_f64 v[2:3], v[228:229], v[234:235]
	v_fmac_f64_e32 v[2:3], v[230:231], v[232:233]
	v_add_f64 v[2:3], v[30:31], v[2:3]
	v_add_f64 v[30:31], v[240:241], 0
	;; [unrolled: 1-line block ×21, first 2 shown]
	v_accvgpr_read_b32 v6, a126
	v_add_f64 v[248:249], v[4:5], v[0:1]
	v_accvgpr_read_b32 v0, a146
	v_accvgpr_read_b32 v8, a128
	v_accvgpr_read_b32 v9, a129
	v_accvgpr_read_b32 v1, a147
	v_accvgpr_read_b32 v7, a127
	v_mul_f64 v[4:5], v[90:91], v[8:9]
	v_add_f64 v[0:1], v[248:249], v[0:1]
	v_fma_f64 v[4:5], v[88:89], v[6:7], -v[4:5]
	v_accvgpr_read_b32 v6, a130
	v_add_f64 v[0:1], v[0:1], v[246:247]
	v_accvgpr_read_b32 v8, a132
	v_accvgpr_read_b32 v9, a133
	v_add_f64 v[0:1], v[0:1], v[4:5]
	v_accvgpr_read_b32 v7, a131
	v_mul_f64 v[4:5], v[98:99], v[8:9]
	v_fma_f64 v[4:5], v[96:97], v[6:7], -v[4:5]
	v_accvgpr_read_b32 v6, a134
	v_accvgpr_read_b32 v8, a136
	v_accvgpr_read_b32 v9, a137
	v_add_f64 v[0:1], v[0:1], v[4:5]
	v_accvgpr_read_b32 v7, a135
	v_mul_f64 v[4:5], v[106:107], v[8:9]
	v_fma_f64 v[4:5], v[104:105], v[6:7], -v[4:5]
	v_accvgpr_read_b32 v6, a138
	;; [unrolled: 7-line block ×5, first 2 shown]
	v_accvgpr_read_b32 v8, a124
	v_accvgpr_read_b32 v9, a125
	v_add_f64 v[0:1], v[0:1], v[4:5]
	v_accvgpr_read_b32 v7, a123
	v_mul_f64 v[4:5], v[122:123], v[8:9]
	v_fma_f64 v[4:5], v[120:121], v[6:7], -v[4:5]
	v_add_f64 v[0:1], v[0:1], v[4:5]
	v_mul_f64 v[4:5], v[130:131], v[34:35]
	v_fma_f64 v[4:5], v[128:129], v[32:33], -v[4:5]
	v_add_f64 v[0:1], v[0:1], v[4:5]
	;; [unrolled: 3-line block ×23, first 2 shown]
	v_add_f64 v[4:5], v[236:237], -v[0:1]
	v_accvgpr_read_b32 v0, a116
	v_add_f64 v[6:7], v[238:239], -v[2:3]
	v_cmp_lt_u32_e32 vcc, 4, v0
	scratch_store_dwordx4 off, v[4:7], off offset:96
	s_and_saveexec_b64 s[0:1], vcc
	s_cbranch_execz .LBB57_353
; %bb.352:
	scratch_load_dwordx4 v[2:5], off, s41
	v_mov_b32_e32 v6, 0
	v_mov_b32_e32 v7, v6
	v_mov_b32_e32 v8, v6
	v_mov_b32_e32 v9, v6
	v_accvgpr_read_b32 v0, a117
	scratch_store_dwordx4 off, v[6:9], off offset:80
	s_waitcnt vmcnt(1)
	ds_write_b128 v0, v[2:5]
.LBB57_353:
	s_or_b64 exec, exec, s[0:1]
	s_waitcnt lgkmcnt(0)
	; wave barrier
	scratch_load_dwordx4 v[40:43], off, off offset:96
	scratch_load_dwordx4 v[44:47], off, off offset:112
	;; [unrolled: 1-line block ×29, first 2 shown]
	v_mov_b32_e32 v2, 0
	ds_read_b128 v[80:83], v2 offset:1008
	ds_read_b128 v[100:103], v2 offset:1024
	;; [unrolled: 1-line block ×18, first 2 shown]
	scratch_load_dwordx4 a[118:121], off, off offset:560
	scratch_load_dwordx4 a[122:125], off, off offset:576
	ds_read_b128 v[228:231], v2 offset:1360
	ds_read_b128 v[244:247], v2 offset:1376
	scratch_load_dwordx4 a[126:129], off, off offset:592
	scratch_load_dwordx4 v[234:237], off, off offset:608
	ds_read_b128 v[248:251], v2 offset:1392
	scratch_load_dwordx4 a[130:133], off, off offset:624
	ds_read_b128 v[224:227], v2 offset:1344
	s_waitcnt vmcnt(33) lgkmcnt(14)
	v_mul_f64 v[0:1], v[80:81], v[42:43]
	s_waitcnt vmcnt(32)
	v_mul_f64 v[20:21], v[100:101], v[46:47]
	v_fmac_f64_e32 v[0:1], v[82:83], v[40:41]
	s_waitcnt vmcnt(31)
	v_mul_f64 v[22:23], v[104:105], v[50:51]
	v_fmac_f64_e32 v[20:21], v[102:103], v[44:45]
	v_add_f64 v[0:1], v[0:1], 0
	s_waitcnt vmcnt(30)
	v_mul_f64 v[24:25], v[108:109], v[54:55]
	v_fmac_f64_e32 v[22:23], v[106:107], v[48:49]
	v_add_f64 v[0:1], v[0:1], v[20:21]
	;; [unrolled: 4-line block ×6, first 2 shown]
	s_waitcnt vmcnt(25) lgkmcnt(13)
	v_mul_f64 v[34:35], v[144:145], v[74:75]
	v_fmac_f64_e32 v[32:33], v[134:135], v[68:69]
	v_add_f64 v[0:1], v[0:1], v[30:31]
	s_waitcnt vmcnt(24) lgkmcnt(12)
	v_mul_f64 v[36:37], v[156:157], v[78:79]
	v_fmac_f64_e32 v[34:35], v[146:147], v[72:73]
	v_add_f64 v[0:1], v[0:1], v[32:33]
	s_waitcnt vmcnt(23) lgkmcnt(11)
	v_mul_f64 v[38:39], v[168:169], v[86:87]
	v_fmac_f64_e32 v[36:37], v[158:159], v[76:77]
	v_add_f64 v[0:1], v[0:1], v[34:35]
	s_waitcnt vmcnt(22) lgkmcnt(10)
	v_mul_f64 v[212:213], v[180:181], v[90:91]
	v_fmac_f64_e32 v[38:39], v[170:171], v[84:85]
	v_add_f64 v[0:1], v[0:1], v[36:37]
	s_waitcnt vmcnt(21) lgkmcnt(9)
	v_mul_f64 v[214:215], v[188:189], v[94:95]
	v_fmac_f64_e32 v[212:213], v[182:183], v[88:89]
	v_add_f64 v[0:1], v[0:1], v[38:39]
	s_waitcnt vmcnt(20) lgkmcnt(8)
	v_mul_f64 v[216:217], v[192:193], v[98:99]
	v_fmac_f64_e32 v[214:215], v[190:191], v[92:93]
	v_add_f64 v[0:1], v[0:1], v[212:213]
	s_waitcnt vmcnt(19) lgkmcnt(7)
	v_mul_f64 v[218:219], v[196:197], v[126:127]
	v_fmac_f64_e32 v[216:217], v[194:195], v[96:97]
	v_add_f64 v[0:1], v[0:1], v[214:215]
	v_fmac_f64_e32 v[218:219], v[198:199], v[124:125]
	v_add_f64 v[0:1], v[0:1], v[216:217]
	ds_read_b128 v[212:215], v2 offset:1296
	s_waitcnt vmcnt(18) lgkmcnt(7)
	v_mul_f64 v[220:221], v[200:201], v[130:131]
	v_add_f64 v[0:1], v[0:1], v[218:219]
	ds_read_b128 v[216:219], v2 offset:1312
	v_fmac_f64_e32 v[220:221], v[202:203], v[128:129]
	s_waitcnt vmcnt(17) lgkmcnt(7)
	v_mul_f64 v[20:21], v[204:205], v[138:139]
	v_add_f64 v[0:1], v[0:1], v[220:221]
	v_fmac_f64_e32 v[20:21], v[206:207], v[136:137]
	s_waitcnt vmcnt(16) lgkmcnt(6)
	v_mul_f64 v[24:25], v[208:209], v[142:143]
	ds_read_b128 v[220:223], v2 offset:1328
	v_add_f64 v[0:1], v[0:1], v[20:21]
	v_fmac_f64_e32 v[24:25], v[210:211], v[140:141]
	v_add_f64 v[0:1], v[0:1], v[24:25]
	s_waitcnt vmcnt(15) lgkmcnt(2)
	v_mul_f64 v[24:25], v[212:213], v[150:151]
	v_fmac_f64_e32 v[24:25], v[214:215], v[148:149]
	s_waitcnt vmcnt(14) lgkmcnt(1)
	v_mul_f64 v[28:29], v[216:217], v[154:155]
	v_add_f64 v[0:1], v[0:1], v[24:25]
	v_fmac_f64_e32 v[28:29], v[218:219], v[152:153]
	v_add_f64 v[0:1], v[0:1], v[28:29]
	s_waitcnt vmcnt(13) lgkmcnt(0)
	v_mul_f64 v[28:29], v[220:221], v[162:163]
	v_fmac_f64_e32 v[28:29], v[222:223], v[160:161]
	s_waitcnt vmcnt(12)
	v_mul_f64 v[32:33], v[224:225], v[166:167]
	v_add_f64 v[0:1], v[0:1], v[28:29]
	v_fmac_f64_e32 v[32:33], v[226:227], v[164:165]
	v_add_f64 v[0:1], v[0:1], v[32:33]
	s_waitcnt vmcnt(11)
	v_mul_f64 v[32:33], v[228:229], v[174:175]
	v_fmac_f64_e32 v[32:33], v[230:231], v[172:173]
	s_waitcnt vmcnt(10)
	v_mul_f64 v[36:37], v[244:245], v[178:179]
	v_mul_f64 v[42:43], v[82:83], v[42:43]
	v_add_f64 v[0:1], v[0:1], v[32:33]
	v_fmac_f64_e32 v[36:37], v[246:247], v[176:177]
	v_fma_f64 v[240:241], v[80:81], v[40:41], -v[42:43]
	ds_read_b128 v[80:83], v2 offset:1408
	s_waitcnt vmcnt(9)
	v_mul_f64 v[40:41], v[248:249], v[186:187]
	v_add_f64 v[0:1], v[0:1], v[36:37]
	v_fmac_f64_e32 v[40:41], v[250:251], v[184:185]
	v_add_f64 v[0:1], v[0:1], v[40:41]
	v_mul_f64 v[40:41], v[102:103], v[46:47]
	v_fma_f64 v[242:243], v[100:101], v[44:45], -v[40:41]
	scratch_load_dwordx4 v[40:43], off, off offset:640
	s_waitcnt vmcnt(9) lgkmcnt(0)
	v_mul_f64 v[44:45], v[80:81], v[6:7]
	v_fmac_f64_e32 v[44:45], v[82:83], v[4:5]
	v_add_f64 v[0:1], v[0:1], v[44:45]
	scratch_load_dwordx4 v[44:47], off, off offset:656
	v_mul_f64 v[50:51], v[106:107], v[50:51]
	v_fma_f64 v[252:253], v[104:105], v[48:49], -v[50:51]
	ds_read_b128 v[100:103], v2 offset:1424
	v_mul_f64 v[48:49], v[110:111], v[54:55]
	v_fma_f64 v[254:255], v[108:109], v[52:53], -v[48:49]
	scratch_load_dwordx4 v[52:55], off, off offset:672
	scratch_load_dwordx4 v[48:51], off, off offset:688
	v_accvgpr_write_b32 a137, v7
	v_accvgpr_write_b32 a136, v6
	v_accvgpr_write_b32 a135, v5
	v_accvgpr_write_b32 a134, v4
	s_waitcnt vmcnt(11)
	v_mov_b64_e32 v[4:5], v[8:9]
	v_mul_f64 v[58:59], v[114:115], v[58:59]
	v_mov_b64_e32 v[6:7], v[10:11]
	v_fma_f64 v[232:233], v[112:113], v[56:57], -v[58:59]
	ds_read_b128 v[104:107], v2 offset:1440
	ds_read_b128 v[108:111], v2 offset:1456
	s_waitcnt lgkmcnt(2)
	v_mul_f64 v[56:57], v[100:101], v[6:7]
	v_fmac_f64_e32 v[56:57], v[102:103], v[4:5]
	v_accvgpr_write_b32 a141, v11
	v_add_f64 v[0:1], v[0:1], v[56:57]
	v_mul_f64 v[56:57], v[118:119], v[62:63]
	v_accvgpr_write_b32 a140, v10
	v_accvgpr_write_b32 a139, v9
	;; [unrolled: 1-line block ×3, first 2 shown]
	v_fma_f64 v[36:37], v[116:117], v[60:61], -v[56:57]
	scratch_load_dwordx4 v[56:59], off, off offset:704
	scratch_load_dwordx4 v[60:63], off, off offset:720
	s_waitcnt vmcnt(12)
	v_mov_b64_e32 v[8:9], v[12:13]
	v_mov_b64_e32 v[10:11], v[14:15]
	s_waitcnt lgkmcnt(1)
	v_mul_f64 v[6:7], v[104:105], v[10:11]
	v_fmac_f64_e32 v[6:7], v[106:107], v[8:9]
	v_add_f64 v[0:1], v[0:1], v[6:7]
	v_mul_f64 v[6:7], v[122:123], v[66:67]
	v_fma_f64 v[32:33], v[120:121], v[64:65], -v[6:7]
	scratch_load_dwordx4 v[64:67], off, off offset:736
	v_mul_f64 v[6:7], v[134:135], v[70:71]
	v_fma_f64 v[28:29], v[132:133], v[68:69], -v[6:7]
	scratch_load_dwordx4 v[68:71], off, off offset:752
	v_mul_f64 v[6:7], v[146:147], v[74:75]
	v_fma_f64 v[24:25], v[144:145], v[72:73], -v[6:7]
	s_waitcnt vmcnt(13)
	v_mov_b64_e32 v[8:9], v[16:17]
	scratch_load_dwordx4 v[72:75], off, off offset:768
	ds_read_b128 v[112:115], v2 offset:1472
	ds_read_b128 v[116:119], v2 offset:1488
	v_mov_b64_e32 v[10:11], v[18:19]
	s_waitcnt lgkmcnt(2)
	v_mul_f64 v[6:7], v[108:109], v[10:11]
	v_fmac_f64_e32 v[6:7], v[110:111], v[8:9]
	v_add_f64 v[0:1], v[0:1], v[6:7]
	v_mul_f64 v[6:7], v[158:159], v[78:79]
	s_waitcnt vmcnt(13)
	v_accvgpr_read_b32 v8, a118
	v_accvgpr_write_b32 a149, v19
	v_fma_f64 v[20:21], v[156:157], v[76:77], -v[6:7]
	v_accvgpr_read_b32 v10, a120
	v_accvgpr_read_b32 v11, a121
	v_mul_f64 v[76:77], v[170:171], v[86:87]
	v_accvgpr_write_b32 a148, v18
	v_accvgpr_write_b32 a147, v17
	;; [unrolled: 1-line block ×3, first 2 shown]
	v_accvgpr_read_b32 v9, a119
	s_waitcnt lgkmcnt(1)
	v_mul_f64 v[6:7], v[112:113], v[10:11]
	v_fma_f64 v[16:17], v[168:169], v[84:85], -v[76:77]
	scratch_load_dwordx4 v[76:79], off, off offset:784
	v_fmac_f64_e32 v[6:7], v[114:115], v[8:9]
	v_accvgpr_write_b32 a145, v15
	v_add_f64 v[0:1], v[0:1], v[6:7]
	v_mul_f64 v[6:7], v[182:183], v[90:91]
	v_mul_f64 v[84:85], v[190:191], v[94:95]
	v_accvgpr_write_b32 a144, v14
	v_accvgpr_write_b32 a143, v13
	;; [unrolled: 1-line block ×3, first 2 shown]
	v_fma_f64 v[18:19], v[180:181], v[88:89], -v[6:7]
	ds_read_b128 v[120:123], v2 offset:1504
	v_fma_f64 v[14:15], v[188:189], v[92:93], -v[84:85]
	scratch_load_dwordx4 v[88:91], off, off offset:800
	scratch_load_dwordx4 v[84:87], off, off offset:816
	v_mul_f64 v[22:23], v[194:195], v[98:99]
	scratch_load_dwordx4 v[92:95], off, off offset:832
	v_fma_f64 v[22:23], v[192:193], v[96:97], -v[22:23]
	v_mul_f64 v[96:97], v[198:199], v[126:127]
	v_fma_f64 v[12:13], v[196:197], v[124:125], -v[96:97]
	scratch_load_dwordx4 v[96:99], off, off offset:848
	s_waitcnt vmcnt(17)
	v_accvgpr_read_b32 v8, a122
	v_accvgpr_read_b32 v10, a124
	;; [unrolled: 1-line block ×4, first 2 shown]
	s_waitcnt lgkmcnt(1)
	v_mul_f64 v[6:7], v[116:117], v[10:11]
	ds_read_b128 v[124:127], v2 offset:1520
	v_fmac_f64_e32 v[6:7], v[118:119], v[8:9]
	s_waitcnt vmcnt(16)
	v_accvgpr_read_b32 v8, a126
	v_mul_f64 v[26:27], v[202:203], v[130:131]
	v_accvgpr_read_b32 v10, a128
	v_accvgpr_read_b32 v11, a129
	v_fma_f64 v[26:27], v[200:201], v[128:129], -v[26:27]
	ds_read_b128 v[128:131], v2 offset:1536
	v_add_f64 v[0:1], v[0:1], v[6:7]
	v_accvgpr_read_b32 v9, a127
	s_waitcnt lgkmcnt(2)
	v_mul_f64 v[6:7], v[120:121], v[10:11]
	v_fmac_f64_e32 v[6:7], v[122:123], v[8:9]
	v_add_f64 v[0:1], v[0:1], v[6:7]
	s_waitcnt vmcnt(15) lgkmcnt(1)
	v_mul_f64 v[6:7], v[124:125], v[236:237]
	s_waitcnt vmcnt(14)
	v_accvgpr_read_b32 v8, a130
	ds_read_b128 v[132:135], v2 offset:1552
	v_fmac_f64_e32 v[6:7], v[126:127], v[234:235]
	v_accvgpr_read_b32 v10, a132
	v_accvgpr_read_b32 v11, a133
	v_add_f64 v[0:1], v[0:1], v[6:7]
	v_accvgpr_read_b32 v9, a131
	s_waitcnt lgkmcnt(1)
	v_mul_f64 v[6:7], v[128:129], v[10:11]
	v_fmac_f64_e32 v[6:7], v[130:131], v[8:9]
	v_add_f64 v[0:1], v[0:1], v[6:7]
	v_mul_f64 v[6:7], v[206:207], v[138:139]
	v_fma_f64 v[10:11], v[204:205], v[136:137], -v[6:7]
	ds_read_b128 v[136:139], v2 offset:1568
	s_waitcnt vmcnt(13) lgkmcnt(1)
	v_mul_f64 v[6:7], v[132:133], v[42:43]
	v_fmac_f64_e32 v[6:7], v[134:135], v[40:41]
	v_add_f64 v[0:1], v[0:1], v[6:7]
	v_mul_f64 v[6:7], v[210:211], v[142:143]
	v_fma_f64 v[30:31], v[208:209], v[140:141], -v[6:7]
	ds_read_b128 v[140:143], v2 offset:1584
	ds_read_b128 v[144:147], v2 offset:1600
	s_waitcnt vmcnt(12) lgkmcnt(2)
	v_mul_f64 v[6:7], v[136:137], v[46:47]
	v_fmac_f64_e32 v[6:7], v[138:139], v[44:45]
	v_add_f64 v[0:1], v[0:1], v[6:7]
	s_waitcnt vmcnt(11) lgkmcnt(1)
	v_mul_f64 v[6:7], v[140:141], v[54:55]
	v_fmac_f64_e32 v[6:7], v[142:143], v[52:53]
	v_add_f64 v[0:1], v[0:1], v[6:7]
	v_mul_f64 v[6:7], v[214:215], v[150:151]
	v_fma_f64 v[8:9], v[212:213], v[148:149], -v[6:7]
	ds_read_b128 v[148:151], v2 offset:1616
	v_mul_f64 v[34:35], v[218:219], v[154:155]
	v_fma_f64 v[34:35], v[216:217], v[152:153], -v[34:35]
	ds_read_b128 v[152:155], v2 offset:1632
	s_waitcnt vmcnt(10) lgkmcnt(2)
	v_mul_f64 v[6:7], v[144:145], v[50:51]
	v_fmac_f64_e32 v[6:7], v[146:147], v[48:49]
	v_add_f64 v[0:1], v[0:1], v[6:7]
	s_waitcnt vmcnt(9) lgkmcnt(1)
	v_mul_f64 v[6:7], v[148:149], v[58:59]
	ds_read_b128 v[156:159], v2 offset:1648
	v_fmac_f64_e32 v[6:7], v[150:151], v[56:57]
	v_add_f64 v[0:1], v[0:1], v[6:7]
	s_waitcnt vmcnt(8) lgkmcnt(1)
	v_mul_f64 v[6:7], v[152:153], v[62:63]
	v_fmac_f64_e32 v[6:7], v[154:155], v[60:61]
	v_add_f64 v[0:1], v[0:1], v[6:7]
	v_mul_f64 v[6:7], v[222:223], v[162:163]
	v_fma_f64 v[4:5], v[220:221], v[160:161], -v[6:7]
	ds_read_b128 v[160:163], v2 offset:1664
	s_waitcnt vmcnt(7) lgkmcnt(1)
	v_mul_f64 v[6:7], v[156:157], v[66:67]
	v_fmac_f64_e32 v[6:7], v[158:159], v[64:65]
	v_add_f64 v[0:1], v[0:1], v[6:7]
	v_mul_f64 v[6:7], v[226:227], v[166:167]
	v_fma_f64 v[6:7], v[224:225], v[164:165], -v[6:7]
	ds_read_b128 v[164:167], v2 offset:1680
	ds_read_b128 v[168:171], v2 offset:1696
	s_waitcnt vmcnt(6) lgkmcnt(2)
	v_mul_f64 v[38:39], v[160:161], v[70:71]
	v_fmac_f64_e32 v[38:39], v[162:163], v[68:69]
	v_add_f64 v[0:1], v[0:1], v[38:39]
	s_waitcnt vmcnt(5) lgkmcnt(1)
	v_mul_f64 v[38:39], v[164:165], v[74:75]
	v_fmac_f64_e32 v[38:39], v[166:167], v[72:73]
	v_add_f64 v[38:39], v[0:1], v[38:39]
	v_mul_f64 v[0:1], v[230:231], v[174:175]
	v_fma_f64 v[0:1], v[228:229], v[172:173], -v[0:1]
	ds_read_b128 v[172:175], v2 offset:1712
	s_waitcnt vmcnt(4) lgkmcnt(1)
	v_mul_f64 v[180:181], v[168:169], v[78:79]
	v_fmac_f64_e32 v[180:181], v[170:171], v[76:77]
	v_mul_f64 v[178:179], v[246:247], v[178:179]
	v_fma_f64 v[238:239], v[244:245], v[176:177], -v[178:179]
	ds_read_b128 v[176:179], v2 offset:1728
	v_add_f64 v[38:39], v[38:39], v[180:181]
	s_waitcnt vmcnt(3) lgkmcnt(1)
	v_mul_f64 v[180:181], v[172:173], v[90:91]
	v_fmac_f64_e32 v[180:181], v[174:175], v[88:89]
	v_add_f64 v[38:39], v[38:39], v[180:181]
	ds_read_b128 v[180:183], v2 offset:1744
	v_mul_f64 v[186:187], v[250:251], v[186:187]
	v_fma_f64 v[244:245], v[248:249], v[184:185], -v[186:187]
	ds_read_b128 v[184:187], v2 offset:1760
	s_waitcnt vmcnt(2) lgkmcnt(2)
	v_mul_f64 v[188:189], v[176:177], v[86:87]
	v_fmac_f64_e32 v[188:189], v[178:179], v[84:85]
	v_add_f64 v[38:39], v[38:39], v[188:189]
	s_waitcnt vmcnt(1) lgkmcnt(1)
	v_mul_f64 v[188:189], v[180:181], v[94:95]
	v_fmac_f64_e32 v[188:189], v[182:183], v[92:93]
	v_add_f64 v[38:39], v[38:39], v[188:189]
	;; [unrolled: 4-line block ×3, first 2 shown]
	scratch_load_dwordx4 v[188:191], off, off offset:864
	ds_read_b128 v[192:195], v2 offset:1776
	ds_read_b128 v[200:203], v2 offset:1792
	;; [unrolled: 1-line block ×5, first 2 shown]
	s_waitcnt vmcnt(0) lgkmcnt(4)
	v_mul_f64 v[196:197], v[192:193], v[190:191]
	v_fmac_f64_e32 v[196:197], v[194:195], v[188:189]
	v_add_f64 v[38:39], v[38:39], v[196:197]
	scratch_load_dwordx4 v[196:199], off, off offset:880
	s_waitcnt vmcnt(0) lgkmcnt(3)
	v_mul_f64 v[204:205], v[200:201], v[198:199]
	v_fmac_f64_e32 v[204:205], v[202:203], v[196:197]
	v_add_f64 v[38:39], v[38:39], v[204:205]
	scratch_load_dwordx4 v[204:207], off, off offset:896
	;; [unrolled: 5-line block ×4, first 2 shown]
	s_waitcnt vmcnt(0) lgkmcnt(0)
	v_mul_f64 v[228:229], v[224:225], v[222:223]
	v_fmac_f64_e32 v[228:229], v[226:227], v[220:221]
	v_add_f64 v[248:249], v[38:39], v[228:229]
	v_add_f64 v[38:39], v[240:241], 0
	;; [unrolled: 1-line block ×8, first 2 shown]
	scratch_load_dwordx4 v[228:231], off, off offset:80
	v_add_f64 v[28:29], v[32:33], v[28:29]
	v_add_f64 v[24:25], v[28:29], v[24:25]
	;; [unrolled: 1-line block ×15, first 2 shown]
	v_accvgpr_read_b32 v6, a134
	v_accvgpr_read_b32 v8, a136
	v_accvgpr_read_b32 v9, a137
	v_add_f64 v[0:1], v[4:5], v[0:1]
	v_accvgpr_read_b32 v7, a135
	v_mul_f64 v[4:5], v[82:83], v[8:9]
	v_add_f64 v[0:1], v[0:1], v[238:239]
	v_fma_f64 v[4:5], v[80:81], v[6:7], -v[4:5]
	v_accvgpr_read_b32 v6, a138
	v_add_f64 v[0:1], v[0:1], v[244:245]
	v_accvgpr_read_b32 v8, a140
	v_accvgpr_read_b32 v9, a141
	v_add_f64 v[0:1], v[0:1], v[4:5]
	v_accvgpr_read_b32 v7, a139
	v_mul_f64 v[4:5], v[102:103], v[8:9]
	v_fma_f64 v[4:5], v[100:101], v[6:7], -v[4:5]
	v_accvgpr_read_b32 v6, a142
	v_accvgpr_read_b32 v8, a144
	v_accvgpr_read_b32 v9, a145
	v_add_f64 v[0:1], v[0:1], v[4:5]
	v_accvgpr_read_b32 v7, a143
	v_mul_f64 v[4:5], v[106:107], v[8:9]
	v_fma_f64 v[4:5], v[104:105], v[6:7], -v[4:5]
	v_accvgpr_read_b32 v6, a146
	;; [unrolled: 7-line block ×5, first 2 shown]
	v_accvgpr_read_b32 v8, a128
	v_accvgpr_read_b32 v9, a129
	v_add_f64 v[0:1], v[0:1], v[4:5]
	v_accvgpr_read_b32 v7, a127
	v_mul_f64 v[4:5], v[122:123], v[8:9]
	v_fma_f64 v[4:5], v[120:121], v[6:7], -v[4:5]
	v_add_f64 v[0:1], v[0:1], v[4:5]
	v_mul_f64 v[4:5], v[126:127], v[236:237]
	v_accvgpr_read_b32 v6, a130
	v_fma_f64 v[4:5], v[124:125], v[234:235], -v[4:5]
	v_accvgpr_read_b32 v8, a132
	v_accvgpr_read_b32 v9, a133
	v_add_f64 v[0:1], v[0:1], v[4:5]
	v_accvgpr_read_b32 v7, a131
	v_mul_f64 v[4:5], v[130:131], v[8:9]
	v_fma_f64 v[4:5], v[128:129], v[6:7], -v[4:5]
	v_add_f64 v[0:1], v[0:1], v[4:5]
	v_mul_f64 v[4:5], v[134:135], v[42:43]
	v_fma_f64 v[4:5], v[132:133], v[40:41], -v[4:5]
	v_add_f64 v[0:1], v[0:1], v[4:5]
	;; [unrolled: 3-line block ×20, first 2 shown]
	s_waitcnt vmcnt(0)
	v_add_f64 v[4:5], v[228:229], -v[0:1]
	v_accvgpr_read_b32 v0, a116
	v_add_f64 v[6:7], v[230:231], -v[248:249]
	v_cmp_lt_u32_e32 vcc, 3, v0
	scratch_store_dwordx4 off, v[4:7], off offset:80
	s_and_saveexec_b64 s[0:1], vcc
	s_cbranch_execz .LBB57_355
; %bb.354:
	scratch_load_dwordx4 v[6:9], off, s71
	v_mov_b32_e32 v3, v2
	v_mov_b32_e32 v4, v2
	;; [unrolled: 1-line block ×3, first 2 shown]
	v_accvgpr_read_b32 v0, a117
	scratch_store_dwordx4 off, v[2:5], off offset:64
	s_waitcnt vmcnt(1)
	ds_write_b128 v0, v[6:9]
.LBB57_355:
	s_or_b64 exec, exec, s[0:1]
	s_waitcnt lgkmcnt(0)
	; wave barrier
	scratch_load_dwordx4 v[40:43], off, off offset:80
	scratch_load_dwordx4 v[44:47], off, off offset:96
	;; [unrolled: 1-line block ×18, first 2 shown]
	ds_read_b128 v[80:83], v2 offset:992
	ds_read_b128 v[204:207], v2 offset:1008
	;; [unrolled: 1-line block ×6, first 2 shown]
	scratch_load_dwordx4 v[148:151], off, off offset:368
	ds_read_b128 v[180:183], v2 offset:1088
	ds_read_b128 v[112:115], v2 offset:1104
	scratch_load_dwordx4 v[152:155], off, off offset:384
	ds_read_b128 v[208:211], v2 offset:1120
	ds_read_b128 v[200:203], v2 offset:1136
	;; [unrolled: 1-line block ×5, first 2 shown]
	scratch_load_dwordx4 v[160:163], off, off offset:400
	ds_read_b128 v[196:199], v2 offset:1200
	ds_read_b128 v[192:195], v2 offset:1216
	;; [unrolled: 1-line block ×4, first 2 shown]
	scratch_load_dwordx4 v[164:167], off, off offset:416
	ds_read_b128 v[168:171], v2 offset:1264
	scratch_load_dwordx4 v[172:175], off, off offset:432
	scratch_load_dwordx4 v[176:179], off, off offset:448
	scratch_load_dwordx4 v[184:187], off, off offset:464
	scratch_load_dwordx4 v[4:7], off, off offset:480
	scratch_load_dwordx4 v[8:11], off, off offset:496
	scratch_load_dwordx4 v[12:15], off, off offset:512
	scratch_load_dwordx4 v[16:19], off, off offset:528
	ds_read_b128 v[228:231], v2 offset:1344
	ds_read_b128 v[232:235], v2 offset:1360
	scratch_load_dwordx4 a[122:125], off, off offset:576
	scratch_load_dwordx4 a[126:129], off, off offset:592
	ds_read_b128 v[236:239], v2 offset:1376
	scratch_load_dwordx4 a[118:121], off, off offset:560
	ds_read_b128 v[224:227], v2 offset:1328
	s_waitcnt vmcnt(31) lgkmcnt(14)
	v_mul_f64 v[0:1], v[80:81], v[42:43]
	s_waitcnt vmcnt(30)
	v_mul_f64 v[20:21], v[204:205], v[46:47]
	v_fmac_f64_e32 v[0:1], v[82:83], v[40:41]
	s_waitcnt vmcnt(29)
	v_mul_f64 v[22:23], v[100:101], v[50:51]
	v_fmac_f64_e32 v[20:21], v[206:207], v[44:45]
	v_add_f64 v[0:1], v[0:1], 0
	v_fmac_f64_e32 v[22:23], v[102:103], v[48:49]
	v_add_f64 v[0:1], v[0:1], v[20:21]
	v_add_f64 v[0:1], v[0:1], v[22:23]
	scratch_load_dwordx4 v[20:23], off, off offset:544
	s_waitcnt vmcnt(29)
	v_mul_f64 v[24:25], v[116:117], v[54:55]
	s_waitcnt vmcnt(28)
	v_mul_f64 v[26:27], v[104:105], v[58:59]
	v_fmac_f64_e32 v[24:25], v[118:119], v[52:53]
	s_waitcnt vmcnt(27)
	v_mul_f64 v[28:29], v[108:109], v[62:63]
	v_fmac_f64_e32 v[26:27], v[106:107], v[56:57]
	v_add_f64 v[0:1], v[0:1], v[24:25]
	s_waitcnt vmcnt(26)
	v_mul_f64 v[30:31], v[180:181], v[66:67]
	v_fmac_f64_e32 v[28:29], v[110:111], v[60:61]
	v_add_f64 v[0:1], v[0:1], v[26:27]
	;; [unrolled: 4-line block ×3, first 2 shown]
	s_waitcnt vmcnt(24) lgkmcnt(13)
	v_mul_f64 v[34:35], v[208:209], v[74:75]
	v_fmac_f64_e32 v[32:33], v[114:115], v[68:69]
	v_add_f64 v[0:1], v[0:1], v[30:31]
	s_waitcnt vmcnt(23) lgkmcnt(12)
	v_mul_f64 v[36:37], v[200:201], v[78:79]
	v_fmac_f64_e32 v[34:35], v[210:211], v[72:73]
	v_add_f64 v[0:1], v[0:1], v[32:33]
	;; [unrolled: 4-line block ×8, first 2 shown]
	ds_read_b128 v[212:215], v2 offset:1280
	s_waitcnt vmcnt(16) lgkmcnt(6)
	v_mul_f64 v[222:223], v[144:145], v[138:139]
	v_fmac_f64_e32 v[220:221], v[158:159], v[128:129]
	v_add_f64 v[0:1], v[0:1], v[218:219]
	ds_read_b128 v[216:219], v2 offset:1296
	v_add_f64 v[0:1], v[0:1], v[220:221]
	v_fmac_f64_e32 v[222:223], v[146:147], v[136:137]
	v_add_f64 v[0:1], v[0:1], v[222:223]
	s_waitcnt vmcnt(15) lgkmcnt(6)
	v_mul_f64 v[24:25], v[168:169], v[142:143]
	ds_read_b128 v[220:223], v2 offset:1312
	v_fmac_f64_e32 v[24:25], v[170:171], v[140:141]
	v_add_f64 v[0:1], v[0:1], v[24:25]
	s_waitcnt vmcnt(14) lgkmcnt(2)
	v_mul_f64 v[24:25], v[212:213], v[150:151]
	v_fmac_f64_e32 v[24:25], v[214:215], v[148:149]
	s_waitcnt vmcnt(13) lgkmcnt(1)
	v_mul_f64 v[28:29], v[216:217], v[154:155]
	v_add_f64 v[0:1], v[0:1], v[24:25]
	v_fmac_f64_e32 v[28:29], v[218:219], v[152:153]
	v_add_f64 v[0:1], v[0:1], v[28:29]
	s_waitcnt vmcnt(12) lgkmcnt(0)
	v_mul_f64 v[28:29], v[220:221], v[162:163]
	v_fmac_f64_e32 v[28:29], v[222:223], v[160:161]
	s_waitcnt vmcnt(11)
	v_mul_f64 v[32:33], v[224:225], v[166:167]
	v_add_f64 v[0:1], v[0:1], v[28:29]
	v_fmac_f64_e32 v[32:33], v[226:227], v[164:165]
	v_add_f64 v[0:1], v[0:1], v[32:33]
	s_waitcnt vmcnt(10)
	v_mul_f64 v[32:33], v[228:229], v[174:175]
	v_fmac_f64_e32 v[32:33], v[230:231], v[172:173]
	s_waitcnt vmcnt(9)
	v_mul_f64 v[36:37], v[232:233], v[178:179]
	v_add_f64 v[0:1], v[0:1], v[32:33]
	v_fmac_f64_e32 v[36:37], v[234:235], v[176:177]
	v_mul_f64 v[42:43], v[82:83], v[42:43]
	v_add_f64 v[0:1], v[0:1], v[36:37]
	scratch_load_dwordx4 v[36:39], off, off offset:608
	v_fma_f64 v[240:241], v[80:81], v[40:41], -v[42:43]
	ds_read_b128 v[80:83], v2 offset:1392
	s_waitcnt vmcnt(9)
	v_mul_f64 v[40:41], v[236:237], v[186:187]
	v_fmac_f64_e32 v[40:41], v[238:239], v[184:185]
	v_add_f64 v[0:1], v[0:1], v[40:41]
	v_mul_f64 v[40:41], v[206:207], v[46:47]
	v_fma_f64 v[242:243], v[204:205], v[44:45], -v[40:41]
	scratch_load_dwordx4 v[40:43], off, off offset:624
	s_waitcnt vmcnt(9) lgkmcnt(0)
	v_mul_f64 v[44:45], v[80:81], v[6:7]
	v_fmac_f64_e32 v[44:45], v[82:83], v[4:5]
	v_add_f64 v[0:1], v[0:1], v[44:45]
	scratch_load_dwordx4 v[44:47], off, off offset:640
	v_mul_f64 v[50:51], v[102:103], v[50:51]
	v_fma_f64 v[248:249], v[100:101], v[48:49], -v[50:51]
	ds_read_b128 v[100:103], v2 offset:1408
	v_mul_f64 v[48:49], v[118:119], v[54:55]
	v_fma_f64 v[250:251], v[116:117], v[52:53], -v[48:49]
	scratch_load_dwordx4 v[52:55], off, off offset:656
	scratch_load_dwordx4 v[48:51], off, off offset:672
	v_accvgpr_write_b32 a133, v7
	v_accvgpr_write_b32 a132, v6
	;; [unrolled: 1-line block ×4, first 2 shown]
	s_waitcnt vmcnt(11)
	v_mov_b64_e32 v[4:5], v[8:9]
	v_mul_f64 v[58:59], v[106:107], v[58:59]
	v_mov_b64_e32 v[6:7], v[10:11]
	v_fma_f64 v[252:253], v[104:105], v[56:57], -v[58:59]
	s_waitcnt lgkmcnt(0)
	v_mul_f64 v[56:57], v[100:101], v[6:7]
	ds_read_b128 v[104:107], v2 offset:1424
	v_fmac_f64_e32 v[56:57], v[102:103], v[4:5]
	v_add_f64 v[0:1], v[0:1], v[56:57]
	v_mul_f64 v[56:57], v[110:111], v[62:63]
	v_fma_f64 v[254:255], v[108:109], v[60:61], -v[56:57]
	scratch_load_dwordx4 v[56:59], off, off offset:688
	scratch_load_dwordx4 v[60:63], off, off offset:704
	s_waitcnt vmcnt(12)
	v_mov_b64_e32 v[4:5], v[12:13]
	v_mul_f64 v[66:67], v[182:183], v[66:67]
	v_mov_b64_e32 v[6:7], v[14:15]
	v_fma_f64 v[244:245], v[180:181], v[64:65], -v[66:67]
	v_mul_f64 v[64:65], v[114:115], v[70:71]
	v_fma_f64 v[32:33], v[112:113], v[68:69], -v[64:65]
	ds_read_b128 v[112:115], v2 offset:1456
	s_waitcnt lgkmcnt(1)
	v_mul_f64 v[108:109], v[104:105], v[6:7]
	v_fmac_f64_e32 v[108:109], v[106:107], v[4:5]
	v_add_f64 v[0:1], v[0:1], v[108:109]
	ds_read_b128 v[108:111], v2 offset:1440
	ds_read_b128 v[116:119], v2 offset:1472
	scratch_load_dwordx4 v[64:67], off, off offset:720
	scratch_load_dwordx4 v[68:71], off, off offset:736
	v_mul_f64 v[6:7], v[210:211], v[74:75]
	v_fma_f64 v[28:29], v[208:209], v[72:73], -v[6:7]
	s_waitcnt vmcnt(13)
	v_mov_b64_e32 v[4:5], v[16:17]
	v_mov_b64_e32 v[6:7], v[18:19]
	s_waitcnt lgkmcnt(1)
	v_mul_f64 v[72:73], v[108:109], v[6:7]
	v_fmac_f64_e32 v[72:73], v[110:111], v[4:5]
	v_add_f64 v[0:1], v[0:1], v[72:73]
	v_mul_f64 v[72:73], v[202:203], v[78:79]
	v_fma_f64 v[24:25], v[200:201], v[76:77], -v[72:73]
	scratch_load_dwordx4 v[72:75], off, off offset:752
	s_waitcnt vmcnt(10)
	v_mov_b64_e32 v[4:5], v[20:21]
	v_accvgpr_write_b32 a137, v11
	v_mov_b64_e32 v[6:7], v[22:23]
	v_mul_f64 v[76:77], v[190:191], v[86:87]
	v_accvgpr_write_b32 a136, v10
	v_accvgpr_write_b32 a135, v9
	;; [unrolled: 1-line block ×3, first 2 shown]
	v_mul_f64 v[10:11], v[112:113], v[6:7]
	v_fma_f64 v[246:247], v[188:189], v[84:85], -v[76:77]
	scratch_load_dwordx4 v[76:79], off, off offset:768
	v_fmac_f64_e32 v[10:11], v[114:115], v[4:5]
	v_accvgpr_write_b32 a149, v23
	v_add_f64 v[0:1], v[0:1], v[10:11]
	v_mul_f64 v[10:11], v[122:123], v[90:91]
	v_accvgpr_write_b32 a148, v22
	v_accvgpr_write_b32 a147, v21
	v_accvgpr_write_b32 a146, v20
	v_fma_f64 v[20:21], v[120:121], v[88:89], -v[10:11]
	ds_read_b128 v[120:123], v2 offset:1488
	scratch_load_dwordx4 v[88:91], off, off offset:784
	scratch_load_dwordx4 v[84:87], off, off offset:800
	v_accvgpr_write_b32 a141, v15
	v_accvgpr_write_b32 a140, v14
	;; [unrolled: 1-line block ×5, first 2 shown]
	v_mul_f64 v[14:15], v[134:135], v[94:95]
	v_accvgpr_write_b32 a144, v18
	v_accvgpr_write_b32 a143, v17
	;; [unrolled: 1-line block ×3, first 2 shown]
	v_fma_f64 v[16:17], v[132:133], v[92:93], -v[14:15]
	v_mul_f64 v[92:93], v[198:199], v[98:99]
	v_fma_f64 v[14:15], v[196:197], v[96:97], -v[92:93]
	scratch_load_dwordx4 v[92:95], off, off offset:816
	v_mul_f64 v[96:97], v[158:159], v[130:131]
	v_fma_f64 v[12:13], v[156:157], v[128:129], -v[96:97]
	scratch_load_dwordx4 v[96:99], off, off offset:832
	v_accvgpr_read_b32 v4, a118
	v_accvgpr_read_b32 v6, a120
	;; [unrolled: 1-line block ×4, first 2 shown]
	s_waitcnt lgkmcnt(1)
	v_mul_f64 v[10:11], v[116:117], v[6:7]
	v_mul_f64 v[18:19], v[194:195], v[126:127]
	v_fmac_f64_e32 v[10:11], v[118:119], v[4:5]
	v_accvgpr_read_b32 v4, a122
	v_fma_f64 v[18:19], v[192:193], v[124:125], -v[18:19]
	ds_read_b128 v[124:127], v2 offset:1504
	ds_read_b128 v[128:131], v2 offset:1520
	v_accvgpr_read_b32 v6, a124
	v_accvgpr_read_b32 v7, a125
	v_add_f64 v[0:1], v[0:1], v[10:11]
	v_accvgpr_read_b32 v5, a123
	s_waitcnt lgkmcnt(2)
	v_mul_f64 v[10:11], v[120:121], v[6:7]
	v_fmac_f64_e32 v[10:11], v[122:123], v[4:5]
	v_accvgpr_read_b32 v4, a126
	v_accvgpr_read_b32 v6, a128
	;; [unrolled: 1-line block ×3, first 2 shown]
	v_add_f64 v[0:1], v[0:1], v[10:11]
	v_accvgpr_read_b32 v5, a127
	s_waitcnt lgkmcnt(1)
	v_mul_f64 v[10:11], v[124:125], v[6:7]
	ds_read_b128 v[132:135], v2 offset:1536
	v_fmac_f64_e32 v[10:11], v[126:127], v[4:5]
	v_add_f64 v[0:1], v[0:1], v[10:11]
	s_waitcnt vmcnt(14) lgkmcnt(1)
	v_mul_f64 v[10:11], v[128:129], v[38:39]
	v_fmac_f64_e32 v[10:11], v[130:131], v[36:37]
	v_add_f64 v[0:1], v[0:1], v[10:11]
	v_mul_f64 v[10:11], v[146:147], v[138:139]
	v_fma_f64 v[22:23], v[144:145], v[136:137], -v[10:11]
	ds_read_b128 v[136:139], v2 offset:1552
	s_waitcnt vmcnt(13) lgkmcnt(1)
	v_mul_f64 v[10:11], v[132:133], v[42:43]
	v_fmac_f64_e32 v[10:11], v[134:135], v[40:41]
	v_add_f64 v[0:1], v[0:1], v[10:11]
	v_mul_f64 v[10:11], v[170:171], v[142:143]
	v_fma_f64 v[8:9], v[168:169], v[140:141], -v[10:11]
	ds_read_b128 v[140:143], v2 offset:1568
	ds_read_b128 v[144:147], v2 offset:1584
	s_waitcnt vmcnt(12) lgkmcnt(2)
	v_mul_f64 v[10:11], v[136:137], v[46:47]
	v_fmac_f64_e32 v[10:11], v[138:139], v[44:45]
	v_add_f64 v[0:1], v[0:1], v[10:11]
	s_waitcnt vmcnt(11) lgkmcnt(1)
	v_mul_f64 v[10:11], v[140:141], v[54:55]
	v_fmac_f64_e32 v[10:11], v[142:143], v[52:53]
	v_add_f64 v[0:1], v[0:1], v[10:11]
	v_mul_f64 v[10:11], v[214:215], v[150:151]
	v_fma_f64 v[26:27], v[212:213], v[148:149], -v[10:11]
	ds_read_b128 v[148:151], v2 offset:1600
	v_mul_f64 v[154:155], v[218:219], v[154:155]
	v_fma_f64 v[6:7], v[216:217], v[152:153], -v[154:155]
	ds_read_b128 v[152:155], v2 offset:1616
	s_waitcnt vmcnt(10) lgkmcnt(2)
	v_mul_f64 v[10:11], v[144:145], v[50:51]
	v_fmac_f64_e32 v[10:11], v[146:147], v[48:49]
	v_add_f64 v[0:1], v[0:1], v[10:11]
	s_waitcnt vmcnt(9) lgkmcnt(1)
	v_mul_f64 v[10:11], v[148:149], v[58:59]
	ds_read_b128 v[156:159], v2 offset:1632
	v_fmac_f64_e32 v[10:11], v[150:151], v[56:57]
	v_add_f64 v[0:1], v[0:1], v[10:11]
	s_waitcnt vmcnt(8) lgkmcnt(1)
	v_mul_f64 v[10:11], v[152:153], v[62:63]
	v_fmac_f64_e32 v[10:11], v[154:155], v[60:61]
	v_add_f64 v[0:1], v[0:1], v[10:11]
	v_mul_f64 v[10:11], v[222:223], v[162:163]
	v_fma_f64 v[30:31], v[220:221], v[160:161], -v[10:11]
	ds_read_b128 v[160:163], v2 offset:1648
	s_waitcnt vmcnt(7) lgkmcnt(1)
	v_mul_f64 v[10:11], v[156:157], v[66:67]
	v_fmac_f64_e32 v[10:11], v[158:159], v[64:65]
	v_add_f64 v[0:1], v[0:1], v[10:11]
	v_mul_f64 v[10:11], v[226:227], v[166:167]
	v_fma_f64 v[4:5], v[224:225], v[164:165], -v[10:11]
	ds_read_b128 v[164:167], v2 offset:1664
	ds_read_b128 v[168:171], v2 offset:1680
	s_waitcnt vmcnt(6) lgkmcnt(2)
	v_mul_f64 v[10:11], v[160:161], v[70:71]
	v_fmac_f64_e32 v[10:11], v[162:163], v[68:69]
	v_add_f64 v[0:1], v[0:1], v[10:11]
	s_waitcnt vmcnt(5) lgkmcnt(1)
	v_mul_f64 v[10:11], v[164:165], v[74:75]
	v_fmac_f64_e32 v[10:11], v[166:167], v[72:73]
	v_add_f64 v[10:11], v[0:1], v[10:11]
	v_mul_f64 v[0:1], v[230:231], v[174:175]
	v_fma_f64 v[34:35], v[228:229], v[172:173], -v[0:1]
	ds_read_b128 v[172:175], v2 offset:1696
	s_waitcnt vmcnt(4) lgkmcnt(1)
	v_mul_f64 v[180:181], v[168:169], v[78:79]
	v_fmac_f64_e32 v[180:181], v[170:171], v[76:77]
	v_mul_f64 v[0:1], v[234:235], v[178:179]
	v_fma_f64 v[0:1], v[232:233], v[176:177], -v[0:1]
	ds_read_b128 v[176:179], v2 offset:1712
	v_add_f64 v[10:11], v[10:11], v[180:181]
	s_waitcnt vmcnt(3) lgkmcnt(1)
	v_mul_f64 v[180:181], v[172:173], v[90:91]
	v_fmac_f64_e32 v[180:181], v[174:175], v[88:89]
	v_add_f64 v[188:189], v[10:11], v[180:181]
	ds_read_b128 v[180:183], v2 offset:1728
	v_mul_f64 v[10:11], v[238:239], v[186:187]
	v_fma_f64 v[10:11], v[236:237], v[184:185], -v[10:11]
	ds_read_b128 v[184:187], v2 offset:1744
	s_waitcnt vmcnt(2) lgkmcnt(2)
	v_mul_f64 v[190:191], v[176:177], v[86:87]
	v_fmac_f64_e32 v[190:191], v[178:179], v[84:85]
	v_add_f64 v[188:189], v[188:189], v[190:191]
	s_waitcnt vmcnt(1) lgkmcnt(1)
	v_mul_f64 v[190:191], v[180:181], v[94:95]
	v_fmac_f64_e32 v[190:191], v[182:183], v[92:93]
	v_add_f64 v[188:189], v[188:189], v[190:191]
	;; [unrolled: 4-line block ×3, first 2 shown]
	scratch_load_dwordx4 v[188:191], off, off offset:848
	scratch_load_dwordx4 v[232:235], off, off offset:928
	ds_read_b128 v[192:195], v2 offset:1760
	ds_read_b128 v[200:203], v2 offset:1776
	;; [unrolled: 1-line block ×5, first 2 shown]
	s_waitcnt vmcnt(1) lgkmcnt(4)
	v_mul_f64 v[198:199], v[192:193], v[190:191]
	v_fmac_f64_e32 v[198:199], v[194:195], v[188:189]
	v_add_f64 v[204:205], v[196:197], v[198:199]
	scratch_load_dwordx4 v[196:199], off, off offset:864
	s_waitcnt vmcnt(0) lgkmcnt(3)
	v_mul_f64 v[206:207], v[200:201], v[198:199]
	v_fmac_f64_e32 v[206:207], v[202:203], v[196:197]
	v_add_f64 v[212:213], v[204:205], v[206:207]
	scratch_load_dwordx4 v[204:207], off, off offset:880
	;; [unrolled: 5-line block ×4, first 2 shown]
	s_waitcnt vmcnt(0) lgkmcnt(0)
	v_mul_f64 v[230:231], v[224:225], v[222:223]
	v_fmac_f64_e32 v[230:231], v[226:227], v[220:221]
	v_add_f64 v[236:237], v[228:229], v[230:231]
	ds_read_b128 v[228:231], v2 offset:1840
	s_waitcnt lgkmcnt(0)
	v_mul_f64 v[2:3], v[228:229], v[234:235]
	v_fmac_f64_e32 v[2:3], v[230:231], v[232:233]
	v_add_f64 v[2:3], v[236:237], v[2:3]
	v_add_f64 v[236:237], v[240:241], 0
	;; [unrolled: 1-line block ×11, first 2 shown]
	scratch_load_dwordx4 v[236:239], off, off offset:64
	v_add_f64 v[24:25], v[24:25], v[246:247]
	v_add_f64 v[20:21], v[24:25], v[20:21]
	;; [unrolled: 1-line block ×12, first 2 shown]
	v_accvgpr_read_b32 v6, a130
	v_accvgpr_read_b32 v8, a132
	;; [unrolled: 1-line block ×3, first 2 shown]
	v_add_f64 v[248:249], v[4:5], v[34:35]
	v_accvgpr_read_b32 v7, a131
	v_mul_f64 v[4:5], v[82:83], v[8:9]
	v_add_f64 v[0:1], v[248:249], v[0:1]
	v_fma_f64 v[4:5], v[80:81], v[6:7], -v[4:5]
	v_accvgpr_read_b32 v6, a134
	v_add_f64 v[0:1], v[0:1], v[10:11]
	v_accvgpr_read_b32 v8, a136
	v_accvgpr_read_b32 v9, a137
	v_add_f64 v[0:1], v[0:1], v[4:5]
	v_accvgpr_read_b32 v7, a135
	v_mul_f64 v[4:5], v[102:103], v[8:9]
	v_fma_f64 v[4:5], v[100:101], v[6:7], -v[4:5]
	v_accvgpr_read_b32 v6, a138
	v_accvgpr_read_b32 v8, a140
	v_accvgpr_read_b32 v9, a141
	v_add_f64 v[0:1], v[0:1], v[4:5]
	v_accvgpr_read_b32 v7, a139
	v_mul_f64 v[4:5], v[106:107], v[8:9]
	v_fma_f64 v[4:5], v[104:105], v[6:7], -v[4:5]
	v_accvgpr_read_b32 v6, a142
	;; [unrolled: 7-line block ×6, first 2 shown]
	v_accvgpr_read_b32 v8, a128
	v_accvgpr_read_b32 v9, a129
	v_add_f64 v[0:1], v[0:1], v[4:5]
	v_accvgpr_read_b32 v7, a127
	v_mul_f64 v[4:5], v[126:127], v[8:9]
	v_fma_f64 v[4:5], v[124:125], v[6:7], -v[4:5]
	v_add_f64 v[0:1], v[0:1], v[4:5]
	v_mul_f64 v[4:5], v[130:131], v[38:39]
	v_fma_f64 v[4:5], v[128:129], v[36:37], -v[4:5]
	v_add_f64 v[0:1], v[0:1], v[4:5]
	;; [unrolled: 3-line block ×22, first 2 shown]
	s_waitcnt vmcnt(0)
	v_add_f64 v[4:5], v[236:237], -v[0:1]
	v_accvgpr_read_b32 v0, a116
	v_add_f64 v[6:7], v[238:239], -v[2:3]
	v_cmp_lt_u32_e32 vcc, 2, v0
	scratch_store_dwordx4 off, v[4:7], off offset:64
	s_and_saveexec_b64 s[0:1], vcc
	s_cbranch_execz .LBB57_357
; %bb.356:
	scratch_load_dwordx4 v[2:5], off, s72
	v_mov_b32_e32 v6, 0
	v_mov_b32_e32 v7, v6
	;; [unrolled: 1-line block ×4, first 2 shown]
	v_accvgpr_read_b32 v0, a117
	scratch_store_dwordx4 off, v[6:9], off offset:48
	s_waitcnt vmcnt(1)
	ds_write_b128 v0, v[2:5]
.LBB57_357:
	s_or_b64 exec, exec, s[0:1]
	s_waitcnt lgkmcnt(0)
	; wave barrier
	scratch_load_dwordx4 v[16:19], off, off offset:64
	scratch_load_dwordx4 v[20:23], off, off offset:80
	;; [unrolled: 1-line block ×30, first 2 shown]
	v_mov_b32_e32 v2, 0
	ds_read_b128 v[84:87], v2 offset:976
	ds_read_b128 v[96:99], v2 offset:992
	;; [unrolled: 1-line block ×17, first 2 shown]
	scratch_load_dwordx4 a[118:121], off, off offset:544
	scratch_load_dwordx4 a[122:125], off, off offset:560
	;; [unrolled: 1-line block ×4, first 2 shown]
	ds_read_b128 v[228:231], v2 offset:1344
	ds_read_b128 v[236:239], v2 offset:1360
	scratch_load_dwordx4 a[134:137], off, off offset:608
	ds_read_b128 v[244:247], v2 offset:1376
	ds_read_b128 v[248:251], v2 offset:1392
	;; [unrolled: 1-line block ×3, first 2 shown]
	s_waitcnt vmcnt(34) lgkmcnt(14)
	v_mul_f64 v[0:1], v[84:85], v[18:19]
	s_waitcnt vmcnt(33)
	v_mul_f64 v[40:41], v[96:97], v[22:23]
	v_fmac_f64_e32 v[0:1], v[86:87], v[16:17]
	s_waitcnt vmcnt(32)
	v_mul_f64 v[42:43], v[104:105], v[26:27]
	v_fmac_f64_e32 v[40:41], v[98:99], v[20:21]
	v_add_f64 v[0:1], v[0:1], 0
	s_waitcnt vmcnt(31)
	v_mul_f64 v[48:49], v[108:109], v[30:31]
	v_fmac_f64_e32 v[42:43], v[106:107], v[24:25]
	v_add_f64 v[0:1], v[0:1], v[40:41]
	;; [unrolled: 4-line block ×6, first 2 shown]
	s_waitcnt vmcnt(26) lgkmcnt(13)
	v_mul_f64 v[206:207], v[140:141], v[62:63]
	v_fmac_f64_e32 v[204:205], v[126:127], v[52:53]
	v_add_f64 v[0:1], v[0:1], v[58:59]
	s_waitcnt vmcnt(25) lgkmcnt(12)
	v_mul_f64 v[208:209], v[152:153], v[66:67]
	v_fmac_f64_e32 v[206:207], v[142:143], v[60:61]
	v_add_f64 v[0:1], v[0:1], v[204:205]
	;; [unrolled: 4-line block ×6, first 2 shown]
	ds_read_b128 v[204:207], v2 offset:1248
	ds_read_b128 v[208:211], v2 offset:1264
	s_waitcnt vmcnt(20) lgkmcnt(9)
	v_mul_f64 v[218:219], v[192:193], v[90:91]
	v_fmac_f64_e32 v[216:217], v[190:191], v[80:81]
	v_add_f64 v[0:1], v[0:1], v[214:215]
	s_waitcnt vmcnt(19) lgkmcnt(8)
	v_mul_f64 v[220:221], v[196:197], v[94:95]
	v_fmac_f64_e32 v[218:219], v[194:195], v[88:89]
	v_add_f64 v[0:1], v[0:1], v[216:217]
	v_fmac_f64_e32 v[220:221], v[198:199], v[92:93]
	v_add_f64 v[0:1], v[0:1], v[218:219]
	s_waitcnt vmcnt(18) lgkmcnt(7)
	v_mul_f64 v[40:41], v[200:201], v[102:103]
	ds_read_b128 v[212:215], v2 offset:1280
	ds_read_b128 v[216:219], v2 offset:1296
	v_add_f64 v[0:1], v[0:1], v[220:221]
	v_fmac_f64_e32 v[40:41], v[202:203], v[100:101]
	v_add_f64 v[0:1], v[0:1], v[40:41]
	s_waitcnt vmcnt(17) lgkmcnt(3)
	v_mul_f64 v[40:41], v[204:205], v[130:131]
	v_fmac_f64_e32 v[40:41], v[206:207], v[128:129]
	ds_read_b128 v[220:223], v2 offset:1312
	v_add_f64 v[0:1], v[0:1], v[40:41]
	s_waitcnt vmcnt(16) lgkmcnt(3)
	v_mul_f64 v[40:41], v[208:209], v[134:135]
	v_fmac_f64_e32 v[40:41], v[210:211], v[132:133]
	s_waitcnt vmcnt(15) lgkmcnt(2)
	v_mul_f64 v[48:49], v[212:213], v[138:139]
	v_add_f64 v[0:1], v[0:1], v[40:41]
	v_fmac_f64_e32 v[48:49], v[214:215], v[136:137]
	s_waitcnt vmcnt(14) lgkmcnt(1)
	v_mul_f64 v[56:57], v[216:217], v[146:147]
	v_add_f64 v[0:1], v[0:1], v[48:49]
	v_fmac_f64_e32 v[56:57], v[218:219], v[144:145]
	v_add_f64 v[0:1], v[0:1], v[56:57]
	s_waitcnt vmcnt(13) lgkmcnt(0)
	v_mul_f64 v[56:57], v[220:221], v[150:151]
	v_fmac_f64_e32 v[56:57], v[222:223], v[148:149]
	v_add_f64 v[0:1], v[0:1], v[56:57]
	s_waitcnt vmcnt(12)
	v_mul_f64 v[56:57], v[224:225], v[158:159]
	v_fmac_f64_e32 v[56:57], v[226:227], v[156:157]
	s_waitcnt vmcnt(11)
	v_mul_f64 v[232:233], v[228:229], v[162:163]
	v_add_f64 v[0:1], v[0:1], v[56:57]
	v_fmac_f64_e32 v[232:233], v[230:231], v[160:161]
	v_add_f64 v[0:1], v[0:1], v[232:233]
	s_waitcnt vmcnt(10)
	v_mul_f64 v[232:233], v[236:237], v[170:171]
	v_mul_f64 v[18:19], v[86:87], v[18:19]
	v_fmac_f64_e32 v[232:233], v[238:239], v[168:169]
	v_fma_f64 v[240:241], v[84:85], v[16:17], -v[18:19]
	s_waitcnt vmcnt(9)
	v_mul_f64 v[84:85], v[244:245], v[174:175]
	v_add_f64 v[0:1], v[0:1], v[232:233]
	v_fmac_f64_e32 v[84:85], v[246:247], v[172:173]
	v_add_f64 v[0:1], v[0:1], v[84:85]
	ds_read_b128 v[84:87], v2 offset:1408
	scratch_load_dwordx4 v[56:59], off, off offset:624
	scratch_load_dwordx4 v[40:43], off, off offset:640
	;; [unrolled: 1-line block ×3, first 2 shown]
	v_mul_f64 v[30:31], v[110:111], v[30:31]
	v_mul_f64 v[22:23], v[98:99], v[22:23]
	;; [unrolled: 1-line block ×3, first 2 shown]
	v_fma_f64 v[254:255], v[108:109], v[28:29], -v[30:31]
	s_waitcnt vmcnt(11)
	v_mul_f64 v[28:29], v[248:249], v[182:183]
	v_fma_f64 v[242:243], v[96:97], v[20:21], -v[22:23]
	v_fma_f64 v[252:253], v[104:105], v[24:25], -v[26:27]
	v_fmac_f64_e32 v[28:29], v[250:251], v[180:181]
	ds_read_b128 v[104:107], v2 offset:1440
	s_waitcnt vmcnt(10) lgkmcnt(1)
	v_mul_f64 v[96:97], v[84:85], v[6:7]
	v_add_f64 v[0:1], v[0:1], v[28:29]
	v_fmac_f64_e32 v[96:97], v[86:87], v[4:5]
	v_add_f64 v[0:1], v[0:1], v[96:97]
	ds_read_b128 v[96:99], v2 offset:1424
	v_mul_f64 v[34:35], v[114:115], v[34:35]
	v_accvgpr_write_b32 a141, v7
	v_mul_f64 v[38:39], v[118:119], v[38:39]
	v_fma_f64 v[232:233], v[112:113], v[32:33], -v[34:35]
	v_accvgpr_write_b32 a140, v6
	v_accvgpr_write_b32 a139, v5
	;; [unrolled: 1-line block ×3, first 2 shown]
	v_fma_f64 v[32:33], v[116:117], v[36:37], -v[38:39]
	scratch_load_dwordx4 v[36:39], off, off offset:672
	v_mul_f64 v[6:7], v[122:123], v[46:47]
	v_mul_f64 v[46:47], v[126:127], v[54:55]
	v_fma_f64 v[28:29], v[120:121], v[44:45], -v[6:7]
	v_fma_f64 v[24:25], v[124:125], v[52:53], -v[46:47]
	scratch_load_dwordx4 v[52:55], off, off offset:688
	ds_read_b128 v[112:115], v2 offset:1472
	s_waitcnt vmcnt(11) lgkmcnt(1)
	v_mul_f64 v[44:45], v[96:97], v[10:11]
	v_fmac_f64_e32 v[44:45], v[98:99], v[8:9]
	v_add_f64 v[0:1], v[0:1], v[44:45]
	scratch_load_dwordx4 v[44:47], off, off offset:704
	s_waitcnt vmcnt(11)
	v_mov_b64_e32 v[4:5], v[12:13]
	v_mov_b64_e32 v[6:7], v[14:15]
	v_accvgpr_write_b32 a145, v11
	v_mul_f64 v[108:109], v[104:105], v[6:7]
	v_accvgpr_write_b32 a144, v10
	v_accvgpr_write_b32 a143, v9
	;; [unrolled: 1-line block ×3, first 2 shown]
	v_mul_f64 v[10:11], v[142:143], v[62:63]
	v_fmac_f64_e32 v[108:109], v[106:107], v[4:5]
	v_fma_f64 v[20:21], v[140:141], v[60:61], -v[10:11]
	scratch_load_dwordx4 v[60:63], off, off offset:720
	v_add_f64 v[0:1], v[0:1], v[108:109]
	ds_read_b128 v[108:111], v2 offset:1456
	v_mul_f64 v[66:67], v[154:155], v[66:67]
	v_fma_f64 v[16:17], v[152:153], v[64:65], -v[66:67]
	scratch_load_dwordx4 v[64:67], off, off offset:736
	s_waitcnt vmcnt(12)
	v_accvgpr_read_b32 v4, a118
	v_accvgpr_write_b32 a149, v15
	v_accvgpr_read_b32 v6, a120
	v_accvgpr_read_b32 v7, a121
	v_accvgpr_write_b32 a148, v14
	v_accvgpr_write_b32 a147, v13
	;; [unrolled: 1-line block ×3, first 2 shown]
	v_mul_f64 v[14:15], v[166:167], v[70:71]
	v_accvgpr_read_b32 v5, a119
	s_waitcnt lgkmcnt(0)
	v_mul_f64 v[116:117], v[108:109], v[6:7]
	v_fma_f64 v[14:15], v[164:165], v[68:69], -v[14:15]
	v_mul_f64 v[68:69], v[178:179], v[74:75]
	v_fmac_f64_e32 v[116:117], v[110:111], v[4:5]
	s_waitcnt vmcnt(11)
	v_accvgpr_read_b32 v4, a122
	v_fma_f64 v[12:13], v[176:177], v[72:73], -v[68:69]
	scratch_load_dwordx4 v[68:71], off, off offset:752
	v_accvgpr_read_b32 v6, a124
	v_accvgpr_read_b32 v7, a125
	;; [unrolled: 1-line block ×3, first 2 shown]
	v_mul_f64 v[18:19], v[112:113], v[6:7]
	v_add_f64 v[0:1], v[0:1], v[116:117]
	v_fmac_f64_e32 v[18:19], v[114:115], v[4:5]
	scratch_load_dwordx4 v[72:75], off, off offset:768
	v_add_f64 v[0:1], v[0:1], v[18:19]
	v_mul_f64 v[18:19], v[186:187], v[78:79]
	v_fma_f64 v[18:19], v[184:185], v[76:77], -v[18:19]
	ds_read_b128 v[116:119], v2 offset:1488
	v_mul_f64 v[76:77], v[190:191], v[82:83]
	v_fma_f64 v[184:185], v[188:189], v[80:81], -v[76:77]
	scratch_load_dwordx4 v[80:83], off, off offset:784
	scratch_load_dwordx4 v[76:79], off, off offset:800
	ds_read_b128 v[120:123], v2 offset:1504
	s_waitcnt vmcnt(14)
	v_accvgpr_read_b32 v4, a126
	v_mul_f64 v[90:91], v[194:195], v[90:91]
	v_accvgpr_read_b32 v6, a128
	v_accvgpr_read_b32 v7, a129
	v_fma_f64 v[186:187], v[192:193], v[88:89], -v[90:91]
	v_accvgpr_read_b32 v5, a127
	s_waitcnt lgkmcnt(1)
	v_mul_f64 v[88:89], v[116:117], v[6:7]
	v_fmac_f64_e32 v[88:89], v[118:119], v[4:5]
	s_waitcnt vmcnt(13)
	v_accvgpr_read_b32 v4, a130
	v_add_f64 v[0:1], v[0:1], v[88:89]
	v_mul_f64 v[88:89], v[198:199], v[94:95]
	v_mul_f64 v[22:23], v[202:203], v[102:103]
	v_accvgpr_read_b32 v6, a132
	v_accvgpr_read_b32 v7, a133
	v_fma_f64 v[10:11], v[196:197], v[92:93], -v[88:89]
	scratch_load_dwordx4 v[92:95], off, off offset:816
	scratch_load_dwordx4 v[88:91], off, off offset:832
	v_fma_f64 v[22:23], v[200:201], v[100:101], -v[22:23]
	v_accvgpr_read_b32 v5, a131
	s_waitcnt lgkmcnt(0)
	v_mul_f64 v[100:101], v[120:121], v[6:7]
	v_fmac_f64_e32 v[100:101], v[122:123], v[4:5]
	v_add_f64 v[0:1], v[0:1], v[100:101]
	v_mul_f64 v[100:101], v[206:207], v[130:131]
	v_fma_f64 v[8:9], v[204:205], v[128:129], -v[100:101]
	scratch_load_dwordx4 v[100:103], off, off offset:848
	ds_read_b128 v[124:127], v2 offset:1520
	ds_read_b128 v[128:131], v2 offset:1536
	s_waitcnt vmcnt(15)
	v_accvgpr_read_b32 v4, a134
	v_accvgpr_read_b32 v6, a136
	;; [unrolled: 1-line block ×4, first 2 shown]
	s_waitcnt lgkmcnt(1)
	v_mul_f64 v[26:27], v[124:125], v[6:7]
	v_fmac_f64_e32 v[26:27], v[126:127], v[4:5]
	v_add_f64 v[0:1], v[0:1], v[26:27]
	v_mul_f64 v[26:27], v[210:211], v[134:135]
	v_fma_f64 v[26:27], v[208:209], v[132:133], -v[26:27]
	ds_read_b128 v[132:135], v2 offset:1552
	v_mul_f64 v[138:139], v[214:215], v[138:139]
	v_fma_f64 v[6:7], v[212:213], v[136:137], -v[138:139]
	ds_read_b128 v[136:139], v2 offset:1568
	s_waitcnt vmcnt(14) lgkmcnt(2)
	v_mul_f64 v[140:141], v[128:129], v[58:59]
	v_fmac_f64_e32 v[140:141], v[130:131], v[56:57]
	s_waitcnt vmcnt(13) lgkmcnt(1)
	v_mul_f64 v[30:31], v[132:133], v[42:43]
	v_add_f64 v[0:1], v[0:1], v[140:141]
	v_fmac_f64_e32 v[30:31], v[134:135], v[40:41]
	v_add_f64 v[0:1], v[0:1], v[30:31]
	s_waitcnt vmcnt(12) lgkmcnt(0)
	v_mul_f64 v[30:31], v[136:137], v[50:51]
	v_fmac_f64_e32 v[30:31], v[138:139], v[48:49]
	ds_read_b128 v[140:143], v2 offset:1584
	v_add_f64 v[0:1], v[0:1], v[30:31]
	v_mul_f64 v[30:31], v[218:219], v[146:147]
	v_fma_f64 v[30:31], v[216:217], v[144:145], -v[30:31]
	ds_read_b128 v[144:147], v2 offset:1600
	v_mul_f64 v[150:151], v[222:223], v[150:151]
	v_fma_f64 v[4:5], v[220:221], v[148:149], -v[150:151]
	ds_read_b128 v[148:151], v2 offset:1616
	s_waitcnt vmcnt(11) lgkmcnt(2)
	v_mul_f64 v[152:153], v[140:141], v[38:39]
	v_fmac_f64_e32 v[152:153], v[142:143], v[36:37]
	s_waitcnt vmcnt(10) lgkmcnt(1)
	v_mul_f64 v[34:35], v[144:145], v[54:55]
	v_add_f64 v[0:1], v[0:1], v[152:153]
	v_fmac_f64_e32 v[34:35], v[146:147], v[52:53]
	v_add_f64 v[0:1], v[0:1], v[34:35]
	ds_read_b128 v[152:155], v2 offset:1632
	s_waitcnt vmcnt(9) lgkmcnt(1)
	v_mul_f64 v[34:35], v[148:149], v[46:47]
	v_fmac_f64_e32 v[34:35], v[150:151], v[44:45]
	v_add_f64 v[0:1], v[0:1], v[34:35]
	v_mul_f64 v[34:35], v[226:227], v[158:159]
	v_fma_f64 v[34:35], v[224:225], v[156:157], -v[34:35]
	ds_read_b128 v[156:159], v2 offset:1648
	s_waitcnt vmcnt(8) lgkmcnt(1)
	v_mul_f64 v[164:165], v[152:153], v[62:63]
	v_fmac_f64_e32 v[164:165], v[154:155], v[60:61]
	v_mul_f64 v[162:163], v[230:231], v[162:163]
	v_fma_f64 v[234:235], v[228:229], v[160:161], -v[162:163]
	ds_read_b128 v[160:163], v2 offset:1664
	v_add_f64 v[0:1], v[0:1], v[164:165]
	s_waitcnt vmcnt(7) lgkmcnt(1)
	v_mul_f64 v[164:165], v[156:157], v[66:67]
	v_fmac_f64_e32 v[164:165], v[158:159], v[64:65]
	v_add_f64 v[0:1], v[0:1], v[164:165]
	ds_read_b128 v[164:167], v2 offset:1680
	v_mul_f64 v[170:171], v[238:239], v[170:171]
	v_fma_f64 v[236:237], v[236:237], v[168:169], -v[170:171]
	ds_read_b128 v[168:171], v2 offset:1696
	s_waitcnt vmcnt(6) lgkmcnt(2)
	v_mul_f64 v[176:177], v[160:161], v[70:71]
	v_fmac_f64_e32 v[176:177], v[162:163], v[68:69]
	v_add_f64 v[0:1], v[0:1], v[176:177]
	s_waitcnt vmcnt(5) lgkmcnt(1)
	v_mul_f64 v[176:177], v[164:165], v[74:75]
	v_fmac_f64_e32 v[176:177], v[166:167], v[72:73]
	v_mul_f64 v[174:175], v[246:247], v[174:175]
	v_add_f64 v[0:1], v[0:1], v[176:177]
	v_fma_f64 v[238:239], v[244:245], v[172:173], -v[174:175]
	ds_read_b128 v[172:175], v2 offset:1712
	s_waitcnt vmcnt(4) lgkmcnt(1)
	v_mul_f64 v[176:177], v[168:169], v[82:83]
	v_fmac_f64_e32 v[176:177], v[170:171], v[80:81]
	v_add_f64 v[0:1], v[0:1], v[176:177]
	ds_read_b128 v[176:179], v2 offset:1728
	v_mul_f64 v[182:183], v[250:251], v[182:183]
	v_fma_f64 v[244:245], v[248:249], v[180:181], -v[182:183]
	ds_read_b128 v[180:183], v2 offset:1744
	ds_read_b128 v[248:251], v2 offset:1760
	s_waitcnt vmcnt(3) lgkmcnt(3)
	v_mul_f64 v[188:189], v[172:173], v[78:79]
	v_fmac_f64_e32 v[188:189], v[174:175], v[76:77]
	v_add_f64 v[0:1], v[0:1], v[188:189]
	s_waitcnt vmcnt(2) lgkmcnt(2)
	v_mul_f64 v[188:189], v[176:177], v[94:95]
	v_fmac_f64_e32 v[188:189], v[178:179], v[92:93]
	v_add_f64 v[0:1], v[0:1], v[188:189]
	;; [unrolled: 4-line block ×4, first 2 shown]
	scratch_load_dwordx4 v[188:191], off, off offset:864
	ds_read_b128 v[192:195], v2 offset:1776
	ds_read_b128 v[200:203], v2 offset:1792
	;; [unrolled: 1-line block ×5, first 2 shown]
	s_waitcnt vmcnt(0) lgkmcnt(4)
	v_mul_f64 v[196:197], v[192:193], v[190:191]
	v_fmac_f64_e32 v[196:197], v[194:195], v[188:189]
	v_add_f64 v[0:1], v[0:1], v[196:197]
	scratch_load_dwordx4 v[196:199], off, off offset:880
	s_waitcnt vmcnt(0) lgkmcnt(3)
	v_mul_f64 v[204:205], v[200:201], v[198:199]
	v_fmac_f64_e32 v[204:205], v[202:203], v[196:197]
	v_add_f64 v[0:1], v[0:1], v[204:205]
	scratch_load_dwordx4 v[204:207], off, off offset:896
	;; [unrolled: 5-line block ×4, first 2 shown]
	s_waitcnt vmcnt(0) lgkmcnt(0)
	v_mul_f64 v[228:229], v[224:225], v[222:223]
	v_fmac_f64_e32 v[228:229], v[226:227], v[220:221]
	v_add_f64 v[0:1], v[0:1], v[228:229]
	v_add_f64 v[228:229], v[240:241], 0
	;; [unrolled: 1-line block ×9, first 2 shown]
	scratch_load_dwordx4 v[228:231], off, off offset:48
	v_add_f64 v[20:21], v[24:25], v[20:21]
	v_add_f64 v[16:17], v[20:21], v[16:17]
	v_add_f64 v[14:15], v[16:17], v[14:15]
	v_add_f64 v[12:13], v[14:15], v[12:13]
	v_add_f64 v[12:13], v[12:13], v[18:19]
	v_add_f64 v[12:13], v[12:13], v[184:185]
	v_add_f64 v[12:13], v[12:13], v[186:187]
	v_add_f64 v[10:11], v[12:13], v[10:11]
	v_add_f64 v[10:11], v[10:11], v[22:23]
	v_add_f64 v[8:9], v[10:11], v[8:9]
	v_add_f64 v[8:9], v[8:9], v[26:27]
	v_add_f64 v[6:7], v[8:9], v[6:7]
	v_add_f64 v[6:7], v[6:7], v[30:31]
	v_add_f64 v[4:5], v[6:7], v[4:5]
	v_add_f64 v[246:247], v[4:5], v[34:35]
	v_accvgpr_read_b32 v8, a138
	v_add_f64 v[4:5], v[246:247], v[234:235]
	v_accvgpr_read_b32 v10, a140
	v_accvgpr_read_b32 v11, a141
	v_add_f64 v[4:5], v[4:5], v[236:237]
	v_accvgpr_read_b32 v9, a139
	v_mul_f64 v[6:7], v[86:87], v[10:11]
	v_add_f64 v[4:5], v[4:5], v[238:239]
	v_fma_f64 v[6:7], v[84:85], v[8:9], -v[6:7]
	v_accvgpr_read_b32 v8, a142
	v_add_f64 v[4:5], v[4:5], v[244:245]
	v_accvgpr_read_b32 v10, a144
	v_accvgpr_read_b32 v11, a145
	v_add_f64 v[4:5], v[4:5], v[6:7]
	v_accvgpr_read_b32 v9, a143
	v_mul_f64 v[6:7], v[98:99], v[10:11]
	v_fma_f64 v[6:7], v[96:97], v[8:9], -v[6:7]
	v_accvgpr_read_b32 v8, a146
	v_accvgpr_read_b32 v10, a148
	v_accvgpr_read_b32 v11, a149
	v_add_f64 v[4:5], v[4:5], v[6:7]
	v_accvgpr_read_b32 v9, a147
	v_mul_f64 v[6:7], v[106:107], v[10:11]
	v_fma_f64 v[6:7], v[104:105], v[8:9], -v[6:7]
	v_accvgpr_read_b32 v8, a118
	;; [unrolled: 7-line block ×6, first 2 shown]
	v_accvgpr_read_b32 v10, a136
	v_accvgpr_read_b32 v11, a137
	v_add_f64 v[4:5], v[4:5], v[6:7]
	v_accvgpr_read_b32 v9, a135
	v_mul_f64 v[6:7], v[126:127], v[10:11]
	v_fma_f64 v[6:7], v[124:125], v[8:9], -v[6:7]
	v_add_f64 v[4:5], v[4:5], v[6:7]
	v_mul_f64 v[6:7], v[130:131], v[58:59]
	v_fma_f64 v[6:7], v[128:129], v[56:57], -v[6:7]
	v_add_f64 v[4:5], v[4:5], v[6:7]
	;; [unrolled: 3-line block ×21, first 2 shown]
	s_waitcnt vmcnt(0)
	v_add_f64 v[6:7], v[230:231], -v[0:1]
	v_accvgpr_read_b32 v0, a116
	v_add_f64 v[4:5], v[228:229], -v[4:5]
	v_cmp_lt_u32_e32 vcc, 1, v0
	scratch_store_dwordx4 off, v[4:7], off offset:48
	s_and_saveexec_b64 s[0:1], vcc
	s_cbranch_execz .LBB57_359
; %bb.358:
	scratch_load_dwordx4 v[6:9], off, s73
	v_mov_b32_e32 v3, v2
	v_mov_b32_e32 v4, v2
	;; [unrolled: 1-line block ×3, first 2 shown]
	v_accvgpr_read_b32 v0, a117
	scratch_store_dwordx4 off, v[2:5], off offset:32
	s_waitcnt vmcnt(1)
	ds_write_b128 v0, v[6:9]
.LBB57_359:
	s_or_b64 exec, exec, s[0:1]
	s_waitcnt lgkmcnt(0)
	; wave barrier
	scratch_load_dwordx4 v[16:19], off, off offset:48
	scratch_load_dwordx4 v[20:23], off, off offset:64
	;; [unrolled: 1-line block ×17, first 2 shown]
	ds_read_b128 v[112:115], v2 offset:960
	ds_read_b128 v[96:99], v2 offset:976
	ds_read_b128 v[84:87], v2 offset:992
	scratch_load_dwordx4 v[120:123], off, off offset:320
	ds_read_b128 v[184:187], v2 offset:1008
	ds_read_b128 v[140:143], v2 offset:1024
	ds_read_b128 v[104:107], v2 offset:1040
	scratch_load_dwordx4 v[132:135], off, off offset:336
	ds_read_b128 v[188:191], v2 offset:1056
	ds_read_b128 v[164:167], v2 offset:1072
	ds_read_b128 v[108:111], v2 offset:1088
	scratch_load_dwordx4 v[136:139], off, off offset:352
	ds_read_b128 v[200:203], v2 offset:1104
	ds_read_b128 v[192:195], v2 offset:1120
	;; [unrolled: 1-line block ×5, first 2 shown]
	scratch_load_dwordx4 v[144:147], off, off offset:368
	ds_read_b128 v[180:183], v2 offset:1184
	ds_read_b128 v[152:155], v2 offset:1200
	;; [unrolled: 1-line block ×3, first 2 shown]
	scratch_load_dwordx4 v[148:151], off, off offset:384
	scratch_load_dwordx4 v[156:159], off, off offset:400
	;; [unrolled: 1-line block ×13, first 2 shown]
	ds_read_b128 v[204:207], v2 offset:1232
	scratch_load_dwordx4 a[134:137], off, off offset:592
	scratch_load_dwordx4 a[138:141], off, off offset:608
	ds_read_b128 v[228:231], v2 offset:1328
	ds_read_b128 v[232:235], v2 offset:1344
	;; [unrolled: 1-line block ×4, first 2 shown]
	s_waitcnt vmcnt(35) lgkmcnt(14)
	v_mul_f64 v[0:1], v[112:113], v[18:19]
	s_waitcnt vmcnt(34)
	v_mul_f64 v[48:49], v[96:97], v[22:23]
	v_fmac_f64_e32 v[0:1], v[114:115], v[16:17]
	s_waitcnt vmcnt(33)
	v_mul_f64 v[50:51], v[84:85], v[26:27]
	v_fmac_f64_e32 v[48:49], v[98:99], v[20:21]
	v_add_f64 v[0:1], v[0:1], 0
	s_waitcnt vmcnt(32)
	v_mul_f64 v[56:57], v[184:185], v[30:31]
	v_fmac_f64_e32 v[50:51], v[86:87], v[24:25]
	v_add_f64 v[0:1], v[0:1], v[48:49]
	;; [unrolled: 4-line block ×6, first 2 shown]
	s_waitcnt vmcnt(27) lgkmcnt(13)
	v_mul_f64 v[210:211], v[108:109], v[54:55]
	v_fmac_f64_e32 v[208:209], v[166:167], v[44:45]
	v_add_f64 v[0:1], v[0:1], v[66:67]
	s_waitcnt vmcnt(26) lgkmcnt(12)
	v_mul_f64 v[212:213], v[200:201], v[62:63]
	v_fmac_f64_e32 v[210:211], v[110:111], v[52:53]
	v_add_f64 v[0:1], v[0:1], v[208:209]
	;; [unrolled: 4-line block ×8, first 2 shown]
	ds_read_b128 v[208:211], v2 offset:1248
	v_fmac_f64_e32 v[224:225], v[154:155], v[92:93]
	v_add_f64 v[0:1], v[0:1], v[222:223]
	s_waitcnt vmcnt(19) lgkmcnt(6)
	v_mul_f64 v[48:49], v[128:129], v[102:103]
	ds_read_b128 v[212:215], v2 offset:1264
	ds_read_b128 v[216:219], v2 offset:1280
	v_add_f64 v[0:1], v[0:1], v[224:225]
	v_fmac_f64_e32 v[48:49], v[130:131], v[100:101]
	v_add_f64 v[0:1], v[0:1], v[48:49]
	s_waitcnt vmcnt(18) lgkmcnt(7)
	v_mul_f64 v[48:49], v[204:205], v[122:123]
	v_fmac_f64_e32 v[48:49], v[206:207], v[120:121]
	ds_read_b128 v[220:223], v2 offset:1296
	ds_read_b128 v[224:227], v2 offset:1312
	v_add_f64 v[0:1], v[0:1], v[48:49]
	s_waitcnt vmcnt(17) lgkmcnt(4)
	v_mul_f64 v[48:49], v[208:209], v[134:135]
	v_fmac_f64_e32 v[48:49], v[210:211], v[132:133]
	s_waitcnt vmcnt(16) lgkmcnt(3)
	v_mul_f64 v[56:57], v[212:213], v[138:139]
	v_add_f64 v[0:1], v[0:1], v[48:49]
	v_fmac_f64_e32 v[56:57], v[214:215], v[136:137]
	s_waitcnt vmcnt(15) lgkmcnt(2)
	v_mul_f64 v[64:65], v[216:217], v[146:147]
	v_add_f64 v[0:1], v[0:1], v[56:57]
	v_fmac_f64_e32 v[64:65], v[218:219], v[144:145]
	v_add_f64 v[0:1], v[0:1], v[64:65]
	s_waitcnt vmcnt(14) lgkmcnt(1)
	v_mul_f64 v[64:65], v[220:221], v[150:151]
	v_fmac_f64_e32 v[64:65], v[222:223], v[148:149]
	v_add_f64 v[0:1], v[0:1], v[64:65]
	s_waitcnt vmcnt(13) lgkmcnt(0)
	v_mul_f64 v[64:65], v[224:225], v[158:159]
	v_fmac_f64_e32 v[64:65], v[226:227], v[156:157]
	v_mul_f64 v[30:31], v[186:187], v[30:31]
	v_add_f64 v[0:1], v[0:1], v[64:65]
	v_fma_f64 v[252:253], v[184:185], v[28:29], -v[30:31]
	scratch_load_dwordx4 v[64:67], off, off offset:624
	scratch_load_dwordx4 v[184:187], off, off offset:640
	s_waitcnt vmcnt(14)
	v_mul_f64 v[240:241], v[228:229], v[162:163]
	v_mul_f64 v[26:27], v[86:87], v[26:27]
	v_fmac_f64_e32 v[240:241], v[230:231], v[160:161]
	v_fma_f64 v[250:251], v[84:85], v[24:25], -v[26:27]
	ds_read_b128 v[84:87], v2 offset:1392
	v_add_f64 v[0:1], v[0:1], v[240:241]
	s_waitcnt vmcnt(13)
	v_mul_f64 v[240:241], v[232:233], v[170:171]
	v_fmac_f64_e32 v[240:241], v[234:235], v[168:169]
	v_mul_f64 v[18:19], v[114:115], v[18:19]
	v_add_f64 v[0:1], v[0:1], v[240:241]
	v_fma_f64 v[240:241], v[112:113], v[16:17], -v[18:19]
	s_waitcnt vmcnt(12)
	v_mul_f64 v[112:113], v[236:237], v[174:175]
	v_fmac_f64_e32 v[112:113], v[238:239], v[172:173]
	v_mul_f64 v[22:23], v[98:99], v[22:23]
	s_waitcnt vmcnt(11)
	v_mul_f64 v[28:29], v[246:247], v[198:199]
	v_mul_f64 v[38:39], v[106:107], v[38:39]
	v_add_f64 v[0:1], v[0:1], v[112:113]
	v_fma_f64 v[242:243], v[96:97], v[20:21], -v[22:23]
	v_fmac_f64_e32 v[28:29], v[248:249], v[196:197]
	v_fma_f64 v[244:245], v[104:105], v[36:37], -v[38:39]
	ds_read_b128 v[104:107], v2 offset:1424
	s_waitcnt vmcnt(10) lgkmcnt(1)
	v_mul_f64 v[96:97], v[84:85], v[6:7]
	v_add_f64 v[0:1], v[0:1], v[28:29]
	v_fmac_f64_e32 v[96:97], v[86:87], v[4:5]
	scratch_load_dwordx4 v[56:59], off, off offset:656
	v_mul_f64 v[42:43], v[190:191], v[42:43]
	v_add_f64 v[0:1], v[0:1], v[96:97]
	ds_read_b128 v[96:99], v2 offset:1408
	ds_read_b128 v[112:115], v2 offset:1456
	v_fma_f64 v[42:43], v[188:189], v[40:41], -v[42:43]
	v_mul_f64 v[40:41], v[166:167], v[46:47]
	v_fma_f64 v[36:37], v[164:165], v[44:45], -v[40:41]
	scratch_load_dwordx4 v[44:47], off, off offset:672
	v_accvgpr_write_b32 a145, v7
	v_accvgpr_write_b32 a144, v6
	;; [unrolled: 1-line block ×4, first 2 shown]
	s_waitcnt vmcnt(11) lgkmcnt(1)
	v_mul_f64 v[6:7], v[96:97], v[10:11]
	v_fmac_f64_e32 v[6:7], v[98:99], v[8:9]
	v_accvgpr_write_b32 a149, v11
	v_mul_f64 v[34:35], v[142:143], v[34:35]
	v_accvgpr_write_b32 a148, v10
	v_accvgpr_write_b32 a147, v9
	v_accvgpr_write_b32 a146, v8
	v_add_f64 v[0:1], v[0:1], v[6:7]
	scratch_load_dwordx4 v[48:51], off, off offset:688
	v_mul_f64 v[6:7], v[110:111], v[54:55]
	s_waitcnt vmcnt(11)
	v_mul_f64 v[10:11], v[104:105], v[14:15]
	v_fma_f64 v[254:255], v[140:141], v[32:33], -v[34:35]
	v_fma_f64 v[32:33], v[108:109], v[52:53], -v[6:7]
	v_fmac_f64_e32 v[10:11], v[106:107], v[12:13]
	scratch_load_dwordx4 v[52:55], off, off offset:704
	v_add_f64 v[0:1], v[0:1], v[10:11]
	v_mul_f64 v[10:11], v[202:203], v[62:63]
	ds_read_b128 v[108:111], v2 offset:1440
	v_fma_f64 v[28:29], v[200:201], v[60:61], -v[10:11]
	scratch_load_dwordx4 v[60:63], off, off offset:720
	v_mul_f64 v[70:71], v[194:195], v[70:71]
	v_fma_f64 v[24:25], v[192:193], v[68:69], -v[70:71]
	v_mul_f64 v[68:69], v[178:179], v[74:75]
	s_waitcnt vmcnt(12)
	v_accvgpr_read_b32 v4, a118
	v_fma_f64 v[20:21], v[176:177], v[72:73], -v[68:69]
	scratch_load_dwordx4 v[68:71], off, off offset:736
	v_accvgpr_write_b32 a153, v15
	v_accvgpr_read_b32 v6, a120
	v_accvgpr_read_b32 v7, a121
	v_accvgpr_write_b32 a152, v14
	v_accvgpr_write_b32 a151, v13
	;; [unrolled: 1-line block ×3, first 2 shown]
	v_accvgpr_read_b32 v5, a119
	s_waitcnt lgkmcnt(0)
	v_mul_f64 v[14:15], v[108:109], v[6:7]
	v_fmac_f64_e32 v[14:15], v[110:111], v[4:5]
	s_waitcnt vmcnt(12)
	v_accvgpr_read_b32 v4, a122
	v_accvgpr_read_b32 v6, a124
	;; [unrolled: 1-line block ×3, first 2 shown]
	v_add_f64 v[0:1], v[0:1], v[14:15]
	v_accvgpr_read_b32 v5, a123
	v_mul_f64 v[14:15], v[112:113], v[6:7]
	scratch_load_dwordx4 v[72:75], off, off offset:752
	v_fmac_f64_e32 v[14:15], v[114:115], v[4:5]
	v_add_f64 v[0:1], v[0:1], v[14:15]
	v_mul_f64 v[14:15], v[118:119], v[78:79]
	v_fma_f64 v[16:17], v[116:117], v[76:77], -v[14:15]
	ds_read_b128 v[116:119], v2 offset:1472
	v_mul_f64 v[18:19], v[126:127], v[82:83]
	v_fma_f64 v[18:19], v[124:125], v[80:81], -v[18:19]
	scratch_load_dwordx4 v[80:83], off, off offset:768
	scratch_load_dwordx4 v[76:79], off, off offset:784
	s_waitcnt vmcnt(14)
	v_accvgpr_read_b32 v4, a126
	v_accvgpr_read_b32 v6, a128
	;; [unrolled: 1-line block ×4, first 2 shown]
	s_waitcnt lgkmcnt(0)
	v_mul_f64 v[22:23], v[116:117], v[6:7]
	v_fmac_f64_e32 v[22:23], v[118:119], v[4:5]
	v_mul_f64 v[90:91], v[182:183], v[90:91]
	v_add_f64 v[0:1], v[0:1], v[22:23]
	v_mul_f64 v[22:23], v[154:155], v[94:95]
	v_fma_f64 v[14:15], v[180:181], v[88:89], -v[90:91]
	ds_read_b128 v[124:127], v2 offset:1488
	v_fma_f64 v[22:23], v[152:153], v[92:93], -v[22:23]
	scratch_load_dwordx4 v[92:95], off, off offset:800
	scratch_load_dwordx4 v[88:91], off, off offset:816
	v_mul_f64 v[102:103], v[130:131], v[102:103]
	v_fma_f64 v[12:13], v[128:129], v[100:101], -v[102:103]
	scratch_load_dwordx4 v[100:103], off, off offset:832
	s_waitcnt vmcnt(16)
	v_accvgpr_read_b32 v4, a130
	v_accvgpr_read_b32 v6, a132
	;; [unrolled: 1-line block ×3, first 2 shown]
	ds_read_b128 v[128:131], v2 offset:1504
	v_accvgpr_read_b32 v5, a131
	s_waitcnt lgkmcnt(1)
	v_mul_f64 v[26:27], v[124:125], v[6:7]
	v_fmac_f64_e32 v[26:27], v[126:127], v[4:5]
	v_add_f64 v[0:1], v[0:1], v[26:27]
	v_mul_f64 v[26:27], v[206:207], v[122:123]
	v_fma_f64 v[26:27], v[204:205], v[120:121], -v[26:27]
	ds_read_b128 v[120:123], v2 offset:1520
	s_waitcnt vmcnt(15)
	v_accvgpr_read_b32 v4, a134
	v_accvgpr_read_b32 v6, a136
	v_accvgpr_read_b32 v7, a137
	v_mul_f64 v[134:135], v[210:211], v[134:135]
	v_accvgpr_read_b32 v5, a135
	s_waitcnt lgkmcnt(1)
	v_mul_f64 v[140:141], v[128:129], v[6:7]
	v_fma_f64 v[10:11], v[208:209], v[132:133], -v[134:135]
	ds_read_b128 v[132:135], v2 offset:1536
	v_fmac_f64_e32 v[140:141], v[130:131], v[4:5]
	s_waitcnt vmcnt(14)
	v_accvgpr_read_b32 v4, a138
	v_mul_f64 v[138:139], v[214:215], v[138:139]
	v_accvgpr_read_b32 v6, a140
	v_accvgpr_read_b32 v7, a141
	v_fma_f64 v[8:9], v[212:213], v[136:137], -v[138:139]
	ds_read_b128 v[136:139], v2 offset:1552
	v_accvgpr_read_b32 v5, a139
	s_waitcnt lgkmcnt(2)
	v_mul_f64 v[30:31], v[120:121], v[6:7]
	v_add_f64 v[0:1], v[0:1], v[140:141]
	v_fmac_f64_e32 v[30:31], v[122:123], v[4:5]
	v_add_f64 v[0:1], v[0:1], v[30:31]
	s_waitcnt vmcnt(13) lgkmcnt(1)
	v_mul_f64 v[30:31], v[132:133], v[66:67]
	s_waitcnt vmcnt(12)
	v_mov_b64_e32 v[4:5], v[184:185]
	v_fmac_f64_e32 v[30:31], v[134:135], v[64:65]
	v_mov_b64_e32 v[6:7], v[186:187]
	v_add_f64 v[0:1], v[0:1], v[30:31]
	s_waitcnt lgkmcnt(0)
	v_mul_f64 v[30:31], v[136:137], v[6:7]
	v_fmac_f64_e32 v[30:31], v[138:139], v[4:5]
	ds_read_b128 v[140:143], v2 offset:1568
	v_add_f64 v[0:1], v[0:1], v[30:31]
	v_mul_f64 v[30:31], v[218:219], v[146:147]
	v_fma_f64 v[30:31], v[216:217], v[144:145], -v[30:31]
	ds_read_b128 v[144:147], v2 offset:1584
	s_waitcnt vmcnt(11) lgkmcnt(1)
	v_mul_f64 v[34:35], v[140:141], v[58:59]
	v_fmac_f64_e32 v[34:35], v[142:143], v[56:57]
	v_add_f64 v[0:1], v[0:1], v[34:35]
	v_mul_f64 v[34:35], v[222:223], v[150:151]
	s_waitcnt vmcnt(10) lgkmcnt(0)
	v_mul_f64 v[152:153], v[144:145], v[46:47]
	v_fma_f64 v[34:35], v[220:221], v[148:149], -v[34:35]
	ds_read_b128 v[148:151], v2 offset:1600
	v_fmac_f64_e32 v[152:153], v[146:147], v[44:45]
	v_add_f64 v[0:1], v[0:1], v[152:153]
	ds_read_b128 v[152:155], v2 offset:1616
	v_mul_f64 v[158:159], v[226:227], v[158:159]
	v_fma_f64 v[6:7], v[224:225], v[156:157], -v[158:159]
	ds_read_b128 v[156:159], v2 offset:1632
	v_mul_f64 v[162:163], v[230:231], v[162:163]
	s_waitcnt vmcnt(9) lgkmcnt(2)
	v_mul_f64 v[164:165], v[148:149], v[50:51]
	v_fma_f64 v[4:5], v[228:229], v[160:161], -v[162:163]
	ds_read_b128 v[160:163], v2 offset:1648
	v_fmac_f64_e32 v[164:165], v[150:151], v[48:49]
	s_waitcnt vmcnt(8) lgkmcnt(2)
	v_mul_f64 v[38:39], v[152:153], v[54:55]
	v_add_f64 v[0:1], v[0:1], v[164:165]
	v_fmac_f64_e32 v[38:39], v[154:155], v[52:53]
	v_add_f64 v[0:1], v[0:1], v[38:39]
	s_waitcnt vmcnt(7) lgkmcnt(1)
	v_mul_f64 v[38:39], v[156:157], v[62:63]
	v_fmac_f64_e32 v[38:39], v[158:159], v[60:61]
	v_add_f64 v[0:1], v[0:1], v[38:39]
	s_waitcnt vmcnt(6) lgkmcnt(0)
	v_mul_f64 v[38:39], v[160:161], v[70:71]
	ds_read_b128 v[164:167], v2 offset:1664
	v_fmac_f64_e32 v[38:39], v[162:163], v[68:69]
	v_add_f64 v[0:1], v[0:1], v[38:39]
	v_mul_f64 v[38:39], v[234:235], v[170:171]
	v_fma_f64 v[38:39], v[232:233], v[168:169], -v[38:39]
	ds_read_b128 v[168:171], v2 offset:1680
	s_waitcnt vmcnt(5) lgkmcnt(1)
	v_mul_f64 v[40:41], v[164:165], v[74:75]
	v_fmac_f64_e32 v[40:41], v[166:167], v[72:73]
	v_add_f64 v[40:41], v[0:1], v[40:41]
	v_mul_f64 v[0:1], v[238:239], v[174:175]
	v_fma_f64 v[0:1], v[236:237], v[172:173], -v[0:1]
	ds_read_b128 v[172:175], v2 offset:1696
	s_waitcnt vmcnt(4) lgkmcnt(1)
	v_mul_f64 v[176:177], v[168:169], v[82:83]
	v_fmac_f64_e32 v[176:177], v[170:171], v[80:81]
	v_add_f64 v[40:41], v[40:41], v[176:177]
	ds_read_b128 v[176:179], v2 offset:1712
	v_mul_f64 v[180:181], v[248:249], v[198:199]
	v_accvgpr_write_b32 a154, v184
	v_fma_f64 v[246:247], v[246:247], v[196:197], -v[180:181]
	ds_read_b128 v[180:183], v2 offset:1728
	ds_read_b128 v[192:195], v2 offset:1760
	v_accvgpr_write_b32 a155, v185
	v_accvgpr_write_b32 a156, v186
	;; [unrolled: 1-line block ×3, first 2 shown]
	s_waitcnt vmcnt(3) lgkmcnt(3)
	v_mul_f64 v[184:185], v[172:173], v[78:79]
	v_fmac_f64_e32 v[184:185], v[174:175], v[76:77]
	v_add_f64 v[40:41], v[40:41], v[184:185]
	s_waitcnt vmcnt(2) lgkmcnt(2)
	v_mul_f64 v[184:185], v[176:177], v[94:95]
	v_fmac_f64_e32 v[184:185], v[178:179], v[92:93]
	v_add_f64 v[40:41], v[40:41], v[184:185]
	s_waitcnt vmcnt(1) lgkmcnt(1)
	v_mul_f64 v[184:185], v[180:181], v[90:91]
	v_fmac_f64_e32 v[184:185], v[182:183], v[88:89]
	v_add_f64 v[40:41], v[40:41], v[184:185]
	ds_read_b128 v[184:187], v2 offset:1744
	ds_read_b128 v[200:203], v2 offset:1776
	scratch_load_dwordx4 v[236:239], off, off offset:32
	scratch_load_dwordx4 v[232:235], off, off offset:928
	ds_read_b128 v[208:211], v2 offset:1792
	ds_read_b128 v[216:219], v2 offset:1808
	s_waitcnt vmcnt(2) lgkmcnt(3)
	v_mul_f64 v[188:189], v[184:185], v[102:103]
	v_fmac_f64_e32 v[188:189], v[186:187], v[100:101]
	v_add_f64 v[40:41], v[40:41], v[188:189]
	scratch_load_dwordx4 v[188:191], off, off offset:848
	ds_read_b128 v[224:227], v2 offset:1824
	s_waitcnt vmcnt(0)
	v_mul_f64 v[196:197], v[192:193], v[190:191]
	v_fmac_f64_e32 v[196:197], v[194:195], v[188:189]
	v_add_f64 v[40:41], v[40:41], v[196:197]
	scratch_load_dwordx4 v[196:199], off, off offset:864
	s_waitcnt vmcnt(0) lgkmcnt(3)
	v_mul_f64 v[204:205], v[200:201], v[198:199]
	v_fmac_f64_e32 v[204:205], v[202:203], v[196:197]
	v_add_f64 v[40:41], v[40:41], v[204:205]
	scratch_load_dwordx4 v[204:207], off, off offset:880
	s_waitcnt vmcnt(0) lgkmcnt(2)
	;; [unrolled: 5-line block ×4, first 2 shown]
	v_mul_f64 v[228:229], v[224:225], v[222:223]
	v_fmac_f64_e32 v[228:229], v[226:227], v[220:221]
	v_add_f64 v[40:41], v[40:41], v[228:229]
	ds_read_b128 v[228:231], v2 offset:1840
	s_waitcnt lgkmcnt(0)
	v_mul_f64 v[2:3], v[228:229], v[234:235]
	v_fmac_f64_e32 v[2:3], v[230:231], v[232:233]
	v_add_f64 v[2:3], v[40:41], v[2:3]
	v_add_f64 v[40:41], v[240:241], 0
	;; [unrolled: 1-line block ×25, first 2 shown]
	v_accvgpr_read_b32 v6, a142
	v_accvgpr_read_b32 v8, a144
	;; [unrolled: 1-line block ×3, first 2 shown]
	v_add_f64 v[248:249], v[4:5], v[38:39]
	v_accvgpr_read_b32 v7, a143
	v_mul_f64 v[4:5], v[86:87], v[8:9]
	v_add_f64 v[0:1], v[248:249], v[0:1]
	v_fma_f64 v[4:5], v[84:85], v[6:7], -v[4:5]
	v_accvgpr_read_b32 v6, a146
	v_add_f64 v[0:1], v[0:1], v[246:247]
	v_accvgpr_read_b32 v8, a148
	v_accvgpr_read_b32 v9, a149
	v_add_f64 v[0:1], v[0:1], v[4:5]
	v_accvgpr_read_b32 v7, a147
	v_mul_f64 v[4:5], v[98:99], v[8:9]
	v_fma_f64 v[4:5], v[96:97], v[6:7], -v[4:5]
	v_accvgpr_read_b32 v6, a150
	v_accvgpr_read_b32 v8, a152
	v_accvgpr_read_b32 v9, a153
	v_add_f64 v[0:1], v[0:1], v[4:5]
	v_accvgpr_read_b32 v7, a151
	v_mul_f64 v[4:5], v[106:107], v[8:9]
	v_fma_f64 v[4:5], v[104:105], v[6:7], -v[4:5]
	v_accvgpr_read_b32 v6, a118
	;; [unrolled: 7-line block ×7, first 2 shown]
	v_accvgpr_read_b32 v8, a140
	v_accvgpr_read_b32 v9, a141
	v_add_f64 v[0:1], v[0:1], v[4:5]
	v_accvgpr_read_b32 v7, a139
	v_mul_f64 v[4:5], v[122:123], v[8:9]
	v_fma_f64 v[4:5], v[120:121], v[6:7], -v[4:5]
	v_add_f64 v[0:1], v[0:1], v[4:5]
	v_mul_f64 v[4:5], v[134:135], v[66:67]
	v_accvgpr_read_b32 v6, a154
	v_fma_f64 v[4:5], v[132:133], v[64:65], -v[4:5]
	v_accvgpr_read_b32 v8, a156
	v_accvgpr_read_b32 v9, a157
	v_add_f64 v[0:1], v[0:1], v[4:5]
	v_accvgpr_read_b32 v7, a155
	v_mul_f64 v[4:5], v[138:139], v[8:9]
	v_fma_f64 v[4:5], v[136:137], v[6:7], -v[4:5]
	v_add_f64 v[0:1], v[0:1], v[4:5]
	v_mul_f64 v[4:5], v[142:143], v[58:59]
	v_fma_f64 v[4:5], v[140:141], v[56:57], -v[4:5]
	v_add_f64 v[0:1], v[0:1], v[4:5]
	;; [unrolled: 3-line block ×19, first 2 shown]
	v_add_f64 v[4:5], v[236:237], -v[0:1]
	v_accvgpr_read_b32 v0, a116
	v_add_f64 v[6:7], v[238:239], -v[2:3]
	v_cmp_ne_u32_e32 vcc, 0, v0
	scratch_store_dwordx4 off, v[4:7], off offset:32
	s_and_saveexec_b64 s[0:1], vcc
	s_cbranch_execz .LBB57_361
; %bb.360:
	scratch_load_dwordx4 v[2:5], off, off offset:16
	v_mov_b32_e32 v6, 0
	v_mov_b32_e32 v7, v6
	;; [unrolled: 1-line block ×4, first 2 shown]
	v_accvgpr_read_b32 v0, a117
	scratch_store_dwordx4 off, v[6:9], off offset:16
	s_waitcnt vmcnt(1)
	ds_write_b128 v0, v[2:5]
.LBB57_361:
	s_or_b64 exec, exec, s[0:1]
	s_waitcnt lgkmcnt(0)
	; wave barrier
	scratch_load_dwordx4 v[24:27], off, off offset:32
	scratch_load_dwordx4 v[28:31], off, off offset:48
	;; [unrolled: 1-line block ×30, first 2 shown]
	v_mov_b32_e32 v248, 0
	ds_read_b128 v[80:83], v248 offset:944
	ds_read_b128 v[88:91], v248 offset:960
	;; [unrolled: 1-line block ×17, first 2 shown]
	scratch_load_dwordx4 a[120:123], off, off offset:512
	scratch_load_dwordx4 a[124:127], off, off offset:528
	;; [unrolled: 1-line block ×4, first 2 shown]
	ds_read_b128 v[220:223], v248 offset:1280
	ds_read_b128 v[224:227], v248 offset:1296
	;; [unrolled: 1-line block ×4, first 2 shown]
	scratch_load_dwordx4 a[136:139], off, off offset:576
	scratch_load_dwordx4 a[140:143], off, off offset:592
	ds_read_b128 v[236:239], v248 offset:1344
	ds_read_b128 v[244:247], v248 offset:1360
	ds_read_b128 v[250:253], v248 offset:1376
	scratch_load_dwordx4 a[144:147], off, off offset:608
	scratch_load_dwordx4 a[148:151], off, off offset:624
	s_and_b64 vcc, exec, s[18:19]
	s_waitcnt vmcnt(37) lgkmcnt(14)
	v_mul_f64 v[8:9], v[80:81], v[26:27]
	s_waitcnt vmcnt(36)
	v_mul_f64 v[10:11], v[88:89], v[30:31]
	v_fmac_f64_e32 v[8:9], v[82:83], v[24:25]
	s_waitcnt vmcnt(35)
	v_mul_f64 v[12:13], v[100:101], v[34:35]
	v_fmac_f64_e32 v[10:11], v[90:91], v[28:29]
	v_add_f64 v[8:9], v[8:9], 0
	s_waitcnt vmcnt(34)
	v_mul_f64 v[14:15], v[104:105], v[38:39]
	v_fmac_f64_e32 v[12:13], v[102:103], v[32:33]
	v_add_f64 v[8:9], v[8:9], v[10:11]
	;; [unrolled: 4-line block ×8, first 2 shown]
	s_waitcnt vmcnt(27) lgkmcnt(13)
	v_mul_f64 v[208:209], v[168:169], v[66:67]
	v_fmac_f64_e32 v[206:207], v[158:159], v[60:61]
	v_add_f64 v[8:9], v[8:9], v[204:205]
	s_waitcnt vmcnt(26) lgkmcnt(12)
	v_mul_f64 v[210:211], v[180:181], v[70:71]
	v_fmac_f64_e32 v[208:209], v[170:171], v[64:65]
	v_add_f64 v[8:9], v[8:9], v[206:207]
	s_waitcnt vmcnt(25) lgkmcnt(11)
	v_mul_f64 v[212:213], v[184:185], v[74:75]
	v_fmac_f64_e32 v[210:211], v[182:183], v[68:69]
	v_add_f64 v[8:9], v[8:9], v[208:209]
	ds_read_b128 v[204:207], v248 offset:1216
	s_waitcnt vmcnt(24) lgkmcnt(11)
	v_mul_f64 v[214:215], v[188:189], v[78:79]
	v_fmac_f64_e32 v[212:213], v[186:187], v[72:73]
	v_add_f64 v[8:9], v[8:9], v[210:211]
	s_waitcnt vmcnt(23) lgkmcnt(10)
	v_mul_f64 v[216:217], v[192:193], v[86:87]
	v_fmac_f64_e32 v[214:215], v[190:191], v[76:77]
	v_add_f64 v[8:9], v[8:9], v[212:213]
	ds_read_b128 v[208:211], v248 offset:1232
	s_waitcnt vmcnt(22) lgkmcnt(10)
	v_mul_f64 v[218:219], v[196:197], v[94:95]
	v_fmac_f64_e32 v[216:217], v[194:195], v[84:85]
	v_add_f64 v[8:9], v[8:9], v[214:215]
	ds_read_b128 v[212:215], v248 offset:1248
	v_fmac_f64_e32 v[218:219], v[198:199], v[92:93]
	v_add_f64 v[8:9], v[8:9], v[216:217]
	s_waitcnt vmcnt(21) lgkmcnt(10)
	v_mul_f64 v[10:11], v[200:201], v[98:99]
	v_add_f64 v[8:9], v[8:9], v[218:219]
	v_fmac_f64_e32 v[10:11], v[202:203], v[96:97]
	s_waitcnt vmcnt(20) lgkmcnt(2)
	v_mul_f64 v[14:15], v[204:205], v[126:127]
	ds_read_b128 v[216:219], v248 offset:1264
	v_add_f64 v[12:13], v[8:9], v[10:11]
	v_fmac_f64_e32 v[14:15], v[206:207], v[124:125]
	v_add_f64 v[12:13], v[12:13], v[14:15]
	s_waitcnt vmcnt(19) lgkmcnt(2)
	v_mul_f64 v[14:15], v[208:209], v[130:131]
	v_fmac_f64_e32 v[14:15], v[210:211], v[128:129]
	s_waitcnt vmcnt(18) lgkmcnt(1)
	v_mul_f64 v[18:19], v[212:213], v[134:135]
	v_add_f64 v[16:17], v[12:13], v[14:15]
	v_fmac_f64_e32 v[18:19], v[214:215], v[132:133]
	v_add_f64 v[16:17], v[16:17], v[18:19]
	s_waitcnt vmcnt(17) lgkmcnt(0)
	v_mul_f64 v[18:19], v[216:217], v[138:139]
	v_fmac_f64_e32 v[18:19], v[218:219], v[136:137]
	v_add_f64 v[16:17], v[16:17], v[18:19]
	s_waitcnt vmcnt(16)
	v_mul_f64 v[18:19], v[220:221], v[142:143]
	v_fmac_f64_e32 v[18:19], v[222:223], v[140:141]
	s_waitcnt vmcnt(15)
	v_mul_f64 v[22:23], v[224:225], v[150:151]
	v_add_f64 v[20:21], v[16:17], v[18:19]
	v_fmac_f64_e32 v[22:23], v[226:227], v[148:149]
	s_waitcnt vmcnt(14)
	v_mul_f64 v[242:243], v[228:229], v[154:155]
	v_add_f64 v[240:241], v[20:21], v[22:23]
	v_fmac_f64_e32 v[242:243], v[230:231], v[152:153]
	v_add_f64 v[240:241], v[240:241], v[242:243]
	s_waitcnt vmcnt(13)
	v_mul_f64 v[242:243], v[232:233], v[162:163]
	v_fmac_f64_e32 v[242:243], v[234:235], v[160:161]
	v_mul_f64 v[26:27], v[82:83], v[26:27]
	v_add_f64 v[240:241], v[240:241], v[242:243]
	v_fma_f64 v[242:243], v[80:81], v[24:25], -v[26:27]
	s_waitcnt vmcnt(12)
	v_mul_f64 v[80:81], v[236:237], v[166:167]
	v_mul_f64 v[24:25], v[90:91], v[30:31]
	v_fmac_f64_e32 v[80:81], v[238:239], v[164:165]
	s_waitcnt vmcnt(11)
	v_mul_f64 v[30:31], v[244:245], v[174:175]
	v_fma_f64 v[254:255], v[88:89], v[28:29], -v[24:25]
	v_add_f64 v[28:29], v[240:241], v[80:81]
	v_fmac_f64_e32 v[30:31], v[246:247], v[172:173]
	v_add_f64 v[80:81], v[28:29], v[30:31]
	v_mul_f64 v[28:29], v[102:103], v[34:35]
	v_fma_f64 v[240:241], v[100:101], v[32:33], -v[28:29]
	ds_read_b128 v[88:91], v248 offset:1408
	s_waitcnt vmcnt(10)
	v_mul_f64 v[32:33], v[250:251], v[178:179]
	v_fmac_f64_e32 v[32:33], v[252:253], v[176:177]
	v_add_f64 v[100:101], v[80:81], v[32:33]
	v_mul_f64 v[32:33], v[106:107], v[38:39]
	ds_read_b128 v[80:83], v248 offset:1392
	v_mul_f64 v[2:3], v[110:111], v[42:43]
	v_fma_f64 v[36:37], v[104:105], v[36:37], -v[32:33]
	v_fma_f64 v[32:33], v[108:109], v[40:41], -v[2:3]
	v_mul_f64 v[40:41], v[114:115], v[46:47]
	v_fma_f64 v[28:29], v[112:113], v[44:45], -v[40:41]
	scratch_load_dwordx4 v[40:43], off, off offset:640
	s_waitcnt vmcnt(10)
	v_mov_b64_e32 v[0:1], v[4:5]
	v_mov_b64_e32 v[2:3], v[6:7]
	v_mul_f64 v[44:45], v[118:119], v[50:51]
	v_accvgpr_write_b32 a155, v3
	v_fma_f64 v[24:25], v[116:117], v[48:49], -v[44:45]
	scratch_load_dwordx4 v[44:47], off, off offset:656
	ds_read_b128 v[104:107], v248 offset:1440
	s_waitcnt lgkmcnt(1)
	v_mul_f64 v[6:7], v[80:81], v[2:3]
	v_fmac_f64_e32 v[6:7], v[82:83], v[0:1]
	v_accvgpr_write_b32 a154, v2
	v_accvgpr_write_b32 a153, v1
	;; [unrolled: 1-line block ×3, first 2 shown]
	s_waitcnt vmcnt(10)
	v_accvgpr_read_b32 v0, a116
	v_accvgpr_read_b32 v2, a118
	;; [unrolled: 1-line block ×3, first 2 shown]
	v_add_f64 v[6:7], v[100:101], v[6:7]
	v_accvgpr_read_b32 v1, a117
	v_mul_f64 v[10:11], v[88:89], v[2:3]
	ds_read_b128 v[100:103], v248 offset:1424
	ds_read_b128 v[108:111], v248 offset:1456
	v_fmac_f64_e32 v[10:11], v[90:91], v[0:1]
	v_add_f64 v[6:7], v[6:7], v[10:11]
	v_mul_f64 v[10:11], v[122:123], v[54:55]
	v_fma_f64 v[20:21], v[120:121], v[52:53], -v[10:11]
	scratch_load_dwordx4 v[48:51], off, off offset:672
	v_mul_f64 v[52:53], v[146:147], v[58:59]
	s_waitcnt vmcnt(10)
	v_accvgpr_read_b32 v0, a120
	v_fma_f64 v[16:17], v[144:145], v[56:57], -v[52:53]
	scratch_load_dwordx4 v[52:55], off, off offset:688
	v_accvgpr_read_b32 v2, a122
	v_accvgpr_read_b32 v3, a123
	;; [unrolled: 1-line block ×3, first 2 shown]
	s_waitcnt lgkmcnt(1)
	v_mul_f64 v[56:57], v[100:101], v[2:3]
	v_fmac_f64_e32 v[56:57], v[102:103], v[0:1]
	v_add_f64 v[6:7], v[6:7], v[56:57]
	scratch_load_dwordx4 v[56:59], off, off offset:704
	s_waitcnt vmcnt(11)
	v_accvgpr_read_b32 v0, a124
	v_mul_f64 v[14:15], v[158:159], v[62:63]
	v_accvgpr_read_b32 v2, a126
	v_accvgpr_read_b32 v3, a127
	v_fma_f64 v[14:15], v[156:157], v[60:61], -v[14:15]
	v_mul_f64 v[60:61], v[170:171], v[66:67]
	v_accvgpr_read_b32 v1, a125
	v_mul_f64 v[18:19], v[104:105], v[2:3]
	v_fma_f64 v[12:13], v[168:169], v[64:65], -v[60:61]
	v_fmac_f64_e32 v[18:19], v[106:107], v[0:1]
	scratch_load_dwordx4 v[60:63], off, off offset:720
	v_add_f64 v[6:7], v[6:7], v[18:19]
	v_mul_f64 v[18:19], v[182:183], v[70:71]
	v_fma_f64 v[18:19], v[180:181], v[68:69], -v[18:19]
	scratch_load_dwordx4 v[64:67], off, off offset:736
	v_mul_f64 v[68:69], v[186:187], v[74:75]
	v_fma_f64 v[180:181], v[184:185], v[72:73], -v[68:69]
	ds_read_b128 v[112:115], v248 offset:1472
	ds_read_b128 v[116:119], v248 offset:1488
	s_waitcnt vmcnt(12)
	v_accvgpr_read_b32 v0, a128
	v_mul_f64 v[68:69], v[190:191], v[78:79]
	v_accvgpr_read_b32 v2, a130
	v_accvgpr_read_b32 v3, a131
	v_fma_f64 v[182:183], v[188:189], v[76:77], -v[68:69]
	scratch_load_dwordx4 v[68:71], off, off offset:752
	v_accvgpr_read_b32 v1, a129
	s_waitcnt lgkmcnt(2)
	v_mul_f64 v[72:73], v[108:109], v[2:3]
	v_fmac_f64_e32 v[72:73], v[110:111], v[0:1]
	s_waitcnt vmcnt(12)
	v_accvgpr_read_b32 v0, a132
	v_accvgpr_read_b32 v2, a134
	;; [unrolled: 1-line block ×4, first 2 shown]
	s_waitcnt lgkmcnt(1)
	v_mul_f64 v[76:77], v[112:113], v[2:3]
	v_add_f64 v[6:7], v[6:7], v[72:73]
	v_fmac_f64_e32 v[76:77], v[114:115], v[0:1]
	scratch_load_dwordx4 v[72:75], off, off offset:768
	v_add_f64 v[6:7], v[6:7], v[76:77]
	v_mul_f64 v[76:77], v[194:195], v[86:87]
	v_fma_f64 v[10:11], v[192:193], v[84:85], -v[76:77]
	scratch_load_dwordx4 v[76:79], off, off offset:784
	v_mul_f64 v[22:23], v[198:199], v[94:95]
	v_fma_f64 v[22:23], v[196:197], v[92:93], -v[22:23]
	scratch_load_dwordx4 v[84:87], off, off offset:800
	v_mul_f64 v[92:93], v[202:203], v[98:99]
	v_fma_f64 v[8:9], v[200:201], v[96:97], -v[92:93]
	v_mul_f64 v[92:93], v[206:207], v[126:127]
	v_fma_f64 v[4:5], v[204:205], v[124:125], -v[92:93]
	scratch_load_dwordx4 v[92:95], off, off offset:816
	scratch_load_dwordx4 v[96:99], off, off offset:832
	ds_read_b128 v[120:123], v248 offset:1504
	ds_read_b128 v[124:127], v248 offset:1520
	s_waitcnt vmcnt(16)
	v_accvgpr_read_b32 v0, a136
	v_accvgpr_read_b32 v2, a138
	;; [unrolled: 1-line block ×4, first 2 shown]
	s_waitcnt lgkmcnt(2)
	v_mul_f64 v[26:27], v[116:117], v[2:3]
	v_fmac_f64_e32 v[26:27], v[118:119], v[0:1]
	s_waitcnt vmcnt(15)
	v_accvgpr_read_b32 v0, a140
	v_accvgpr_read_b32 v2, a142
	;; [unrolled: 1-line block ×4, first 2 shown]
	s_waitcnt lgkmcnt(1)
	v_mul_f64 v[30:31], v[120:121], v[2:3]
	v_add_f64 v[6:7], v[6:7], v[26:27]
	v_mul_f64 v[26:27], v[210:211], v[130:131]
	v_fmac_f64_e32 v[30:31], v[122:123], v[0:1]
	s_waitcnt vmcnt(14)
	v_accvgpr_read_b32 v0, a144
	v_fma_f64 v[26:27], v[208:209], v[128:129], -v[26:27]
	v_add_f64 v[6:7], v[6:7], v[30:31]
	v_mul_f64 v[30:31], v[214:215], v[134:135]
	ds_read_b128 v[128:131], v248 offset:1536
	v_accvgpr_read_b32 v2, a146
	v_accvgpr_read_b32 v3, a147
	v_fma_f64 v[30:31], v[212:213], v[132:133], -v[30:31]
	v_accvgpr_read_b32 v1, a145
	s_waitcnt lgkmcnt(1)
	v_mul_f64 v[132:133], v[124:125], v[2:3]
	v_fmac_f64_e32 v[132:133], v[126:127], v[0:1]
	v_mul_f64 v[138:139], v[218:219], v[138:139]
	v_add_f64 v[6:7], v[6:7], v[132:133]
	ds_read_b128 v[132:135], v248 offset:1552
	v_fma_f64 v[2:3], v[216:217], v[136:137], -v[138:139]
	s_waitcnt vmcnt(13)
	v_accvgpr_read_b32 v136, a148
	v_accvgpr_read_b32 v138, a150
	;; [unrolled: 1-line block ×4, first 2 shown]
	s_waitcnt lgkmcnt(1)
	v_mul_f64 v[34:35], v[128:129], v[138:139]
	v_fmac_f64_e32 v[34:35], v[130:131], v[136:137]
	ds_read_b128 v[136:139], v248 offset:1568
	v_add_f64 v[6:7], v[6:7], v[34:35]
	s_waitcnt vmcnt(12) lgkmcnt(1)
	v_mul_f64 v[34:35], v[132:133], v[42:43]
	v_fmac_f64_e32 v[34:35], v[134:135], v[40:41]
	v_add_f64 v[6:7], v[6:7], v[34:35]
	v_mul_f64 v[34:35], v[222:223], v[142:143]
	v_fma_f64 v[34:35], v[220:221], v[140:141], -v[34:35]
	ds_read_b128 v[140:143], v248 offset:1584
	s_waitcnt vmcnt(11) lgkmcnt(1)
	v_mul_f64 v[144:145], v[136:137], v[46:47]
	v_fmac_f64_e32 v[144:145], v[138:139], v[44:45]
	v_add_f64 v[6:7], v[6:7], v[144:145]
	ds_read_b128 v[144:147], v248 offset:1600
	v_mul_f64 v[150:151], v[226:227], v[150:151]
	v_fma_f64 v[0:1], v[224:225], v[148:149], -v[150:151]
	ds_read_b128 v[148:151], v248 offset:1616
	s_waitcnt vmcnt(10) lgkmcnt(2)
	v_mul_f64 v[156:157], v[140:141], v[50:51]
	v_fmac_f64_e32 v[156:157], v[142:143], v[48:49]
	s_waitcnt vmcnt(9) lgkmcnt(1)
	v_mul_f64 v[38:39], v[144:145], v[54:55]
	v_add_f64 v[6:7], v[6:7], v[156:157]
	v_fmac_f64_e32 v[38:39], v[146:147], v[52:53]
	v_add_f64 v[6:7], v[6:7], v[38:39]
	v_mul_f64 v[38:39], v[230:231], v[154:155]
	v_fma_f64 v[38:39], v[228:229], v[152:153], -v[38:39]
	ds_read_b128 v[152:155], v248 offset:1632
	s_waitcnt vmcnt(8) lgkmcnt(1)
	v_mul_f64 v[156:157], v[148:149], v[58:59]
	v_fmac_f64_e32 v[156:157], v[150:151], v[56:57]
	v_add_f64 v[6:7], v[6:7], v[156:157]
	ds_read_b128 v[156:159], v248 offset:1648
	v_mul_f64 v[162:163], v[234:235], v[162:163]
	v_fma_f64 v[232:233], v[232:233], v[160:161], -v[162:163]
	ds_read_b128 v[160:163], v248 offset:1664
	s_waitcnt vmcnt(7) lgkmcnt(2)
	v_mul_f64 v[168:169], v[152:153], v[62:63]
	v_fmac_f64_e32 v[168:169], v[154:155], v[60:61]
	v_add_f64 v[6:7], v[6:7], v[168:169]
	s_waitcnt vmcnt(6) lgkmcnt(1)
	v_mul_f64 v[168:169], v[156:157], v[66:67]
	v_fmac_f64_e32 v[168:169], v[158:159], v[64:65]
	v_mul_f64 v[166:167], v[238:239], v[166:167]
	v_add_f64 v[6:7], v[6:7], v[168:169]
	v_fma_f64 v[234:235], v[236:237], v[164:165], -v[166:167]
	ds_read_b128 v[164:167], v248 offset:1680
	s_waitcnt vmcnt(5) lgkmcnt(1)
	v_mul_f64 v[168:169], v[160:161], v[70:71]
	v_fmac_f64_e32 v[168:169], v[162:163], v[68:69]
	v_add_f64 v[6:7], v[6:7], v[168:169]
	ds_read_b128 v[168:171], v248 offset:1696
	v_mul_f64 v[174:175], v[246:247], v[174:175]
	v_fma_f64 v[238:239], v[244:245], v[172:173], -v[174:175]
	ds_read_b128 v[172:175], v248 offset:1712
	s_waitcnt vmcnt(4) lgkmcnt(2)
	v_mul_f64 v[184:185], v[164:165], v[74:75]
	v_mul_f64 v[178:179], v[252:253], v[178:179]
	v_fmac_f64_e32 v[184:185], v[166:167], v[72:73]
	v_fma_f64 v[244:245], v[250:251], v[176:177], -v[178:179]
	ds_read_b128 v[176:179], v248 offset:1728
	ds_read_b128 v[250:253], v248 offset:1744
	v_add_f64 v[6:7], v[6:7], v[184:185]
	s_waitcnt vmcnt(3) lgkmcnt(3)
	v_mul_f64 v[184:185], v[168:169], v[78:79]
	v_fmac_f64_e32 v[184:185], v[170:171], v[76:77]
	v_add_f64 v[6:7], v[6:7], v[184:185]
	s_waitcnt vmcnt(2) lgkmcnt(2)
	v_mul_f64 v[184:185], v[172:173], v[86:87]
	v_fmac_f64_e32 v[184:185], v[174:175], v[84:85]
	;; [unrolled: 4-line block ×4, first 2 shown]
	v_add_f64 v[6:7], v[6:7], v[184:185]
	scratch_load_dwordx4 v[184:187], off, off offset:848
	ds_read_b128 v[188:191], v248 offset:1760
	ds_read_b128 v[196:199], v248 offset:1776
	;; [unrolled: 1-line block ×6, first 2 shown]
	s_waitcnt vmcnt(0) lgkmcnt(5)
	v_mul_f64 v[192:193], v[188:189], v[186:187]
	v_fmac_f64_e32 v[192:193], v[190:191], v[184:185]
	v_add_f64 v[6:7], v[6:7], v[192:193]
	scratch_load_dwordx4 v[192:195], off, off offset:864
	s_waitcnt vmcnt(0) lgkmcnt(4)
	v_mul_f64 v[200:201], v[196:197], v[194:195]
	v_fmac_f64_e32 v[200:201], v[198:199], v[192:193]
	v_add_f64 v[6:7], v[6:7], v[200:201]
	scratch_load_dwordx4 v[200:203], off, off offset:880
	;; [unrolled: 5-line block ×5, first 2 shown]
	s_waitcnt vmcnt(0) lgkmcnt(0)
	v_mul_f64 v[236:237], v[228:229], v[226:227]
	v_fmac_f64_e32 v[236:237], v[230:231], v[224:225]
	v_add_f64 v[236:237], v[6:7], v[236:237]
	v_add_f64 v[6:7], v[242:243], 0
	v_add_f64 v[6:7], v[6:7], v[254:255]
	v_add_f64 v[6:7], v[6:7], v[240:241]
	v_add_f64 v[6:7], v[6:7], v[36:37]
	v_add_f64 v[6:7], v[6:7], v[32:33]
	v_add_f64 v[6:7], v[6:7], v[28:29]
	v_add_f64 v[6:7], v[6:7], v[24:25]
	v_add_f64 v[6:7], v[6:7], v[20:21]
	v_add_f64 v[6:7], v[6:7], v[16:17]
	v_add_f64 v[6:7], v[6:7], v[14:15]
	v_add_f64 v[6:7], v[6:7], v[12:13]
	v_add_f64 v[6:7], v[6:7], v[18:19]
	v_add_f64 v[6:7], v[6:7], v[180:181]
	v_add_f64 v[6:7], v[6:7], v[182:183]
	v_add_f64 v[6:7], v[6:7], v[10:11]
	v_add_f64 v[6:7], v[6:7], v[22:23]
	v_add_f64 v[6:7], v[6:7], v[8:9]
	v_add_f64 v[4:5], v[6:7], v[4:5]
	v_add_f64 v[4:5], v[4:5], v[26:27]
	v_add_f64 v[4:5], v[4:5], v[30:31]
	v_add_f64 v[2:3], v[4:5], v[2:3]
	v_add_f64 v[2:3], v[2:3], v[34:35]
	v_add_f64 v[0:1], v[2:3], v[0:1]
	v_add_f64 v[0:1], v[0:1], v[38:39]
	v_add_f64 v[0:1], v[0:1], v[232:233]
	v_add_f64 v[246:247], v[0:1], v[234:235]
	scratch_load_dwordx4 v[232:235], off, off offset:16
	v_accvgpr_read_b32 v4, a152
	v_accvgpr_read_b32 v6, a154
	v_accvgpr_read_b32 v7, a155
	v_accvgpr_read_b32 v5, a153
	v_mul_f64 v[2:3], v[82:83], v[6:7]
	v_add_f64 v[0:1], v[246:247], v[238:239]
	v_fma_f64 v[2:3], v[80:81], v[4:5], -v[2:3]
	v_accvgpr_read_b32 v4, a116
	v_add_f64 v[0:1], v[0:1], v[244:245]
	v_accvgpr_read_b32 v6, a118
	v_accvgpr_read_b32 v7, a119
	v_add_f64 v[0:1], v[0:1], v[2:3]
	v_accvgpr_read_b32 v5, a117
	v_mul_f64 v[2:3], v[90:91], v[6:7]
	v_fma_f64 v[2:3], v[88:89], v[4:5], -v[2:3]
	v_accvgpr_read_b32 v4, a120
	v_accvgpr_read_b32 v6, a122
	v_accvgpr_read_b32 v7, a123
	v_add_f64 v[0:1], v[0:1], v[2:3]
	v_accvgpr_read_b32 v5, a121
	v_mul_f64 v[2:3], v[102:103], v[6:7]
	v_fma_f64 v[2:3], v[100:101], v[4:5], -v[2:3]
	v_accvgpr_read_b32 v4, a124
	;; [unrolled: 7-line block ×8, first 2 shown]
	v_accvgpr_read_b32 v6, a150
	v_accvgpr_read_b32 v7, a151
	v_add_f64 v[0:1], v[0:1], v[2:3]
	v_accvgpr_read_b32 v5, a149
	v_mul_f64 v[2:3], v[130:131], v[6:7]
	v_fma_f64 v[2:3], v[128:129], v[4:5], -v[2:3]
	v_add_f64 v[0:1], v[0:1], v[2:3]
	v_mul_f64 v[2:3], v[134:135], v[42:43]
	v_fma_f64 v[2:3], v[132:133], v[40:41], -v[2:3]
	v_add_f64 v[0:1], v[0:1], v[2:3]
	;; [unrolled: 3-line block ×20, first 2 shown]
	s_waitcnt vmcnt(0)
	v_add_f64 v[0:1], v[232:233], -v[0:1]
	v_add_f64 v[2:3], v[234:235], -v[236:237]
	scratch_store_dwordx4 off, v[0:3], off offset:16
	s_cbranch_vccz .LBB57_476
; %bb.362:
	global_load_dword v0, v248, s[16:17] offset:224
	s_waitcnt vmcnt(0)
	v_readfirstlane_b32 s0, v0
	s_add_i32 s0, s0, -1
	s_cmp_lg_u32 s0, 56
	s_cbranch_scc0 .LBB57_364
; %bb.363:
	s_lshl_b32 s0, s0, 4
	s_add_i32 s0, s0, 16
	scratch_load_dwordx4 v[0:3], off, s0
	scratch_load_dwordx4 v[4:7], off, s40
	s_waitcnt vmcnt(1)
	scratch_store_dwordx4 off, v[0:3], s40
	s_waitcnt vmcnt(1)
	scratch_store_dwordx4 off, v[4:7], s0
.LBB57_364:
	v_mov_b32_e32 v0, 0
	global_load_dword v1, v0, s[16:17] offset:220
	s_waitcnt vmcnt(0)
	v_readfirstlane_b32 s0, v1
	s_add_i32 s0, s0, -1
	s_cmp_eq_u32 s0, 55
	s_cbranch_scc1 .LBB57_366
; %bb.365:
	s_lshl_b32 s0, s0, 4
	s_add_i32 s0, s0, 16
	scratch_load_dwordx4 v[2:5], off, s0
	scratch_load_dwordx4 v[6:9], off, s39
	s_waitcnt vmcnt(1)
	scratch_store_dwordx4 off, v[2:5], s39
	s_waitcnt vmcnt(1)
	scratch_store_dwordx4 off, v[6:9], s0
.LBB57_366:
	global_load_dword v0, v0, s[16:17] offset:216
	s_waitcnt vmcnt(0)
	v_readfirstlane_b32 s0, v0
	s_add_i32 s0, s0, -1
	s_cmp_eq_u32 s0, 54
	s_cbranch_scc1 .LBB57_368
; %bb.367:
	s_lshl_b32 s0, s0, 4
	s_add_i32 s0, s0, 16
	scratch_load_dwordx4 v[0:3], off, s0
	scratch_load_dwordx4 v[4:7], off, s38
	s_waitcnt vmcnt(1)
	scratch_store_dwordx4 off, v[0:3], s38
	s_waitcnt vmcnt(1)
	scratch_store_dwordx4 off, v[4:7], s0
.LBB57_368:
	v_mov_b32_e32 v0, 0
	global_load_dword v1, v0, s[16:17] offset:212
	s_waitcnt vmcnt(0)
	v_readfirstlane_b32 s0, v1
	s_add_i32 s0, s0, -1
	s_cmp_eq_u32 s0, 53
	s_cbranch_scc1 .LBB57_370
; %bb.369:
	s_lshl_b32 s0, s0, 4
	s_add_i32 s0, s0, 16
	scratch_load_dwordx4 v[2:5], off, s0
	scratch_load_dwordx4 v[6:9], off, s37
	s_waitcnt vmcnt(1)
	scratch_store_dwordx4 off, v[2:5], s37
	s_waitcnt vmcnt(1)
	scratch_store_dwordx4 off, v[6:9], s0
.LBB57_370:
	global_load_dword v0, v0, s[16:17] offset:208
	s_waitcnt vmcnt(0)
	v_readfirstlane_b32 s0, v0
	s_add_i32 s0, s0, -1
	s_cmp_eq_u32 s0, 52
	s_cbranch_scc1 .LBB57_372
; %bb.371:
	s_lshl_b32 s0, s0, 4
	s_add_i32 s0, s0, 16
	scratch_load_dwordx4 v[0:3], off, s0
	scratch_load_dwordx4 v[4:7], off, s36
	s_waitcnt vmcnt(1)
	scratch_store_dwordx4 off, v[0:3], s36
	s_waitcnt vmcnt(1)
	scratch_store_dwordx4 off, v[4:7], s0
.LBB57_372:
	;; [unrolled: 33-line block ×27, first 2 shown]
	v_mov_b32_e32 v0, 0
	global_load_dword v1, v0, s[16:17] offset:4
	s_waitcnt vmcnt(0)
	v_readfirstlane_b32 s0, v1
	s_add_i32 s0, s0, -1
	s_cmp_eq_u32 s0, 1
	s_cbranch_scc1 .LBB57_474
; %bb.473:
	s_lshl_b32 s0, s0, 4
	s_add_i32 s0, s0, 16
	scratch_load_dwordx4 v[2:5], off, s0
	scratch_load_dwordx4 v[6:9], off, s73
	s_waitcnt vmcnt(1)
	scratch_store_dwordx4 off, v[2:5], s73
	s_waitcnt vmcnt(1)
	scratch_store_dwordx4 off, v[6:9], s0
.LBB57_474:
	global_load_dword v0, v0, s[16:17]
	s_waitcnt vmcnt(0)
	v_readfirstlane_b32 s0, v0
	s_add_i32 s0, s0, -1
	s_cmp_eq_u32 s0, 0
	s_cbranch_scc1 .LBB57_476
; %bb.475:
	s_lshl_b32 s0, s0, 4
	s_add_i32 s0, s0, 16
	scratch_load_dwordx4 v[0:3], off, s0
	scratch_load_dwordx4 v[4:7], off, off offset:16
	s_waitcnt vmcnt(1)
	scratch_store_dwordx4 off, v[0:3], off offset:16
	s_waitcnt vmcnt(1)
	scratch_store_dwordx4 off, v[4:7], s0
.LBB57_476:
	scratch_load_dwordx4 v[0:3], off, off offset:16
	s_nop 0
	scratch_load_dwordx4 v[4:7], off, s73
	scratch_load_dwordx4 v[8:11], off, s72
	;; [unrolled: 1-line block ×33, first 2 shown]
	v_accvgpr_read_b32 v137, a1
	v_accvgpr_read_b32 v136, a0
	;; [unrolled: 1-line block ×18, first 2 shown]
	s_waitcnt vmcnt(33)
	global_store_dwordx4 v[136:137], v[0:3], off
	s_nop 1
	v_accvgpr_read_b32 v0, a2
	v_accvgpr_read_b32 v1, a3
	s_waitcnt vmcnt(33)
	global_store_dwordx4 v[0:1], v[4:7], off
	scratch_load_dwordx4 v[0:3], off, s12
	s_nop 0
	scratch_load_dwordx4 v[4:7], off, s13
	v_accvgpr_read_b32 v137, a5
	v_accvgpr_read_b32 v136, a4
	s_waitcnt vmcnt(35)
	global_store_dwordx4 v[136:137], v[8:11], off
	scratch_load_dwordx4 v[8:11], off, s14
	s_nop 0
	scratch_load_dwordx4 v[136:139], off, s15
	s_waitcnt vmcnt(37)
	global_store_dwordx4 v[140:141], v[12:15], off
	scratch_load_dwordx4 v[12:15], off, s20
	s_nop 0
	scratch_load_dwordx4 v[140:143], off, s22
	s_waitcnt vmcnt(39)
	global_store_dwordx4 v[144:145], v[16:19], off
	v_accvgpr_read_b32 v145, a13
	v_accvgpr_read_b32 v144, a12
	v_accvgpr_read_b32 v17, a11
	v_accvgpr_read_b32 v16, a10
	s_waitcnt vmcnt(39)
	global_store_dwordx4 v[16:17], v[20:23], off
	scratch_load_dwordx4 v[16:19], off, s21
	s_nop 0
	scratch_load_dwordx4 v[20:23], off, s23
	s_waitcnt vmcnt(41)
	global_store_dwordx4 v[144:145], v[24:27], off
	scratch_load_dwordx4 v[24:27], off, s24
	s_nop 0
	scratch_load_dwordx4 v[144:147], off, s25
	s_waitcnt vmcnt(43)
	global_store_dwordx4 v[148:149], v[28:31], off
	scratch_load_dwordx4 v[28:31], off, s26
	s_nop 0
	scratch_load_dwordx4 v[148:151], off, s28
	s_waitcnt vmcnt(45)
	global_store_dwordx4 v[152:153], v[32:35], off
	v_accvgpr_read_b32 v153, a21
	v_accvgpr_read_b32 v152, a20
	v_accvgpr_read_b32 v33, a19
	v_accvgpr_read_b32 v32, a18
	s_waitcnt vmcnt(45)
	global_store_dwordx4 v[32:33], v[36:39], off
	scratch_load_dwordx4 v[32:35], off, s27
	s_nop 0
	scratch_load_dwordx4 v[36:39], off, s29
	;; [unrolled: 21-line block ×3, first 2 shown]
	s_waitcnt vmcnt(53)
	global_store_dwordx4 v[160:161], v[56:59], off
	scratch_load_dwordx4 v[56:59], off, s37
	s_nop 0
	scratch_load_dwordx4 v[160:163], off, s38
	s_waitcnt vmcnt(55)
	global_store_dwordx4 v[164:165], v[60:63], off
	scratch_load_dwordx4 v[60:63], off, s39
	s_nop 0
	scratch_load_dwordx4 v[164:167], off, s40
	s_waitcnt vmcnt(57)
	global_store_dwordx4 v[168:169], v[64:67], off
	s_nop 1
	v_accvgpr_read_b32 v65, a35
	v_accvgpr_read_b32 v64, a34
	s_waitcnt vmcnt(57)
	global_store_dwordx4 v[64:65], v[68:71], off
	v_accvgpr_read_b32 v65, a37
	v_accvgpr_read_b32 v64, a36
	s_waitcnt vmcnt(57)
	global_store_dwordx4 v[64:65], v[72:75], off
	;; [unrolled: 4-line block ×17, first 2 shown]
	s_nop 1
	v_accvgpr_read_b32 v0, a68
	v_accvgpr_read_b32 v1, a69
	s_waitcnt vmcnt(54)
	global_store_dwordx4 v[0:1], v[4:7], off
	v_accvgpr_read_b32 v0, a70
	v_accvgpr_read_b32 v1, a71
	s_waitcnt vmcnt(53)
	global_store_dwordx4 v[0:1], v[8:11], off
	;; [unrolled: 4-line block ×23, first 2 shown]
	v_accvgpr_read_b32 v0, a114
	v_accvgpr_read_b32 v1, a115
	global_store_dwordx4 v[0:1], v[132:135], off
	s_endpgm
	.section	.rodata,"a",@progbits
	.p2align	6, 0x0
	.amdhsa_kernel _ZN9rocsolver6v33100L18getri_kernel_smallILi58E19rocblas_complex_numIdEPS3_EEvT1_iilPiilS6_bb
		.amdhsa_group_segment_fixed_size 1864
		.amdhsa_private_segment_fixed_size 960
		.amdhsa_kernarg_size 60
		.amdhsa_user_sgpr_count 2
		.amdhsa_user_sgpr_dispatch_ptr 0
		.amdhsa_user_sgpr_queue_ptr 0
		.amdhsa_user_sgpr_kernarg_segment_ptr 1
		.amdhsa_user_sgpr_dispatch_id 0
		.amdhsa_user_sgpr_kernarg_preload_length 0
		.amdhsa_user_sgpr_kernarg_preload_offset 0
		.amdhsa_user_sgpr_private_segment_size 0
		.amdhsa_uses_dynamic_stack 0
		.amdhsa_enable_private_segment 1
		.amdhsa_system_sgpr_workgroup_id_x 1
		.amdhsa_system_sgpr_workgroup_id_y 0
		.amdhsa_system_sgpr_workgroup_id_z 0
		.amdhsa_system_sgpr_workgroup_info 0
		.amdhsa_system_vgpr_workitem_id 0
		.amdhsa_next_free_vgpr 414
		.amdhsa_next_free_sgpr 74
		.amdhsa_accum_offset 256
		.amdhsa_reserve_vcc 1
		.amdhsa_float_round_mode_32 0
		.amdhsa_float_round_mode_16_64 0
		.amdhsa_float_denorm_mode_32 3
		.amdhsa_float_denorm_mode_16_64 3
		.amdhsa_dx10_clamp 1
		.amdhsa_ieee_mode 1
		.amdhsa_fp16_overflow 0
		.amdhsa_tg_split 0
		.amdhsa_exception_fp_ieee_invalid_op 0
		.amdhsa_exception_fp_denorm_src 0
		.amdhsa_exception_fp_ieee_div_zero 0
		.amdhsa_exception_fp_ieee_overflow 0
		.amdhsa_exception_fp_ieee_underflow 0
		.amdhsa_exception_fp_ieee_inexact 0
		.amdhsa_exception_int_div_zero 0
	.end_amdhsa_kernel
	.section	.text._ZN9rocsolver6v33100L18getri_kernel_smallILi58E19rocblas_complex_numIdEPS3_EEvT1_iilPiilS6_bb,"axG",@progbits,_ZN9rocsolver6v33100L18getri_kernel_smallILi58E19rocblas_complex_numIdEPS3_EEvT1_iilPiilS6_bb,comdat
.Lfunc_end57:
	.size	_ZN9rocsolver6v33100L18getri_kernel_smallILi58E19rocblas_complex_numIdEPS3_EEvT1_iilPiilS6_bb, .Lfunc_end57-_ZN9rocsolver6v33100L18getri_kernel_smallILi58E19rocblas_complex_numIdEPS3_EEvT1_iilPiilS6_bb
                                        ; -- End function
	.set _ZN9rocsolver6v33100L18getri_kernel_smallILi58E19rocblas_complex_numIdEPS3_EEvT1_iilPiilS6_bb.num_vgpr, 256
	.set _ZN9rocsolver6v33100L18getri_kernel_smallILi58E19rocblas_complex_numIdEPS3_EEvT1_iilPiilS6_bb.num_agpr, 158
	.set _ZN9rocsolver6v33100L18getri_kernel_smallILi58E19rocblas_complex_numIdEPS3_EEvT1_iilPiilS6_bb.numbered_sgpr, 74
	.set _ZN9rocsolver6v33100L18getri_kernel_smallILi58E19rocblas_complex_numIdEPS3_EEvT1_iilPiilS6_bb.num_named_barrier, 0
	.set _ZN9rocsolver6v33100L18getri_kernel_smallILi58E19rocblas_complex_numIdEPS3_EEvT1_iilPiilS6_bb.private_seg_size, 960
	.set _ZN9rocsolver6v33100L18getri_kernel_smallILi58E19rocblas_complex_numIdEPS3_EEvT1_iilPiilS6_bb.uses_vcc, 1
	.set _ZN9rocsolver6v33100L18getri_kernel_smallILi58E19rocblas_complex_numIdEPS3_EEvT1_iilPiilS6_bb.uses_flat_scratch, 0
	.set _ZN9rocsolver6v33100L18getri_kernel_smallILi58E19rocblas_complex_numIdEPS3_EEvT1_iilPiilS6_bb.has_dyn_sized_stack, 0
	.set _ZN9rocsolver6v33100L18getri_kernel_smallILi58E19rocblas_complex_numIdEPS3_EEvT1_iilPiilS6_bb.has_recursion, 0
	.set _ZN9rocsolver6v33100L18getri_kernel_smallILi58E19rocblas_complex_numIdEPS3_EEvT1_iilPiilS6_bb.has_indirect_call, 0
	.section	.AMDGPU.csdata,"",@progbits
; Kernel info:
; codeLenInByte = 142228
; TotalNumSgprs: 80
; NumVgprs: 256
; NumAgprs: 158
; TotalNumVgprs: 414
; ScratchSize: 960
; MemoryBound: 0
; FloatMode: 240
; IeeeMode: 1
; LDSByteSize: 1864 bytes/workgroup (compile time only)
; SGPRBlocks: 9
; VGPRBlocks: 51
; NumSGPRsForWavesPerEU: 80
; NumVGPRsForWavesPerEU: 414
; AccumOffset: 256
; Occupancy: 1
; WaveLimiterHint : 1
; COMPUTE_PGM_RSRC2:SCRATCH_EN: 1
; COMPUTE_PGM_RSRC2:USER_SGPR: 2
; COMPUTE_PGM_RSRC2:TRAP_HANDLER: 0
; COMPUTE_PGM_RSRC2:TGID_X_EN: 1
; COMPUTE_PGM_RSRC2:TGID_Y_EN: 0
; COMPUTE_PGM_RSRC2:TGID_Z_EN: 0
; COMPUTE_PGM_RSRC2:TIDIG_COMP_CNT: 0
; COMPUTE_PGM_RSRC3_GFX90A:ACCUM_OFFSET: 63
; COMPUTE_PGM_RSRC3_GFX90A:TG_SPLIT: 0
	.section	.text._ZN9rocsolver6v33100L18getri_kernel_smallILi59E19rocblas_complex_numIdEPS3_EEvT1_iilPiilS6_bb,"axG",@progbits,_ZN9rocsolver6v33100L18getri_kernel_smallILi59E19rocblas_complex_numIdEPS3_EEvT1_iilPiilS6_bb,comdat
	.globl	_ZN9rocsolver6v33100L18getri_kernel_smallILi59E19rocblas_complex_numIdEPS3_EEvT1_iilPiilS6_bb ; -- Begin function _ZN9rocsolver6v33100L18getri_kernel_smallILi59E19rocblas_complex_numIdEPS3_EEvT1_iilPiilS6_bb
	.p2align	8
	.type	_ZN9rocsolver6v33100L18getri_kernel_smallILi59E19rocblas_complex_numIdEPS3_EEvT1_iilPiilS6_bb,@function
_ZN9rocsolver6v33100L18getri_kernel_smallILi59E19rocblas_complex_numIdEPS3_EEvT1_iilPiilS6_bb: ; @_ZN9rocsolver6v33100L18getri_kernel_smallILi59E19rocblas_complex_numIdEPS3_EEvT1_iilPiilS6_bb
; %bb.0:
	v_mov_b32_e32 v244, v0
	v_cmp_gt_u32_e32 vcc, 59, v244
	s_and_saveexec_b64 s[4:5], vcc
	s_cbranch_execz .LBB58_250
; %bb.1:
	s_load_dword s8, s[0:1], 0x38
	s_load_dwordx4 s[12:15], s[0:1], 0x10
	s_load_dwordx4 s[4:7], s[0:1], 0x28
                                        ; implicit-def: $sgpr16_sgpr17
	s_waitcnt lgkmcnt(0)
	s_bitcmp1_b32 s8, 8
	s_cselect_b64 s[18:19], -1, 0
	s_ashr_i32 s3, s2, 31
	s_bfe_u32 s8, s8, 0x10008
	s_cmp_eq_u32 s8, 0
	s_cbranch_scc1 .LBB58_3
; %bb.2:
	s_load_dword s8, s[0:1], 0x20
	s_mul_i32 s9, s4, s3
	s_mul_hi_u32 s10, s4, s2
	s_mul_i32 s5, s5, s2
	s_add_i32 s10, s10, s9
	s_add_i32 s5, s10, s5
	s_mul_i32 s4, s4, s2
	s_waitcnt lgkmcnt(0)
	s_ashr_i32 s9, s8, 31
	s_lshl_b64 s[4:5], s[4:5], 2
	s_add_u32 s10, s14, s4
	s_addc_u32 s11, s15, s5
	s_lshl_b64 s[4:5], s[8:9], 2
	s_add_u32 s16, s10, s4
	s_addc_u32 s17, s11, s5
.LBB58_3:
	s_load_dwordx4 s[8:11], s[0:1], 0x0
	s_load_dword s4, s[0:1], 0x38
	s_mul_i32 s5, s12, s3
	s_mul_hi_u32 s14, s12, s2
	s_add_i32 s5, s14, s5
	s_waitcnt lgkmcnt(0)
	s_ashr_i32 s1, s10, 31
	s_mov_b32 s0, s10
	s_mul_i32 s10, s13, s2
	s_add_i32 s13, s5, s10
	s_mul_i32 s12, s12, s2
	s_lshl_b64 s[12:13], s[12:13], 4
	s_add_u32 s5, s8, s12
	s_addc_u32 s8, s9, s13
	s_lshl_b64 s[0:1], s[0:1], 4
	s_add_u32 s0, s5, s0
	s_addc_u32 s1, s8, s1
	s_add_i32 s5, s11, s11
	v_add_u32_e32 v14, s5, v244
	v_lshlrev_b32_e32 v26, 4, v244
	v_mov_b32_e32 v27, 0
	v_ashrrev_i32_e32 v15, 31, v14
	v_lshl_add_u64 v[0:1], s[0:1], 0, v[26:27]
	v_lshl_add_u64 v[10:11], v[14:15], 4, s[0:1]
	v_add_u32_e32 v14, s11, v14
	s_ashr_i32 s9, s11, 31
	s_mov_b32 s8, s11
	v_accvgpr_write_b32 a0, v0
	v_add_u32_e32 v22, s11, v14
	v_accvgpr_write_b32 a1, v1
	v_lshl_add_u64 v[0:1], s[8:9], 4, v[0:1]
	v_ashrrev_i32_e32 v23, 31, v22
	v_accvgpr_write_b32 a3, v1
	v_ashrrev_i32_e32 v15, 31, v14
	v_lshl_add_u64 v[18:19], v[22:23], 4, s[0:1]
	v_add_u32_e32 v22, s11, v22
	global_load_dwordx4 v[2:5], v26, s[0:1]
	global_load_dwordx4 v[6:9], v[0:1], off
	v_accvgpr_write_b32 a2, v0
	v_lshl_add_u64 v[0:1], v[14:15], 4, s[0:1]
	v_add_u32_e32 v32, s11, v22
	v_accvgpr_write_b32 a4, v10
	v_accvgpr_write_b32 a7, v1
	v_ashrrev_i32_e32 v23, 31, v22
	v_ashrrev_i32_e32 v33, 31, v32
	v_accvgpr_write_b32 a5, v11
	global_load_dwordx4 v[10:13], v[10:11], off
	v_accvgpr_write_b32 a6, v0
	global_load_dwordx4 v[14:17], v[0:1], off
	v_lshl_add_u64 v[0:1], v[22:23], 4, s[0:1]
	v_lshl_add_u64 v[28:29], v[32:33], 4, s[0:1]
	v_add_u32_e32 v32, s11, v32
	v_accvgpr_write_b32 a8, v18
	v_accvgpr_write_b32 a11, v1
	v_ashrrev_i32_e32 v33, 31, v32
	v_accvgpr_write_b32 a9, v19
	global_load_dwordx4 v[18:21], v[18:19], off
	v_accvgpr_write_b32 a10, v0
	global_load_dwordx4 v[22:25], v[0:1], off
	v_lshl_add_u64 v[0:1], v[32:33], 4, s[0:1]
	v_add_u32_e32 v32, s11, v32
	v_add_u32_e32 v40, s11, v32
	v_accvgpr_write_b32 a12, v28
	v_ashrrev_i32_e32 v33, 31, v32
	v_ashrrev_i32_e32 v41, 31, v40
	v_add_u32_e32 v42, s11, v40
	v_accvgpr_write_b32 a15, v1
	v_accvgpr_write_b32 a13, v29
	global_load_dwordx4 v[28:31], v[28:29], off
	v_lshl_add_u64 v[36:37], v[32:33], 4, s[0:1]
	v_accvgpr_write_b32 a14, v0
	global_load_dwordx4 v[32:35], v[0:1], off
	v_lshl_add_u64 v[0:1], v[40:41], 4, s[0:1]
	v_add_u32_e32 v48, s11, v42
	v_accvgpr_write_b32 a16, v36
	v_ashrrev_i32_e32 v43, 31, v42
	v_ashrrev_i32_e32 v49, 31, v48
	v_add_u32_e32 v50, s11, v48
	v_accvgpr_write_b32 a19, v1
	v_accvgpr_write_b32 a17, v37
	global_load_dwordx4 v[36:39], v[36:37], off
	v_lshl_add_u64 v[44:45], v[42:43], 4, s[0:1]
	v_accvgpr_write_b32 a18, v0
	global_load_dwordx4 v[40:43], v[0:1], off
	v_lshl_add_u64 v[0:1], v[48:49], 4, s[0:1]
	v_add_u32_e32 v56, s11, v50
	v_accvgpr_write_b32 a20, v44
	v_ashrrev_i32_e32 v51, 31, v50
	v_ashrrev_i32_e32 v57, 31, v56
	v_accvgpr_write_b32 a23, v1
	v_accvgpr_write_b32 a21, v45
	global_load_dwordx4 v[44:47], v[44:45], off
	v_lshl_add_u64 v[52:53], v[50:51], 4, s[0:1]
	v_accvgpr_write_b32 a22, v0
	global_load_dwordx4 v[48:51], v[0:1], off
	v_lshl_add_u64 v[0:1], v[56:57], 4, s[0:1]
	v_add_u32_e32 v56, s11, v56
	v_add_u32_e32 v64, s11, v56
	;; [unrolled: 1-line block ×5, first 2 shown]
	v_accvgpr_write_b32 a24, v52
	v_ashrrev_i32_e32 v57, 31, v56
	v_ashrrev_i32_e32 v81, 31, v80
	v_accvgpr_write_b32 a25, v53
	global_load_dwordx4 v[52:55], v[52:53], off
	v_lshl_add_u64 v[60:61], v[56:57], 4, s[0:1]
	v_lshl_add_u64 v[76:77], v[80:81], 4, s[0:1]
	v_add_u32_e32 v80, s11, v80
	v_ashrrev_i32_e32 v65, 31, v64
	v_accvgpr_write_b32 a27, v1
	global_load_dwordx4 v[56:59], v[0:1], off
	v_accvgpr_write_b32 a28, v60
	v_ashrrev_i32_e32 v67, 31, v66
	v_add_u32_e32 v88, s11, v80
	v_accvgpr_write_b32 a26, v0
	v_accvgpr_write_b32 a29, v61
	global_load_dwordx4 v[60:63], v[60:61], off
	v_lshl_add_u64 v[0:1], v[64:65], 4, s[0:1]
	v_lshl_add_u64 v[68:69], v[66:67], 4, s[0:1]
	v_ashrrev_i32_e32 v89, 31, v88
	v_ashrrev_i32_e32 v73, 31, v72
	v_accvgpr_write_b32 a31, v1
	global_load_dwordx4 v[64:67], v[0:1], off
	v_accvgpr_write_b32 a32, v68
	v_lshl_add_u64 v[84:85], v[88:89], 4, s[0:1]
	v_add_u32_e32 v88, s11, v88
	v_accvgpr_write_b32 a30, v0
	v_accvgpr_write_b32 a33, v69
	global_load_dwordx4 v[68:71], v[68:69], off
	v_lshl_add_u64 v[0:1], v[72:73], 4, s[0:1]
	v_add_u32_e32 v96, s11, v88
	v_accvgpr_write_b32 a35, v1
	global_load_dwordx4 v[72:75], v[0:1], off
	v_accvgpr_write_b32 a36, v76
	v_ashrrev_i32_e32 v81, 31, v80
	v_ashrrev_i32_e32 v97, 31, v96
	v_accvgpr_write_b32 a34, v0
	v_accvgpr_write_b32 a37, v77
	global_load_dwordx4 v[76:79], v[76:77], off
	v_lshl_add_u64 v[0:1], v[80:81], 4, s[0:1]
	v_lshl_add_u64 v[92:93], v[96:97], 4, s[0:1]
	v_add_u32_e32 v96, s11, v96
	v_accvgpr_write_b32 a39, v1
	global_load_dwordx4 v[80:83], v[0:1], off
	v_accvgpr_write_b32 a40, v84
	v_ashrrev_i32_e32 v89, 31, v88
	v_add_u32_e32 v104, s11, v96
	v_accvgpr_write_b32 a38, v0
	v_accvgpr_write_b32 a41, v85
	global_load_dwordx4 v[84:87], v[84:85], off
	v_lshl_add_u64 v[0:1], v[88:89], 4, s[0:1]
	v_ashrrev_i32_e32 v105, 31, v104
	v_accvgpr_write_b32 a43, v1
	global_load_dwordx4 v[88:91], v[0:1], off
	v_accvgpr_write_b32 a44, v92
	v_ashrrev_i32_e32 v97, 31, v96
	v_lshl_add_u64 v[100:101], v[104:105], 4, s[0:1]
	v_add_u32_e32 v104, s11, v104
	v_accvgpr_write_b32 a42, v0
	v_accvgpr_write_b32 a45, v93
	global_load_dwordx4 v[92:95], v[92:93], off
	v_lshl_add_u64 v[0:1], v[96:97], 4, s[0:1]
	v_add_u32_e32 v112, s11, v104
	v_accvgpr_write_b32 a47, v1
	global_load_dwordx4 v[96:99], v[0:1], off
	v_accvgpr_write_b32 a48, v100
	v_ashrrev_i32_e32 v105, 31, v104
	v_ashrrev_i32_e32 v113, 31, v112
	v_accvgpr_write_b32 a46, v0
	v_accvgpr_write_b32 a49, v101
	global_load_dwordx4 v[100:103], v[100:101], off
	v_lshl_add_u64 v[0:1], v[104:105], 4, s[0:1]
	v_lshl_add_u64 v[108:109], v[112:113], 4, s[0:1]
	global_load_dwordx4 v[104:107], v[0:1], off
	v_accvgpr_write_b32 a52, v108
	v_accvgpr_write_b32 a53, v109
	global_load_dwordx4 v[108:111], v[108:109], off
	s_waitcnt vmcnt(26)
	scratch_store_dwordx4 off, v[2:5], off offset:16
	s_waitcnt vmcnt(26)
	scratch_store_dwordx4 off, v[6:9], off offset:32
	;; [unrolled: 2-line block ×27, first 2 shown]
	v_add_u32_e32 v2, s11, v112
	v_add_u32_e32 v10, s11, v2
	v_ashrrev_i32_e32 v11, 31, v10
	v_lshl_add_u64 v[6:7], v[10:11], 4, s[0:1]
	v_add_u32_e32 v10, s11, v10
	v_add_u32_e32 v18, s11, v10
	v_ashrrev_i32_e32 v19, 31, v18
	v_lshl_add_u64 v[14:15], v[18:19], 4, s[0:1]
	;; [unrolled: 4-line block ×5, first 2 shown]
	v_add_u32_e32 v44, s11, v44
	v_accvgpr_write_b32 a51, v1
	v_ashrrev_i32_e32 v3, 31, v2
	v_add_u32_e32 v52, s11, v44
	v_accvgpr_write_b32 a50, v0
	v_lshl_add_u64 v[0:1], v[2:3], 4, s[0:1]
	v_ashrrev_i32_e32 v53, 31, v52
	v_accvgpr_write_b32 a55, v1
	v_accvgpr_write_b32 a57, v7
	v_ashrrev_i32_e32 v11, 31, v10
	v_lshl_add_u64 v[48:49], v[52:53], 4, s[0:1]
	v_add_u32_e32 v52, s11, v52
	v_accvgpr_write_b32 a54, v0
	global_load_dwordx4 v[2:5], v[0:1], off
	v_accvgpr_write_b32 a56, v6
	global_load_dwordx4 v[6:9], v[6:7], off
	v_lshl_add_u64 v[0:1], v[10:11], 4, s[0:1]
	v_add_u32_e32 v60, s11, v52
	v_accvgpr_write_b32 a59, v1
	v_accvgpr_write_b32 a61, v15
	v_ashrrev_i32_e32 v19, 31, v18
	v_ashrrev_i32_e32 v61, 31, v60
	v_accvgpr_write_b32 a58, v0
	global_load_dwordx4 v[10:13], v[0:1], off
	v_accvgpr_write_b32 a60, v14
	global_load_dwordx4 v[14:17], v[14:15], off
	v_lshl_add_u64 v[0:1], v[18:19], 4, s[0:1]
	v_lshl_add_u64 v[56:57], v[60:61], 4, s[0:1]
	v_add_u32_e32 v60, s11, v60
	v_accvgpr_write_b32 a63, v1
	v_accvgpr_write_b32 a65, v23
	v_ashrrev_i32_e32 v29, 31, v28
	v_add_u32_e32 v68, s11, v60
	v_accvgpr_write_b32 a62, v0
	global_load_dwordx4 v[18:21], v[0:1], off
	v_accvgpr_write_b32 a64, v22
	global_load_dwordx4 v[22:25], v[22:23], off
	v_lshl_add_u64 v[0:1], v[28:29], 4, s[0:1]
	v_ashrrev_i32_e32 v69, 31, v68
	v_accvgpr_write_b32 a67, v1
	v_accvgpr_write_b32 a69, v33
	v_ashrrev_i32_e32 v37, 31, v36
	v_lshl_add_u64 v[64:65], v[68:69], 4, s[0:1]
	v_add_u32_e32 v68, s11, v68
	v_accvgpr_write_b32 a66, v0
	global_load_dwordx4 v[28:31], v[0:1], off
	v_accvgpr_write_b32 a68, v32
	global_load_dwordx4 v[32:35], v[32:33], off
	v_lshl_add_u64 v[0:1], v[36:37], 4, s[0:1]
	v_add_u32_e32 v76, s11, v68
	v_accvgpr_write_b32 a71, v1
	v_accvgpr_write_b32 a73, v41
	v_ashrrev_i32_e32 v45, 31, v44
	v_ashrrev_i32_e32 v77, 31, v76
	v_accvgpr_write_b32 a70, v0
	global_load_dwordx4 v[36:39], v[0:1], off
	v_accvgpr_write_b32 a72, v40
	global_load_dwordx4 v[40:43], v[40:41], off
	v_lshl_add_u64 v[0:1], v[44:45], 4, s[0:1]
	v_lshl_add_u64 v[72:73], v[76:77], 4, s[0:1]
	v_add_u32_e32 v76, s11, v76
	v_accvgpr_write_b32 a75, v1
	v_accvgpr_write_b32 a77, v49
	v_ashrrev_i32_e32 v53, 31, v52
	v_add_u32_e32 v84, s11, v76
	v_accvgpr_write_b32 a74, v0
	global_load_dwordx4 v[44:47], v[0:1], off
	v_accvgpr_write_b32 a76, v48
	global_load_dwordx4 v[48:51], v[48:49], off
	;; [unrolled: 32-line block ×4, first 2 shown]
	v_lshl_add_u64 v[0:1], v[100:101], 4, s[0:1]
	v_ashrrev_i32_e32 v117, 31, v116
	v_accvgpr_write_b32 a103, v1
	v_accvgpr_write_b32 a104, v104
	v_ashrrev_i32_e32 v109, 31, v108
	v_lshl_add_u64 v[112:113], v[116:117], 4, s[0:1]
	v_add_u32_e32 v116, s11, v116
	v_accvgpr_write_b32 a102, v0
	global_load_dwordx4 v[100:103], v[0:1], off
	v_accvgpr_write_b32 a105, v105
	global_load_dwordx4 v[104:107], v[104:105], off
	v_lshl_add_u64 v[0:1], v[108:109], 4, s[0:1]
	v_add_u32_e32 v124, s11, v116
	v_accvgpr_write_b32 a107, v1
	v_accvgpr_write_b32 a108, v112
	v_ashrrev_i32_e32 v117, 31, v116
	v_ashrrev_i32_e32 v125, 31, v124
	v_accvgpr_write_b32 a106, v0
	global_load_dwordx4 v[108:111], v[0:1], off
	v_accvgpr_write_b32 a109, v113
	global_load_dwordx4 v[112:115], v[112:113], off
	v_lshl_add_u64 v[0:1], v[116:117], 4, s[0:1]
	v_lshl_add_u64 v[120:121], v[124:125], 4, s[0:1]
	v_add_u32_e32 v124, s11, v124
	v_accvgpr_write_b32 a111, v1
	v_accvgpr_write_b32 a112, v120
	v_ashrrev_i32_e32 v125, 31, v124
	v_accvgpr_write_b32 a110, v0
	global_load_dwordx4 v[116:119], v[0:1], off
	v_accvgpr_write_b32 a113, v121
	global_load_dwordx4 v[120:123], v[120:121], off
	v_lshl_add_u64 v[0:1], v[124:125], 4, s[0:1]
	v_add_u32_e32 v124, s11, v124
	v_ashrrev_i32_e32 v125, 31, v124
	v_lshl_add_u64 v[128:129], v[124:125], 4, s[0:1]
	s_movk_i32 s0, 0x50
	s_add_i32 s44, s0, 16
	s_movk_i32 s0, 0x60
	s_add_i32 s45, s0, 16
	;; [unrolled: 2-line block ×5, first 2 shown]
	s_movk_i32 s0, 0xa0
	global_load_dwordx4 v[124:127], v[0:1], off
	v_accvgpr_write_b32 a116, v128
	s_add_i32 s49, s0, 16
	s_movk_i32 s0, 0xb0
	v_accvgpr_write_b32 a117, v129
	global_load_dwordx4 v[128:131], v[128:129], off
	s_add_i32 s50, s0, 16
	s_movk_i32 s0, 0xc0
	s_add_i32 s51, s0, 16
	s_movk_i32 s0, 0xd0
	;; [unrolled: 2-line block ×47, first 2 shown]
	v_accvgpr_write_b32 a115, v1
	s_add_i32 s13, s0, 16
	v_accvgpr_write_b32 a114, v0
	s_mov_b32 s74, 32
	s_mov_b32 s73, 48
	;; [unrolled: 1-line block ×3, first 2 shown]
	s_movk_i32 s43, 0x50
	s_bitcmp0_b32 s4, 0
	s_mov_b64 s[4:5], -1
	s_waitcnt vmcnt(31)
	scratch_store_dwordx4 off, v[2:5], off offset:448
	s_waitcnt vmcnt(31)
	scratch_store_dwordx4 off, v[6:9], off offset:464
	;; [unrolled: 2-line block ×32, first 2 shown]
	s_cbranch_scc1 .LBB58_248
; %bb.4:
	v_cmp_eq_u32_e64 s[0:1], 0, v244
	s_and_saveexec_b64 s[4:5], s[0:1]
; %bb.5:
	v_mov_b32_e32 v0, 0
	ds_write_b32 v0, v0 offset:1888
; %bb.6:
	s_or_b64 exec, exec, s[4:5]
	s_waitcnt lgkmcnt(0)
	; wave barrier
	scratch_load_dwordx4 v[2:5], v26, off offset:16
	s_waitcnt vmcnt(0)
	v_cmp_eq_f64_e32 vcc, 0, v[2:3]
	v_cmp_eq_f64_e64 s[4:5], 0, v[4:5]
	s_and_b64 s[4:5], vcc, s[4:5]
	s_and_saveexec_b64 s[8:9], s[4:5]
	s_cbranch_execz .LBB58_10
; %bb.7:
	v_mov_b32_e32 v1, 0
	ds_read_b32 v0, v1 offset:1888
	v_add_u32_e32 v2, 1, v244
	s_waitcnt lgkmcnt(0)
	v_readfirstlane_b32 s4, v0
	s_cmp_eq_u32 s4, 0
	s_cselect_b64 s[10:11], -1, 0
	v_cmp_gt_i32_e32 vcc, s4, v2
	s_or_b64 s[10:11], s[10:11], vcc
	s_and_b64 exec, exec, s[10:11]
	s_cbranch_execz .LBB58_10
; %bb.8:
	s_mov_b64 s[10:11], 0
	v_mov_b32_e32 v3, s4
.LBB58_9:                               ; =>This Inner Loop Header: Depth=1
	ds_cmpst_rtn_b32 v3, v1, v3, v2 offset:1888
	s_waitcnt lgkmcnt(0)
	v_cmp_ne_u32_e32 vcc, 0, v3
	v_cmp_le_i32_e64 s[4:5], v3, v2
	s_and_b64 s[4:5], vcc, s[4:5]
	s_and_b64 s[4:5], exec, s[4:5]
	s_or_b64 s[10:11], s[4:5], s[10:11]
	s_andn2_b64 exec, exec, s[10:11]
	s_cbranch_execnz .LBB58_9
.LBB58_10:
	s_or_b64 exec, exec, s[8:9]
	v_mov_b32_e32 v2, 0
	; wave barrier
	ds_read_b32 v1, v2 offset:1888
	s_and_saveexec_b64 s[4:5], s[0:1]
	s_cbranch_execz .LBB58_12
; %bb.11:
	s_lshl_b64 s[8:9], s[2:3], 2
	s_add_u32 s8, s6, s8
	s_addc_u32 s9, s7, s9
	s_waitcnt lgkmcnt(0)
	global_store_dword v2, v1, s[8:9]
.LBB58_12:
	s_or_b64 exec, exec, s[4:5]
	s_waitcnt lgkmcnt(0)
	v_cmp_ne_u32_e32 vcc, 0, v1
	s_mov_b64 s[4:5], 0
	s_cbranch_vccnz .LBB58_248
; %bb.13:
	v_add_u32_e32 v14, 16, v26
	scratch_load_dwordx4 v[2:5], v14, off
                                        ; implicit-def: $vgpr6_vgpr7
                                        ; implicit-def: $vgpr10_vgpr11
	s_waitcnt vmcnt(0)
	v_cmp_ngt_f64_e64 s[4:5], |v[2:3]|, |v[4:5]|
	s_and_saveexec_b64 s[8:9], s[4:5]
	s_xor_b64 s[4:5], exec, s[8:9]
	s_cbranch_execz .LBB58_15
; %bb.14:
	v_div_scale_f64 v[6:7], s[8:9], v[4:5], v[4:5], v[2:3]
	v_rcp_f64_e32 v[8:9], v[6:7]
	v_div_scale_f64 v[10:11], vcc, v[2:3], v[4:5], v[2:3]
	v_fma_f64 v[12:13], -v[6:7], v[8:9], 1.0
	v_fmac_f64_e32 v[8:9], v[8:9], v[12:13]
	v_fma_f64 v[12:13], -v[6:7], v[8:9], 1.0
	v_fmac_f64_e32 v[8:9], v[8:9], v[12:13]
	v_mul_f64 v[12:13], v[10:11], v[8:9]
	v_fma_f64 v[6:7], -v[6:7], v[12:13], v[10:11]
	v_div_fmas_f64 v[6:7], v[6:7], v[8:9], v[12:13]
	v_div_fixup_f64 v[6:7], v[6:7], v[4:5], v[2:3]
	v_fmac_f64_e32 v[4:5], v[2:3], v[6:7]
	v_div_scale_f64 v[2:3], s[8:9], v[4:5], v[4:5], 1.0
	v_rcp_f64_e32 v[8:9], v[2:3]
	s_nop 0
	v_fma_f64 v[10:11], -v[2:3], v[8:9], 1.0
	v_fmac_f64_e32 v[8:9], v[8:9], v[10:11]
	v_fma_f64 v[10:11], -v[2:3], v[8:9], 1.0
	v_fmac_f64_e32 v[8:9], v[8:9], v[10:11]
	v_div_scale_f64 v[10:11], vcc, 1.0, v[4:5], 1.0
	v_mul_f64 v[12:13], v[10:11], v[8:9]
	v_fma_f64 v[2:3], -v[2:3], v[12:13], v[10:11]
	s_nop 1
	v_div_fmas_f64 v[2:3], v[2:3], v[8:9], v[12:13]
	v_div_fixup_f64 v[8:9], v[2:3], v[4:5], 1.0
	v_mul_f64 v[6:7], v[6:7], v[8:9]
	v_xor_b32_e32 v9, 0x80000000, v9
	v_xor_b32_e32 v11, 0x80000000, v7
	v_mov_b32_e32 v10, v6
                                        ; implicit-def: $vgpr2_vgpr3
.LBB58_15:
	s_andn2_saveexec_b64 s[4:5], s[4:5]
	s_cbranch_execz .LBB58_17
; %bb.16:
	v_div_scale_f64 v[6:7], s[8:9], v[2:3], v[2:3], v[4:5]
	v_rcp_f64_e32 v[8:9], v[6:7]
	v_div_scale_f64 v[10:11], vcc, v[4:5], v[2:3], v[4:5]
	v_fma_f64 v[12:13], -v[6:7], v[8:9], 1.0
	v_fmac_f64_e32 v[8:9], v[8:9], v[12:13]
	v_fma_f64 v[12:13], -v[6:7], v[8:9], 1.0
	v_fmac_f64_e32 v[8:9], v[8:9], v[12:13]
	v_mul_f64 v[12:13], v[10:11], v[8:9]
	v_fma_f64 v[6:7], -v[6:7], v[12:13], v[10:11]
	v_div_fmas_f64 v[6:7], v[6:7], v[8:9], v[12:13]
	v_div_fixup_f64 v[8:9], v[6:7], v[2:3], v[4:5]
	v_fmac_f64_e32 v[2:3], v[4:5], v[8:9]
	v_div_scale_f64 v[4:5], s[8:9], v[2:3], v[2:3], 1.0
	v_rcp_f64_e32 v[6:7], v[4:5]
	s_nop 0
	v_fma_f64 v[10:11], -v[4:5], v[6:7], 1.0
	v_fmac_f64_e32 v[6:7], v[6:7], v[10:11]
	v_fma_f64 v[10:11], -v[4:5], v[6:7], 1.0
	v_fmac_f64_e32 v[6:7], v[6:7], v[10:11]
	v_div_scale_f64 v[10:11], vcc, 1.0, v[2:3], 1.0
	v_mul_f64 v[12:13], v[10:11], v[6:7]
	v_fma_f64 v[4:5], -v[4:5], v[12:13], v[10:11]
	s_nop 1
	v_div_fmas_f64 v[4:5], v[4:5], v[6:7], v[12:13]
	v_div_fixup_f64 v[6:7], v[4:5], v[2:3], 1.0
	v_xor_b32_e32 v11, 0x80000000, v7
	v_mov_b32_e32 v10, v6
	v_mul_f64 v[8:9], v[8:9], -v[6:7]
.LBB58_17:
	s_or_b64 exec, exec, s[4:5]
	scratch_store_dwordx4 v14, v[6:9], off
	scratch_load_dwordx4 v[2:5], off, s74
	v_xor_b32_e32 v13, 0x80000000, v9
	v_mov_b32_e32 v12, v8
	v_add_u32_e32 v1, 0x3b0, v26
	ds_write_b128 v26, v[10:13]
	s_waitcnt vmcnt(0)
	ds_write_b128 v26, v[2:5] offset:944
	s_waitcnt lgkmcnt(0)
	; wave barrier
	s_and_saveexec_b64 s[4:5], s[0:1]
	s_cbranch_execz .LBB58_19
; %bb.18:
	scratch_load_dwordx4 v[2:5], v14, off
	ds_read_b128 v[6:9], v1
	v_mov_b32_e32 v0, 0
	ds_read_b128 v[10:13], v0 offset:16
	s_waitcnt vmcnt(0) lgkmcnt(1)
	v_mul_f64 v[16:17], v[8:9], v[4:5]
	v_mul_f64 v[4:5], v[6:7], v[4:5]
	v_fma_f64 v[6:7], v[6:7], v[2:3], -v[16:17]
	v_fmac_f64_e32 v[4:5], v[8:9], v[2:3]
	v_add_f64 v[2:3], v[6:7], 0
	v_add_f64 v[6:7], v[4:5], 0
	s_waitcnt lgkmcnt(0)
	v_mul_f64 v[8:9], v[6:7], v[12:13]
	v_mul_f64 v[4:5], v[2:3], v[12:13]
	v_fma_f64 v[2:3], v[2:3], v[10:11], -v[8:9]
	v_fmac_f64_e32 v[4:5], v[6:7], v[10:11]
	scratch_store_dwordx4 off, v[2:5], off offset:32
.LBB58_19:
	s_or_b64 exec, exec, s[4:5]
	; wave barrier
	scratch_load_dwordx4 v[2:5], off, s73
	v_cmp_gt_u32_e32 vcc, 2, v244
	s_waitcnt vmcnt(0)
	ds_write_b128 v1, v[2:5]
	s_waitcnt lgkmcnt(0)
	; wave barrier
	s_and_saveexec_b64 s[4:5], vcc
	s_cbranch_execz .LBB58_23
; %bb.20:
	scratch_load_dwordx4 v[2:5], v14, off
	ds_read_b128 v[6:9], v1
	s_waitcnt vmcnt(0) lgkmcnt(0)
	v_mul_f64 v[10:11], v[8:9], v[4:5]
	v_mul_f64 v[12:13], v[6:7], v[4:5]
	v_fma_f64 v[4:5], v[6:7], v[2:3], -v[10:11]
	v_fmac_f64_e32 v[12:13], v[8:9], v[2:3]
	v_add_f64 v[4:5], v[4:5], 0
	v_add_f64 v[2:3], v[12:13], 0
	s_and_saveexec_b64 s[8:9], s[0:1]
	s_cbranch_execz .LBB58_22
; %bb.21:
	scratch_load_dwordx4 v[6:9], off, off offset:32
	v_mov_b32_e32 v0, 0
	ds_read_b128 v[10:13], v0 offset:960
	s_waitcnt vmcnt(0) lgkmcnt(0)
	v_mul_f64 v[14:15], v[10:11], v[8:9]
	v_mul_f64 v[8:9], v[12:13], v[8:9]
	v_fmac_f64_e32 v[14:15], v[12:13], v[6:7]
	v_fma_f64 v[6:7], v[10:11], v[6:7], -v[8:9]
	v_add_f64 v[2:3], v[2:3], v[14:15]
	v_add_f64 v[4:5], v[4:5], v[6:7]
.LBB58_22:
	s_or_b64 exec, exec, s[8:9]
	v_mov_b32_e32 v0, 0
	ds_read_b128 v[6:9], v0 offset:32
	s_waitcnt lgkmcnt(0)
	v_mul_f64 v[12:13], v[2:3], v[8:9]
	v_mul_f64 v[10:11], v[4:5], v[8:9]
	v_fma_f64 v[8:9], v[4:5], v[6:7], -v[12:13]
	v_fmac_f64_e32 v[10:11], v[2:3], v[6:7]
	scratch_store_dwordx4 off, v[8:11], off offset:48
.LBB58_23:
	s_or_b64 exec, exec, s[4:5]
	; wave barrier
	scratch_load_dwordx4 v[2:5], off, s72
	v_cmp_gt_u32_e32 vcc, 3, v244
	v_add_u32_e32 v6, -1, v244
	s_waitcnt vmcnt(0)
	ds_write_b128 v1, v[2:5]
	s_waitcnt lgkmcnt(0)
	; wave barrier
	s_and_saveexec_b64 s[0:1], vcc
	s_cbranch_execz .LBB58_27
; %bb.24:
	v_add_u32_e32 v7, -1, v244
	v_add_u32_e32 v8, 0x3b0, v26
	v_add_u32_e32 v9, 16, v26
	v_mov_b64_e32 v[2:3], 0
	s_mov_b64 s[4:5], 0
	v_mov_b64_e32 v[4:5], 0
.LBB58_25:                              ; =>This Inner Loop Header: Depth=1
	scratch_load_dwordx4 v[10:13], v9, off
	ds_read_b128 v[14:17], v8
	v_add_u32_e32 v7, 1, v7
	v_cmp_lt_u32_e32 vcc, 1, v7
	v_add_u32_e32 v8, 16, v8
	v_add_u32_e32 v9, 16, v9
	s_or_b64 s[4:5], vcc, s[4:5]
	s_waitcnt vmcnt(0) lgkmcnt(0)
	v_mul_f64 v[18:19], v[16:17], v[12:13]
	v_mul_f64 v[12:13], v[14:15], v[12:13]
	v_fma_f64 v[14:15], v[14:15], v[10:11], -v[18:19]
	v_fmac_f64_e32 v[12:13], v[16:17], v[10:11]
	v_add_f64 v[4:5], v[4:5], v[14:15]
	v_add_f64 v[2:3], v[2:3], v[12:13]
	s_andn2_b64 exec, exec, s[4:5]
	s_cbranch_execnz .LBB58_25
; %bb.26:
	s_or_b64 exec, exec, s[4:5]
	v_mov_b32_e32 v0, 0
	ds_read_b128 v[8:11], v0 offset:48
	s_waitcnt lgkmcnt(0)
	v_mul_f64 v[14:15], v[2:3], v[10:11]
	v_mul_f64 v[12:13], v[4:5], v[10:11]
	v_fma_f64 v[10:11], v[4:5], v[8:9], -v[14:15]
	v_fmac_f64_e32 v[12:13], v[2:3], v[8:9]
	scratch_store_dwordx4 off, v[10:13], off offset:64
.LBB58_27:
	s_or_b64 exec, exec, s[0:1]
	; wave barrier
	scratch_load_dwordx4 v[2:5], off, s43
	v_cmp_gt_u32_e32 vcc, 4, v244
	s_waitcnt vmcnt(0)
	ds_write_b128 v1, v[2:5]
	s_waitcnt lgkmcnt(0)
	; wave barrier
	s_and_saveexec_b64 s[0:1], vcc
	s_cbranch_execz .LBB58_31
; %bb.28:
	v_add_u32_e32 v7, -1, v244
	v_add_u32_e32 v8, 0x3b0, v26
	v_add_u32_e32 v9, 16, v26
	v_mov_b64_e32 v[2:3], 0
	s_mov_b64 s[4:5], 0
	v_mov_b64_e32 v[4:5], 0
.LBB58_29:                              ; =>This Inner Loop Header: Depth=1
	scratch_load_dwordx4 v[10:13], v9, off
	ds_read_b128 v[14:17], v8
	v_add_u32_e32 v7, 1, v7
	v_cmp_lt_u32_e32 vcc, 2, v7
	v_add_u32_e32 v8, 16, v8
	v_add_u32_e32 v9, 16, v9
	s_or_b64 s[4:5], vcc, s[4:5]
	s_waitcnt vmcnt(0) lgkmcnt(0)
	v_mul_f64 v[18:19], v[16:17], v[12:13]
	v_mul_f64 v[12:13], v[14:15], v[12:13]
	v_fma_f64 v[14:15], v[14:15], v[10:11], -v[18:19]
	v_fmac_f64_e32 v[12:13], v[16:17], v[10:11]
	v_add_f64 v[4:5], v[4:5], v[14:15]
	v_add_f64 v[2:3], v[2:3], v[12:13]
	s_andn2_b64 exec, exec, s[4:5]
	s_cbranch_execnz .LBB58_29
; %bb.30:
	s_or_b64 exec, exec, s[4:5]
	v_mov_b32_e32 v0, 0
	ds_read_b128 v[8:11], v0 offset:64
	s_waitcnt lgkmcnt(0)
	v_mul_f64 v[14:15], v[2:3], v[10:11]
	v_mul_f64 v[12:13], v[4:5], v[10:11]
	v_fma_f64 v[10:11], v[4:5], v[8:9], -v[14:15]
	v_fmac_f64_e32 v[12:13], v[2:3], v[8:9]
	scratch_store_dwordx4 off, v[10:13], off offset:80
.LBB58_31:
	s_or_b64 exec, exec, s[0:1]
	; wave barrier
	scratch_load_dwordx4 v[2:5], off, s44
	v_cmp_gt_u32_e32 vcc, 5, v244
	;; [unrolled: 45-line block ×19, first 2 shown]
	s_waitcnt vmcnt(0)
	ds_write_b128 v1, v[2:5]
	s_waitcnt lgkmcnt(0)
	; wave barrier
	s_and_saveexec_b64 s[0:1], vcc
	s_cbranch_execz .LBB58_103
; %bb.100:
	v_add_u32_e32 v7, -1, v244
	v_add_u32_e32 v8, 0x3b0, v26
	v_add_u32_e32 v9, 16, v26
	v_mov_b64_e32 v[2:3], 0
	s_mov_b64 s[4:5], 0
	v_mov_b64_e32 v[4:5], 0
.LBB58_101:                             ; =>This Inner Loop Header: Depth=1
	scratch_load_dwordx4 v[10:13], v9, off
	ds_read_b128 v[14:17], v8
	v_add_u32_e32 v7, 1, v7
	v_cmp_lt_u32_e32 vcc, 20, v7
	v_add_u32_e32 v8, 16, v8
	v_add_u32_e32 v9, 16, v9
	s_or_b64 s[4:5], vcc, s[4:5]
	s_waitcnt vmcnt(0) lgkmcnt(0)
	v_mul_f64 v[18:19], v[16:17], v[12:13]
	v_mul_f64 v[12:13], v[14:15], v[12:13]
	v_fma_f64 v[14:15], v[14:15], v[10:11], -v[18:19]
	v_fmac_f64_e32 v[12:13], v[16:17], v[10:11]
	v_add_f64 v[4:5], v[4:5], v[14:15]
	v_add_f64 v[2:3], v[2:3], v[12:13]
	s_andn2_b64 exec, exec, s[4:5]
	s_cbranch_execnz .LBB58_101
; %bb.102:
	s_or_b64 exec, exec, s[4:5]
	v_mov_b32_e32 v0, 0
	ds_read_b128 v[8:11], v0 offset:352
	s_waitcnt lgkmcnt(0)
	v_mul_f64 v[14:15], v[2:3], v[10:11]
	v_mul_f64 v[12:13], v[4:5], v[10:11]
	v_fma_f64 v[10:11], v[4:5], v[8:9], -v[14:15]
	v_fmac_f64_e32 v[12:13], v[2:3], v[8:9]
	scratch_store_dwordx4 off, v[10:13], off offset:368
.LBB58_103:
	s_or_b64 exec, exec, s[0:1]
	; wave barrier
	scratch_load_dwordx4 v[2:5], off, s62
	v_cmp_gt_u32_e32 vcc, 23, v244
	s_waitcnt vmcnt(0)
	ds_write_b128 v1, v[2:5]
	s_waitcnt lgkmcnt(0)
	; wave barrier
	s_and_saveexec_b64 s[0:1], vcc
	s_cbranch_execz .LBB58_107
; %bb.104:
	v_add_u32_e32 v7, -1, v244
	v_add_u32_e32 v8, 0x3b0, v26
	v_add_u32_e32 v9, 16, v26
	v_mov_b64_e32 v[2:3], 0
	s_mov_b64 s[4:5], 0
	v_mov_b64_e32 v[4:5], 0
.LBB58_105:                             ; =>This Inner Loop Header: Depth=1
	scratch_load_dwordx4 v[10:13], v9, off
	ds_read_b128 v[14:17], v8
	v_add_u32_e32 v7, 1, v7
	v_cmp_lt_u32_e32 vcc, 21, v7
	v_add_u32_e32 v8, 16, v8
	v_add_u32_e32 v9, 16, v9
	s_or_b64 s[4:5], vcc, s[4:5]
	s_waitcnt vmcnt(0) lgkmcnt(0)
	v_mul_f64 v[18:19], v[16:17], v[12:13]
	v_mul_f64 v[12:13], v[14:15], v[12:13]
	v_fma_f64 v[14:15], v[14:15], v[10:11], -v[18:19]
	v_fmac_f64_e32 v[12:13], v[16:17], v[10:11]
	v_add_f64 v[4:5], v[4:5], v[14:15]
	v_add_f64 v[2:3], v[2:3], v[12:13]
	s_andn2_b64 exec, exec, s[4:5]
	s_cbranch_execnz .LBB58_105
; %bb.106:
	s_or_b64 exec, exec, s[4:5]
	v_mov_b32_e32 v0, 0
	ds_read_b128 v[8:11], v0 offset:368
	s_waitcnt lgkmcnt(0)
	v_mul_f64 v[14:15], v[2:3], v[10:11]
	v_mul_f64 v[12:13], v[4:5], v[10:11]
	v_fma_f64 v[10:11], v[4:5], v[8:9], -v[14:15]
	v_fmac_f64_e32 v[12:13], v[2:3], v[8:9]
	scratch_store_dwordx4 off, v[10:13], off offset:384
.LBB58_107:
	s_or_b64 exec, exec, s[0:1]
	; wave barrier
	scratch_load_dwordx4 v[2:5], off, s63
	v_cmp_gt_u32_e32 vcc, 24, v244
	;; [unrolled: 45-line block ×35, first 2 shown]
	s_waitcnt vmcnt(0)
	ds_write_b128 v1, v[2:5]
	s_waitcnt lgkmcnt(0)
	; wave barrier
	s_and_saveexec_b64 s[0:1], vcc
	s_cbranch_execz .LBB58_243
; %bb.240:
	v_add_u32_e32 v7, -1, v244
	v_add_u32_e32 v8, 0x3b0, v26
	v_add_u32_e32 v9, 16, v26
	v_mov_b64_e32 v[2:3], 0
	s_mov_b64 s[4:5], 0
	v_mov_b64_e32 v[4:5], 0
.LBB58_241:                             ; =>This Inner Loop Header: Depth=1
	scratch_load_dwordx4 v[10:13], v9, off
	ds_read_b128 v[14:17], v8
	v_add_u32_e32 v7, 1, v7
	v_cmp_lt_u32_e32 vcc, 55, v7
	v_add_u32_e32 v8, 16, v8
	v_add_u32_e32 v9, 16, v9
	s_or_b64 s[4:5], vcc, s[4:5]
	s_waitcnt vmcnt(0) lgkmcnt(0)
	v_mul_f64 v[18:19], v[16:17], v[12:13]
	v_mul_f64 v[12:13], v[14:15], v[12:13]
	v_fma_f64 v[14:15], v[14:15], v[10:11], -v[18:19]
	v_fmac_f64_e32 v[12:13], v[16:17], v[10:11]
	v_add_f64 v[4:5], v[4:5], v[14:15]
	v_add_f64 v[2:3], v[2:3], v[12:13]
	s_andn2_b64 exec, exec, s[4:5]
	s_cbranch_execnz .LBB58_241
; %bb.242:
	s_or_b64 exec, exec, s[4:5]
	v_mov_b32_e32 v0, 0
	ds_read_b128 v[8:11], v0 offset:912
	s_waitcnt lgkmcnt(0)
	v_mul_f64 v[14:15], v[2:3], v[10:11]
	v_mul_f64 v[12:13], v[4:5], v[10:11]
	v_fma_f64 v[10:11], v[4:5], v[8:9], -v[14:15]
	v_fmac_f64_e32 v[12:13], v[2:3], v[8:9]
	scratch_store_dwordx4 off, v[10:13], off offset:928
.LBB58_243:
	s_or_b64 exec, exec, s[0:1]
	; wave barrier
	scratch_load_dwordx4 v[2:5], off, s13
	v_cmp_ne_u32_e32 vcc, 58, v244
	s_waitcnt vmcnt(0)
	ds_write_b128 v1, v[2:5]
	s_waitcnt lgkmcnt(0)
	; wave barrier
	s_and_saveexec_b64 s[0:1], vcc
	s_cbranch_execz .LBB58_247
; %bb.244:
	v_add_u32_e32 v1, 0x3b0, v26
	v_add_u32_e32 v7, 16, v26
	v_mov_b64_e32 v[2:3], 0
	s_mov_b64 s[4:5], 0
	v_mov_b64_e32 v[4:5], 0
.LBB58_245:                             ; =>This Inner Loop Header: Depth=1
	scratch_load_dwordx4 v[8:11], v7, off
	ds_read_b128 v[12:15], v1
	v_add_u32_e32 v6, 1, v6
	v_cmp_lt_u32_e32 vcc, 56, v6
	v_add_u32_e32 v1, 16, v1
	v_add_u32_e32 v7, 16, v7
	s_or_b64 s[4:5], vcc, s[4:5]
	s_waitcnt vmcnt(0) lgkmcnt(0)
	v_mul_f64 v[16:17], v[14:15], v[10:11]
	v_mul_f64 v[10:11], v[12:13], v[10:11]
	v_fma_f64 v[12:13], v[12:13], v[8:9], -v[16:17]
	v_fmac_f64_e32 v[10:11], v[14:15], v[8:9]
	v_add_f64 v[4:5], v[4:5], v[12:13]
	v_add_f64 v[2:3], v[2:3], v[10:11]
	s_andn2_b64 exec, exec, s[4:5]
	s_cbranch_execnz .LBB58_245
; %bb.246:
	s_or_b64 exec, exec, s[4:5]
	v_mov_b32_e32 v0, 0
	ds_read_b128 v[6:9], v0 offset:928
	s_waitcnt lgkmcnt(0)
	v_mul_f64 v[12:13], v[2:3], v[8:9]
	v_mul_f64 v[10:11], v[4:5], v[8:9]
	v_fma_f64 v[8:9], v[4:5], v[6:7], -v[12:13]
	v_fmac_f64_e32 v[10:11], v[2:3], v[6:7]
	scratch_store_dwordx4 off, v[8:11], off offset:944
.LBB58_247:
	s_or_b64 exec, exec, s[0:1]
	s_mov_b64 s[4:5], -1
	; wave barrier
.LBB58_248:
	s_and_b64 vcc, exec, s[4:5]
	s_cbranch_vccz .LBB58_250
; %bb.249:
	s_lshl_b64 s[0:1], s[2:3], 2
	s_add_u32 s0, s6, s0
	s_addc_u32 s1, s7, s1
	v_mov_b32_e32 v0, 0
	global_load_dword v0, v0, s[0:1]
	s_waitcnt vmcnt(0)
	v_cmp_ne_u32_e32 vcc, 0, v0
	s_cbranch_vccz .LBB58_251
.LBB58_250:
	s_endpgm
.LBB58_251:
	v_mov_b32_e32 v0, 0x3b0
	v_lshl_add_u32 v0, v244, 4, v0
	v_accvgpr_write_b32 a119, v0
	v_cmp_eq_u32_e32 vcc, 58, v244
	s_and_saveexec_b64 s[0:1], vcc
	s_cbranch_execz .LBB58_253
; %bb.252:
	scratch_load_dwordx4 v[2:5], off, s12
	v_mov_b32_e32 v6, 0
	v_mov_b32_e32 v7, v6
	v_mov_b32_e32 v8, v6
	v_mov_b32_e32 v9, v6
	v_accvgpr_read_b32 v0, a119
	scratch_store_dwordx4 off, v[6:9], off offset:928
	s_waitcnt vmcnt(1)
	ds_write_b128 v0, v[2:5]
.LBB58_253:
	s_or_b64 exec, exec, s[0:1]
	s_waitcnt lgkmcnt(0)
	; wave barrier
	scratch_load_dwordx4 v[4:7], off, off offset:944
	scratch_load_dwordx4 v[8:11], off, off offset:928
	v_mov_b32_e32 v2, 0
	ds_read_b128 v[12:15], v2 offset:1872
	v_cmp_lt_u32_e32 vcc, 56, v244
	s_waitcnt vmcnt(1) lgkmcnt(0)
	v_mul_f64 v[16:17], v[12:13], v[6:7]
	v_mul_f64 v[6:7], v[14:15], v[6:7]
	v_fmac_f64_e32 v[16:17], v[14:15], v[4:5]
	v_fma_f64 v[4:5], v[12:13], v[4:5], -v[6:7]
	v_add_f64 v[6:7], v[16:17], 0
	v_add_f64 v[4:5], v[4:5], 0
	s_waitcnt vmcnt(0)
	v_add_f64 v[4:5], v[8:9], -v[4:5]
	v_add_f64 v[6:7], v[10:11], -v[6:7]
	scratch_store_dwordx4 off, v[4:7], off offset:928
	s_and_saveexec_b64 s[0:1], vcc
	s_cbranch_execz .LBB58_255
; %bb.254:
	scratch_load_dwordx4 v[6:9], off, s15
	v_mov_b32_e32 v3, v2
	v_mov_b32_e32 v4, v2
	;; [unrolled: 1-line block ×3, first 2 shown]
	v_accvgpr_read_b32 v0, a119
	scratch_store_dwordx4 off, v[2:5], off offset:912
	s_waitcnt vmcnt(1)
	ds_write_b128 v0, v[6:9]
.LBB58_255:
	s_or_b64 exec, exec, s[0:1]
	s_waitcnt lgkmcnt(0)
	; wave barrier
	scratch_load_dwordx4 v[4:7], off, off offset:928
	scratch_load_dwordx4 v[8:11], off, off offset:944
	;; [unrolled: 1-line block ×3, first 2 shown]
	ds_read_b128 v[16:19], v2 offset:1856
	ds_read_b128 v[20:23], v2 offset:1872
	v_cmp_lt_u32_e32 vcc, 55, v244
	s_waitcnt vmcnt(2) lgkmcnt(1)
	v_mul_f64 v[2:3], v[16:17], v[6:7]
	v_mul_f64 v[6:7], v[18:19], v[6:7]
	s_waitcnt vmcnt(1) lgkmcnt(0)
	v_mul_f64 v[24:25], v[20:21], v[10:11]
	v_mul_f64 v[10:11], v[22:23], v[10:11]
	v_fmac_f64_e32 v[2:3], v[18:19], v[4:5]
	v_fma_f64 v[4:5], v[16:17], v[4:5], -v[6:7]
	v_fmac_f64_e32 v[24:25], v[22:23], v[8:9]
	v_fma_f64 v[6:7], v[20:21], v[8:9], -v[10:11]
	v_add_f64 v[2:3], v[2:3], 0
	v_add_f64 v[4:5], v[4:5], 0
	;; [unrolled: 1-line block ×4, first 2 shown]
	s_waitcnt vmcnt(0)
	v_add_f64 v[2:3], v[12:13], -v[2:3]
	v_add_f64 v[4:5], v[14:15], -v[8:9]
	scratch_store_dwordx4 off, v[2:5], off offset:912
	s_and_saveexec_b64 s[0:1], vcc
	s_cbranch_execz .LBB58_257
; %bb.256:
	scratch_load_dwordx4 v[2:5], off, s14
	v_mov_b32_e32 v6, 0
	v_mov_b32_e32 v7, v6
	;; [unrolled: 1-line block ×4, first 2 shown]
	v_accvgpr_read_b32 v0, a119
	scratch_store_dwordx4 off, v[6:9], off offset:896
	s_waitcnt vmcnt(1)
	ds_write_b128 v0, v[2:5]
.LBB58_257:
	s_or_b64 exec, exec, s[0:1]
	s_waitcnt lgkmcnt(0)
	; wave barrier
	scratch_load_dwordx4 v[4:7], off, off offset:912
	scratch_load_dwordx4 v[8:11], off, off offset:928
	scratch_load_dwordx4 v[12:15], off, off offset:944
	scratch_load_dwordx4 v[16:19], off, off offset:896
	v_mov_b32_e32 v2, 0
	ds_read_b128 v[20:23], v2 offset:1840
	ds_read_b128 v[24:27], v2 offset:1856
	;; [unrolled: 1-line block ×3, first 2 shown]
	v_cmp_lt_u32_e32 vcc, 54, v244
	s_waitcnt vmcnt(3) lgkmcnt(2)
	v_mul_f64 v[32:33], v[20:21], v[6:7]
	v_mul_f64 v[6:7], v[22:23], v[6:7]
	s_waitcnt vmcnt(2) lgkmcnt(1)
	v_mul_f64 v[34:35], v[24:25], v[10:11]
	v_mul_f64 v[10:11], v[26:27], v[10:11]
	v_fmac_f64_e32 v[32:33], v[22:23], v[4:5]
	v_fma_f64 v[4:5], v[20:21], v[4:5], -v[6:7]
	s_waitcnt vmcnt(1) lgkmcnt(0)
	v_mul_f64 v[36:37], v[28:29], v[14:15]
	v_mul_f64 v[14:15], v[30:31], v[14:15]
	v_fmac_f64_e32 v[34:35], v[26:27], v[8:9]
	v_fma_f64 v[6:7], v[24:25], v[8:9], -v[10:11]
	v_add_f64 v[10:11], v[32:33], 0
	v_add_f64 v[4:5], v[4:5], 0
	v_fmac_f64_e32 v[36:37], v[30:31], v[12:13]
	v_fma_f64 v[8:9], v[28:29], v[12:13], -v[14:15]
	v_add_f64 v[10:11], v[10:11], v[34:35]
	v_add_f64 v[4:5], v[4:5], v[6:7]
	;; [unrolled: 1-line block ×4, first 2 shown]
	s_waitcnt vmcnt(0)
	v_add_f64 v[4:5], v[16:17], -v[4:5]
	v_add_f64 v[6:7], v[18:19], -v[6:7]
	scratch_store_dwordx4 off, v[4:7], off offset:896
	s_and_saveexec_b64 s[0:1], vcc
	s_cbranch_execz .LBB58_259
; %bb.258:
	scratch_load_dwordx4 v[6:9], off, s21
	v_mov_b32_e32 v3, v2
	v_mov_b32_e32 v4, v2
	;; [unrolled: 1-line block ×3, first 2 shown]
	v_accvgpr_read_b32 v0, a119
	scratch_store_dwordx4 off, v[2:5], off offset:880
	s_waitcnt vmcnt(1)
	ds_write_b128 v0, v[6:9]
.LBB58_259:
	s_or_b64 exec, exec, s[0:1]
	s_waitcnt lgkmcnt(0)
	; wave barrier
	scratch_load_dwordx4 v[4:7], off, off offset:896
	scratch_load_dwordx4 v[8:11], off, off offset:912
	;; [unrolled: 1-line block ×5, first 2 shown]
	ds_read_b128 v[24:27], v2 offset:1824
	ds_read_b128 v[28:31], v2 offset:1840
	;; [unrolled: 1-line block ×4, first 2 shown]
	v_cmp_lt_u32_e32 vcc, 53, v244
	s_waitcnt vmcnt(4) lgkmcnt(3)
	v_mul_f64 v[2:3], v[24:25], v[6:7]
	v_mul_f64 v[6:7], v[26:27], v[6:7]
	s_waitcnt vmcnt(3) lgkmcnt(2)
	v_mul_f64 v[40:41], v[28:29], v[10:11]
	v_mul_f64 v[10:11], v[30:31], v[10:11]
	v_fmac_f64_e32 v[2:3], v[26:27], v[4:5]
	v_fma_f64 v[4:5], v[24:25], v[4:5], -v[6:7]
	s_waitcnt vmcnt(2) lgkmcnt(1)
	v_mul_f64 v[42:43], v[32:33], v[14:15]
	v_mul_f64 v[14:15], v[34:35], v[14:15]
	v_fmac_f64_e32 v[40:41], v[30:31], v[8:9]
	v_fma_f64 v[6:7], v[28:29], v[8:9], -v[10:11]
	v_add_f64 v[2:3], v[2:3], 0
	v_add_f64 v[4:5], v[4:5], 0
	s_waitcnt vmcnt(1) lgkmcnt(0)
	v_mul_f64 v[44:45], v[36:37], v[18:19]
	v_mul_f64 v[18:19], v[38:39], v[18:19]
	v_fmac_f64_e32 v[42:43], v[34:35], v[12:13]
	v_fma_f64 v[8:9], v[32:33], v[12:13], -v[14:15]
	v_add_f64 v[2:3], v[2:3], v[40:41]
	v_add_f64 v[4:5], v[4:5], v[6:7]
	v_fmac_f64_e32 v[44:45], v[38:39], v[16:17]
	v_fma_f64 v[10:11], v[36:37], v[16:17], -v[18:19]
	v_add_f64 v[2:3], v[2:3], v[42:43]
	v_add_f64 v[4:5], v[4:5], v[8:9]
	;; [unrolled: 1-line block ×4, first 2 shown]
	s_waitcnt vmcnt(0)
	v_add_f64 v[2:3], v[20:21], -v[2:3]
	v_add_f64 v[4:5], v[22:23], -v[6:7]
	scratch_store_dwordx4 off, v[2:5], off offset:880
	s_and_saveexec_b64 s[0:1], vcc
	s_cbranch_execz .LBB58_261
; %bb.260:
	scratch_load_dwordx4 v[2:5], off, s20
	v_mov_b32_e32 v6, 0
	v_mov_b32_e32 v7, v6
	;; [unrolled: 1-line block ×4, first 2 shown]
	v_accvgpr_read_b32 v0, a119
	scratch_store_dwordx4 off, v[6:9], off offset:864
	s_waitcnt vmcnt(1)
	ds_write_b128 v0, v[2:5]
.LBB58_261:
	s_or_b64 exec, exec, s[0:1]
	v_mov_b32_e32 v2, 0
	s_waitcnt lgkmcnt(0)
	; wave barrier
	ds_read_b128 v[4:7], v2 offset:1808
	ds_read_b128 v[8:11], v2 offset:1824
	;; [unrolled: 1-line block ×4, first 2 shown]
	scratch_load_dwordx4 v[20:23], off, off offset:880
	scratch_load_dwordx4 v[40:43], off, off offset:944
	v_cmp_lt_u32_e32 vcc, 52, v244
	s_waitcnt vmcnt(1) lgkmcnt(3)
	v_mul_f64 v[24:25], v[4:5], v[22:23]
	v_fmac_f64_e32 v[24:25], v[6:7], v[20:21]
	v_add_f64 v[28:29], v[24:25], 0
	scratch_load_dwordx4 v[24:27], off, off offset:896
	v_mul_f64 v[6:7], v[6:7], v[22:23]
	v_fma_f64 v[4:5], v[4:5], v[20:21], -v[6:7]
	v_add_f64 v[4:5], v[4:5], 0
	s_waitcnt vmcnt(0) lgkmcnt(2)
	v_mul_f64 v[30:31], v[8:9], v[26:27]
	v_fmac_f64_e32 v[30:31], v[10:11], v[24:25]
	v_add_f64 v[32:33], v[28:29], v[30:31]
	scratch_load_dwordx4 v[28:31], off, off offset:912
	v_mul_f64 v[6:7], v[10:11], v[26:27]
	v_fma_f64 v[6:7], v[8:9], v[24:25], -v[6:7]
	v_add_f64 v[4:5], v[4:5], v[6:7]
	;; [unrolled: 8-line block ×3, first 2 shown]
	s_waitcnt vmcnt(0) lgkmcnt(0)
	v_mul_f64 v[38:39], v[16:17], v[34:35]
	v_fmac_f64_e32 v[38:39], v[18:19], v[32:33]
	v_add_f64 v[44:45], v[36:37], v[38:39]
	ds_read_b128 v[36:39], v2 offset:1872
	v_mul_f64 v[6:7], v[18:19], v[34:35]
	v_fma_f64 v[6:7], v[16:17], v[32:33], -v[6:7]
	v_add_f64 v[4:5], v[4:5], v[6:7]
	s_waitcnt lgkmcnt(0)
	v_mul_f64 v[6:7], v[38:39], v[42:43]
	v_fma_f64 v[6:7], v[36:37], v[40:41], -v[6:7]
	v_add_f64 v[8:9], v[4:5], v[6:7]
	scratch_load_dwordx4 v[4:7], off, off offset:864
	v_mul_f64 v[46:47], v[36:37], v[42:43]
	v_fmac_f64_e32 v[46:47], v[38:39], v[40:41]
	v_add_f64 v[44:45], v[44:45], v[46:47]
	s_waitcnt vmcnt(0)
	v_add_f64 v[4:5], v[4:5], -v[8:9]
	v_add_f64 v[6:7], v[6:7], -v[44:45]
	scratch_store_dwordx4 off, v[4:7], off offset:864
	s_and_saveexec_b64 s[0:1], vcc
	s_cbranch_execz .LBB58_263
; %bb.262:
	scratch_load_dwordx4 v[6:9], off, s23
	v_mov_b32_e32 v3, v2
	v_mov_b32_e32 v4, v2
	;; [unrolled: 1-line block ×3, first 2 shown]
	v_accvgpr_read_b32 v0, a119
	scratch_store_dwordx4 off, v[2:5], off offset:848
	s_waitcnt vmcnt(1)
	ds_write_b128 v0, v[6:9]
.LBB58_263:
	s_or_b64 exec, exec, s[0:1]
	s_waitcnt lgkmcnt(0)
	; wave barrier
	scratch_load_dwordx4 v[4:7], off, off offset:864
	scratch_load_dwordx4 v[8:11], off, off offset:880
	;; [unrolled: 1-line block ×7, first 2 shown]
	ds_read_b128 v[32:35], v2 offset:1792
	ds_read_b128 v[36:39], v2 offset:1808
	;; [unrolled: 1-line block ×6, first 2 shown]
	v_cmp_lt_u32_e32 vcc, 51, v244
	s_waitcnt vmcnt(6) lgkmcnt(5)
	v_mul_f64 v[2:3], v[32:33], v[6:7]
	v_mul_f64 v[6:7], v[34:35], v[6:7]
	s_waitcnt vmcnt(5) lgkmcnt(4)
	v_mul_f64 v[56:57], v[36:37], v[10:11]
	v_mul_f64 v[10:11], v[38:39], v[10:11]
	v_fmac_f64_e32 v[2:3], v[34:35], v[4:5]
	v_fma_f64 v[4:5], v[32:33], v[4:5], -v[6:7]
	s_waitcnt vmcnt(4) lgkmcnt(3)
	v_mul_f64 v[58:59], v[40:41], v[14:15]
	v_mul_f64 v[14:15], v[42:43], v[14:15]
	v_fmac_f64_e32 v[56:57], v[38:39], v[8:9]
	v_fma_f64 v[6:7], v[36:37], v[8:9], -v[10:11]
	v_add_f64 v[2:3], v[2:3], 0
	v_add_f64 v[4:5], v[4:5], 0
	s_waitcnt vmcnt(3) lgkmcnt(2)
	v_mul_f64 v[60:61], v[44:45], v[18:19]
	v_mul_f64 v[18:19], v[46:47], v[18:19]
	v_fmac_f64_e32 v[58:59], v[42:43], v[12:13]
	v_fma_f64 v[8:9], v[40:41], v[12:13], -v[14:15]
	v_add_f64 v[2:3], v[2:3], v[56:57]
	v_add_f64 v[4:5], v[4:5], v[6:7]
	;; [unrolled: 7-line block ×4, first 2 shown]
	v_fmac_f64_e32 v[64:65], v[54:55], v[24:25]
	v_fma_f64 v[14:15], v[52:53], v[24:25], -v[26:27]
	v_add_f64 v[2:3], v[2:3], v[62:63]
	v_add_f64 v[4:5], v[4:5], v[12:13]
	;; [unrolled: 1-line block ×4, first 2 shown]
	s_waitcnt vmcnt(0)
	v_add_f64 v[2:3], v[28:29], -v[2:3]
	v_add_f64 v[4:5], v[30:31], -v[6:7]
	scratch_store_dwordx4 off, v[2:5], off offset:848
	s_and_saveexec_b64 s[0:1], vcc
	s_cbranch_execz .LBB58_265
; %bb.264:
	scratch_load_dwordx4 v[2:5], off, s22
	v_mov_b32_e32 v6, 0
	v_mov_b32_e32 v7, v6
	;; [unrolled: 1-line block ×4, first 2 shown]
	v_accvgpr_read_b32 v0, a119
	scratch_store_dwordx4 off, v[6:9], off offset:832
	s_waitcnt vmcnt(1)
	ds_write_b128 v0, v[2:5]
.LBB58_265:
	s_or_b64 exec, exec, s[0:1]
	s_waitcnt lgkmcnt(0)
	; wave barrier
	scratch_load_dwordx4 v[4:7], off, off offset:848
	scratch_load_dwordx4 v[8:11], off, off offset:864
	;; [unrolled: 1-line block ×8, first 2 shown]
	v_mov_b32_e32 v2, 0
	ds_read_b128 v[36:39], v2 offset:1776
	ds_read_b128 v[40:43], v2 offset:1792
	;; [unrolled: 1-line block ×7, first 2 shown]
	v_cmp_lt_u32_e32 vcc, 50, v244
	s_waitcnt vmcnt(7) lgkmcnt(6)
	v_mul_f64 v[64:65], v[36:37], v[6:7]
	v_mul_f64 v[6:7], v[38:39], v[6:7]
	s_waitcnt vmcnt(6) lgkmcnt(5)
	v_mul_f64 v[66:67], v[40:41], v[10:11]
	s_waitcnt vmcnt(4) lgkmcnt(3)
	v_mul_f64 v[70:71], v[48:49], v[18:19]
	v_mul_f64 v[10:11], v[42:43], v[10:11]
	;; [unrolled: 1-line block ×3, first 2 shown]
	v_fmac_f64_e32 v[64:65], v[38:39], v[4:5]
	v_fma_f64 v[4:5], v[36:37], v[4:5], -v[6:7]
	v_mul_f64 v[68:69], v[44:45], v[14:15]
	v_mul_f64 v[14:15], v[46:47], v[14:15]
	v_fmac_f64_e32 v[66:67], v[42:43], v[8:9]
	v_fma_f64 v[6:7], v[40:41], v[8:9], -v[10:11]
	v_fma_f64 v[10:11], v[48:49], v[16:17], -v[18:19]
	v_add_f64 v[18:19], v[64:65], 0
	v_add_f64 v[4:5], v[4:5], 0
	v_fmac_f64_e32 v[68:69], v[46:47], v[12:13]
	v_fma_f64 v[8:9], v[44:45], v[12:13], -v[14:15]
	v_add_f64 v[18:19], v[18:19], v[66:67]
	v_add_f64 v[4:5], v[4:5], v[6:7]
	s_waitcnt vmcnt(3) lgkmcnt(2)
	v_mul_f64 v[72:73], v[52:53], v[22:23]
	v_mul_f64 v[22:23], v[54:55], v[22:23]
	v_fmac_f64_e32 v[70:71], v[50:51], v[16:17]
	v_add_f64 v[6:7], v[18:19], v[68:69]
	v_add_f64 v[4:5], v[4:5], v[8:9]
	s_waitcnt vmcnt(2) lgkmcnt(1)
	v_mul_f64 v[74:75], v[56:57], v[26:27]
	v_mul_f64 v[26:27], v[58:59], v[26:27]
	v_fmac_f64_e32 v[72:73], v[54:55], v[20:21]
	v_fma_f64 v[12:13], v[52:53], v[20:21], -v[22:23]
	v_add_f64 v[6:7], v[6:7], v[70:71]
	v_add_f64 v[4:5], v[4:5], v[10:11]
	s_waitcnt vmcnt(1) lgkmcnt(0)
	v_mul_f64 v[76:77], v[60:61], v[30:31]
	v_mul_f64 v[30:31], v[62:63], v[30:31]
	v_fmac_f64_e32 v[74:75], v[58:59], v[24:25]
	v_fma_f64 v[14:15], v[56:57], v[24:25], -v[26:27]
	v_add_f64 v[6:7], v[6:7], v[72:73]
	v_add_f64 v[4:5], v[4:5], v[12:13]
	v_fmac_f64_e32 v[76:77], v[62:63], v[28:29]
	v_fma_f64 v[16:17], v[60:61], v[28:29], -v[30:31]
	v_add_f64 v[6:7], v[6:7], v[74:75]
	v_add_f64 v[4:5], v[4:5], v[14:15]
	;; [unrolled: 1-line block ×4, first 2 shown]
	s_waitcnt vmcnt(0)
	v_add_f64 v[4:5], v[32:33], -v[4:5]
	v_add_f64 v[6:7], v[34:35], -v[6:7]
	scratch_store_dwordx4 off, v[4:7], off offset:832
	s_and_saveexec_b64 s[0:1], vcc
	s_cbranch_execz .LBB58_267
; %bb.266:
	scratch_load_dwordx4 v[6:9], off, s25
	v_mov_b32_e32 v3, v2
	v_mov_b32_e32 v4, v2
	v_mov_b32_e32 v5, v2
	v_accvgpr_read_b32 v0, a119
	scratch_store_dwordx4 off, v[2:5], off offset:816
	s_waitcnt vmcnt(1)
	ds_write_b128 v0, v[6:9]
.LBB58_267:
	s_or_b64 exec, exec, s[0:1]
	s_waitcnt lgkmcnt(0)
	; wave barrier
	scratch_load_dwordx4 v[4:7], off, off offset:832
	scratch_load_dwordx4 v[8:11], off, off offset:848
	;; [unrolled: 1-line block ×9, first 2 shown]
	ds_read_b128 v[40:43], v2 offset:1760
	ds_read_b128 v[44:47], v2 offset:1776
	;; [unrolled: 1-line block ×8, first 2 shown]
	v_cmp_lt_u32_e32 vcc, 49, v244
	s_waitcnt vmcnt(8) lgkmcnt(7)
	v_mul_f64 v[2:3], v[40:41], v[6:7]
	v_mul_f64 v[6:7], v[42:43], v[6:7]
	s_waitcnt vmcnt(7) lgkmcnt(6)
	v_mul_f64 v[72:73], v[44:45], v[10:11]
	v_mul_f64 v[10:11], v[46:47], v[10:11]
	v_fmac_f64_e32 v[2:3], v[42:43], v[4:5]
	v_fma_f64 v[4:5], v[40:41], v[4:5], -v[6:7]
	s_waitcnt vmcnt(6) lgkmcnt(5)
	v_mul_f64 v[74:75], v[48:49], v[14:15]
	v_mul_f64 v[14:15], v[50:51], v[14:15]
	v_fmac_f64_e32 v[72:73], v[46:47], v[8:9]
	v_fma_f64 v[6:7], v[44:45], v[8:9], -v[10:11]
	v_add_f64 v[2:3], v[2:3], 0
	v_add_f64 v[4:5], v[4:5], 0
	s_waitcnt vmcnt(5) lgkmcnt(4)
	v_mul_f64 v[76:77], v[52:53], v[18:19]
	v_mul_f64 v[18:19], v[54:55], v[18:19]
	v_fmac_f64_e32 v[74:75], v[50:51], v[12:13]
	v_fma_f64 v[8:9], v[48:49], v[12:13], -v[14:15]
	v_add_f64 v[2:3], v[2:3], v[72:73]
	v_add_f64 v[4:5], v[4:5], v[6:7]
	s_waitcnt vmcnt(4) lgkmcnt(3)
	v_mul_f64 v[78:79], v[56:57], v[22:23]
	v_mul_f64 v[22:23], v[58:59], v[22:23]
	v_fmac_f64_e32 v[76:77], v[54:55], v[16:17]
	v_fma_f64 v[10:11], v[52:53], v[16:17], -v[18:19]
	v_add_f64 v[2:3], v[2:3], v[74:75]
	v_add_f64 v[4:5], v[4:5], v[8:9]
	s_waitcnt vmcnt(3) lgkmcnt(2)
	v_mul_f64 v[80:81], v[60:61], v[26:27]
	v_mul_f64 v[26:27], v[62:63], v[26:27]
	v_fmac_f64_e32 v[78:79], v[58:59], v[20:21]
	v_fma_f64 v[12:13], v[56:57], v[20:21], -v[22:23]
	v_add_f64 v[2:3], v[2:3], v[76:77]
	v_add_f64 v[4:5], v[4:5], v[10:11]
	s_waitcnt vmcnt(2) lgkmcnt(1)
	v_mul_f64 v[82:83], v[64:65], v[30:31]
	v_mul_f64 v[30:31], v[66:67], v[30:31]
	v_fmac_f64_e32 v[80:81], v[62:63], v[24:25]
	v_fma_f64 v[14:15], v[60:61], v[24:25], -v[26:27]
	v_add_f64 v[2:3], v[2:3], v[78:79]
	v_add_f64 v[4:5], v[4:5], v[12:13]
	s_waitcnt vmcnt(1) lgkmcnt(0)
	v_mul_f64 v[84:85], v[68:69], v[34:35]
	v_mul_f64 v[34:35], v[70:71], v[34:35]
	v_fmac_f64_e32 v[82:83], v[66:67], v[28:29]
	v_fma_f64 v[16:17], v[64:65], v[28:29], -v[30:31]
	v_add_f64 v[2:3], v[2:3], v[80:81]
	v_add_f64 v[4:5], v[4:5], v[14:15]
	v_fmac_f64_e32 v[84:85], v[70:71], v[32:33]
	v_fma_f64 v[18:19], v[68:69], v[32:33], -v[34:35]
	v_add_f64 v[2:3], v[2:3], v[82:83]
	v_add_f64 v[4:5], v[4:5], v[16:17]
	v_add_f64 v[6:7], v[2:3], v[84:85]
	v_add_f64 v[2:3], v[4:5], v[18:19]
	s_waitcnt vmcnt(0)
	v_add_f64 v[2:3], v[36:37], -v[2:3]
	v_add_f64 v[4:5], v[38:39], -v[6:7]
	scratch_store_dwordx4 off, v[2:5], off offset:816
	s_and_saveexec_b64 s[0:1], vcc
	s_cbranch_execz .LBB58_269
; %bb.268:
	scratch_load_dwordx4 v[2:5], off, s24
	v_mov_b32_e32 v6, 0
	v_mov_b32_e32 v7, v6
	;; [unrolled: 1-line block ×4, first 2 shown]
	v_accvgpr_read_b32 v0, a119
	scratch_store_dwordx4 off, v[6:9], off offset:800
	s_waitcnt vmcnt(1)
	ds_write_b128 v0, v[2:5]
.LBB58_269:
	s_or_b64 exec, exec, s[0:1]
	s_waitcnt lgkmcnt(0)
	; wave barrier
	scratch_load_dwordx4 v[4:7], off, off offset:816
	scratch_load_dwordx4 v[8:11], off, off offset:832
	;; [unrolled: 1-line block ×10, first 2 shown]
	v_mov_b32_e32 v2, 0
	ds_read_b128 v[44:47], v2 offset:1744
	ds_read_b128 v[48:51], v2 offset:1760
	;; [unrolled: 1-line block ×9, first 2 shown]
	v_cmp_lt_u32_e32 vcc, 48, v244
	s_waitcnt vmcnt(9) lgkmcnt(8)
	v_mul_f64 v[80:81], v[44:45], v[6:7]
	v_mul_f64 v[6:7], v[46:47], v[6:7]
	s_waitcnt vmcnt(8) lgkmcnt(7)
	v_mul_f64 v[82:83], v[48:49], v[10:11]
	s_waitcnt vmcnt(7) lgkmcnt(6)
	;; [unrolled: 2-line block ×3, first 2 shown]
	v_mul_f64 v[88:89], v[60:61], v[22:23]
	v_mul_f64 v[10:11], v[50:51], v[10:11]
	;; [unrolled: 1-line block ×4, first 2 shown]
	v_fmac_f64_e32 v[80:81], v[46:47], v[4:5]
	v_fma_f64 v[4:5], v[44:45], v[4:5], -v[6:7]
	v_fmac_f64_e32 v[82:83], v[50:51], v[8:9]
	v_fmac_f64_e32 v[84:85], v[54:55], v[12:13]
	v_fma_f64 v[6:7], v[48:49], v[8:9], -v[10:11]
	v_fma_f64 v[8:9], v[52:53], v[12:13], -v[14:15]
	;; [unrolled: 1-line block ×3, first 2 shown]
	v_add_f64 v[22:23], v[80:81], 0
	v_add_f64 v[4:5], v[4:5], 0
	v_mul_f64 v[86:87], v[56:57], v[18:19]
	v_mul_f64 v[18:19], v[58:59], v[18:19]
	v_add_f64 v[22:23], v[22:23], v[82:83]
	v_add_f64 v[4:5], v[4:5], v[6:7]
	v_fmac_f64_e32 v[86:87], v[58:59], v[16:17]
	v_fma_f64 v[10:11], v[56:57], v[16:17], -v[18:19]
	v_add_f64 v[6:7], v[22:23], v[84:85]
	v_add_f64 v[4:5], v[4:5], v[8:9]
	s_waitcnt vmcnt(4) lgkmcnt(3)
	v_mul_f64 v[90:91], v[64:65], v[26:27]
	v_mul_f64 v[26:27], v[66:67], v[26:27]
	v_fmac_f64_e32 v[88:89], v[62:63], v[20:21]
	v_add_f64 v[6:7], v[6:7], v[86:87]
	v_add_f64 v[4:5], v[4:5], v[10:11]
	s_waitcnt vmcnt(3) lgkmcnt(2)
	v_mul_f64 v[92:93], v[68:69], v[30:31]
	v_mul_f64 v[30:31], v[70:71], v[30:31]
	v_fmac_f64_e32 v[90:91], v[66:67], v[24:25]
	v_fma_f64 v[14:15], v[64:65], v[24:25], -v[26:27]
	v_add_f64 v[6:7], v[6:7], v[88:89]
	v_add_f64 v[4:5], v[4:5], v[12:13]
	s_waitcnt vmcnt(2) lgkmcnt(1)
	v_mul_f64 v[94:95], v[72:73], v[34:35]
	v_mul_f64 v[34:35], v[74:75], v[34:35]
	v_fmac_f64_e32 v[92:93], v[70:71], v[28:29]
	v_fma_f64 v[16:17], v[68:69], v[28:29], -v[30:31]
	;; [unrolled: 7-line block ×3, first 2 shown]
	v_add_f64 v[6:7], v[6:7], v[92:93]
	v_add_f64 v[4:5], v[4:5], v[16:17]
	v_fmac_f64_e32 v[96:97], v[78:79], v[36:37]
	v_fma_f64 v[20:21], v[76:77], v[36:37], -v[38:39]
	v_add_f64 v[6:7], v[6:7], v[94:95]
	v_add_f64 v[4:5], v[4:5], v[18:19]
	;; [unrolled: 1-line block ×4, first 2 shown]
	s_waitcnt vmcnt(0)
	v_add_f64 v[4:5], v[40:41], -v[4:5]
	v_add_f64 v[6:7], v[42:43], -v[6:7]
	scratch_store_dwordx4 off, v[4:7], off offset:800
	s_and_saveexec_b64 s[0:1], vcc
	s_cbranch_execz .LBB58_271
; %bb.270:
	scratch_load_dwordx4 v[6:9], off, s27
	v_mov_b32_e32 v3, v2
	v_mov_b32_e32 v4, v2
	;; [unrolled: 1-line block ×3, first 2 shown]
	v_accvgpr_read_b32 v0, a119
	scratch_store_dwordx4 off, v[2:5], off offset:784
	s_waitcnt vmcnt(1)
	ds_write_b128 v0, v[6:9]
.LBB58_271:
	s_or_b64 exec, exec, s[0:1]
	s_waitcnt lgkmcnt(0)
	; wave barrier
	scratch_load_dwordx4 v[4:7], off, off offset:800
	scratch_load_dwordx4 v[8:11], off, off offset:816
	;; [unrolled: 1-line block ×11, first 2 shown]
	ds_read_b128 v[48:51], v2 offset:1728
	ds_read_b128 v[52:55], v2 offset:1744
	;; [unrolled: 1-line block ×10, first 2 shown]
	v_cmp_lt_u32_e32 vcc, 47, v244
	s_waitcnt vmcnt(10) lgkmcnt(9)
	v_mul_f64 v[2:3], v[48:49], v[6:7]
	v_mul_f64 v[6:7], v[50:51], v[6:7]
	s_waitcnt vmcnt(9) lgkmcnt(8)
	v_mul_f64 v[88:89], v[52:53], v[10:11]
	v_mul_f64 v[10:11], v[54:55], v[10:11]
	v_fmac_f64_e32 v[2:3], v[50:51], v[4:5]
	v_fma_f64 v[4:5], v[48:49], v[4:5], -v[6:7]
	s_waitcnt vmcnt(8) lgkmcnt(7)
	v_mul_f64 v[90:91], v[56:57], v[14:15]
	v_mul_f64 v[14:15], v[58:59], v[14:15]
	v_fmac_f64_e32 v[88:89], v[54:55], v[8:9]
	v_fma_f64 v[6:7], v[52:53], v[8:9], -v[10:11]
	v_add_f64 v[2:3], v[2:3], 0
	v_add_f64 v[4:5], v[4:5], 0
	s_waitcnt vmcnt(7) lgkmcnt(6)
	v_mul_f64 v[92:93], v[60:61], v[18:19]
	v_mul_f64 v[18:19], v[62:63], v[18:19]
	v_fmac_f64_e32 v[90:91], v[58:59], v[12:13]
	v_fma_f64 v[8:9], v[56:57], v[12:13], -v[14:15]
	v_add_f64 v[2:3], v[2:3], v[88:89]
	v_add_f64 v[4:5], v[4:5], v[6:7]
	;; [unrolled: 7-line block ×8, first 2 shown]
	v_fmac_f64_e32 v[104:105], v[86:87], v[40:41]
	v_fma_f64 v[22:23], v[84:85], v[40:41], -v[42:43]
	v_add_f64 v[2:3], v[2:3], v[102:103]
	v_add_f64 v[4:5], v[4:5], v[20:21]
	v_add_f64 v[6:7], v[2:3], v[104:105]
	v_add_f64 v[2:3], v[4:5], v[22:23]
	s_waitcnt vmcnt(0)
	v_add_f64 v[2:3], v[44:45], -v[2:3]
	v_add_f64 v[4:5], v[46:47], -v[6:7]
	scratch_store_dwordx4 off, v[2:5], off offset:784
	s_and_saveexec_b64 s[0:1], vcc
	s_cbranch_execz .LBB58_273
; %bb.272:
	scratch_load_dwordx4 v[2:5], off, s26
	v_mov_b32_e32 v6, 0
	v_mov_b32_e32 v7, v6
	;; [unrolled: 1-line block ×4, first 2 shown]
	v_accvgpr_read_b32 v0, a119
	scratch_store_dwordx4 off, v[6:9], off offset:768
	s_waitcnt vmcnt(1)
	ds_write_b128 v0, v[2:5]
.LBB58_273:
	s_or_b64 exec, exec, s[0:1]
	s_waitcnt lgkmcnt(0)
	; wave barrier
	scratch_load_dwordx4 v[4:7], off, off offset:784
	scratch_load_dwordx4 v[8:11], off, off offset:800
	;; [unrolled: 1-line block ×12, first 2 shown]
	v_mov_b32_e32 v2, 0
	ds_read_b128 v[52:55], v2 offset:1712
	ds_read_b128 v[56:59], v2 offset:1728
	;; [unrolled: 1-line block ×11, first 2 shown]
	v_cmp_lt_u32_e32 vcc, 46, v244
	s_waitcnt vmcnt(11) lgkmcnt(10)
	v_mul_f64 v[96:97], v[52:53], v[6:7]
	v_mul_f64 v[6:7], v[54:55], v[6:7]
	s_waitcnt vmcnt(10) lgkmcnt(9)
	v_mul_f64 v[98:99], v[56:57], v[10:11]
	s_waitcnt vmcnt(9) lgkmcnt(8)
	v_mul_f64 v[100:101], v[60:61], v[14:15]
	v_mul_f64 v[10:11], v[58:59], v[10:11]
	s_waitcnt vmcnt(6) lgkmcnt(5)
	v_mul_f64 v[106:107], v[72:73], v[26:27]
	v_mul_f64 v[14:15], v[62:63], v[14:15]
	;; [unrolled: 1-line block ×3, first 2 shown]
	v_fmac_f64_e32 v[96:97], v[54:55], v[4:5]
	v_fma_f64 v[4:5], v[52:53], v[4:5], -v[6:7]
	v_fmac_f64_e32 v[98:99], v[58:59], v[8:9]
	v_fma_f64 v[6:7], v[56:57], v[8:9], -v[10:11]
	v_fma_f64 v[8:9], v[60:61], v[12:13], -v[14:15]
	;; [unrolled: 1-line block ×3, first 2 shown]
	v_add_f64 v[26:27], v[96:97], 0
	v_add_f64 v[4:5], v[4:5], 0
	v_mul_f64 v[102:103], v[64:65], v[18:19]
	v_mul_f64 v[18:19], v[66:67], v[18:19]
	v_fmac_f64_e32 v[100:101], v[62:63], v[12:13]
	v_add_f64 v[26:27], v[26:27], v[98:99]
	v_add_f64 v[4:5], v[4:5], v[6:7]
	v_mul_f64 v[104:105], v[68:69], v[22:23]
	v_mul_f64 v[22:23], v[70:71], v[22:23]
	v_fmac_f64_e32 v[102:103], v[66:67], v[16:17]
	v_fma_f64 v[10:11], v[64:65], v[16:17], -v[18:19]
	v_add_f64 v[6:7], v[26:27], v[100:101]
	v_add_f64 v[4:5], v[4:5], v[8:9]
	v_fmac_f64_e32 v[104:105], v[70:71], v[20:21]
	v_fma_f64 v[12:13], v[68:69], v[20:21], -v[22:23]
	v_add_f64 v[6:7], v[6:7], v[102:103]
	v_add_f64 v[4:5], v[4:5], v[10:11]
	s_waitcnt vmcnt(5) lgkmcnt(4)
	v_mul_f64 v[108:109], v[76:77], v[30:31]
	v_mul_f64 v[30:31], v[78:79], v[30:31]
	v_fmac_f64_e32 v[106:107], v[74:75], v[24:25]
	v_add_f64 v[6:7], v[6:7], v[104:105]
	v_add_f64 v[4:5], v[4:5], v[12:13]
	s_waitcnt vmcnt(4) lgkmcnt(3)
	v_mul_f64 v[110:111], v[80:81], v[34:35]
	v_mul_f64 v[34:35], v[82:83], v[34:35]
	v_fmac_f64_e32 v[108:109], v[78:79], v[28:29]
	v_fma_f64 v[16:17], v[76:77], v[28:29], -v[30:31]
	v_add_f64 v[6:7], v[6:7], v[106:107]
	v_add_f64 v[4:5], v[4:5], v[14:15]
	s_waitcnt vmcnt(3) lgkmcnt(2)
	v_mul_f64 v[112:113], v[84:85], v[38:39]
	v_mul_f64 v[38:39], v[86:87], v[38:39]
	v_fmac_f64_e32 v[110:111], v[82:83], v[32:33]
	v_fma_f64 v[18:19], v[80:81], v[32:33], -v[34:35]
	;; [unrolled: 7-line block ×4, first 2 shown]
	v_add_f64 v[6:7], v[6:7], v[112:113]
	v_add_f64 v[4:5], v[4:5], v[20:21]
	v_fmac_f64_e32 v[116:117], v[94:95], v[44:45]
	v_fma_f64 v[24:25], v[92:93], v[44:45], -v[46:47]
	v_add_f64 v[6:7], v[6:7], v[114:115]
	v_add_f64 v[4:5], v[4:5], v[22:23]
	;; [unrolled: 1-line block ×4, first 2 shown]
	s_waitcnt vmcnt(0)
	v_add_f64 v[4:5], v[48:49], -v[4:5]
	v_add_f64 v[6:7], v[50:51], -v[6:7]
	scratch_store_dwordx4 off, v[4:7], off offset:768
	s_and_saveexec_b64 s[0:1], vcc
	s_cbranch_execz .LBB58_275
; %bb.274:
	scratch_load_dwordx4 v[6:9], off, s29
	v_mov_b32_e32 v3, v2
	v_mov_b32_e32 v4, v2
	;; [unrolled: 1-line block ×3, first 2 shown]
	v_accvgpr_read_b32 v0, a119
	scratch_store_dwordx4 off, v[2:5], off offset:752
	s_waitcnt vmcnt(1)
	ds_write_b128 v0, v[6:9]
.LBB58_275:
	s_or_b64 exec, exec, s[0:1]
	s_waitcnt lgkmcnt(0)
	; wave barrier
	scratch_load_dwordx4 v[4:7], off, off offset:768
	scratch_load_dwordx4 v[8:11], off, off offset:784
	;; [unrolled: 1-line block ×12, first 2 shown]
	ds_read_b128 v[52:55], v2 offset:1696
	ds_read_b128 v[56:59], v2 offset:1712
	;; [unrolled: 1-line block ×4, first 2 shown]
	scratch_load_dwordx4 v[68:71], off, off offset:752
	ds_read_b128 v[72:75], v2 offset:1760
	ds_read_b128 v[76:79], v2 offset:1776
	;; [unrolled: 1-line block ×8, first 2 shown]
	v_cmp_lt_u32_e32 vcc, 45, v244
	s_waitcnt vmcnt(12) lgkmcnt(11)
	v_mul_f64 v[2:3], v[52:53], v[6:7]
	s_waitcnt vmcnt(11) lgkmcnt(10)
	v_mul_f64 v[104:105], v[56:57], v[10:11]
	v_fmac_f64_e32 v[2:3], v[54:55], v[4:5]
	s_waitcnt vmcnt(10) lgkmcnt(9)
	v_mul_f64 v[106:107], v[60:61], v[14:15]
	v_mul_f64 v[6:7], v[54:55], v[6:7]
	v_fmac_f64_e32 v[104:105], v[58:59], v[8:9]
	v_add_f64 v[2:3], v[2:3], 0
	s_waitcnt vmcnt(9) lgkmcnt(8)
	v_mul_f64 v[108:109], v[64:65], v[18:19]
	v_mul_f64 v[10:11], v[58:59], v[10:11]
	v_fmac_f64_e32 v[106:107], v[62:63], v[12:13]
	v_fma_f64 v[4:5], v[52:53], v[4:5], -v[6:7]
	v_add_f64 v[2:3], v[2:3], v[104:105]
	s_waitcnt vmcnt(8) lgkmcnt(7)
	v_mul_f64 v[110:111], v[72:73], v[22:23]
	v_mul_f64 v[14:15], v[62:63], v[14:15]
	v_fmac_f64_e32 v[108:109], v[66:67], v[16:17]
	v_fma_f64 v[6:7], v[56:57], v[8:9], -v[10:11]
	v_add_f64 v[4:5], v[4:5], 0
	v_add_f64 v[2:3], v[2:3], v[106:107]
	s_waitcnt vmcnt(7) lgkmcnt(6)
	v_mul_f64 v[112:113], v[76:77], v[26:27]
	v_mul_f64 v[18:19], v[66:67], v[18:19]
	v_fmac_f64_e32 v[110:111], v[74:75], v[20:21]
	v_fma_f64 v[8:9], v[60:61], v[12:13], -v[14:15]
	v_add_f64 v[4:5], v[4:5], v[6:7]
	;; [unrolled: 7-line block ×8, first 2 shown]
	v_add_f64 v[2:3], v[2:3], v[120:121]
	v_mul_f64 v[46:47], v[98:99], v[46:47]
	v_fmac_f64_e32 v[124:125], v[102:103], v[48:49]
	v_fma_f64 v[22:23], v[92:93], v[40:41], -v[42:43]
	v_add_f64 v[4:5], v[4:5], v[20:21]
	v_add_f64 v[2:3], v[2:3], v[122:123]
	;; [unrolled: 1-line block ×4, first 2 shown]
	v_fma_f64 v[2:3], v[96:97], v[44:45], -v[46:47]
	v_add_f64 v[2:3], v[4:5], v[2:3]
	v_mul_f64 v[4:5], v[102:103], v[50:51]
	v_fma_f64 v[4:5], v[100:101], v[48:49], -v[4:5]
	v_add_f64 v[2:3], v[2:3], v[4:5]
	s_waitcnt vmcnt(0)
	v_add_f64 v[2:3], v[68:69], -v[2:3]
	v_add_f64 v[4:5], v[70:71], -v[6:7]
	scratch_store_dwordx4 off, v[2:5], off offset:752
	s_and_saveexec_b64 s[0:1], vcc
	s_cbranch_execz .LBB58_277
; %bb.276:
	scratch_load_dwordx4 v[2:5], off, s28
	v_mov_b32_e32 v6, 0
	v_mov_b32_e32 v7, v6
	v_mov_b32_e32 v8, v6
	v_mov_b32_e32 v9, v6
	v_accvgpr_read_b32 v0, a119
	scratch_store_dwordx4 off, v[6:9], off offset:736
	s_waitcnt vmcnt(1)
	ds_write_b128 v0, v[2:5]
.LBB58_277:
	s_or_b64 exec, exec, s[0:1]
	v_mov_b32_e32 v2, 0
	s_waitcnt lgkmcnt(0)
	; wave barrier
	ds_read_b128 v[16:19], v2 offset:1680
	ds_read_b128 v[12:15], v2 offset:1696
	ds_read_b128 v[8:11], v2 offset:1712
	ds_read_b128 v[4:7], v2 offset:1728
	scratch_load_dwordx4 v[20:23], off, off offset:752
	scratch_load_dwordx4 v[42:45], off, off offset:816
	;; [unrolled: 1-line block ×7, first 2 shown]
	v_cmp_lt_u32_e32 vcc, 44, v244
	scratch_load_dwordx4 v[50:53], off, off offset:832
	scratch_load_dwordx4 v[58:61], off, off offset:848
	scratch_load_dwordx4 v[66:69], off, off offset:864
	s_waitcnt vmcnt(9) lgkmcnt(3)
	v_mul_f64 v[24:25], v[16:17], v[22:23]
	v_fmac_f64_e32 v[24:25], v[18:19], v[20:21]
	v_add_f64 v[28:29], v[24:25], 0
	scratch_load_dwordx4 v[24:27], off, off offset:768
	v_mul_f64 v[18:19], v[18:19], v[22:23]
	v_fma_f64 v[16:17], v[16:17], v[20:21], -v[18:19]
	v_add_f64 v[16:17], v[16:17], 0
	s_waitcnt vmcnt(0) lgkmcnt(2)
	v_mul_f64 v[30:31], v[12:13], v[26:27]
	v_fmac_f64_e32 v[30:31], v[14:15], v[24:25]
	v_add_f64 v[32:33], v[28:29], v[30:31]
	scratch_load_dwordx4 v[28:31], off, off offset:784
	v_mul_f64 v[14:15], v[14:15], v[26:27]
	v_fma_f64 v[12:13], v[12:13], v[24:25], -v[14:15]
	v_add_f64 v[12:13], v[16:17], v[12:13]
	;; [unrolled: 8-line block ×3, first 2 shown]
	s_waitcnt vmcnt(0) lgkmcnt(0)
	v_mul_f64 v[38:39], v[4:5], v[36:37]
	v_fmac_f64_e32 v[38:39], v[6:7], v[34:35]
	v_add_f64 v[32:33], v[32:33], v[38:39]
	ds_read_b128 v[38:41], v2 offset:1744
	v_mul_f64 v[6:7], v[6:7], v[36:37]
	v_fma_f64 v[4:5], v[4:5], v[34:35], -v[6:7]
	v_add_f64 v[4:5], v[8:9], v[4:5]
	s_waitcnt lgkmcnt(0)
	v_mul_f64 v[46:47], v[38:39], v[44:45]
	v_fmac_f64_e32 v[46:47], v[40:41], v[42:43]
	v_add_f64 v[32:33], v[32:33], v[46:47]
	ds_read_b128 v[46:49], v2 offset:1760
	v_mul_f64 v[6:7], v[40:41], v[44:45]
	v_fma_f64 v[6:7], v[38:39], v[42:43], -v[6:7]
	v_add_f64 v[4:5], v[4:5], v[6:7]
	s_waitcnt lgkmcnt(0)
	;; [unrolled: 8-line block ×9, first 2 shown]
	v_mul_f64 v[6:7], v[104:105], v[108:109]
	v_fma_f64 v[6:7], v[102:103], v[106:107], -v[6:7]
	v_add_f64 v[8:9], v[4:5], v[6:7]
	scratch_load_dwordx4 v[4:7], off, off offset:736
	v_mul_f64 v[110:111], v[102:103], v[108:109]
	v_fmac_f64_e32 v[110:111], v[104:105], v[106:107]
	v_add_f64 v[32:33], v[32:33], v[110:111]
	s_waitcnt vmcnt(0)
	v_add_f64 v[4:5], v[4:5], -v[8:9]
	v_add_f64 v[6:7], v[6:7], -v[32:33]
	scratch_store_dwordx4 off, v[4:7], off offset:736
	s_and_saveexec_b64 s[0:1], vcc
	s_cbranch_execz .LBB58_279
; %bb.278:
	scratch_load_dwordx4 v[6:9], off, s31
	v_mov_b32_e32 v3, v2
	v_mov_b32_e32 v4, v2
	;; [unrolled: 1-line block ×3, first 2 shown]
	v_accvgpr_read_b32 v0, a119
	scratch_store_dwordx4 off, v[2:5], off offset:720
	s_waitcnt vmcnt(1)
	ds_write_b128 v0, v[6:9]
.LBB58_279:
	s_or_b64 exec, exec, s[0:1]
	s_waitcnt lgkmcnt(0)
	; wave barrier
	ds_read_b128 v[16:19], v2 offset:1664
	ds_read_b128 v[12:15], v2 offset:1680
	;; [unrolled: 1-line block ×4, first 2 shown]
	scratch_load_dwordx4 v[20:23], off, off offset:736
	scratch_load_dwordx4 v[42:45], off, off offset:800
	;; [unrolled: 1-line block ×8, first 2 shown]
	v_cmp_lt_u32_e32 vcc, 43, v244
	scratch_load_dwordx4 v[50:53], off, off offset:816
	scratch_load_dwordx4 v[58:61], off, off offset:832
	;; [unrolled: 1-line block ×3, first 2 shown]
	s_waitcnt vmcnt(10) lgkmcnt(3)
	v_mul_f64 v[24:25], v[16:17], v[22:23]
	v_fmac_f64_e32 v[24:25], v[18:19], v[20:21]
	v_add_f64 v[28:29], v[24:25], 0
	scratch_load_dwordx4 v[24:27], off, off offset:752
	s_waitcnt vmcnt(0) lgkmcnt(2)
	v_mul_f64 v[30:31], v[12:13], v[26:27]
	v_fmac_f64_e32 v[30:31], v[14:15], v[24:25]
	v_add_f64 v[32:33], v[28:29], v[30:31]
	scratch_load_dwordx4 v[28:31], off, off offset:768
	v_mul_f64 v[14:15], v[14:15], v[26:27]
	v_fma_f64 v[12:13], v[12:13], v[24:25], -v[14:15]
	s_waitcnt vmcnt(0) lgkmcnt(1)
	v_mul_f64 v[34:35], v[8:9], v[30:31]
	v_fmac_f64_e32 v[34:35], v[10:11], v[28:29]
	v_add_f64 v[36:37], v[32:33], v[34:35]
	scratch_load_dwordx4 v[32:35], off, off offset:784
	v_mul_f64 v[10:11], v[10:11], v[30:31]
	v_fma_f64 v[8:9], v[8:9], v[28:29], -v[10:11]
	s_waitcnt vmcnt(0) lgkmcnt(0)
	v_mul_f64 v[38:39], v[4:5], v[34:35]
	v_fmac_f64_e32 v[38:39], v[6:7], v[32:33]
	v_add_f64 v[40:41], v[36:37], v[38:39]
	ds_read_b128 v[36:39], v2 offset:1728
	v_mul_f64 v[6:7], v[6:7], v[34:35]
	v_fma_f64 v[4:5], v[4:5], v[32:33], -v[6:7]
	s_waitcnt lgkmcnt(0)
	v_mul_f64 v[46:47], v[36:37], v[44:45]
	v_fmac_f64_e32 v[46:47], v[38:39], v[42:43]
	v_add_f64 v[40:41], v[40:41], v[46:47]
	ds_read_b128 v[46:49], v2 offset:1744
	s_waitcnt lgkmcnt(0)
	v_mul_f64 v[54:55], v[46:47], v[52:53]
	v_fmac_f64_e32 v[54:55], v[48:49], v[50:51]
	v_add_f64 v[40:41], v[40:41], v[54:55]
	ds_read_b128 v[54:57], v2 offset:1760
	;; [unrolled: 5-line block ×9, first 2 shown]
	s_waitcnt lgkmcnt(0)
	v_mul_f64 v[2:3], v[110:111], v[116:117]
	v_fmac_f64_e32 v[2:3], v[112:113], v[114:115]
	v_add_f64 v[40:41], v[40:41], v[2:3]
	v_mul_f64 v[2:3], v[18:19], v[22:23]
	v_fma_f64 v[2:3], v[16:17], v[20:21], -v[2:3]
	v_add_f64 v[2:3], v[2:3], 0
	v_add_f64 v[2:3], v[2:3], v[12:13]
	;; [unrolled: 1-line block ×4, first 2 shown]
	v_mul_f64 v[4:5], v[38:39], v[44:45]
	v_fma_f64 v[4:5], v[36:37], v[42:43], -v[4:5]
	v_add_f64 v[2:3], v[2:3], v[4:5]
	v_mul_f64 v[4:5], v[48:49], v[52:53]
	v_fma_f64 v[4:5], v[46:47], v[50:51], -v[4:5]
	v_add_f64 v[2:3], v[2:3], v[4:5]
	;; [unrolled: 3-line block ×10, first 2 shown]
	scratch_load_dwordx4 v[2:5], off, off offset:720
	s_waitcnt vmcnt(0)
	v_add_f64 v[2:3], v[2:3], -v[6:7]
	v_add_f64 v[4:5], v[4:5], -v[40:41]
	scratch_store_dwordx4 off, v[2:5], off offset:720
	s_and_saveexec_b64 s[0:1], vcc
	s_cbranch_execz .LBB58_281
; %bb.280:
	scratch_load_dwordx4 v[2:5], off, s30
	v_mov_b32_e32 v6, 0
	v_mov_b32_e32 v7, v6
	;; [unrolled: 1-line block ×4, first 2 shown]
	v_accvgpr_read_b32 v0, a119
	scratch_store_dwordx4 off, v[6:9], off offset:704
	s_waitcnt vmcnt(1)
	ds_write_b128 v0, v[2:5]
.LBB58_281:
	s_or_b64 exec, exec, s[0:1]
	v_mov_b32_e32 v2, 0
	s_waitcnt lgkmcnt(0)
	; wave barrier
	ds_read_b128 v[16:19], v2 offset:1648
	ds_read_b128 v[12:15], v2 offset:1664
	;; [unrolled: 1-line block ×4, first 2 shown]
	scratch_load_dwordx4 v[20:23], off, off offset:720
	scratch_load_dwordx4 v[40:43], off, off offset:784
	;; [unrolled: 1-line block ×9, first 2 shown]
	v_cmp_lt_u32_e32 vcc, 42, v244
	scratch_load_dwordx4 v[50:53], off, off offset:800
	scratch_load_dwordx4 v[58:61], off, off offset:816
	;; [unrolled: 1-line block ×3, first 2 shown]
	s_waitcnt vmcnt(11) lgkmcnt(3)
	v_mul_f64 v[24:25], v[16:17], v[22:23]
	v_fmac_f64_e32 v[24:25], v[18:19], v[20:21]
	v_add_f64 v[28:29], v[24:25], 0
	scratch_load_dwordx4 v[24:27], off, off offset:736
	v_mul_f64 v[18:19], v[18:19], v[22:23]
	v_fma_f64 v[16:17], v[16:17], v[20:21], -v[18:19]
	v_add_f64 v[16:17], v[16:17], 0
	s_waitcnt vmcnt(0) lgkmcnt(2)
	v_mul_f64 v[30:31], v[12:13], v[26:27]
	v_fmac_f64_e32 v[30:31], v[14:15], v[24:25]
	v_add_f64 v[32:33], v[28:29], v[30:31]
	scratch_load_dwordx4 v[28:31], off, off offset:752
	v_mul_f64 v[14:15], v[14:15], v[26:27]
	v_fma_f64 v[12:13], v[12:13], v[24:25], -v[14:15]
	v_add_f64 v[12:13], v[16:17], v[12:13]
	;; [unrolled: 8-line block ×3, first 2 shown]
	s_waitcnt vmcnt(0) lgkmcnt(0)
	v_mul_f64 v[38:39], v[4:5], v[34:35]
	v_fmac_f64_e32 v[38:39], v[6:7], v[32:33]
	v_add_f64 v[44:45], v[36:37], v[38:39]
	ds_read_b128 v[36:39], v2 offset:1712
	v_mul_f64 v[6:7], v[6:7], v[34:35]
	v_fma_f64 v[4:5], v[4:5], v[32:33], -v[6:7]
	v_add_f64 v[4:5], v[8:9], v[4:5]
	s_waitcnt lgkmcnt(0)
	v_mul_f64 v[46:47], v[36:37], v[42:43]
	v_fmac_f64_e32 v[46:47], v[38:39], v[40:41]
	v_add_f64 v[48:49], v[44:45], v[46:47]
	ds_read_b128 v[44:47], v2 offset:1728
	v_mul_f64 v[6:7], v[38:39], v[42:43]
	v_fma_f64 v[6:7], v[36:37], v[40:41], -v[6:7]
	v_add_f64 v[4:5], v[4:5], v[6:7]
	s_waitcnt lgkmcnt(0)
	;; [unrolled: 8-line block ×11, first 2 shown]
	v_mul_f64 v[6:7], v[120:121], v[124:125]
	v_fma_f64 v[6:7], v[118:119], v[122:123], -v[6:7]
	v_add_f64 v[8:9], v[4:5], v[6:7]
	scratch_load_dwordx4 v[4:7], off, off offset:704
	v_mul_f64 v[126:127], v[118:119], v[124:125]
	v_fmac_f64_e32 v[126:127], v[120:121], v[122:123]
	v_add_f64 v[48:49], v[48:49], v[126:127]
	s_waitcnt vmcnt(0)
	v_add_f64 v[4:5], v[4:5], -v[8:9]
	v_add_f64 v[6:7], v[6:7], -v[48:49]
	scratch_store_dwordx4 off, v[4:7], off offset:704
	s_and_saveexec_b64 s[0:1], vcc
	s_cbranch_execz .LBB58_283
; %bb.282:
	scratch_load_dwordx4 v[6:9], off, s34
	v_mov_b32_e32 v3, v2
	v_mov_b32_e32 v4, v2
	;; [unrolled: 1-line block ×3, first 2 shown]
	v_accvgpr_read_b32 v0, a119
	scratch_store_dwordx4 off, v[2:5], off offset:688
	s_waitcnt vmcnt(1)
	ds_write_b128 v0, v[6:9]
.LBB58_283:
	s_or_b64 exec, exec, s[0:1]
	s_waitcnt lgkmcnt(0)
	; wave barrier
	ds_read_b128 v[16:19], v2 offset:1632
	ds_read_b128 v[12:15], v2 offset:1648
	;; [unrolled: 1-line block ×4, first 2 shown]
	scratch_load_dwordx4 v[20:23], off, off offset:704
	scratch_load_dwordx4 v[40:43], off, off offset:768
	;; [unrolled: 1-line block ×10, first 2 shown]
	v_cmp_lt_u32_e32 vcc, 41, v244
	scratch_load_dwordx4 v[48:51], off, off offset:784
	scratch_load_dwordx4 v[56:59], off, off offset:800
	;; [unrolled: 1-line block ×3, first 2 shown]
	s_waitcnt vmcnt(12) lgkmcnt(3)
	v_mul_f64 v[24:25], v[16:17], v[22:23]
	v_fmac_f64_e32 v[24:25], v[18:19], v[20:21]
	v_add_f64 v[28:29], v[24:25], 0
	scratch_load_dwordx4 v[24:27], off, off offset:720
	s_waitcnt vmcnt(0) lgkmcnt(2)
	v_mul_f64 v[30:31], v[12:13], v[26:27]
	v_fmac_f64_e32 v[30:31], v[14:15], v[24:25]
	v_add_f64 v[32:33], v[28:29], v[30:31]
	scratch_load_dwordx4 v[28:31], off, off offset:736
	v_mul_f64 v[14:15], v[14:15], v[26:27]
	v_fma_f64 v[12:13], v[12:13], v[24:25], -v[14:15]
	s_waitcnt vmcnt(0) lgkmcnt(1)
	v_mul_f64 v[34:35], v[8:9], v[30:31]
	v_fmac_f64_e32 v[34:35], v[10:11], v[28:29]
	v_add_f64 v[36:37], v[32:33], v[34:35]
	scratch_load_dwordx4 v[32:35], off, off offset:752
	v_mul_f64 v[10:11], v[10:11], v[30:31]
	v_fma_f64 v[8:9], v[8:9], v[28:29], -v[10:11]
	s_waitcnt vmcnt(0) lgkmcnt(0)
	v_mul_f64 v[38:39], v[4:5], v[34:35]
	v_fmac_f64_e32 v[38:39], v[6:7], v[32:33]
	v_add_f64 v[44:45], v[36:37], v[38:39]
	ds_read_b128 v[36:39], v2 offset:1696
	v_mul_f64 v[6:7], v[6:7], v[34:35]
	v_fma_f64 v[4:5], v[4:5], v[32:33], -v[6:7]
	s_waitcnt lgkmcnt(0)
	v_mul_f64 v[46:47], v[36:37], v[42:43]
	v_fmac_f64_e32 v[46:47], v[38:39], v[40:41]
	v_add_f64 v[52:53], v[44:45], v[46:47]
	ds_read_b128 v[44:47], v2 offset:1712
	s_waitcnt lgkmcnt(0)
	v_mul_f64 v[54:55], v[44:45], v[50:51]
	v_fmac_f64_e32 v[54:55], v[46:47], v[48:49]
	v_add_f64 v[60:61], v[52:53], v[54:55]
	ds_read_b128 v[52:55], v2 offset:1728
	;; [unrolled: 5-line block ×11, first 2 shown]
	s_waitcnt lgkmcnt(0)
	v_mul_f64 v[2:3], v[126:127], v[132:133]
	v_fmac_f64_e32 v[2:3], v[128:129], v[130:131]
	v_add_f64 v[64:65], v[64:65], v[2:3]
	v_mul_f64 v[2:3], v[18:19], v[22:23]
	v_fma_f64 v[2:3], v[16:17], v[20:21], -v[2:3]
	v_add_f64 v[2:3], v[2:3], 0
	v_add_f64 v[2:3], v[2:3], v[12:13]
	;; [unrolled: 1-line block ×4, first 2 shown]
	v_mul_f64 v[4:5], v[38:39], v[42:43]
	v_fma_f64 v[4:5], v[36:37], v[40:41], -v[4:5]
	v_add_f64 v[2:3], v[2:3], v[4:5]
	v_mul_f64 v[4:5], v[46:47], v[50:51]
	v_fma_f64 v[4:5], v[44:45], v[48:49], -v[4:5]
	v_add_f64 v[2:3], v[2:3], v[4:5]
	;; [unrolled: 3-line block ×12, first 2 shown]
	scratch_load_dwordx4 v[2:5], off, off offset:688
	s_waitcnt vmcnt(0)
	v_add_f64 v[2:3], v[2:3], -v[6:7]
	v_add_f64 v[4:5], v[4:5], -v[64:65]
	scratch_store_dwordx4 off, v[2:5], off offset:688
	s_and_saveexec_b64 s[0:1], vcc
	s_cbranch_execz .LBB58_285
; %bb.284:
	scratch_load_dwordx4 v[2:5], off, s33
	v_mov_b32_e32 v6, 0
	v_mov_b32_e32 v7, v6
	;; [unrolled: 1-line block ×4, first 2 shown]
	v_accvgpr_read_b32 v0, a119
	scratch_store_dwordx4 off, v[6:9], off offset:672
	s_waitcnt vmcnt(1)
	ds_write_b128 v0, v[2:5]
.LBB58_285:
	s_or_b64 exec, exec, s[0:1]
	v_mov_b32_e32 v2, 0
	s_waitcnt lgkmcnt(0)
	; wave barrier
	ds_read_b128 v[16:19], v2 offset:1616
	ds_read_b128 v[12:15], v2 offset:1632
	;; [unrolled: 1-line block ×4, first 2 shown]
	scratch_load_dwordx4 v[20:23], off, off offset:688
	scratch_load_dwordx4 v[40:43], off, off offset:752
	;; [unrolled: 1-line block ×11, first 2 shown]
	v_cmp_lt_u32_e32 vcc, 40, v244
	scratch_load_dwordx4 v[48:51], off, off offset:768
	scratch_load_dwordx4 v[56:59], off, off offset:784
	;; [unrolled: 1-line block ×3, first 2 shown]
	s_waitcnt vmcnt(13) lgkmcnt(3)
	v_mul_f64 v[24:25], v[16:17], v[22:23]
	v_fmac_f64_e32 v[24:25], v[18:19], v[20:21]
	v_add_f64 v[28:29], v[24:25], 0
	scratch_load_dwordx4 v[24:27], off, off offset:704
	v_mul_f64 v[18:19], v[18:19], v[22:23]
	v_fma_f64 v[16:17], v[16:17], v[20:21], -v[18:19]
	v_add_f64 v[16:17], v[16:17], 0
	s_waitcnt vmcnt(0) lgkmcnt(2)
	v_mul_f64 v[30:31], v[12:13], v[26:27]
	v_fmac_f64_e32 v[30:31], v[14:15], v[24:25]
	v_add_f64 v[32:33], v[28:29], v[30:31]
	scratch_load_dwordx4 v[28:31], off, off offset:720
	v_mul_f64 v[14:15], v[14:15], v[26:27]
	v_fma_f64 v[12:13], v[12:13], v[24:25], -v[14:15]
	v_add_f64 v[12:13], v[16:17], v[12:13]
	;; [unrolled: 8-line block ×3, first 2 shown]
	s_waitcnt vmcnt(0) lgkmcnt(0)
	v_mul_f64 v[38:39], v[4:5], v[34:35]
	v_fmac_f64_e32 v[38:39], v[6:7], v[32:33]
	v_add_f64 v[44:45], v[36:37], v[38:39]
	ds_read_b128 v[36:39], v2 offset:1680
	v_mul_f64 v[6:7], v[6:7], v[34:35]
	v_fma_f64 v[4:5], v[4:5], v[32:33], -v[6:7]
	v_add_f64 v[4:5], v[8:9], v[4:5]
	s_waitcnt lgkmcnt(0)
	v_mul_f64 v[46:47], v[36:37], v[42:43]
	v_fmac_f64_e32 v[46:47], v[38:39], v[40:41]
	v_add_f64 v[52:53], v[44:45], v[46:47]
	ds_read_b128 v[44:47], v2 offset:1696
	v_mul_f64 v[6:7], v[38:39], v[42:43]
	v_fma_f64 v[6:7], v[36:37], v[40:41], -v[6:7]
	v_add_f64 v[4:5], v[4:5], v[6:7]
	s_waitcnt lgkmcnt(0)
	;; [unrolled: 8-line block ×13, first 2 shown]
	v_mul_f64 v[6:7], v[136:137], v[140:141]
	v_fma_f64 v[6:7], v[134:135], v[138:139], -v[6:7]
	v_add_f64 v[8:9], v[4:5], v[6:7]
	scratch_load_dwordx4 v[4:7], off, off offset:672
	v_mul_f64 v[142:143], v[134:135], v[140:141]
	v_fmac_f64_e32 v[142:143], v[136:137], v[138:139]
	v_add_f64 v[72:73], v[72:73], v[142:143]
	s_waitcnt vmcnt(0)
	v_add_f64 v[4:5], v[4:5], -v[8:9]
	v_add_f64 v[6:7], v[6:7], -v[72:73]
	scratch_store_dwordx4 off, v[4:7], off offset:672
	s_and_saveexec_b64 s[0:1], vcc
	s_cbranch_execz .LBB58_287
; %bb.286:
	scratch_load_dwordx4 v[6:9], off, s36
	v_mov_b32_e32 v3, v2
	v_mov_b32_e32 v4, v2
	;; [unrolled: 1-line block ×3, first 2 shown]
	v_accvgpr_read_b32 v0, a119
	scratch_store_dwordx4 off, v[2:5], off offset:656
	s_waitcnt vmcnt(1)
	ds_write_b128 v0, v[6:9]
.LBB58_287:
	s_or_b64 exec, exec, s[0:1]
	s_waitcnt lgkmcnt(0)
	; wave barrier
	ds_read_b128 v[16:19], v2 offset:1600
	ds_read_b128 v[12:15], v2 offset:1616
	;; [unrolled: 1-line block ×4, first 2 shown]
	scratch_load_dwordx4 v[20:23], off, off offset:672
	scratch_load_dwordx4 v[40:43], off, off offset:736
	;; [unrolled: 1-line block ×12, first 2 shown]
	v_cmp_lt_u32_e32 vcc, 39, v244
	scratch_load_dwordx4 v[48:51], off, off offset:752
	scratch_load_dwordx4 v[56:59], off, off offset:768
	;; [unrolled: 1-line block ×3, first 2 shown]
	s_waitcnt vmcnt(14) lgkmcnt(3)
	v_mul_f64 v[24:25], v[16:17], v[22:23]
	v_fmac_f64_e32 v[24:25], v[18:19], v[20:21]
	v_add_f64 v[28:29], v[24:25], 0
	scratch_load_dwordx4 v[24:27], off, off offset:688
	s_waitcnt vmcnt(0) lgkmcnt(2)
	v_mul_f64 v[30:31], v[12:13], v[26:27]
	v_fmac_f64_e32 v[30:31], v[14:15], v[24:25]
	v_add_f64 v[32:33], v[28:29], v[30:31]
	scratch_load_dwordx4 v[28:31], off, off offset:704
	v_mul_f64 v[14:15], v[14:15], v[26:27]
	v_fma_f64 v[12:13], v[12:13], v[24:25], -v[14:15]
	s_waitcnt vmcnt(0) lgkmcnt(1)
	v_mul_f64 v[34:35], v[8:9], v[30:31]
	v_fmac_f64_e32 v[34:35], v[10:11], v[28:29]
	v_add_f64 v[36:37], v[32:33], v[34:35]
	scratch_load_dwordx4 v[32:35], off, off offset:720
	v_mul_f64 v[10:11], v[10:11], v[30:31]
	v_fma_f64 v[8:9], v[8:9], v[28:29], -v[10:11]
	s_waitcnt vmcnt(0) lgkmcnt(0)
	v_mul_f64 v[38:39], v[4:5], v[34:35]
	v_fmac_f64_e32 v[38:39], v[6:7], v[32:33]
	v_add_f64 v[44:45], v[36:37], v[38:39]
	ds_read_b128 v[36:39], v2 offset:1664
	v_mul_f64 v[6:7], v[6:7], v[34:35]
	v_fma_f64 v[4:5], v[4:5], v[32:33], -v[6:7]
	s_waitcnt lgkmcnt(0)
	v_mul_f64 v[46:47], v[36:37], v[42:43]
	v_fmac_f64_e32 v[46:47], v[38:39], v[40:41]
	v_add_f64 v[52:53], v[44:45], v[46:47]
	ds_read_b128 v[44:47], v2 offset:1680
	s_waitcnt lgkmcnt(0)
	v_mul_f64 v[54:55], v[44:45], v[50:51]
	v_fmac_f64_e32 v[54:55], v[46:47], v[48:49]
	v_add_f64 v[60:61], v[52:53], v[54:55]
	ds_read_b128 v[52:55], v2 offset:1696
	;; [unrolled: 5-line block ×13, first 2 shown]
	s_waitcnt lgkmcnt(0)
	v_mul_f64 v[2:3], v[142:143], v[148:149]
	v_fmac_f64_e32 v[2:3], v[144:145], v[146:147]
	v_add_f64 v[80:81], v[80:81], v[2:3]
	v_mul_f64 v[2:3], v[18:19], v[22:23]
	v_fma_f64 v[2:3], v[16:17], v[20:21], -v[2:3]
	v_add_f64 v[2:3], v[2:3], 0
	v_add_f64 v[2:3], v[2:3], v[12:13]
	;; [unrolled: 1-line block ×4, first 2 shown]
	v_mul_f64 v[4:5], v[38:39], v[42:43]
	v_fma_f64 v[4:5], v[36:37], v[40:41], -v[4:5]
	v_add_f64 v[2:3], v[2:3], v[4:5]
	v_mul_f64 v[4:5], v[46:47], v[50:51]
	v_fma_f64 v[4:5], v[44:45], v[48:49], -v[4:5]
	v_add_f64 v[2:3], v[2:3], v[4:5]
	;; [unrolled: 3-line block ×14, first 2 shown]
	scratch_load_dwordx4 v[2:5], off, off offset:656
	s_waitcnt vmcnt(0)
	v_add_f64 v[2:3], v[2:3], -v[6:7]
	v_add_f64 v[4:5], v[4:5], -v[80:81]
	scratch_store_dwordx4 off, v[2:5], off offset:656
	s_and_saveexec_b64 s[0:1], vcc
	s_cbranch_execz .LBB58_289
; %bb.288:
	scratch_load_dwordx4 v[2:5], off, s35
	v_mov_b32_e32 v6, 0
	v_mov_b32_e32 v7, v6
	;; [unrolled: 1-line block ×4, first 2 shown]
	v_accvgpr_read_b32 v0, a119
	scratch_store_dwordx4 off, v[6:9], off offset:640
	s_waitcnt vmcnt(1)
	ds_write_b128 v0, v[2:5]
.LBB58_289:
	s_or_b64 exec, exec, s[0:1]
	v_mov_b32_e32 v2, 0
	s_waitcnt lgkmcnt(0)
	; wave barrier
	ds_read_b128 v[16:19], v2 offset:1584
	ds_read_b128 v[12:15], v2 offset:1600
	;; [unrolled: 1-line block ×4, first 2 shown]
	scratch_load_dwordx4 v[20:23], off, off offset:656
	scratch_load_dwordx4 v[40:43], off, off offset:720
	;; [unrolled: 1-line block ×13, first 2 shown]
	v_cmp_lt_u32_e32 vcc, 38, v244
	scratch_load_dwordx4 v[48:51], off, off offset:736
	scratch_load_dwordx4 v[56:59], off, off offset:752
	;; [unrolled: 1-line block ×3, first 2 shown]
	s_waitcnt vmcnt(15) lgkmcnt(3)
	v_mul_f64 v[24:25], v[16:17], v[22:23]
	v_fmac_f64_e32 v[24:25], v[18:19], v[20:21]
	v_add_f64 v[28:29], v[24:25], 0
	scratch_load_dwordx4 v[24:27], off, off offset:672
	v_mul_f64 v[18:19], v[18:19], v[22:23]
	v_fma_f64 v[16:17], v[16:17], v[20:21], -v[18:19]
	v_add_f64 v[16:17], v[16:17], 0
	s_waitcnt vmcnt(0) lgkmcnt(2)
	v_mul_f64 v[30:31], v[12:13], v[26:27]
	v_fmac_f64_e32 v[30:31], v[14:15], v[24:25]
	v_add_f64 v[32:33], v[28:29], v[30:31]
	scratch_load_dwordx4 v[28:31], off, off offset:688
	v_mul_f64 v[14:15], v[14:15], v[26:27]
	v_fma_f64 v[12:13], v[12:13], v[24:25], -v[14:15]
	v_add_f64 v[12:13], v[16:17], v[12:13]
	;; [unrolled: 8-line block ×3, first 2 shown]
	s_waitcnt vmcnt(0) lgkmcnt(0)
	v_mul_f64 v[38:39], v[4:5], v[34:35]
	v_fmac_f64_e32 v[38:39], v[6:7], v[32:33]
	v_add_f64 v[44:45], v[36:37], v[38:39]
	ds_read_b128 v[36:39], v2 offset:1648
	v_mul_f64 v[6:7], v[6:7], v[34:35]
	v_fma_f64 v[4:5], v[4:5], v[32:33], -v[6:7]
	v_add_f64 v[4:5], v[8:9], v[4:5]
	s_waitcnt lgkmcnt(0)
	v_mul_f64 v[46:47], v[36:37], v[42:43]
	v_fmac_f64_e32 v[46:47], v[38:39], v[40:41]
	v_add_f64 v[52:53], v[44:45], v[46:47]
	ds_read_b128 v[44:47], v2 offset:1664
	v_mul_f64 v[6:7], v[38:39], v[42:43]
	v_fma_f64 v[6:7], v[36:37], v[40:41], -v[6:7]
	v_add_f64 v[4:5], v[4:5], v[6:7]
	s_waitcnt lgkmcnt(0)
	;; [unrolled: 8-line block ×15, first 2 shown]
	v_mul_f64 v[6:7], v[152:153], v[156:157]
	v_fma_f64 v[6:7], v[150:151], v[154:155], -v[6:7]
	v_add_f64 v[8:9], v[4:5], v[6:7]
	scratch_load_dwordx4 v[4:7], off, off offset:640
	v_mul_f64 v[158:159], v[150:151], v[156:157]
	v_fmac_f64_e32 v[158:159], v[152:153], v[154:155]
	v_add_f64 v[88:89], v[88:89], v[158:159]
	s_waitcnt vmcnt(0)
	v_add_f64 v[4:5], v[4:5], -v[8:9]
	v_add_f64 v[6:7], v[6:7], -v[88:89]
	scratch_store_dwordx4 off, v[4:7], off offset:640
	s_and_saveexec_b64 s[0:1], vcc
	s_cbranch_execz .LBB58_291
; %bb.290:
	scratch_load_dwordx4 v[6:9], off, s38
	v_mov_b32_e32 v3, v2
	v_mov_b32_e32 v4, v2
	;; [unrolled: 1-line block ×3, first 2 shown]
	v_accvgpr_read_b32 v0, a119
	scratch_store_dwordx4 off, v[2:5], off offset:624
	s_waitcnt vmcnt(1)
	ds_write_b128 v0, v[6:9]
.LBB58_291:
	s_or_b64 exec, exec, s[0:1]
	s_waitcnt lgkmcnt(0)
	; wave barrier
	ds_read_b128 v[16:19], v2 offset:1568
	ds_read_b128 v[12:15], v2 offset:1584
	;; [unrolled: 1-line block ×4, first 2 shown]
	scratch_load_dwordx4 v[20:23], off, off offset:640
	scratch_load_dwordx4 v[40:43], off, off offset:704
	;; [unrolled: 1-line block ×14, first 2 shown]
	v_cmp_lt_u32_e32 vcc, 37, v244
	scratch_load_dwordx4 v[48:51], off, off offset:720
	scratch_load_dwordx4 v[56:59], off, off offset:736
	;; [unrolled: 1-line block ×3, first 2 shown]
	s_waitcnt vmcnt(16) lgkmcnt(3)
	v_mul_f64 v[24:25], v[16:17], v[22:23]
	v_fmac_f64_e32 v[24:25], v[18:19], v[20:21]
	v_add_f64 v[28:29], v[24:25], 0
	scratch_load_dwordx4 v[24:27], off, off offset:656
	s_waitcnt vmcnt(0) lgkmcnt(2)
	v_mul_f64 v[30:31], v[12:13], v[26:27]
	v_fmac_f64_e32 v[30:31], v[14:15], v[24:25]
	v_add_f64 v[32:33], v[28:29], v[30:31]
	scratch_load_dwordx4 v[28:31], off, off offset:672
	v_mul_f64 v[14:15], v[14:15], v[26:27]
	v_fma_f64 v[12:13], v[12:13], v[24:25], -v[14:15]
	s_waitcnt vmcnt(0) lgkmcnt(1)
	v_mul_f64 v[34:35], v[8:9], v[30:31]
	v_fmac_f64_e32 v[34:35], v[10:11], v[28:29]
	v_add_f64 v[36:37], v[32:33], v[34:35]
	scratch_load_dwordx4 v[32:35], off, off offset:688
	v_mul_f64 v[10:11], v[10:11], v[30:31]
	v_fma_f64 v[8:9], v[8:9], v[28:29], -v[10:11]
	s_waitcnt vmcnt(0) lgkmcnt(0)
	v_mul_f64 v[38:39], v[4:5], v[34:35]
	v_fmac_f64_e32 v[38:39], v[6:7], v[32:33]
	v_add_f64 v[44:45], v[36:37], v[38:39]
	ds_read_b128 v[36:39], v2 offset:1632
	v_mul_f64 v[6:7], v[6:7], v[34:35]
	v_fma_f64 v[4:5], v[4:5], v[32:33], -v[6:7]
	s_waitcnt lgkmcnt(0)
	v_mul_f64 v[46:47], v[36:37], v[42:43]
	v_fmac_f64_e32 v[46:47], v[38:39], v[40:41]
	v_add_f64 v[52:53], v[44:45], v[46:47]
	ds_read_b128 v[44:47], v2 offset:1648
	s_waitcnt lgkmcnt(0)
	v_mul_f64 v[54:55], v[44:45], v[50:51]
	v_fmac_f64_e32 v[54:55], v[46:47], v[48:49]
	v_add_f64 v[60:61], v[52:53], v[54:55]
	ds_read_b128 v[52:55], v2 offset:1664
	;; [unrolled: 5-line block ×15, first 2 shown]
	s_waitcnt lgkmcnt(0)
	v_mul_f64 v[2:3], v[158:159], v[164:165]
	v_fmac_f64_e32 v[2:3], v[160:161], v[162:163]
	v_add_f64 v[96:97], v[96:97], v[2:3]
	v_mul_f64 v[2:3], v[18:19], v[22:23]
	v_fma_f64 v[2:3], v[16:17], v[20:21], -v[2:3]
	v_add_f64 v[2:3], v[2:3], 0
	v_add_f64 v[2:3], v[2:3], v[12:13]
	;; [unrolled: 1-line block ×4, first 2 shown]
	v_mul_f64 v[4:5], v[38:39], v[42:43]
	v_fma_f64 v[4:5], v[36:37], v[40:41], -v[4:5]
	v_add_f64 v[2:3], v[2:3], v[4:5]
	v_mul_f64 v[4:5], v[46:47], v[50:51]
	v_fma_f64 v[4:5], v[44:45], v[48:49], -v[4:5]
	v_add_f64 v[2:3], v[2:3], v[4:5]
	;; [unrolled: 3-line block ×16, first 2 shown]
	scratch_load_dwordx4 v[2:5], off, off offset:624
	s_waitcnt vmcnt(0)
	v_add_f64 v[2:3], v[2:3], -v[6:7]
	v_add_f64 v[4:5], v[4:5], -v[96:97]
	scratch_store_dwordx4 off, v[2:5], off offset:624
	s_and_saveexec_b64 s[0:1], vcc
	s_cbranch_execz .LBB58_293
; %bb.292:
	scratch_load_dwordx4 v[2:5], off, s37
	v_mov_b32_e32 v6, 0
	v_mov_b32_e32 v7, v6
	;; [unrolled: 1-line block ×4, first 2 shown]
	v_accvgpr_read_b32 v0, a119
	scratch_store_dwordx4 off, v[6:9], off offset:608
	s_waitcnt vmcnt(1)
	ds_write_b128 v0, v[2:5]
.LBB58_293:
	s_or_b64 exec, exec, s[0:1]
	v_mov_b32_e32 v2, 0
	s_waitcnt lgkmcnt(0)
	; wave barrier
	ds_read_b128 v[16:19], v2 offset:1552
	ds_read_b128 v[12:15], v2 offset:1568
	;; [unrolled: 1-line block ×4, first 2 shown]
	scratch_load_dwordx4 v[20:23], off, off offset:624
	scratch_load_dwordx4 v[40:43], off, off offset:688
	;; [unrolled: 1-line block ×15, first 2 shown]
	v_cmp_lt_u32_e32 vcc, 36, v244
	scratch_load_dwordx4 v[48:51], off, off offset:704
	scratch_load_dwordx4 v[56:59], off, off offset:720
	;; [unrolled: 1-line block ×3, first 2 shown]
	s_waitcnt vmcnt(17) lgkmcnt(3)
	v_mul_f64 v[24:25], v[16:17], v[22:23]
	v_fmac_f64_e32 v[24:25], v[18:19], v[20:21]
	v_add_f64 v[28:29], v[24:25], 0
	scratch_load_dwordx4 v[24:27], off, off offset:640
	v_mul_f64 v[18:19], v[18:19], v[22:23]
	v_fma_f64 v[16:17], v[16:17], v[20:21], -v[18:19]
	v_add_f64 v[16:17], v[16:17], 0
	s_waitcnt vmcnt(0) lgkmcnt(2)
	v_mul_f64 v[30:31], v[12:13], v[26:27]
	v_fmac_f64_e32 v[30:31], v[14:15], v[24:25]
	v_add_f64 v[32:33], v[28:29], v[30:31]
	scratch_load_dwordx4 v[28:31], off, off offset:656
	v_mul_f64 v[14:15], v[14:15], v[26:27]
	v_fma_f64 v[12:13], v[12:13], v[24:25], -v[14:15]
	v_add_f64 v[12:13], v[16:17], v[12:13]
	;; [unrolled: 8-line block ×3, first 2 shown]
	s_waitcnt vmcnt(0) lgkmcnt(0)
	v_mul_f64 v[38:39], v[4:5], v[34:35]
	v_fmac_f64_e32 v[38:39], v[6:7], v[32:33]
	v_add_f64 v[44:45], v[36:37], v[38:39]
	ds_read_b128 v[36:39], v2 offset:1616
	v_mul_f64 v[6:7], v[6:7], v[34:35]
	v_fma_f64 v[4:5], v[4:5], v[32:33], -v[6:7]
	v_add_f64 v[4:5], v[8:9], v[4:5]
	s_waitcnt lgkmcnt(0)
	v_mul_f64 v[46:47], v[36:37], v[42:43]
	v_fmac_f64_e32 v[46:47], v[38:39], v[40:41]
	v_add_f64 v[52:53], v[44:45], v[46:47]
	ds_read_b128 v[44:47], v2 offset:1632
	v_mul_f64 v[6:7], v[38:39], v[42:43]
	v_fma_f64 v[6:7], v[36:37], v[40:41], -v[6:7]
	v_add_f64 v[4:5], v[4:5], v[6:7]
	s_waitcnt lgkmcnt(0)
	;; [unrolled: 8-line block ×17, first 2 shown]
	v_mul_f64 v[6:7], v[168:169], v[172:173]
	v_fma_f64 v[6:7], v[166:167], v[170:171], -v[6:7]
	v_add_f64 v[8:9], v[4:5], v[6:7]
	scratch_load_dwordx4 v[4:7], off, off offset:608
	v_mul_f64 v[174:175], v[166:167], v[172:173]
	v_fmac_f64_e32 v[174:175], v[168:169], v[170:171]
	v_add_f64 v[104:105], v[104:105], v[174:175]
	s_waitcnt vmcnt(0)
	v_add_f64 v[4:5], v[4:5], -v[8:9]
	v_add_f64 v[6:7], v[6:7], -v[104:105]
	scratch_store_dwordx4 off, v[4:7], off offset:608
	s_and_saveexec_b64 s[0:1], vcc
	s_cbranch_execz .LBB58_295
; %bb.294:
	scratch_load_dwordx4 v[6:9], off, s40
	v_mov_b32_e32 v3, v2
	v_mov_b32_e32 v4, v2
	;; [unrolled: 1-line block ×3, first 2 shown]
	v_accvgpr_read_b32 v0, a119
	scratch_store_dwordx4 off, v[2:5], off offset:592
	s_waitcnt vmcnt(1)
	ds_write_b128 v0, v[6:9]
.LBB58_295:
	s_or_b64 exec, exec, s[0:1]
	s_waitcnt lgkmcnt(0)
	; wave barrier
	ds_read_b128 v[16:19], v2 offset:1536
	ds_read_b128 v[12:15], v2 offset:1552
	;; [unrolled: 1-line block ×4, first 2 shown]
	scratch_load_dwordx4 v[20:23], off, off offset:608
	scratch_load_dwordx4 v[40:43], off, off offset:672
	;; [unrolled: 1-line block ×16, first 2 shown]
	v_cmp_lt_u32_e32 vcc, 35, v244
	scratch_load_dwordx4 v[48:51], off, off offset:688
	scratch_load_dwordx4 v[56:59], off, off offset:704
	;; [unrolled: 1-line block ×3, first 2 shown]
	s_waitcnt vmcnt(18) lgkmcnt(3)
	v_mul_f64 v[24:25], v[16:17], v[22:23]
	v_fmac_f64_e32 v[24:25], v[18:19], v[20:21]
	v_add_f64 v[28:29], v[24:25], 0
	scratch_load_dwordx4 v[24:27], off, off offset:624
	s_waitcnt vmcnt(0) lgkmcnt(2)
	v_mul_f64 v[30:31], v[12:13], v[26:27]
	v_fmac_f64_e32 v[30:31], v[14:15], v[24:25]
	v_add_f64 v[32:33], v[28:29], v[30:31]
	scratch_load_dwordx4 v[28:31], off, off offset:640
	v_mul_f64 v[14:15], v[14:15], v[26:27]
	v_fma_f64 v[12:13], v[12:13], v[24:25], -v[14:15]
	s_waitcnt vmcnt(0) lgkmcnt(1)
	v_mul_f64 v[34:35], v[8:9], v[30:31]
	v_fmac_f64_e32 v[34:35], v[10:11], v[28:29]
	v_add_f64 v[36:37], v[32:33], v[34:35]
	scratch_load_dwordx4 v[32:35], off, off offset:656
	v_mul_f64 v[10:11], v[10:11], v[30:31]
	v_fma_f64 v[8:9], v[8:9], v[28:29], -v[10:11]
	s_waitcnt vmcnt(0) lgkmcnt(0)
	v_mul_f64 v[38:39], v[4:5], v[34:35]
	v_fmac_f64_e32 v[38:39], v[6:7], v[32:33]
	v_add_f64 v[44:45], v[36:37], v[38:39]
	ds_read_b128 v[36:39], v2 offset:1600
	v_mul_f64 v[6:7], v[6:7], v[34:35]
	v_fma_f64 v[4:5], v[4:5], v[32:33], -v[6:7]
	s_waitcnt lgkmcnt(0)
	v_mul_f64 v[46:47], v[36:37], v[42:43]
	v_fmac_f64_e32 v[46:47], v[38:39], v[40:41]
	v_add_f64 v[52:53], v[44:45], v[46:47]
	ds_read_b128 v[44:47], v2 offset:1616
	s_waitcnt lgkmcnt(0)
	v_mul_f64 v[54:55], v[44:45], v[50:51]
	v_fmac_f64_e32 v[54:55], v[46:47], v[48:49]
	v_add_f64 v[60:61], v[52:53], v[54:55]
	ds_read_b128 v[52:55], v2 offset:1632
	;; [unrolled: 5-line block ×17, first 2 shown]
	s_waitcnt lgkmcnt(0)
	v_mul_f64 v[2:3], v[174:175], v[180:181]
	v_fmac_f64_e32 v[2:3], v[176:177], v[178:179]
	v_add_f64 v[120:121], v[120:121], v[2:3]
	v_mul_f64 v[2:3], v[18:19], v[22:23]
	v_fma_f64 v[2:3], v[16:17], v[20:21], -v[2:3]
	v_add_f64 v[2:3], v[2:3], 0
	v_add_f64 v[2:3], v[2:3], v[12:13]
	v_add_f64 v[2:3], v[2:3], v[8:9]
	v_add_f64 v[2:3], v[2:3], v[4:5]
	v_mul_f64 v[4:5], v[38:39], v[42:43]
	v_fma_f64 v[4:5], v[36:37], v[40:41], -v[4:5]
	v_add_f64 v[2:3], v[2:3], v[4:5]
	v_mul_f64 v[4:5], v[46:47], v[50:51]
	v_fma_f64 v[4:5], v[44:45], v[48:49], -v[4:5]
	v_add_f64 v[2:3], v[2:3], v[4:5]
	;; [unrolled: 3-line block ×18, first 2 shown]
	scratch_load_dwordx4 v[2:5], off, off offset:592
	s_waitcnt vmcnt(0)
	v_add_f64 v[2:3], v[2:3], -v[6:7]
	v_add_f64 v[4:5], v[4:5], -v[120:121]
	scratch_store_dwordx4 off, v[2:5], off offset:592
	s_and_saveexec_b64 s[0:1], vcc
	s_cbranch_execz .LBB58_297
; %bb.296:
	scratch_load_dwordx4 v[2:5], off, s39
	v_mov_b32_e32 v6, 0
	v_mov_b32_e32 v7, v6
	;; [unrolled: 1-line block ×4, first 2 shown]
	v_accvgpr_read_b32 v0, a119
	scratch_store_dwordx4 off, v[6:9], off offset:576
	s_waitcnt vmcnt(1)
	ds_write_b128 v0, v[2:5]
.LBB58_297:
	s_or_b64 exec, exec, s[0:1]
	v_mov_b32_e32 v2, 0
	s_waitcnt lgkmcnt(0)
	; wave barrier
	ds_read_b128 v[16:19], v2 offset:1520
	ds_read_b128 v[12:15], v2 offset:1536
	;; [unrolled: 1-line block ×4, first 2 shown]
	scratch_load_dwordx4 v[20:23], off, off offset:592
	scratch_load_dwordx4 v[40:43], off, off offset:656
	;; [unrolled: 1-line block ×17, first 2 shown]
	v_cmp_lt_u32_e32 vcc, 34, v244
	scratch_load_dwordx4 v[48:51], off, off offset:672
	scratch_load_dwordx4 v[56:59], off, off offset:688
	;; [unrolled: 1-line block ×3, first 2 shown]
	s_waitcnt vmcnt(19) lgkmcnt(3)
	v_mul_f64 v[24:25], v[16:17], v[22:23]
	v_fmac_f64_e32 v[24:25], v[18:19], v[20:21]
	v_add_f64 v[28:29], v[24:25], 0
	scratch_load_dwordx4 v[24:27], off, off offset:608
	v_mul_f64 v[18:19], v[18:19], v[22:23]
	v_fma_f64 v[16:17], v[16:17], v[20:21], -v[18:19]
	v_add_f64 v[16:17], v[16:17], 0
	s_waitcnt vmcnt(0) lgkmcnt(2)
	v_mul_f64 v[30:31], v[12:13], v[26:27]
	v_fmac_f64_e32 v[30:31], v[14:15], v[24:25]
	v_add_f64 v[32:33], v[28:29], v[30:31]
	scratch_load_dwordx4 v[28:31], off, off offset:624
	v_mul_f64 v[14:15], v[14:15], v[26:27]
	v_fma_f64 v[12:13], v[12:13], v[24:25], -v[14:15]
	v_add_f64 v[12:13], v[16:17], v[12:13]
	;; [unrolled: 8-line block ×3, first 2 shown]
	s_waitcnt vmcnt(0) lgkmcnt(0)
	v_mul_f64 v[38:39], v[4:5], v[34:35]
	v_fmac_f64_e32 v[38:39], v[6:7], v[32:33]
	v_add_f64 v[44:45], v[36:37], v[38:39]
	ds_read_b128 v[36:39], v2 offset:1584
	v_mul_f64 v[6:7], v[6:7], v[34:35]
	v_fma_f64 v[4:5], v[4:5], v[32:33], -v[6:7]
	v_add_f64 v[4:5], v[8:9], v[4:5]
	s_waitcnt lgkmcnt(0)
	v_mul_f64 v[46:47], v[36:37], v[42:43]
	v_fmac_f64_e32 v[46:47], v[38:39], v[40:41]
	v_add_f64 v[52:53], v[44:45], v[46:47]
	ds_read_b128 v[44:47], v2 offset:1600
	v_mul_f64 v[6:7], v[38:39], v[42:43]
	v_fma_f64 v[6:7], v[36:37], v[40:41], -v[6:7]
	v_add_f64 v[4:5], v[4:5], v[6:7]
	s_waitcnt lgkmcnt(0)
	;; [unrolled: 8-line block ×19, first 2 shown]
	v_mul_f64 v[6:7], v[184:185], v[188:189]
	v_fma_f64 v[6:7], v[182:183], v[186:187], -v[6:7]
	v_add_f64 v[8:9], v[4:5], v[6:7]
	scratch_load_dwordx4 v[4:7], off, off offset:576
	v_mul_f64 v[190:191], v[182:183], v[188:189]
	v_fmac_f64_e32 v[190:191], v[184:185], v[186:187]
	v_add_f64 v[128:129], v[128:129], v[190:191]
	s_waitcnt vmcnt(0)
	v_add_f64 v[4:5], v[4:5], -v[8:9]
	v_add_f64 v[6:7], v[6:7], -v[128:129]
	scratch_store_dwordx4 off, v[4:7], off offset:576
	s_and_saveexec_b64 s[0:1], vcc
	s_cbranch_execz .LBB58_299
; %bb.298:
	scratch_load_dwordx4 v[6:9], off, s42
	v_mov_b32_e32 v3, v2
	v_mov_b32_e32 v4, v2
	;; [unrolled: 1-line block ×3, first 2 shown]
	v_accvgpr_read_b32 v0, a119
	scratch_store_dwordx4 off, v[2:5], off offset:560
	s_waitcnt vmcnt(1)
	ds_write_b128 v0, v[6:9]
.LBB58_299:
	s_or_b64 exec, exec, s[0:1]
	s_waitcnt lgkmcnt(0)
	; wave barrier
	ds_read_b128 v[16:19], v2 offset:1504
	ds_read_b128 v[12:15], v2 offset:1520
	;; [unrolled: 1-line block ×4, first 2 shown]
	scratch_load_dwordx4 v[20:23], off, off offset:576
	scratch_load_dwordx4 v[40:43], off, off offset:640
	;; [unrolled: 1-line block ×18, first 2 shown]
	v_cmp_lt_u32_e32 vcc, 33, v244
	scratch_load_dwordx4 v[48:51], off, off offset:656
	scratch_load_dwordx4 v[56:59], off, off offset:672
	;; [unrolled: 1-line block ×3, first 2 shown]
	s_waitcnt vmcnt(20) lgkmcnt(3)
	v_mul_f64 v[24:25], v[16:17], v[22:23]
	v_fmac_f64_e32 v[24:25], v[18:19], v[20:21]
	v_add_f64 v[28:29], v[24:25], 0
	scratch_load_dwordx4 v[24:27], off, off offset:592
	s_waitcnt vmcnt(0) lgkmcnt(2)
	v_mul_f64 v[30:31], v[12:13], v[26:27]
	v_fmac_f64_e32 v[30:31], v[14:15], v[24:25]
	v_add_f64 v[32:33], v[28:29], v[30:31]
	scratch_load_dwordx4 v[28:31], off, off offset:608
	v_mul_f64 v[14:15], v[14:15], v[26:27]
	v_fma_f64 v[12:13], v[12:13], v[24:25], -v[14:15]
	s_waitcnt vmcnt(0) lgkmcnt(1)
	v_mul_f64 v[34:35], v[8:9], v[30:31]
	v_fmac_f64_e32 v[34:35], v[10:11], v[28:29]
	v_add_f64 v[36:37], v[32:33], v[34:35]
	scratch_load_dwordx4 v[32:35], off, off offset:624
	v_mul_f64 v[10:11], v[10:11], v[30:31]
	v_fma_f64 v[8:9], v[8:9], v[28:29], -v[10:11]
	s_waitcnt vmcnt(0) lgkmcnt(0)
	v_mul_f64 v[38:39], v[4:5], v[34:35]
	v_fmac_f64_e32 v[38:39], v[6:7], v[32:33]
	v_add_f64 v[44:45], v[36:37], v[38:39]
	ds_read_b128 v[36:39], v2 offset:1568
	v_mul_f64 v[6:7], v[6:7], v[34:35]
	v_fma_f64 v[4:5], v[4:5], v[32:33], -v[6:7]
	s_waitcnt lgkmcnt(0)
	v_mul_f64 v[46:47], v[36:37], v[42:43]
	v_fmac_f64_e32 v[46:47], v[38:39], v[40:41]
	v_add_f64 v[52:53], v[44:45], v[46:47]
	ds_read_b128 v[44:47], v2 offset:1584
	s_waitcnt lgkmcnt(0)
	v_mul_f64 v[54:55], v[44:45], v[50:51]
	v_fmac_f64_e32 v[54:55], v[46:47], v[48:49]
	v_add_f64 v[60:61], v[52:53], v[54:55]
	ds_read_b128 v[52:55], v2 offset:1600
	;; [unrolled: 5-line block ×19, first 2 shown]
	s_waitcnt lgkmcnt(0)
	v_mul_f64 v[2:3], v[190:191], v[196:197]
	v_fmac_f64_e32 v[2:3], v[192:193], v[194:195]
	v_add_f64 v[148:149], v[148:149], v[2:3]
	v_mul_f64 v[2:3], v[18:19], v[22:23]
	v_fma_f64 v[2:3], v[16:17], v[20:21], -v[2:3]
	v_add_f64 v[2:3], v[2:3], 0
	v_add_f64 v[2:3], v[2:3], v[12:13]
	;; [unrolled: 1-line block ×4, first 2 shown]
	v_mul_f64 v[4:5], v[38:39], v[42:43]
	v_fma_f64 v[4:5], v[36:37], v[40:41], -v[4:5]
	v_add_f64 v[2:3], v[2:3], v[4:5]
	v_mul_f64 v[4:5], v[46:47], v[50:51]
	v_fma_f64 v[4:5], v[44:45], v[48:49], -v[4:5]
	v_add_f64 v[2:3], v[2:3], v[4:5]
	;; [unrolled: 3-line block ×20, first 2 shown]
	scratch_load_dwordx4 v[2:5], off, off offset:560
	s_waitcnt vmcnt(0)
	v_add_f64 v[2:3], v[2:3], -v[6:7]
	v_add_f64 v[4:5], v[4:5], -v[148:149]
	scratch_store_dwordx4 off, v[2:5], off offset:560
	s_and_saveexec_b64 s[0:1], vcc
	s_cbranch_execz .LBB58_301
; %bb.300:
	scratch_load_dwordx4 v[2:5], off, s41
	v_mov_b32_e32 v6, 0
	v_mov_b32_e32 v7, v6
	;; [unrolled: 1-line block ×4, first 2 shown]
	v_accvgpr_read_b32 v0, a119
	scratch_store_dwordx4 off, v[6:9], off offset:544
	s_waitcnt vmcnt(1)
	ds_write_b128 v0, v[2:5]
.LBB58_301:
	s_or_b64 exec, exec, s[0:1]
	v_mov_b32_e32 v2, 0
	s_waitcnt lgkmcnt(0)
	; wave barrier
	ds_read_b128 v[16:19], v2 offset:1488
	ds_read_b128 v[12:15], v2 offset:1504
	;; [unrolled: 1-line block ×4, first 2 shown]
	scratch_load_dwordx4 v[20:23], off, off offset:560
	scratch_load_dwordx4 v[40:43], off, off offset:624
	;; [unrolled: 1-line block ×19, first 2 shown]
	v_cmp_lt_u32_e32 vcc, 32, v244
	scratch_load_dwordx4 v[48:51], off, off offset:640
	scratch_load_dwordx4 v[56:59], off, off offset:656
	;; [unrolled: 1-line block ×3, first 2 shown]
	s_waitcnt vmcnt(21) lgkmcnt(3)
	v_mul_f64 v[24:25], v[16:17], v[22:23]
	v_fmac_f64_e32 v[24:25], v[18:19], v[20:21]
	v_add_f64 v[28:29], v[24:25], 0
	scratch_load_dwordx4 v[24:27], off, off offset:576
	v_mul_f64 v[18:19], v[18:19], v[22:23]
	v_fma_f64 v[16:17], v[16:17], v[20:21], -v[18:19]
	v_add_f64 v[16:17], v[16:17], 0
	s_waitcnt vmcnt(0) lgkmcnt(2)
	v_mul_f64 v[30:31], v[12:13], v[26:27]
	v_fmac_f64_e32 v[30:31], v[14:15], v[24:25]
	v_add_f64 v[32:33], v[28:29], v[30:31]
	scratch_load_dwordx4 v[28:31], off, off offset:592
	v_mul_f64 v[14:15], v[14:15], v[26:27]
	v_fma_f64 v[12:13], v[12:13], v[24:25], -v[14:15]
	v_add_f64 v[12:13], v[16:17], v[12:13]
	;; [unrolled: 8-line block ×3, first 2 shown]
	s_waitcnt vmcnt(0) lgkmcnt(0)
	v_mul_f64 v[38:39], v[4:5], v[34:35]
	v_fmac_f64_e32 v[38:39], v[6:7], v[32:33]
	v_add_f64 v[44:45], v[36:37], v[38:39]
	ds_read_b128 v[36:39], v2 offset:1552
	v_mul_f64 v[6:7], v[6:7], v[34:35]
	v_fma_f64 v[4:5], v[4:5], v[32:33], -v[6:7]
	v_add_f64 v[4:5], v[8:9], v[4:5]
	s_waitcnt lgkmcnt(0)
	v_mul_f64 v[46:47], v[36:37], v[42:43]
	v_fmac_f64_e32 v[46:47], v[38:39], v[40:41]
	v_add_f64 v[52:53], v[44:45], v[46:47]
	ds_read_b128 v[44:47], v2 offset:1568
	v_mul_f64 v[6:7], v[38:39], v[42:43]
	v_fma_f64 v[6:7], v[36:37], v[40:41], -v[6:7]
	v_add_f64 v[4:5], v[4:5], v[6:7]
	s_waitcnt lgkmcnt(0)
	;; [unrolled: 8-line block ×21, first 2 shown]
	v_mul_f64 v[6:7], v[200:201], v[204:205]
	v_fma_f64 v[6:7], v[198:199], v[202:203], -v[6:7]
	v_add_f64 v[8:9], v[4:5], v[6:7]
	scratch_load_dwordx4 v[4:7], off, off offset:544
	v_mul_f64 v[206:207], v[198:199], v[204:205]
	v_fmac_f64_e32 v[206:207], v[200:201], v[202:203]
	v_add_f64 v[144:145], v[144:145], v[206:207]
	s_waitcnt vmcnt(0)
	v_add_f64 v[4:5], v[4:5], -v[8:9]
	v_add_f64 v[6:7], v[6:7], -v[144:145]
	scratch_store_dwordx4 off, v[4:7], off offset:544
	s_and_saveexec_b64 s[0:1], vcc
	s_cbranch_execz .LBB58_303
; %bb.302:
	scratch_load_dwordx4 v[6:9], off, s71
	v_mov_b32_e32 v3, v2
	v_mov_b32_e32 v4, v2
	;; [unrolled: 1-line block ×3, first 2 shown]
	v_accvgpr_read_b32 v0, a119
	scratch_store_dwordx4 off, v[2:5], off offset:528
	s_waitcnt vmcnt(1)
	ds_write_b128 v0, v[6:9]
.LBB58_303:
	s_or_b64 exec, exec, s[0:1]
	s_waitcnt lgkmcnt(0)
	; wave barrier
	ds_read_b128 v[16:19], v2 offset:1472
	ds_read_b128 v[12:15], v2 offset:1488
	;; [unrolled: 1-line block ×4, first 2 shown]
	scratch_load_dwordx4 v[20:23], off, off offset:544
	scratch_load_dwordx4 v[40:43], off, off offset:608
	;; [unrolled: 1-line block ×20, first 2 shown]
	v_cmp_lt_u32_e32 vcc, 31, v244
	scratch_load_dwordx4 v[48:51], off, off offset:624
	scratch_load_dwordx4 v[56:59], off, off offset:640
	;; [unrolled: 1-line block ×3, first 2 shown]
	s_waitcnt vmcnt(22) lgkmcnt(3)
	v_mul_f64 v[24:25], v[16:17], v[22:23]
	v_fmac_f64_e32 v[24:25], v[18:19], v[20:21]
	v_add_f64 v[28:29], v[24:25], 0
	scratch_load_dwordx4 v[24:27], off, off offset:560
	s_waitcnt vmcnt(0) lgkmcnt(2)
	v_mul_f64 v[30:31], v[12:13], v[26:27]
	v_fmac_f64_e32 v[30:31], v[14:15], v[24:25]
	v_add_f64 v[32:33], v[28:29], v[30:31]
	scratch_load_dwordx4 v[28:31], off, off offset:576
	v_mul_f64 v[14:15], v[14:15], v[26:27]
	v_fma_f64 v[12:13], v[12:13], v[24:25], -v[14:15]
	s_waitcnt vmcnt(0) lgkmcnt(1)
	v_mul_f64 v[34:35], v[8:9], v[30:31]
	v_fmac_f64_e32 v[34:35], v[10:11], v[28:29]
	v_add_f64 v[36:37], v[32:33], v[34:35]
	scratch_load_dwordx4 v[32:35], off, off offset:592
	v_mul_f64 v[10:11], v[10:11], v[30:31]
	v_fma_f64 v[8:9], v[8:9], v[28:29], -v[10:11]
	s_waitcnt vmcnt(0) lgkmcnt(0)
	v_mul_f64 v[38:39], v[4:5], v[34:35]
	v_fmac_f64_e32 v[38:39], v[6:7], v[32:33]
	v_add_f64 v[44:45], v[36:37], v[38:39]
	ds_read_b128 v[36:39], v2 offset:1536
	v_mul_f64 v[6:7], v[6:7], v[34:35]
	v_fma_f64 v[4:5], v[4:5], v[32:33], -v[6:7]
	s_waitcnt lgkmcnt(0)
	v_mul_f64 v[46:47], v[36:37], v[42:43]
	v_fmac_f64_e32 v[46:47], v[38:39], v[40:41]
	v_add_f64 v[52:53], v[44:45], v[46:47]
	ds_read_b128 v[44:47], v2 offset:1552
	s_waitcnt lgkmcnt(0)
	v_mul_f64 v[54:55], v[44:45], v[50:51]
	v_fmac_f64_e32 v[54:55], v[46:47], v[48:49]
	v_add_f64 v[60:61], v[52:53], v[54:55]
	ds_read_b128 v[52:55], v2 offset:1568
	;; [unrolled: 5-line block ×21, first 2 shown]
	s_waitcnt lgkmcnt(0)
	v_mul_f64 v[2:3], v[206:207], v[212:213]
	v_fmac_f64_e32 v[2:3], v[208:209], v[210:211]
	v_add_f64 v[168:169], v[168:169], v[2:3]
	v_mul_f64 v[2:3], v[18:19], v[22:23]
	v_fma_f64 v[2:3], v[16:17], v[20:21], -v[2:3]
	v_add_f64 v[2:3], v[2:3], 0
	v_add_f64 v[2:3], v[2:3], v[12:13]
	;; [unrolled: 1-line block ×4, first 2 shown]
	v_mul_f64 v[4:5], v[38:39], v[42:43]
	v_fma_f64 v[4:5], v[36:37], v[40:41], -v[4:5]
	v_add_f64 v[2:3], v[2:3], v[4:5]
	v_mul_f64 v[4:5], v[46:47], v[50:51]
	v_fma_f64 v[4:5], v[44:45], v[48:49], -v[4:5]
	v_add_f64 v[2:3], v[2:3], v[4:5]
	;; [unrolled: 3-line block ×22, first 2 shown]
	scratch_load_dwordx4 v[2:5], off, off offset:528
	s_waitcnt vmcnt(0)
	v_add_f64 v[2:3], v[2:3], -v[6:7]
	v_add_f64 v[4:5], v[4:5], -v[168:169]
	scratch_store_dwordx4 off, v[2:5], off offset:528
	s_and_saveexec_b64 s[0:1], vcc
	s_cbranch_execz .LBB58_305
; %bb.304:
	scratch_load_dwordx4 v[2:5], off, s70
	v_mov_b32_e32 v6, 0
	v_mov_b32_e32 v7, v6
	;; [unrolled: 1-line block ×4, first 2 shown]
	v_accvgpr_read_b32 v0, a119
	scratch_store_dwordx4 off, v[6:9], off offset:512
	s_waitcnt vmcnt(1)
	ds_write_b128 v0, v[2:5]
.LBB58_305:
	s_or_b64 exec, exec, s[0:1]
	v_mov_b32_e32 v2, 0
	s_waitcnt lgkmcnt(0)
	; wave barrier
	ds_read_b128 v[16:19], v2 offset:1456
	ds_read_b128 v[12:15], v2 offset:1472
	;; [unrolled: 1-line block ×4, first 2 shown]
	scratch_load_dwordx4 v[20:23], off, off offset:528
	scratch_load_dwordx4 v[40:43], off, off offset:592
	;; [unrolled: 1-line block ×21, first 2 shown]
	v_cmp_lt_u32_e32 vcc, 30, v244
	scratch_load_dwordx4 v[48:51], off, off offset:608
	scratch_load_dwordx4 v[56:59], off, off offset:624
	;; [unrolled: 1-line block ×3, first 2 shown]
	s_waitcnt vmcnt(23) lgkmcnt(3)
	v_mul_f64 v[24:25], v[16:17], v[22:23]
	v_fmac_f64_e32 v[24:25], v[18:19], v[20:21]
	v_add_f64 v[28:29], v[24:25], 0
	scratch_load_dwordx4 v[24:27], off, off offset:544
	v_mul_f64 v[18:19], v[18:19], v[22:23]
	v_fma_f64 v[16:17], v[16:17], v[20:21], -v[18:19]
	v_add_f64 v[16:17], v[16:17], 0
	s_waitcnt vmcnt(0) lgkmcnt(2)
	v_mul_f64 v[30:31], v[12:13], v[26:27]
	v_fmac_f64_e32 v[30:31], v[14:15], v[24:25]
	v_add_f64 v[32:33], v[28:29], v[30:31]
	scratch_load_dwordx4 v[28:31], off, off offset:560
	v_mul_f64 v[14:15], v[14:15], v[26:27]
	v_fma_f64 v[12:13], v[12:13], v[24:25], -v[14:15]
	v_add_f64 v[12:13], v[16:17], v[12:13]
	;; [unrolled: 8-line block ×3, first 2 shown]
	s_waitcnt vmcnt(0) lgkmcnt(0)
	v_mul_f64 v[38:39], v[4:5], v[34:35]
	v_fmac_f64_e32 v[38:39], v[6:7], v[32:33]
	v_add_f64 v[44:45], v[36:37], v[38:39]
	ds_read_b128 v[36:39], v2 offset:1520
	v_mul_f64 v[6:7], v[6:7], v[34:35]
	v_fma_f64 v[4:5], v[4:5], v[32:33], -v[6:7]
	v_add_f64 v[4:5], v[8:9], v[4:5]
	s_waitcnt lgkmcnt(0)
	v_mul_f64 v[46:47], v[36:37], v[42:43]
	v_fmac_f64_e32 v[46:47], v[38:39], v[40:41]
	v_add_f64 v[52:53], v[44:45], v[46:47]
	ds_read_b128 v[44:47], v2 offset:1536
	v_mul_f64 v[6:7], v[38:39], v[42:43]
	v_fma_f64 v[6:7], v[36:37], v[40:41], -v[6:7]
	v_add_f64 v[4:5], v[4:5], v[6:7]
	s_waitcnt lgkmcnt(0)
	;; [unrolled: 8-line block ×23, first 2 shown]
	v_mul_f64 v[6:7], v[216:217], v[220:221]
	v_fma_f64 v[6:7], v[214:215], v[218:219], -v[6:7]
	v_add_f64 v[8:9], v[4:5], v[6:7]
	scratch_load_dwordx4 v[4:7], off, off offset:512
	v_mul_f64 v[222:223], v[214:215], v[220:221]
	v_fmac_f64_e32 v[222:223], v[216:217], v[218:219]
	v_add_f64 v[160:161], v[160:161], v[222:223]
	s_waitcnt vmcnt(0)
	v_add_f64 v[4:5], v[4:5], -v[8:9]
	v_add_f64 v[6:7], v[6:7], -v[160:161]
	scratch_store_dwordx4 off, v[4:7], off offset:512
	s_and_saveexec_b64 s[0:1], vcc
	s_cbranch_execz .LBB58_307
; %bb.306:
	scratch_load_dwordx4 v[6:9], off, s69
	v_mov_b32_e32 v3, v2
	v_mov_b32_e32 v4, v2
	;; [unrolled: 1-line block ×3, first 2 shown]
	v_accvgpr_read_b32 v0, a119
	scratch_store_dwordx4 off, v[2:5], off offset:496
	s_waitcnt vmcnt(1)
	ds_write_b128 v0, v[6:9]
.LBB58_307:
	s_or_b64 exec, exec, s[0:1]
	s_waitcnt lgkmcnt(0)
	; wave barrier
	ds_read_b128 v[16:19], v2 offset:1440
	ds_read_b128 v[12:15], v2 offset:1456
	;; [unrolled: 1-line block ×4, first 2 shown]
	scratch_load_dwordx4 v[20:23], off, off offset:512
	scratch_load_dwordx4 v[40:43], off, off offset:576
	;; [unrolled: 1-line block ×22, first 2 shown]
	v_cmp_lt_u32_e32 vcc, 29, v244
	scratch_load_dwordx4 v[48:51], off, off offset:592
	scratch_load_dwordx4 v[56:59], off, off offset:608
	;; [unrolled: 1-line block ×3, first 2 shown]
	s_waitcnt vmcnt(24) lgkmcnt(3)
	v_mul_f64 v[24:25], v[16:17], v[22:23]
	v_fmac_f64_e32 v[24:25], v[18:19], v[20:21]
	v_add_f64 v[28:29], v[24:25], 0
	scratch_load_dwordx4 v[24:27], off, off offset:528
	s_waitcnt vmcnt(0) lgkmcnt(2)
	v_mul_f64 v[30:31], v[12:13], v[26:27]
	v_fmac_f64_e32 v[30:31], v[14:15], v[24:25]
	v_add_f64 v[32:33], v[28:29], v[30:31]
	scratch_load_dwordx4 v[28:31], off, off offset:544
	v_mul_f64 v[14:15], v[14:15], v[26:27]
	v_fma_f64 v[12:13], v[12:13], v[24:25], -v[14:15]
	s_waitcnt vmcnt(0) lgkmcnt(1)
	v_mul_f64 v[34:35], v[8:9], v[30:31]
	v_fmac_f64_e32 v[34:35], v[10:11], v[28:29]
	v_add_f64 v[36:37], v[32:33], v[34:35]
	scratch_load_dwordx4 v[32:35], off, off offset:560
	v_mul_f64 v[10:11], v[10:11], v[30:31]
	v_fma_f64 v[8:9], v[8:9], v[28:29], -v[10:11]
	s_waitcnt vmcnt(0) lgkmcnt(0)
	v_mul_f64 v[38:39], v[4:5], v[34:35]
	v_fmac_f64_e32 v[38:39], v[6:7], v[32:33]
	v_add_f64 v[44:45], v[36:37], v[38:39]
	ds_read_b128 v[36:39], v2 offset:1504
	v_mul_f64 v[6:7], v[6:7], v[34:35]
	v_fma_f64 v[4:5], v[4:5], v[32:33], -v[6:7]
	s_waitcnt lgkmcnt(0)
	v_mul_f64 v[46:47], v[36:37], v[42:43]
	v_fmac_f64_e32 v[46:47], v[38:39], v[40:41]
	v_add_f64 v[52:53], v[44:45], v[46:47]
	ds_read_b128 v[44:47], v2 offset:1520
	s_waitcnt lgkmcnt(0)
	v_mul_f64 v[54:55], v[44:45], v[50:51]
	v_fmac_f64_e32 v[54:55], v[46:47], v[48:49]
	v_add_f64 v[60:61], v[52:53], v[54:55]
	ds_read_b128 v[52:55], v2 offset:1536
	;; [unrolled: 5-line block ×23, first 2 shown]
	s_waitcnt lgkmcnt(0)
	v_mul_f64 v[2:3], v[222:223], v[228:229]
	v_fmac_f64_e32 v[2:3], v[224:225], v[226:227]
	v_add_f64 v[176:177], v[176:177], v[2:3]
	v_mul_f64 v[2:3], v[18:19], v[22:23]
	v_fma_f64 v[2:3], v[16:17], v[20:21], -v[2:3]
	v_add_f64 v[2:3], v[2:3], 0
	v_add_f64 v[2:3], v[2:3], v[12:13]
	;; [unrolled: 1-line block ×4, first 2 shown]
	v_mul_f64 v[4:5], v[38:39], v[42:43]
	v_fma_f64 v[4:5], v[36:37], v[40:41], -v[4:5]
	v_add_f64 v[2:3], v[2:3], v[4:5]
	v_mul_f64 v[4:5], v[46:47], v[50:51]
	v_fma_f64 v[4:5], v[44:45], v[48:49], -v[4:5]
	v_add_f64 v[2:3], v[2:3], v[4:5]
	v_mul_f64 v[4:5], v[54:55], v[58:59]
	v_fma_f64 v[4:5], v[52:53], v[56:57], -v[4:5]
	v_add_f64 v[2:3], v[2:3], v[4:5]
	v_mul_f64 v[4:5], v[62:63], v[66:67]
	v_fma_f64 v[4:5], v[60:61], v[64:65], -v[4:5]
	v_add_f64 v[2:3], v[2:3], v[4:5]
	v_mul_f64 v[4:5], v[70:71], v[74:75]
	v_fma_f64 v[4:5], v[68:69], v[72:73], -v[4:5]
	v_add_f64 v[2:3], v[2:3], v[4:5]
	v_mul_f64 v[4:5], v[78:79], v[82:83]
	v_fma_f64 v[4:5], v[76:77], v[80:81], -v[4:5]
	v_add_f64 v[2:3], v[2:3], v[4:5]
	v_mul_f64 v[4:5], v[86:87], v[90:91]
	v_fma_f64 v[4:5], v[84:85], v[88:89], -v[4:5]
	v_add_f64 v[2:3], v[2:3], v[4:5]
	v_mul_f64 v[4:5], v[94:95], v[98:99]
	v_fma_f64 v[4:5], v[92:93], v[96:97], -v[4:5]
	v_add_f64 v[2:3], v[2:3], v[4:5]
	v_mul_f64 v[4:5], v[102:103], v[106:107]
	v_fma_f64 v[4:5], v[100:101], v[104:105], -v[4:5]
	v_add_f64 v[2:3], v[2:3], v[4:5]
	v_mul_f64 v[4:5], v[110:111], v[114:115]
	v_fma_f64 v[4:5], v[108:109], v[112:113], -v[4:5]
	v_add_f64 v[2:3], v[2:3], v[4:5]
	v_mul_f64 v[4:5], v[118:119], v[122:123]
	v_fma_f64 v[4:5], v[116:117], v[120:121], -v[4:5]
	v_add_f64 v[2:3], v[2:3], v[4:5]
	v_mul_f64 v[4:5], v[126:127], v[130:131]
	v_fma_f64 v[4:5], v[124:125], v[128:129], -v[4:5]
	v_add_f64 v[2:3], v[2:3], v[4:5]
	v_mul_f64 v[4:5], v[134:135], v[138:139]
	v_fma_f64 v[4:5], v[132:133], v[136:137], -v[4:5]
	v_add_f64 v[2:3], v[2:3], v[4:5]
	v_mul_f64 v[4:5], v[142:143], v[146:147]
	v_fma_f64 v[4:5], v[140:141], v[144:145], -v[4:5]
	v_add_f64 v[2:3], v[2:3], v[4:5]
	v_mul_f64 v[4:5], v[150:151], v[154:155]
	v_fma_f64 v[4:5], v[148:149], v[152:153], -v[4:5]
	v_add_f64 v[2:3], v[2:3], v[4:5]
	v_mul_f64 v[4:5], v[158:159], v[162:163]
	v_fma_f64 v[4:5], v[156:157], v[160:161], -v[4:5]
	v_add_f64 v[2:3], v[2:3], v[4:5]
	v_mul_f64 v[4:5], v[166:167], v[170:171]
	v_fma_f64 v[4:5], v[164:165], v[168:169], -v[4:5]
	v_add_f64 v[2:3], v[2:3], v[4:5]
	v_mul_f64 v[4:5], v[174:175], v[180:181]
	v_fma_f64 v[4:5], v[172:173], v[178:179], -v[4:5]
	v_add_f64 v[2:3], v[2:3], v[4:5]
	v_mul_f64 v[4:5], v[184:185], v[188:189]
	v_fma_f64 v[4:5], v[182:183], v[186:187], -v[4:5]
	v_add_f64 v[2:3], v[2:3], v[4:5]
	v_mul_f64 v[4:5], v[192:193], v[196:197]
	v_fma_f64 v[4:5], v[190:191], v[194:195], -v[4:5]
	v_add_f64 v[2:3], v[2:3], v[4:5]
	v_mul_f64 v[4:5], v[200:201], v[204:205]
	v_fma_f64 v[4:5], v[198:199], v[202:203], -v[4:5]
	v_add_f64 v[2:3], v[2:3], v[4:5]
	v_mul_f64 v[4:5], v[208:209], v[212:213]
	v_fma_f64 v[4:5], v[206:207], v[210:211], -v[4:5]
	v_add_f64 v[2:3], v[2:3], v[4:5]
	v_mul_f64 v[4:5], v[216:217], v[220:221]
	v_fma_f64 v[4:5], v[214:215], v[218:219], -v[4:5]
	v_add_f64 v[2:3], v[2:3], v[4:5]
	v_mul_f64 v[4:5], v[224:225], v[228:229]
	v_fma_f64 v[4:5], v[222:223], v[226:227], -v[4:5]
	v_add_f64 v[6:7], v[2:3], v[4:5]
	scratch_load_dwordx4 v[2:5], off, off offset:496
	s_waitcnt vmcnt(0)
	v_add_f64 v[2:3], v[2:3], -v[6:7]
	v_add_f64 v[4:5], v[4:5], -v[176:177]
	scratch_store_dwordx4 off, v[2:5], off offset:496
	s_and_saveexec_b64 s[0:1], vcc
	s_cbranch_execz .LBB58_309
; %bb.308:
	scratch_load_dwordx4 v[2:5], off, s68
	v_mov_b32_e32 v6, 0
	v_mov_b32_e32 v7, v6
	v_mov_b32_e32 v8, v6
	v_mov_b32_e32 v9, v6
	v_accvgpr_read_b32 v0, a119
	scratch_store_dwordx4 off, v[6:9], off offset:480
	s_waitcnt vmcnt(1)
	ds_write_b128 v0, v[2:5]
.LBB58_309:
	s_or_b64 exec, exec, s[0:1]
	v_mov_b32_e32 v2, 0
	s_waitcnt lgkmcnt(0)
	; wave barrier
	ds_read_b128 v[16:19], v2 offset:1424
	ds_read_b128 v[12:15], v2 offset:1440
	ds_read_b128 v[8:11], v2 offset:1456
	ds_read_b128 v[4:7], v2 offset:1472
	scratch_load_dwordx4 v[20:23], off, off offset:496
	scratch_load_dwordx4 v[40:43], off, off offset:560
	;; [unrolled: 1-line block ×23, first 2 shown]
	v_cmp_lt_u32_e32 vcc, 28, v244
	scratch_load_dwordx4 v[48:51], off, off offset:576
	scratch_load_dwordx4 v[56:59], off, off offset:592
	;; [unrolled: 1-line block ×3, first 2 shown]
	s_waitcnt vmcnt(25) lgkmcnt(3)
	v_mul_f64 v[24:25], v[16:17], v[22:23]
	v_fmac_f64_e32 v[24:25], v[18:19], v[20:21]
	v_add_f64 v[28:29], v[24:25], 0
	scratch_load_dwordx4 v[24:27], off, off offset:512
	v_mul_f64 v[18:19], v[18:19], v[22:23]
	v_fma_f64 v[16:17], v[16:17], v[20:21], -v[18:19]
	v_add_f64 v[16:17], v[16:17], 0
	s_waitcnt vmcnt(0) lgkmcnt(2)
	v_mul_f64 v[30:31], v[12:13], v[26:27]
	v_fmac_f64_e32 v[30:31], v[14:15], v[24:25]
	v_add_f64 v[32:33], v[28:29], v[30:31]
	scratch_load_dwordx4 v[28:31], off, off offset:528
	v_mul_f64 v[14:15], v[14:15], v[26:27]
	v_fma_f64 v[12:13], v[12:13], v[24:25], -v[14:15]
	v_add_f64 v[12:13], v[16:17], v[12:13]
	;; [unrolled: 8-line block ×3, first 2 shown]
	s_waitcnt vmcnt(0) lgkmcnt(0)
	v_mul_f64 v[38:39], v[4:5], v[34:35]
	v_fmac_f64_e32 v[38:39], v[6:7], v[32:33]
	v_add_f64 v[44:45], v[36:37], v[38:39]
	ds_read_b128 v[36:39], v2 offset:1488
	v_mul_f64 v[6:7], v[6:7], v[34:35]
	v_fma_f64 v[4:5], v[4:5], v[32:33], -v[6:7]
	v_add_f64 v[4:5], v[8:9], v[4:5]
	s_waitcnt lgkmcnt(0)
	v_mul_f64 v[46:47], v[36:37], v[42:43]
	v_fmac_f64_e32 v[46:47], v[38:39], v[40:41]
	v_add_f64 v[52:53], v[44:45], v[46:47]
	ds_read_b128 v[44:47], v2 offset:1504
	v_mul_f64 v[6:7], v[38:39], v[42:43]
	v_fma_f64 v[6:7], v[36:37], v[40:41], -v[6:7]
	v_add_f64 v[4:5], v[4:5], v[6:7]
	s_waitcnt lgkmcnt(0)
	v_mul_f64 v[54:55], v[44:45], v[50:51]
	v_fmac_f64_e32 v[54:55], v[46:47], v[48:49]
	v_add_f64 v[60:61], v[52:53], v[54:55]
	ds_read_b128 v[52:55], v2 offset:1520
	v_mul_f64 v[6:7], v[46:47], v[50:51]
	v_fma_f64 v[6:7], v[44:45], v[48:49], -v[6:7]
	v_add_f64 v[4:5], v[4:5], v[6:7]
	s_waitcnt lgkmcnt(0)
	v_mul_f64 v[62:63], v[52:53], v[58:59]
	v_fmac_f64_e32 v[62:63], v[54:55], v[56:57]
	v_add_f64 v[68:69], v[60:61], v[62:63]
	ds_read_b128 v[60:63], v2 offset:1536
	v_mul_f64 v[6:7], v[54:55], v[58:59]
	v_fma_f64 v[6:7], v[52:53], v[56:57], -v[6:7]
	v_add_f64 v[4:5], v[4:5], v[6:7]
	s_waitcnt lgkmcnt(0)
	v_mul_f64 v[70:71], v[60:61], v[66:67]
	v_fmac_f64_e32 v[70:71], v[62:63], v[64:65]
	v_add_f64 v[76:77], v[68:69], v[70:71]
	ds_read_b128 v[68:71], v2 offset:1552
	v_mul_f64 v[6:7], v[62:63], v[66:67]
	v_fma_f64 v[6:7], v[60:61], v[64:65], -v[6:7]
	v_add_f64 v[4:5], v[4:5], v[6:7]
	s_waitcnt lgkmcnt(0)
	v_mul_f64 v[78:79], v[68:69], v[74:75]
	v_fmac_f64_e32 v[78:79], v[70:71], v[72:73]
	v_add_f64 v[84:85], v[76:77], v[78:79]
	ds_read_b128 v[76:79], v2 offset:1568
	v_mul_f64 v[6:7], v[70:71], v[74:75]
	v_fma_f64 v[6:7], v[68:69], v[72:73], -v[6:7]
	v_add_f64 v[4:5], v[4:5], v[6:7]
	s_waitcnt lgkmcnt(0)
	v_mul_f64 v[86:87], v[76:77], v[82:83]
	v_fmac_f64_e32 v[86:87], v[78:79], v[80:81]
	v_add_f64 v[92:93], v[84:85], v[86:87]
	ds_read_b128 v[84:87], v2 offset:1584
	v_mul_f64 v[6:7], v[78:79], v[82:83]
	v_fma_f64 v[6:7], v[76:77], v[80:81], -v[6:7]
	v_add_f64 v[4:5], v[4:5], v[6:7]
	s_waitcnt lgkmcnt(0)
	v_mul_f64 v[94:95], v[84:85], v[90:91]
	v_fmac_f64_e32 v[94:95], v[86:87], v[88:89]
	v_add_f64 v[100:101], v[92:93], v[94:95]
	ds_read_b128 v[92:95], v2 offset:1600
	v_mul_f64 v[6:7], v[86:87], v[90:91]
	v_fma_f64 v[6:7], v[84:85], v[88:89], -v[6:7]
	v_add_f64 v[4:5], v[4:5], v[6:7]
	s_waitcnt lgkmcnt(0)
	v_mul_f64 v[102:103], v[92:93], v[98:99]
	v_fmac_f64_e32 v[102:103], v[94:95], v[96:97]
	v_add_f64 v[108:109], v[100:101], v[102:103]
	ds_read_b128 v[100:103], v2 offset:1616
	v_mul_f64 v[6:7], v[94:95], v[98:99]
	v_fma_f64 v[6:7], v[92:93], v[96:97], -v[6:7]
	v_add_f64 v[4:5], v[4:5], v[6:7]
	s_waitcnt lgkmcnt(0)
	v_mul_f64 v[110:111], v[100:101], v[106:107]
	v_fmac_f64_e32 v[110:111], v[102:103], v[104:105]
	v_add_f64 v[116:117], v[108:109], v[110:111]
	ds_read_b128 v[108:111], v2 offset:1632
	v_mul_f64 v[6:7], v[102:103], v[106:107]
	v_fma_f64 v[6:7], v[100:101], v[104:105], -v[6:7]
	v_add_f64 v[4:5], v[4:5], v[6:7]
	s_waitcnt lgkmcnt(0)
	v_mul_f64 v[118:119], v[108:109], v[114:115]
	v_fmac_f64_e32 v[118:119], v[110:111], v[112:113]
	v_add_f64 v[124:125], v[116:117], v[118:119]
	ds_read_b128 v[116:119], v2 offset:1648
	v_mul_f64 v[6:7], v[110:111], v[114:115]
	v_fma_f64 v[6:7], v[108:109], v[112:113], -v[6:7]
	v_add_f64 v[4:5], v[4:5], v[6:7]
	s_waitcnt lgkmcnt(0)
	v_mul_f64 v[126:127], v[116:117], v[122:123]
	v_fmac_f64_e32 v[126:127], v[118:119], v[120:121]
	v_add_f64 v[132:133], v[124:125], v[126:127]
	ds_read_b128 v[124:127], v2 offset:1664
	v_mul_f64 v[6:7], v[118:119], v[122:123]
	v_fma_f64 v[6:7], v[116:117], v[120:121], -v[6:7]
	v_add_f64 v[4:5], v[4:5], v[6:7]
	s_waitcnt lgkmcnt(0)
	v_mul_f64 v[134:135], v[124:125], v[130:131]
	v_fmac_f64_e32 v[134:135], v[126:127], v[128:129]
	v_add_f64 v[140:141], v[132:133], v[134:135]
	ds_read_b128 v[132:135], v2 offset:1680
	v_mul_f64 v[6:7], v[126:127], v[130:131]
	v_fma_f64 v[6:7], v[124:125], v[128:129], -v[6:7]
	v_add_f64 v[4:5], v[4:5], v[6:7]
	s_waitcnt lgkmcnt(0)
	v_mul_f64 v[142:143], v[132:133], v[138:139]
	v_fmac_f64_e32 v[142:143], v[134:135], v[136:137]
	v_add_f64 v[148:149], v[140:141], v[142:143]
	ds_read_b128 v[140:143], v2 offset:1696
	v_mul_f64 v[6:7], v[134:135], v[138:139]
	v_fma_f64 v[6:7], v[132:133], v[136:137], -v[6:7]
	v_add_f64 v[4:5], v[4:5], v[6:7]
	s_waitcnt lgkmcnt(0)
	v_mul_f64 v[150:151], v[140:141], v[146:147]
	v_fmac_f64_e32 v[150:151], v[142:143], v[144:145]
	v_add_f64 v[156:157], v[148:149], v[150:151]
	ds_read_b128 v[148:151], v2 offset:1712
	v_mul_f64 v[6:7], v[142:143], v[146:147]
	v_fma_f64 v[6:7], v[140:141], v[144:145], -v[6:7]
	v_add_f64 v[4:5], v[4:5], v[6:7]
	s_waitcnt lgkmcnt(0)
	v_mul_f64 v[158:159], v[148:149], v[154:155]
	v_fmac_f64_e32 v[158:159], v[150:151], v[152:153]
	v_add_f64 v[164:165], v[156:157], v[158:159]
	ds_read_b128 v[156:159], v2 offset:1728
	v_mul_f64 v[6:7], v[150:151], v[154:155]
	v_fma_f64 v[6:7], v[148:149], v[152:153], -v[6:7]
	v_add_f64 v[4:5], v[4:5], v[6:7]
	s_waitcnt lgkmcnt(0)
	v_mul_f64 v[166:167], v[156:157], v[162:163]
	v_fmac_f64_e32 v[166:167], v[158:159], v[160:161]
	v_add_f64 v[172:173], v[164:165], v[166:167]
	ds_read_b128 v[164:167], v2 offset:1744
	v_mul_f64 v[6:7], v[158:159], v[162:163]
	v_fma_f64 v[6:7], v[156:157], v[160:161], -v[6:7]
	v_add_f64 v[4:5], v[4:5], v[6:7]
	s_waitcnt lgkmcnt(0)
	v_mul_f64 v[174:175], v[164:165], v[170:171]
	v_fmac_f64_e32 v[174:175], v[166:167], v[168:169]
	v_add_f64 v[176:177], v[172:173], v[174:175]
	ds_read_b128 v[172:175], v2 offset:1760
	v_mul_f64 v[6:7], v[166:167], v[170:171]
	v_fma_f64 v[6:7], v[164:165], v[168:169], -v[6:7]
	v_add_f64 v[4:5], v[4:5], v[6:7]
	s_waitcnt lgkmcnt(0)
	v_mul_f64 v[182:183], v[172:173], v[180:181]
	v_fmac_f64_e32 v[182:183], v[174:175], v[178:179]
	v_add_f64 v[176:177], v[176:177], v[182:183]
	ds_read_b128 v[182:185], v2 offset:1776
	v_mul_f64 v[6:7], v[174:175], v[180:181]
	v_fma_f64 v[6:7], v[172:173], v[178:179], -v[6:7]
	v_add_f64 v[4:5], v[4:5], v[6:7]
	s_waitcnt lgkmcnt(0)
	v_mul_f64 v[190:191], v[182:183], v[188:189]
	v_fmac_f64_e32 v[190:191], v[184:185], v[186:187]
	v_add_f64 v[176:177], v[176:177], v[190:191]
	ds_read_b128 v[190:193], v2 offset:1792
	v_mul_f64 v[6:7], v[184:185], v[188:189]
	v_fma_f64 v[6:7], v[182:183], v[186:187], -v[6:7]
	v_add_f64 v[4:5], v[4:5], v[6:7]
	s_waitcnt lgkmcnt(0)
	v_mul_f64 v[198:199], v[190:191], v[196:197]
	v_fmac_f64_e32 v[198:199], v[192:193], v[194:195]
	v_add_f64 v[176:177], v[176:177], v[198:199]
	ds_read_b128 v[198:201], v2 offset:1808
	v_mul_f64 v[6:7], v[192:193], v[196:197]
	v_fma_f64 v[6:7], v[190:191], v[194:195], -v[6:7]
	v_add_f64 v[4:5], v[4:5], v[6:7]
	s_waitcnt lgkmcnt(0)
	v_mul_f64 v[206:207], v[198:199], v[204:205]
	v_fmac_f64_e32 v[206:207], v[200:201], v[202:203]
	v_add_f64 v[176:177], v[176:177], v[206:207]
	ds_read_b128 v[206:209], v2 offset:1824
	v_mul_f64 v[6:7], v[200:201], v[204:205]
	v_fma_f64 v[6:7], v[198:199], v[202:203], -v[6:7]
	v_add_f64 v[4:5], v[4:5], v[6:7]
	s_waitcnt lgkmcnt(0)
	v_mul_f64 v[214:215], v[206:207], v[212:213]
	v_fmac_f64_e32 v[214:215], v[208:209], v[210:211]
	v_add_f64 v[176:177], v[176:177], v[214:215]
	ds_read_b128 v[214:217], v2 offset:1840
	v_mul_f64 v[6:7], v[208:209], v[212:213]
	v_fma_f64 v[6:7], v[206:207], v[210:211], -v[6:7]
	v_add_f64 v[4:5], v[4:5], v[6:7]
	s_waitcnt lgkmcnt(0)
	v_mul_f64 v[222:223], v[214:215], v[220:221]
	v_fmac_f64_e32 v[222:223], v[216:217], v[218:219]
	v_add_f64 v[176:177], v[176:177], v[222:223]
	ds_read_b128 v[222:225], v2 offset:1856
	v_mul_f64 v[6:7], v[216:217], v[220:221]
	v_fma_f64 v[6:7], v[214:215], v[218:219], -v[6:7]
	v_add_f64 v[4:5], v[4:5], v[6:7]
	s_waitcnt lgkmcnt(0)
	v_mul_f64 v[230:231], v[222:223], v[228:229]
	v_fmac_f64_e32 v[230:231], v[224:225], v[226:227]
	v_add_f64 v[176:177], v[176:177], v[230:231]
	ds_read_b128 v[230:233], v2 offset:1872
	v_mul_f64 v[6:7], v[224:225], v[228:229]
	v_fma_f64 v[6:7], v[222:223], v[226:227], -v[6:7]
	v_add_f64 v[4:5], v[4:5], v[6:7]
	s_waitcnt lgkmcnt(0)
	v_mul_f64 v[6:7], v[232:233], v[236:237]
	v_fma_f64 v[6:7], v[230:231], v[234:235], -v[6:7]
	v_add_f64 v[8:9], v[4:5], v[6:7]
	scratch_load_dwordx4 v[4:7], off, off offset:480
	v_mul_f64 v[238:239], v[230:231], v[236:237]
	v_fmac_f64_e32 v[238:239], v[232:233], v[234:235]
	v_add_f64 v[176:177], v[176:177], v[238:239]
	s_waitcnt vmcnt(0)
	v_add_f64 v[4:5], v[4:5], -v[8:9]
	v_add_f64 v[6:7], v[6:7], -v[176:177]
	scratch_store_dwordx4 off, v[4:7], off offset:480
	s_and_saveexec_b64 s[0:1], vcc
	s_cbranch_execz .LBB58_311
; %bb.310:
	scratch_load_dwordx4 v[6:9], off, s67
	v_mov_b32_e32 v3, v2
	v_mov_b32_e32 v4, v2
	;; [unrolled: 1-line block ×3, first 2 shown]
	v_accvgpr_read_b32 v0, a119
	scratch_store_dwordx4 off, v[2:5], off offset:464
	s_waitcnt vmcnt(1)
	ds_write_b128 v0, v[6:9]
.LBB58_311:
	s_or_b64 exec, exec, s[0:1]
	s_waitcnt lgkmcnt(0)
	; wave barrier
	ds_read_b128 v[16:19], v2 offset:1408
	ds_read_b128 v[12:15], v2 offset:1424
	;; [unrolled: 1-line block ×4, first 2 shown]
	scratch_load_dwordx4 v[20:23], off, off offset:480
	scratch_load_dwordx4 v[40:43], off, off offset:544
	scratch_load_dwordx4 v[72:75], off, off offset:608
	scratch_load_dwordx4 v[80:83], off, off offset:624
	scratch_load_dwordx4 v[88:91], off, off offset:640
	scratch_load_dwordx4 v[96:99], off, off offset:656
	scratch_load_dwordx4 v[104:107], off, off offset:672
	scratch_load_dwordx4 v[112:115], off, off offset:688
	scratch_load_dwordx4 v[120:123], off, off offset:704
	scratch_load_dwordx4 v[128:131], off, off offset:720
	scratch_load_dwordx4 v[136:139], off, off offset:736
	scratch_load_dwordx4 v[144:147], off, off offset:752
	scratch_load_dwordx4 v[152:155], off, off offset:768
	scratch_load_dwordx4 v[160:163], off, off offset:784
	scratch_load_dwordx4 v[168:171], off, off offset:800
	scratch_load_dwordx4 v[176:179], off, off offset:816
	scratch_load_dwordx4 v[186:189], off, off offset:832
	scratch_load_dwordx4 v[194:197], off, off offset:848
	scratch_load_dwordx4 v[202:205], off, off offset:864
	scratch_load_dwordx4 v[210:213], off, off offset:880
	scratch_load_dwordx4 v[218:221], off, off offset:896
	scratch_load_dwordx4 v[226:229], off, off offset:912
	scratch_load_dwordx4 v[234:237], off, off offset:928
	scratch_load_dwordx4 v[250:253], off, off offset:944
	v_cmp_lt_u32_e32 vcc, 27, v244
	scratch_load_dwordx4 v[48:51], off, off offset:560
	scratch_load_dwordx4 v[56:59], off, off offset:576
	;; [unrolled: 1-line block ×3, first 2 shown]
	ds_read_b128 v[246:249], v2 offset:1872
	s_waitcnt vmcnt(26) lgkmcnt(4)
	v_mul_f64 v[24:25], v[16:17], v[22:23]
	v_fmac_f64_e32 v[24:25], v[18:19], v[20:21]
	v_add_f64 v[28:29], v[24:25], 0
	scratch_load_dwordx4 v[24:27], off, off offset:496
	s_waitcnt vmcnt(0) lgkmcnt(3)
	v_mul_f64 v[30:31], v[12:13], v[26:27]
	v_fmac_f64_e32 v[30:31], v[14:15], v[24:25]
	v_add_f64 v[32:33], v[28:29], v[30:31]
	scratch_load_dwordx4 v[28:31], off, off offset:512
	v_mul_f64 v[14:15], v[14:15], v[26:27]
	v_fma_f64 v[12:13], v[12:13], v[24:25], -v[14:15]
	s_waitcnt vmcnt(0) lgkmcnt(2)
	v_mul_f64 v[34:35], v[8:9], v[30:31]
	v_fmac_f64_e32 v[34:35], v[10:11], v[28:29]
	v_add_f64 v[36:37], v[32:33], v[34:35]
	scratch_load_dwordx4 v[32:35], off, off offset:528
	v_mul_f64 v[10:11], v[10:11], v[30:31]
	v_fma_f64 v[8:9], v[8:9], v[28:29], -v[10:11]
	s_waitcnt vmcnt(0) lgkmcnt(1)
	v_mul_f64 v[38:39], v[4:5], v[34:35]
	v_fmac_f64_e32 v[38:39], v[6:7], v[32:33]
	v_add_f64 v[44:45], v[36:37], v[38:39]
	ds_read_b128 v[36:39], v2 offset:1472
	v_mul_f64 v[6:7], v[6:7], v[34:35]
	v_fma_f64 v[4:5], v[4:5], v[32:33], -v[6:7]
	s_waitcnt lgkmcnt(0)
	v_mul_f64 v[46:47], v[36:37], v[42:43]
	v_fmac_f64_e32 v[46:47], v[38:39], v[40:41]
	v_add_f64 v[52:53], v[44:45], v[46:47]
	ds_read_b128 v[44:47], v2 offset:1488
	s_waitcnt lgkmcnt(0)
	v_mul_f64 v[54:55], v[44:45], v[50:51]
	v_fmac_f64_e32 v[54:55], v[46:47], v[48:49]
	v_add_f64 v[60:61], v[52:53], v[54:55]
	ds_read_b128 v[52:55], v2 offset:1504
	;; [unrolled: 5-line block ×24, first 2 shown]
	v_mul_f64 v[2:3], v[246:247], v[252:253]
	v_fmac_f64_e32 v[2:3], v[248:249], v[250:251]
	s_waitcnt lgkmcnt(0)
	v_mul_f64 v[238:239], v[230:231], v[236:237]
	v_fmac_f64_e32 v[238:239], v[232:233], v[234:235]
	v_add_f64 v[184:185], v[184:185], v[238:239]
	v_add_f64 v[184:185], v[184:185], v[2:3]
	v_mul_f64 v[2:3], v[18:19], v[22:23]
	v_fma_f64 v[2:3], v[16:17], v[20:21], -v[2:3]
	v_add_f64 v[2:3], v[2:3], 0
	v_add_f64 v[2:3], v[2:3], v[12:13]
	;; [unrolled: 1-line block ×4, first 2 shown]
	v_mul_f64 v[4:5], v[38:39], v[42:43]
	v_fma_f64 v[4:5], v[36:37], v[40:41], -v[4:5]
	v_add_f64 v[2:3], v[2:3], v[4:5]
	v_mul_f64 v[4:5], v[46:47], v[50:51]
	v_fma_f64 v[4:5], v[44:45], v[48:49], -v[4:5]
	v_add_f64 v[2:3], v[2:3], v[4:5]
	;; [unrolled: 3-line block ×26, first 2 shown]
	scratch_load_dwordx4 v[2:5], off, off offset:464
	s_waitcnt vmcnt(0)
	v_add_f64 v[2:3], v[2:3], -v[6:7]
	v_add_f64 v[4:5], v[4:5], -v[184:185]
	scratch_store_dwordx4 off, v[2:5], off offset:464
	s_and_saveexec_b64 s[0:1], vcc
	s_cbranch_execz .LBB58_313
; %bb.312:
	scratch_load_dwordx4 v[2:5], off, s66
	v_mov_b32_e32 v6, 0
	v_mov_b32_e32 v7, v6
	;; [unrolled: 1-line block ×4, first 2 shown]
	v_accvgpr_read_b32 v0, a119
	scratch_store_dwordx4 off, v[6:9], off offset:448
	s_waitcnt vmcnt(1)
	ds_write_b128 v0, v[2:5]
.LBB58_313:
	s_or_b64 exec, exec, s[0:1]
	s_waitcnt lgkmcnt(0)
	; wave barrier
	scratch_load_dwordx4 v[16:19], off, off offset:464
	scratch_load_dwordx4 v[12:15], off, off offset:480
	;; [unrolled: 1-line block ×32, first 2 shown]
	v_mov_b32_e32 v2, 0
	ds_read_b128 v[132:135], v2 offset:1392
	ds_read_b128 v[136:139], v2 offset:1408
	;; [unrolled: 1-line block ×17, first 2 shown]
	v_cmp_lt_u32_e32 vcc, 26, v244
	s_waitcnt vmcnt(31) lgkmcnt(14)
	v_mul_f64 v[200:201], v[132:133], v[18:19]
	s_waitcnt vmcnt(30)
	v_mul_f64 v[202:203], v[136:137], v[14:15]
	v_fmac_f64_e32 v[200:201], v[134:135], v[16:17]
	s_waitcnt vmcnt(29)
	v_mul_f64 v[204:205], v[140:141], v[10:11]
	v_fmac_f64_e32 v[202:203], v[138:139], v[12:13]
	v_add_f64 v[200:201], v[200:201], 0
	s_waitcnt vmcnt(28) lgkmcnt(13)
	v_mul_f64 v[206:207], v[144:145], v[6:7]
	v_fmac_f64_e32 v[204:205], v[142:143], v[8:9]
	v_add_f64 v[200:201], v[200:201], v[202:203]
	s_waitcnt vmcnt(27) lgkmcnt(12)
	v_mul_f64 v[208:209], v[148:149], v[22:23]
	v_fmac_f64_e32 v[206:207], v[146:147], v[4:5]
	v_add_f64 v[200:201], v[200:201], v[204:205]
	s_waitcnt vmcnt(26) lgkmcnt(11)
	v_mul_f64 v[210:211], v[152:153], v[26:27]
	v_fmac_f64_e32 v[208:209], v[150:151], v[20:21]
	v_add_f64 v[200:201], v[200:201], v[206:207]
	s_waitcnt vmcnt(25) lgkmcnt(10)
	v_mul_f64 v[212:213], v[156:157], v[30:31]
	v_fmac_f64_e32 v[210:211], v[154:155], v[24:25]
	v_add_f64 v[200:201], v[200:201], v[208:209]
	s_waitcnt vmcnt(24) lgkmcnt(9)
	v_mul_f64 v[214:215], v[160:161], v[34:35]
	v_fmac_f64_e32 v[212:213], v[158:159], v[28:29]
	v_add_f64 v[200:201], v[200:201], v[210:211]
	s_waitcnt vmcnt(23) lgkmcnt(8)
	v_mul_f64 v[216:217], v[164:165], v[38:39]
	v_fmac_f64_e32 v[214:215], v[162:163], v[32:33]
	v_add_f64 v[200:201], v[200:201], v[212:213]
	s_waitcnt vmcnt(22) lgkmcnt(7)
	v_mul_f64 v[218:219], v[168:169], v[42:43]
	v_fmac_f64_e32 v[216:217], v[166:167], v[36:37]
	v_add_f64 v[200:201], v[200:201], v[214:215]
	s_waitcnt vmcnt(21) lgkmcnt(6)
	v_mul_f64 v[220:221], v[172:173], v[46:47]
	v_fmac_f64_e32 v[218:219], v[170:171], v[40:41]
	v_add_f64 v[200:201], v[200:201], v[216:217]
	s_waitcnt vmcnt(20) lgkmcnt(5)
	v_mul_f64 v[222:223], v[176:177], v[50:51]
	v_fmac_f64_e32 v[220:221], v[174:175], v[44:45]
	v_add_f64 v[200:201], v[200:201], v[218:219]
	s_waitcnt vmcnt(19) lgkmcnt(4)
	v_mul_f64 v[224:225], v[180:181], v[54:55]
	v_fmac_f64_e32 v[222:223], v[178:179], v[48:49]
	v_add_f64 v[200:201], v[200:201], v[220:221]
	s_waitcnt vmcnt(18) lgkmcnt(3)
	v_mul_f64 v[226:227], v[184:185], v[58:59]
	v_fmac_f64_e32 v[224:225], v[182:183], v[52:53]
	v_add_f64 v[200:201], v[200:201], v[222:223]
	s_waitcnt vmcnt(17) lgkmcnt(2)
	v_mul_f64 v[228:229], v[188:189], v[62:63]
	v_fmac_f64_e32 v[226:227], v[186:187], v[56:57]
	v_add_f64 v[200:201], v[200:201], v[224:225]
	v_fmac_f64_e32 v[228:229], v[190:191], v[60:61]
	v_add_f64 v[200:201], v[200:201], v[226:227]
	s_waitcnt vmcnt(16) lgkmcnt(1)
	v_mul_f64 v[202:203], v[192:193], v[66:67]
	v_add_f64 v[200:201], v[200:201], v[228:229]
	v_fmac_f64_e32 v[202:203], v[194:195], v[64:65]
	s_waitcnt vmcnt(15) lgkmcnt(0)
	v_mul_f64 v[206:207], v[196:197], v[70:71]
	v_add_f64 v[204:205], v[200:201], v[202:203]
	ds_read_b128 v[200:203], v2 offset:1664
	v_fmac_f64_e32 v[206:207], v[198:199], v[68:69]
	v_add_f64 v[208:209], v[204:205], v[206:207]
	ds_read_b128 v[204:207], v2 offset:1680
	v_mul_f64 v[18:19], v[134:135], v[18:19]
	s_waitcnt vmcnt(14) lgkmcnt(1)
	v_mul_f64 v[210:211], v[200:201], v[74:75]
	v_fmac_f64_e32 v[210:211], v[202:203], v[72:73]
	v_add_f64 v[212:213], v[208:209], v[210:211]
	s_waitcnt vmcnt(13) lgkmcnt(0)
	v_mul_f64 v[214:215], v[204:205], v[78:79]
	ds_read_b128 v[208:211], v2 offset:1696
	v_fmac_f64_e32 v[214:215], v[206:207], v[76:77]
	v_add_f64 v[216:217], v[212:213], v[214:215]
	ds_read_b128 v[212:215], v2 offset:1712
	v_fma_f64 v[242:243], v[132:133], v[16:17], -v[18:19]
	s_waitcnt vmcnt(12) lgkmcnt(1)
	v_mul_f64 v[218:219], v[208:209], v[82:83]
	v_fmac_f64_e32 v[218:219], v[210:211], v[80:81]
	v_add_f64 v[220:221], v[216:217], v[218:219]
	s_waitcnt vmcnt(11) lgkmcnt(0)
	v_mul_f64 v[222:223], v[212:213], v[86:87]
	ds_read_b128 v[216:219], v2 offset:1728
	v_fmac_f64_e32 v[222:223], v[214:215], v[84:85]
	v_add_f64 v[224:225], v[220:221], v[222:223]
	ds_read_b128 v[220:223], v2 offset:1744
	ds_read_b128 v[16:19], v2 offset:1824
	s_waitcnt vmcnt(10) lgkmcnt(2)
	v_mul_f64 v[226:227], v[216:217], v[90:91]
	v_fmac_f64_e32 v[226:227], v[218:219], v[88:89]
	v_add_f64 v[228:229], v[224:225], v[226:227]
	s_waitcnt vmcnt(9) lgkmcnt(1)
	v_mul_f64 v[230:231], v[220:221], v[94:95]
	ds_read_b128 v[224:227], v2 offset:1760
	v_fmac_f64_e32 v[230:231], v[222:223], v[92:93]
	v_add_f64 v[232:233], v[228:229], v[230:231]
	ds_read_b128 v[228:231], v2 offset:1776
	v_mul_f64 v[14:15], v[138:139], v[14:15]
	s_waitcnt vmcnt(8) lgkmcnt(1)
	v_mul_f64 v[234:235], v[224:225], v[98:99]
	v_fmac_f64_e32 v[234:235], v[226:227], v[96:97]
	v_add_f64 v[236:237], v[232:233], v[234:235]
	s_waitcnt vmcnt(7) lgkmcnt(0)
	v_mul_f64 v[238:239], v[228:229], v[102:103]
	ds_read_b128 v[232:235], v2 offset:1792
	v_fmac_f64_e32 v[238:239], v[230:231], v[100:101]
	v_add_f64 v[240:241], v[236:237], v[238:239]
	ds_read_b128 v[236:239], v2 offset:1808
	v_fma_f64 v[136:137], v[136:137], v[12:13], -v[14:15]
	s_waitcnt vmcnt(6) lgkmcnt(1)
	v_mul_f64 v[132:133], v[232:233], v[106:107]
	v_fmac_f64_e32 v[132:133], v[234:235], v[104:105]
	v_add_f64 v[132:133], v[240:241], v[132:133]
	s_waitcnt vmcnt(5) lgkmcnt(0)
	v_mul_f64 v[134:135], v[236:237], v[110:111]
	v_fmac_f64_e32 v[134:135], v[238:239], v[108:109]
	v_add_f64 v[132:133], v[132:133], v[134:135]
	ds_read_b128 v[12:15], v2 offset:1840
	s_waitcnt vmcnt(4)
	v_mul_f64 v[134:135], v[16:17], v[114:115]
	v_fmac_f64_e32 v[134:135], v[18:19], v[112:113]
	v_add_f64 v[138:139], v[132:133], v[134:135]
	ds_read_b128 v[132:135], v2 offset:1856
	v_mul_f64 v[10:11], v[142:143], v[10:11]
	v_fma_f64 v[140:141], v[140:141], v[8:9], -v[10:11]
	ds_read_b128 v[8:11], v2 offset:1872
	s_waitcnt vmcnt(3) lgkmcnt(2)
	v_mul_f64 v[142:143], v[12:13], v[118:119]
	v_fmac_f64_e32 v[142:143], v[14:15], v[116:117]
	v_add_f64 v[138:139], v[138:139], v[142:143]
	s_waitcnt vmcnt(2) lgkmcnt(1)
	v_mul_f64 v[142:143], v[132:133], v[122:123]
	v_fmac_f64_e32 v[142:143], v[134:135], v[120:121]
	v_add_f64 v[138:139], v[138:139], v[142:143]
	;; [unrolled: 4-line block ×3, first 2 shown]
	v_add_f64 v[142:143], v[242:243], 0
	v_add_f64 v[136:137], v[142:143], v[136:137]
	v_mul_f64 v[6:7], v[146:147], v[6:7]
	v_add_f64 v[136:137], v[136:137], v[140:141]
	v_fma_f64 v[4:5], v[144:145], v[4:5], -v[6:7]
	v_mul_f64 v[6:7], v[150:151], v[22:23]
	v_add_f64 v[4:5], v[136:137], v[4:5]
	v_fma_f64 v[6:7], v[148:149], v[20:21], -v[6:7]
	v_add_f64 v[4:5], v[4:5], v[6:7]
	v_mul_f64 v[6:7], v[154:155], v[26:27]
	v_fma_f64 v[6:7], v[152:153], v[24:25], -v[6:7]
	v_add_f64 v[4:5], v[4:5], v[6:7]
	v_mul_f64 v[6:7], v[158:159], v[30:31]
	v_fma_f64 v[6:7], v[156:157], v[28:29], -v[6:7]
	v_add_f64 v[4:5], v[4:5], v[6:7]
	v_mul_f64 v[6:7], v[162:163], v[34:35]
	v_fma_f64 v[6:7], v[160:161], v[32:33], -v[6:7]
	v_add_f64 v[4:5], v[4:5], v[6:7]
	v_mul_f64 v[6:7], v[166:167], v[38:39]
	v_fma_f64 v[6:7], v[164:165], v[36:37], -v[6:7]
	v_add_f64 v[4:5], v[4:5], v[6:7]
	v_mul_f64 v[6:7], v[170:171], v[42:43]
	v_fma_f64 v[6:7], v[168:169], v[40:41], -v[6:7]
	v_add_f64 v[4:5], v[4:5], v[6:7]
	v_mul_f64 v[6:7], v[174:175], v[46:47]
	v_fma_f64 v[6:7], v[172:173], v[44:45], -v[6:7]
	v_add_f64 v[4:5], v[4:5], v[6:7]
	v_mul_f64 v[6:7], v[178:179], v[50:51]
	v_fma_f64 v[6:7], v[176:177], v[48:49], -v[6:7]
	v_add_f64 v[4:5], v[4:5], v[6:7]
	v_mul_f64 v[6:7], v[182:183], v[54:55]
	v_fma_f64 v[6:7], v[180:181], v[52:53], -v[6:7]
	v_add_f64 v[4:5], v[4:5], v[6:7]
	v_mul_f64 v[6:7], v[186:187], v[58:59]
	v_fma_f64 v[6:7], v[184:185], v[56:57], -v[6:7]
	v_add_f64 v[4:5], v[4:5], v[6:7]
	v_mul_f64 v[6:7], v[190:191], v[62:63]
	v_fma_f64 v[6:7], v[188:189], v[60:61], -v[6:7]
	v_add_f64 v[4:5], v[4:5], v[6:7]
	v_mul_f64 v[6:7], v[194:195], v[66:67]
	v_fma_f64 v[6:7], v[192:193], v[64:65], -v[6:7]
	v_add_f64 v[4:5], v[4:5], v[6:7]
	v_mul_f64 v[6:7], v[198:199], v[70:71]
	v_fma_f64 v[6:7], v[196:197], v[68:69], -v[6:7]
	v_add_f64 v[4:5], v[4:5], v[6:7]
	v_mul_f64 v[6:7], v[202:203], v[74:75]
	v_fma_f64 v[6:7], v[200:201], v[72:73], -v[6:7]
	v_add_f64 v[4:5], v[4:5], v[6:7]
	v_mul_f64 v[6:7], v[206:207], v[78:79]
	v_fma_f64 v[6:7], v[204:205], v[76:77], -v[6:7]
	v_add_f64 v[4:5], v[4:5], v[6:7]
	v_mul_f64 v[6:7], v[210:211], v[82:83]
	v_fma_f64 v[6:7], v[208:209], v[80:81], -v[6:7]
	v_add_f64 v[4:5], v[4:5], v[6:7]
	v_mul_f64 v[6:7], v[214:215], v[86:87]
	v_fma_f64 v[6:7], v[212:213], v[84:85], -v[6:7]
	v_add_f64 v[4:5], v[4:5], v[6:7]
	v_mul_f64 v[6:7], v[218:219], v[90:91]
	v_fma_f64 v[6:7], v[216:217], v[88:89], -v[6:7]
	v_add_f64 v[4:5], v[4:5], v[6:7]
	v_mul_f64 v[6:7], v[222:223], v[94:95]
	v_fma_f64 v[6:7], v[220:221], v[92:93], -v[6:7]
	v_add_f64 v[4:5], v[4:5], v[6:7]
	v_mul_f64 v[6:7], v[226:227], v[98:99]
	v_fma_f64 v[6:7], v[224:225], v[96:97], -v[6:7]
	v_add_f64 v[4:5], v[4:5], v[6:7]
	v_mul_f64 v[6:7], v[230:231], v[102:103]
	v_fma_f64 v[6:7], v[228:229], v[100:101], -v[6:7]
	v_add_f64 v[4:5], v[4:5], v[6:7]
	v_mul_f64 v[6:7], v[234:235], v[106:107]
	v_fma_f64 v[6:7], v[232:233], v[104:105], -v[6:7]
	v_add_f64 v[4:5], v[4:5], v[6:7]
	v_mul_f64 v[6:7], v[238:239], v[110:111]
	v_fma_f64 v[6:7], v[236:237], v[108:109], -v[6:7]
	v_add_f64 v[4:5], v[4:5], v[6:7]
	v_mul_f64 v[6:7], v[18:19], v[114:115]
	v_fma_f64 v[6:7], v[16:17], v[112:113], -v[6:7]
	v_add_f64 v[4:5], v[4:5], v[6:7]
	v_mul_f64 v[6:7], v[14:15], v[118:119]
	v_fma_f64 v[6:7], v[12:13], v[116:117], -v[6:7]
	v_add_f64 v[4:5], v[4:5], v[6:7]
	v_mul_f64 v[6:7], v[134:135], v[122:123]
	v_fma_f64 v[6:7], v[132:133], v[120:121], -v[6:7]
	v_add_f64 v[4:5], v[4:5], v[6:7]
	v_mul_f64 v[6:7], v[10:11], v[126:127]
	v_fma_f64 v[6:7], v[8:9], v[124:125], -v[6:7]
	v_add_f64 v[4:5], v[4:5], v[6:7]
	s_waitcnt vmcnt(0)
	v_add_f64 v[4:5], v[128:129], -v[4:5]
	v_add_f64 v[6:7], v[130:131], -v[138:139]
	scratch_store_dwordx4 off, v[4:7], off offset:448
	s_and_saveexec_b64 s[0:1], vcc
	s_cbranch_execz .LBB58_315
; %bb.314:
	scratch_load_dwordx4 v[6:9], off, s65
	v_mov_b32_e32 v3, v2
	v_mov_b32_e32 v4, v2
	;; [unrolled: 1-line block ×3, first 2 shown]
	v_accvgpr_read_b32 v0, a119
	scratch_store_dwordx4 off, v[2:5], off offset:432
	s_waitcnt vmcnt(1)
	ds_write_b128 v0, v[6:9]
.LBB58_315:
	s_or_b64 exec, exec, s[0:1]
	s_waitcnt lgkmcnt(0)
	; wave barrier
	scratch_load_dwordx4 v[140:143], off, off offset:448
	scratch_load_dwordx4 v[148:151], off, off offset:464
	;; [unrolled: 1-line block ×16, first 2 shown]
	ds_read_b128 v[188:191], v2 offset:1376
	ds_read_b128 v[184:187], v2 offset:1392
	scratch_load_dwordx4 v[56:59], off, off offset:704
	ds_read_b128 v[192:195], v2 offset:1408
	ds_read_b128 v[68:71], v2 offset:1424
	scratch_load_dwordx4 v[60:63], off, off offset:720
	ds_read_b128 v[88:91], v2 offset:1440
	ds_read_b128 v[84:87], v2 offset:1456
	;; [unrolled: 1-line block ×4, first 2 shown]
	scratch_load_dwordx4 v[64:67], off, off offset:736
	ds_read_b128 v[100:103], v2 offset:1504
	ds_read_b128 v[96:99], v2 offset:1520
	scratch_load_dwordx4 v[72:75], off, off offset:752
	ds_read_b128 v[116:119], v2 offset:1536
	ds_read_b128 v[112:115], v2 offset:1552
	;; [unrolled: 1-line block ×4, first 2 shown]
	scratch_load_dwordx4 v[92:95], off, off offset:768
	ds_read_b128 v[132:135], v2 offset:1600
	ds_read_b128 v[128:131], v2 offset:1616
	;; [unrolled: 1-line block ×3, first 2 shown]
	scratch_load_dwordx4 v[120:123], off, off offset:784
	scratch_load_dwordx4 v[136:139], off, off offset:800
	;; [unrolled: 1-line block ×11, first 2 shown]
	v_cmp_lt_u32_e32 vcc, 25, v244
	s_waitcnt vmcnt(31) lgkmcnt(14)
	v_mul_f64 v[200:201], v[188:189], v[142:143]
	s_waitcnt vmcnt(30)
	v_mul_f64 v[202:203], v[184:185], v[150:151]
	v_fmac_f64_e32 v[200:201], v[190:191], v[140:141]
	s_waitcnt vmcnt(29)
	v_mul_f64 v[204:205], v[192:193], v[154:155]
	v_fmac_f64_e32 v[202:203], v[186:187], v[148:149]
	v_add_f64 v[200:201], v[200:201], 0
	s_waitcnt vmcnt(28) lgkmcnt(13)
	v_mul_f64 v[206:207], v[68:69], v[6:7]
	v_fmac_f64_e32 v[204:205], v[194:195], v[152:153]
	v_add_f64 v[200:201], v[200:201], v[202:203]
	s_waitcnt vmcnt(27) lgkmcnt(12)
	;; [unrolled: 4-line block ×13, first 2 shown]
	v_mul_f64 v[230:231], v[128:129], v[54:55]
	v_fmac_f64_e32 v[228:229], v[134:135], v[48:49]
	v_add_f64 v[200:201], v[200:201], v[226:227]
	v_add_f64 v[200:201], v[200:201], v[228:229]
	v_fmac_f64_e32 v[230:231], v[130:131], v[52:53]
	s_waitcnt vmcnt(15) lgkmcnt(0)
	v_mul_f64 v[206:207], v[124:125], v[58:59]
	v_add_f64 v[204:205], v[200:201], v[230:231]
	ds_read_b128 v[200:203], v2 offset:1648
	v_fmac_f64_e32 v[206:207], v[126:127], v[56:57]
	v_add_f64 v[208:209], v[204:205], v[206:207]
	ds_read_b128 v[204:207], v2 offset:1664
	v_mul_f64 v[142:143], v[190:191], v[142:143]
	s_waitcnt vmcnt(14) lgkmcnt(1)
	v_mul_f64 v[210:211], v[200:201], v[62:63]
	v_fmac_f64_e32 v[210:211], v[202:203], v[60:61]
	v_add_f64 v[212:213], v[208:209], v[210:211]
	s_waitcnt vmcnt(13) lgkmcnt(0)
	v_mul_f64 v[214:215], v[204:205], v[66:67]
	ds_read_b128 v[208:211], v2 offset:1680
	v_fmac_f64_e32 v[214:215], v[206:207], v[64:65]
	v_add_f64 v[216:217], v[212:213], v[214:215]
	ds_read_b128 v[212:215], v2 offset:1696
	v_fma_f64 v[246:247], v[188:189], v[140:141], -v[142:143]
	s_waitcnt vmcnt(12) lgkmcnt(1)
	v_mul_f64 v[218:219], v[208:209], v[74:75]
	v_fmac_f64_e32 v[218:219], v[210:211], v[72:73]
	v_add_f64 v[220:221], v[216:217], v[218:219]
	s_waitcnt vmcnt(11) lgkmcnt(0)
	v_mul_f64 v[222:223], v[212:213], v[94:95]
	ds_read_b128 v[216:219], v2 offset:1712
	v_fmac_f64_e32 v[222:223], v[214:215], v[92:93]
	v_add_f64 v[224:225], v[220:221], v[222:223]
	ds_read_b128 v[220:223], v2 offset:1728
	ds_read_b128 v[140:143], v2 offset:1808
	s_waitcnt vmcnt(10) lgkmcnt(2)
	v_mul_f64 v[226:227], v[216:217], v[122:123]
	v_fmac_f64_e32 v[226:227], v[218:219], v[120:121]
	v_add_f64 v[228:229], v[224:225], v[226:227]
	s_waitcnt vmcnt(9) lgkmcnt(1)
	v_mul_f64 v[230:231], v[220:221], v[138:139]
	ds_read_b128 v[224:227], v2 offset:1744
	v_fmac_f64_e32 v[230:231], v[222:223], v[136:137]
	v_add_f64 v[232:233], v[228:229], v[230:231]
	ds_read_b128 v[228:231], v2 offset:1760
	v_mul_f64 v[150:151], v[186:187], v[150:151]
	s_waitcnt vmcnt(8) lgkmcnt(1)
	v_mul_f64 v[234:235], v[224:225], v[146:147]
	v_fmac_f64_e32 v[234:235], v[226:227], v[144:145]
	v_add_f64 v[236:237], v[232:233], v[234:235]
	s_waitcnt vmcnt(7) lgkmcnt(0)
	v_mul_f64 v[238:239], v[228:229], v[158:159]
	ds_read_b128 v[232:235], v2 offset:1776
	v_fmac_f64_e32 v[238:239], v[230:231], v[156:157]
	v_add_f64 v[240:241], v[236:237], v[238:239]
	ds_read_b128 v[236:239], v2 offset:1792
	v_fma_f64 v[248:249], v[184:185], v[148:149], -v[150:151]
	s_waitcnt vmcnt(6) lgkmcnt(1)
	v_mul_f64 v[242:243], v[232:233], v[162:163]
	v_fmac_f64_e32 v[242:243], v[234:235], v[160:161]
	ds_read_b128 v[148:151], v2 offset:1824
	s_waitcnt vmcnt(5) lgkmcnt(1)
	v_mul_f64 v[188:189], v[236:237], v[166:167]
	v_add_f64 v[240:241], v[240:241], v[242:243]
	v_fmac_f64_e32 v[188:189], v[238:239], v[164:165]
	s_waitcnt vmcnt(4)
	v_mul_f64 v[184:185], v[140:141], v[170:171]
	v_add_f64 v[188:189], v[240:241], v[188:189]
	v_fmac_f64_e32 v[184:185], v[142:143], v[168:169]
	v_add_f64 v[188:189], v[188:189], v[184:185]
	ds_read_b128 v[184:187], v2 offset:1840
	v_mul_f64 v[154:155], v[194:195], v[154:155]
	s_waitcnt vmcnt(3) lgkmcnt(1)
	v_mul_f64 v[190:191], v[148:149], v[174:175]
	v_fma_f64 v[242:243], v[192:193], v[152:153], -v[154:155]
	ds_read_b128 v[152:155], v2 offset:1856
	v_fmac_f64_e32 v[190:191], v[150:151], v[172:173]
	v_add_f64 v[240:241], v[188:189], v[190:191]
	ds_read_b128 v[188:191], v2 offset:1872
	s_waitcnt vmcnt(2) lgkmcnt(2)
	v_mul_f64 v[192:193], v[184:185], v[178:179]
	v_fmac_f64_e32 v[192:193], v[186:187], v[176:177]
	v_add_f64 v[2:3], v[240:241], v[192:193]
	s_waitcnt vmcnt(1) lgkmcnt(1)
	v_mul_f64 v[192:193], v[152:153], v[182:183]
	v_fmac_f64_e32 v[192:193], v[154:155], v[180:181]
	v_add_f64 v[2:3], v[2:3], v[192:193]
	;; [unrolled: 4-line block ×3, first 2 shown]
	scratch_load_dwordx4 v[192:195], off, off offset:432
	v_add_f64 v[240:241], v[246:247], 0
	v_add_f64 v[240:241], v[240:241], v[248:249]
	v_mul_f64 v[6:7], v[70:71], v[6:7]
	v_add_f64 v[240:241], v[240:241], v[242:243]
	v_fma_f64 v[4:5], v[68:69], v[4:5], -v[6:7]
	v_mul_f64 v[6:7], v[90:91], v[10:11]
	v_add_f64 v[4:5], v[240:241], v[4:5]
	v_fma_f64 v[6:7], v[88:89], v[8:9], -v[6:7]
	v_add_f64 v[4:5], v[4:5], v[6:7]
	v_mul_f64 v[6:7], v[86:87], v[14:15]
	v_fma_f64 v[6:7], v[84:85], v[12:13], -v[6:7]
	v_add_f64 v[4:5], v[4:5], v[6:7]
	v_mul_f64 v[6:7], v[82:83], v[18:19]
	;; [unrolled: 3-line block ×27, first 2 shown]
	v_fma_f64 v[6:7], v[188:189], v[196:197], -v[6:7]
	v_add_f64 v[4:5], v[4:5], v[6:7]
	s_waitcnt vmcnt(0)
	v_add_f64 v[4:5], v[192:193], -v[4:5]
	v_add_f64 v[6:7], v[194:195], -v[2:3]
	scratch_store_dwordx4 off, v[4:7], off offset:432
	s_and_saveexec_b64 s[0:1], vcc
	s_cbranch_execz .LBB58_317
; %bb.316:
	scratch_load_dwordx4 v[2:5], off, s64
	v_mov_b32_e32 v6, 0
	v_mov_b32_e32 v7, v6
	;; [unrolled: 1-line block ×4, first 2 shown]
	v_accvgpr_read_b32 v0, a119
	scratch_store_dwordx4 off, v[6:9], off offset:416
	s_waitcnt vmcnt(1)
	ds_write_b128 v0, v[2:5]
.LBB58_317:
	s_or_b64 exec, exec, s[0:1]
	s_waitcnt lgkmcnt(0)
	; wave barrier
	scratch_load_dwordx4 v[108:111], off, off offset:432
	scratch_load_dwordx4 v[116:119], off, off offset:448
	;; [unrolled: 1-line block ×33, first 2 shown]
	v_mov_b32_e32 v2, 0
	ds_read_b128 v[220:223], v2 offset:1360
	ds_read_b128 v[224:227], v2 offset:1376
	;; [unrolled: 1-line block ×16, first 2 shown]
	v_cmp_lt_u32_e32 vcc, 24, v244
	s_waitcnt vmcnt(32) lgkmcnt(14)
	v_mul_f64 v[180:181], v[220:221], v[110:111]
	s_waitcnt vmcnt(31)
	v_mul_f64 v[182:183], v[224:225], v[118:119]
	v_fmac_f64_e32 v[180:181], v[222:223], v[108:109]
	s_waitcnt vmcnt(30) lgkmcnt(13)
	v_mul_f64 v[184:185], v[234:235], v[122:123]
	v_fmac_f64_e32 v[182:183], v[226:227], v[116:117]
	v_add_f64 v[180:181], v[180:181], 0
	s_waitcnt vmcnt(29) lgkmcnt(12)
	v_mul_f64 v[186:187], v[246:247], v[126:127]
	v_fmac_f64_e32 v[184:185], v[236:237], v[120:121]
	v_add_f64 v[180:181], v[180:181], v[182:183]
	;; [unrolled: 4-line block ×13, first 2 shown]
	v_fmac_f64_e32 v[208:209], v[142:143], v[40:41]
	v_add_f64 v[180:181], v[180:181], v[206:207]
	v_add_f64 v[184:185], v[180:181], v[208:209]
	ds_read_b128 v[180:183], v2 offset:1616
	s_waitcnt vmcnt(17) lgkmcnt(1)
	v_mul_f64 v[186:187], v[136:137], v[46:47]
	v_fmac_f64_e32 v[186:187], v[138:139], v[44:45]
	v_add_f64 v[188:189], v[184:185], v[186:187]
	ds_read_b128 v[184:187], v2 offset:1632
	s_waitcnt vmcnt(16) lgkmcnt(1)
	v_mul_f64 v[190:191], v[180:181], v[50:51]
	v_fmac_f64_e32 v[190:191], v[182:183], v[48:49]
	;; [unrolled: 5-line block ×7, first 2 shown]
	v_mul_f64 v[126:127], v[248:249], v[126:127]
	v_add_f64 v[212:213], v[208:209], v[210:211]
	ds_read_b128 v[208:211], v2 offset:1728
	s_waitcnt vmcnt(10) lgkmcnt(1)
	v_mul_f64 v[214:215], v[204:205], v[74:75]
	v_mul_f64 v[122:123], v[236:237], v[122:123]
	v_fma_f64 v[236:237], v[246:247], v[124:125], -v[126:127]
	scratch_load_dwordx4 v[246:249], off, off offset:416
	v_fmac_f64_e32 v[214:215], v[206:207], v[72:73]
	v_add_f64 v[216:217], v[212:213], v[214:215]
	ds_read_b128 v[212:215], v2 offset:1744
	s_waitcnt vmcnt(10) lgkmcnt(1)
	v_mul_f64 v[218:219], v[208:209], v[78:79]
	v_fmac_f64_e32 v[218:219], v[210:211], v[76:77]
	v_add_f64 v[228:229], v[216:217], v[218:219]
	ds_read_b128 v[216:219], v2 offset:1760
	s_waitcnt vmcnt(9) lgkmcnt(1)
	v_mul_f64 v[230:231], v[212:213], v[82:83]
	v_fmac_f64_e32 v[230:231], v[214:215], v[80:81]
	v_mul_f64 v[110:111], v[222:223], v[110:111]
	v_add_f64 v[228:229], v[228:229], v[230:231]
	v_fma_f64 v[230:231], v[220:221], v[108:109], -v[110:111]
	ds_read_b128 v[108:111], v2 offset:1776
	s_waitcnt vmcnt(8) lgkmcnt(1)
	v_mul_f64 v[220:221], v[216:217], v[86:87]
	v_mul_f64 v[118:119], v[226:227], v[118:119]
	v_fmac_f64_e32 v[220:221], v[218:219], v[84:85]
	v_fma_f64 v[232:233], v[224:225], v[116:117], -v[118:119]
	ds_read_b128 v[116:119], v2 offset:1792
	s_waitcnt vmcnt(7) lgkmcnt(1)
	v_mul_f64 v[222:223], v[108:109], v[90:91]
	v_add_f64 v[220:221], v[228:229], v[220:221]
	v_fmac_f64_e32 v[222:223], v[110:111], v[88:89]
	v_add_f64 v[224:225], v[220:221], v[222:223]
	ds_read_b128 v[220:223], v2 offset:1808
	v_fma_f64 v[234:235], v[234:235], v[120:121], -v[122:123]
	ds_read_b128 v[120:123], v2 offset:1824
	s_waitcnt vmcnt(6) lgkmcnt(2)
	v_mul_f64 v[226:227], v[116:117], v[94:95]
	v_fmac_f64_e32 v[226:227], v[118:119], v[92:93]
	v_add_f64 v[224:225], v[224:225], v[226:227]
	s_waitcnt vmcnt(5) lgkmcnt(1)
	v_mul_f64 v[226:227], v[220:221], v[98:99]
	v_add_f64 v[230:231], v[230:231], 0
	v_fmac_f64_e32 v[226:227], v[222:223], v[96:97]
	s_waitcnt vmcnt(4) lgkmcnt(0)
	v_mul_f64 v[238:239], v[120:121], v[102:103]
	v_add_f64 v[230:231], v[230:231], v[232:233]
	v_add_f64 v[228:229], v[224:225], v[226:227]
	v_fmac_f64_e32 v[238:239], v[122:123], v[100:101]
	v_mul_f64 v[130:131], v[252:253], v[130:131]
	v_add_f64 v[230:231], v[230:231], v[234:235]
	v_add_f64 v[228:229], v[228:229], v[238:239]
	v_fma_f64 v[238:239], v[250:251], v[128:129], -v[130:131]
	v_add_f64 v[230:231], v[230:231], v[236:237]
	v_mul_f64 v[6:7], v[178:179], v[6:7]
	v_add_f64 v[230:231], v[230:231], v[238:239]
	v_fma_f64 v[4:5], v[176:177], v[4:5], -v[6:7]
	v_mul_f64 v[6:7], v[174:175], v[10:11]
	v_add_f64 v[4:5], v[230:231], v[4:5]
	v_fma_f64 v[6:7], v[172:173], v[8:9], -v[6:7]
	v_add_f64 v[4:5], v[4:5], v[6:7]
	v_mul_f64 v[6:7], v[170:171], v[14:15]
	v_fma_f64 v[6:7], v[168:169], v[12:13], -v[6:7]
	v_add_f64 v[4:5], v[4:5], v[6:7]
	v_mul_f64 v[6:7], v[166:167], v[18:19]
	;; [unrolled: 3-line block ×21, first 2 shown]
	ds_read_b128 v[124:127], v2 offset:1840
	ds_read_b128 v[224:227], v2 offset:1856
	v_fma_f64 v[6:7], v[116:117], v[92:93], -v[6:7]
	v_add_f64 v[4:5], v[4:5], v[6:7]
	v_mul_f64 v[6:7], v[222:223], v[98:99]
	v_fma_f64 v[6:7], v[220:221], v[96:97], -v[6:7]
	v_add_f64 v[4:5], v[4:5], v[6:7]
	v_mul_f64 v[6:7], v[122:123], v[102:103]
	ds_read_b128 v[128:131], v2 offset:1872
	v_fma_f64 v[6:7], v[120:121], v[100:101], -v[6:7]
	s_waitcnt vmcnt(3) lgkmcnt(2)
	v_mul_f64 v[240:241], v[124:125], v[106:107]
	v_add_f64 v[4:5], v[4:5], v[6:7]
	v_mul_f64 v[6:7], v[126:127], v[106:107]
	v_fmac_f64_e32 v[240:241], v[126:127], v[104:105]
	v_fma_f64 v[6:7], v[124:125], v[104:105], -v[6:7]
	v_add_f64 v[228:229], v[228:229], v[240:241]
	s_waitcnt vmcnt(2) lgkmcnt(1)
	v_mul_f64 v[240:241], v[224:225], v[114:115]
	v_add_f64 v[4:5], v[4:5], v[6:7]
	v_mul_f64 v[6:7], v[226:227], v[114:115]
	v_fmac_f64_e32 v[240:241], v[226:227], v[112:113]
	v_fma_f64 v[6:7], v[224:225], v[112:113], -v[6:7]
	v_add_f64 v[228:229], v[228:229], v[240:241]
	;; [unrolled: 7-line block ×3, first 2 shown]
	v_add_f64 v[4:5], v[4:5], v[6:7]
	s_waitcnt vmcnt(0)
	v_add_f64 v[4:5], v[246:247], -v[4:5]
	v_add_f64 v[6:7], v[248:249], -v[228:229]
	scratch_store_dwordx4 off, v[4:7], off offset:416
	s_and_saveexec_b64 s[0:1], vcc
	s_cbranch_execz .LBB58_319
; %bb.318:
	scratch_load_dwordx4 v[6:9], off, s63
	v_mov_b32_e32 v3, v2
	v_mov_b32_e32 v4, v2
	;; [unrolled: 1-line block ×3, first 2 shown]
	v_accvgpr_read_b32 v0, a119
	scratch_store_dwordx4 off, v[2:5], off offset:400
	s_waitcnt vmcnt(1)
	ds_write_b128 v0, v[6:9]
.LBB58_319:
	s_or_b64 exec, exec, s[0:1]
	s_waitcnt lgkmcnt(0)
	; wave barrier
	scratch_load_dwordx4 v[144:147], off, off offset:416
	scratch_load_dwordx4 v[152:155], off, off offset:432
	;; [unrolled: 1-line block ×16, first 2 shown]
	ds_read_b128 v[196:199], v2 offset:1344
	ds_read_b128 v[188:191], v2 offset:1360
	ds_read_b128 v[180:183], v2 offset:1376
	scratch_load_dwordx4 v[48:51], off, off offset:672
	ds_read_b128 v[192:195], v2 offset:1392
	ds_read_b128 v[184:187], v2 offset:1408
	ds_read_b128 v[64:67], v2 offset:1424
	scratch_load_dwordx4 v[52:55], off, off offset:688
	;; [unrolled: 4-line block ×5, first 2 shown]
	ds_read_b128 v[116:119], v2 offset:1584
	ds_read_b128 v[112:115], v2 offset:1600
	scratch_load_dwordx4 v[108:111], off, off offset:752
	scratch_load_dwordx4 v[120:123], off, off offset:768
	;; [unrolled: 1-line block ×12, first 2 shown]
	v_cmp_lt_u32_e32 vcc, 23, v244
	s_waitcnt vmcnt(32) lgkmcnt(14)
	v_mul_f64 v[204:205], v[196:197], v[146:147]
	s_waitcnt vmcnt(31)
	v_mul_f64 v[206:207], v[188:189], v[154:155]
	v_fmac_f64_e32 v[204:205], v[198:199], v[144:145]
	s_waitcnt vmcnt(30)
	v_mul_f64 v[208:209], v[180:181], v[158:159]
	v_fmac_f64_e32 v[206:207], v[190:191], v[152:153]
	v_add_f64 v[204:205], v[204:205], 0
	s_waitcnt vmcnt(29) lgkmcnt(13)
	v_mul_f64 v[210:211], v[192:193], v[162:163]
	v_fmac_f64_e32 v[208:209], v[182:183], v[156:157]
	v_add_f64 v[204:205], v[204:205], v[206:207]
	s_waitcnt vmcnt(28) lgkmcnt(12)
	v_mul_f64 v[212:213], v[184:185], v[170:171]
	v_fmac_f64_e32 v[210:211], v[194:195], v[160:161]
	v_add_f64 v[204:205], v[204:205], v[208:209]
	s_waitcnt vmcnt(27) lgkmcnt(11)
	v_mul_f64 v[214:215], v[64:65], v[6:7]
	v_fmac_f64_e32 v[212:213], v[186:187], v[168:169]
	v_add_f64 v[204:205], v[204:205], v[210:211]
	s_waitcnt vmcnt(26) lgkmcnt(10)
	v_mul_f64 v[216:217], v[76:77], v[10:11]
	v_fmac_f64_e32 v[214:215], v[66:67], v[4:5]
	v_add_f64 v[204:205], v[204:205], v[212:213]
	s_waitcnt vmcnt(25) lgkmcnt(9)
	v_mul_f64 v[218:219], v[72:73], v[14:15]
	v_fmac_f64_e32 v[216:217], v[78:79], v[8:9]
	v_add_f64 v[204:205], v[204:205], v[214:215]
	s_waitcnt vmcnt(24) lgkmcnt(8)
	v_mul_f64 v[220:221], v[68:69], v[18:19]
	v_fmac_f64_e32 v[218:219], v[74:75], v[12:13]
	v_add_f64 v[204:205], v[204:205], v[216:217]
	s_waitcnt vmcnt(23) lgkmcnt(7)
	v_mul_f64 v[222:223], v[88:89], v[22:23]
	v_fmac_f64_e32 v[220:221], v[70:71], v[16:17]
	v_add_f64 v[204:205], v[204:205], v[218:219]
	s_waitcnt vmcnt(22) lgkmcnt(6)
	v_mul_f64 v[224:225], v[84:85], v[26:27]
	v_fmac_f64_e32 v[222:223], v[90:91], v[20:21]
	v_add_f64 v[204:205], v[204:205], v[220:221]
	s_waitcnt vmcnt(21) lgkmcnt(5)
	v_mul_f64 v[226:227], v[80:81], v[30:31]
	v_fmac_f64_e32 v[224:225], v[86:87], v[24:25]
	v_add_f64 v[204:205], v[204:205], v[222:223]
	s_waitcnt vmcnt(20) lgkmcnt(4)
	v_mul_f64 v[228:229], v[104:105], v[34:35]
	v_fmac_f64_e32 v[226:227], v[82:83], v[28:29]
	v_add_f64 v[204:205], v[204:205], v[224:225]
	s_waitcnt vmcnt(19) lgkmcnt(3)
	v_mul_f64 v[230:231], v[100:101], v[38:39]
	v_fmac_f64_e32 v[228:229], v[106:107], v[32:33]
	v_add_f64 v[204:205], v[204:205], v[226:227]
	s_waitcnt vmcnt(18) lgkmcnt(2)
	v_mul_f64 v[232:233], v[96:97], v[42:43]
	v_fmac_f64_e32 v[230:231], v[102:103], v[36:37]
	v_add_f64 v[204:205], v[204:205], v[228:229]
	v_fmac_f64_e32 v[232:233], v[98:99], v[40:41]
	v_add_f64 v[204:205], v[204:205], v[230:231]
	s_waitcnt vmcnt(17) lgkmcnt(1)
	v_mul_f64 v[206:207], v[116:117], v[46:47]
	v_add_f64 v[204:205], v[204:205], v[232:233]
	v_fmac_f64_e32 v[206:207], v[118:119], v[44:45]
	s_waitcnt vmcnt(16) lgkmcnt(0)
	v_mul_f64 v[210:211], v[112:113], v[50:51]
	v_add_f64 v[208:209], v[204:205], v[206:207]
	ds_read_b128 v[204:207], v2 offset:1616
	v_fmac_f64_e32 v[210:211], v[114:115], v[48:49]
	v_add_f64 v[212:213], v[208:209], v[210:211]
	ds_read_b128 v[208:211], v2 offset:1632
	v_mul_f64 v[146:147], v[198:199], v[146:147]
	s_waitcnt vmcnt(15) lgkmcnt(1)
	v_mul_f64 v[214:215], v[204:205], v[54:55]
	v_fmac_f64_e32 v[214:215], v[206:207], v[52:53]
	v_add_f64 v[216:217], v[212:213], v[214:215]
	s_waitcnt vmcnt(14) lgkmcnt(0)
	v_mul_f64 v[218:219], v[208:209], v[58:59]
	ds_read_b128 v[212:215], v2 offset:1648
	v_fmac_f64_e32 v[218:219], v[210:211], v[56:57]
	v_add_f64 v[220:221], v[216:217], v[218:219]
	ds_read_b128 v[216:219], v2 offset:1664
	v_mul_f64 v[154:155], v[190:191], v[154:155]
	s_waitcnt vmcnt(13) lgkmcnt(1)
	v_mul_f64 v[222:223], v[212:213], v[62:63]
	v_fmac_f64_e32 v[222:223], v[214:215], v[60:61]
	v_add_f64 v[224:225], v[220:221], v[222:223]
	s_waitcnt vmcnt(12) lgkmcnt(0)
	v_mul_f64 v[226:227], v[216:217], v[94:95]
	ds_read_b128 v[220:223], v2 offset:1680
	v_fmac_f64_e32 v[226:227], v[218:219], v[92:93]
	v_add_f64 v[228:229], v[224:225], v[226:227]
	ds_read_b128 v[224:227], v2 offset:1696
	v_fma_f64 v[246:247], v[188:189], v[152:153], -v[154:155]
	s_waitcnt vmcnt(11) lgkmcnt(1)
	v_mul_f64 v[230:231], v[220:221], v[110:111]
	v_fmac_f64_e32 v[230:231], v[222:223], v[108:109]
	v_add_f64 v[232:233], v[228:229], v[230:231]
	s_waitcnt vmcnt(10) lgkmcnt(0)
	v_mul_f64 v[234:235], v[224:225], v[122:123]
	ds_read_b128 v[228:231], v2 offset:1712
	v_fmac_f64_e32 v[234:235], v[226:227], v[120:121]
	v_add_f64 v[236:237], v[232:233], v[234:235]
	ds_read_b128 v[232:235], v2 offset:1728
	ds_read_b128 v[152:155], v2 offset:1776
	s_waitcnt vmcnt(9) lgkmcnt(2)
	v_mul_f64 v[238:239], v[228:229], v[126:127]
	v_fmac_f64_e32 v[238:239], v[230:231], v[124:125]
	v_add_f64 v[240:241], v[236:237], v[238:239]
	s_waitcnt vmcnt(8) lgkmcnt(1)
	v_mul_f64 v[242:243], v[232:233], v[130:131]
	ds_read_b128 v[236:239], v2 offset:1744
	v_fmac_f64_e32 v[242:243], v[234:235], v[128:129]
	v_add_f64 v[240:241], v[240:241], v[242:243]
	v_fma_f64 v[242:243], v[196:197], v[144:145], -v[146:147]
	ds_read_b128 v[144:147], v2 offset:1760
	s_waitcnt vmcnt(7) lgkmcnt(1)
	v_mul_f64 v[196:197], v[236:237], v[134:135]
	v_fmac_f64_e32 v[196:197], v[238:239], v[132:133]
	v_add_f64 v[188:189], v[240:241], v[196:197]
	v_mul_f64 v[158:159], v[182:183], v[158:159]
	s_waitcnt vmcnt(6) lgkmcnt(0)
	v_mul_f64 v[190:191], v[144:145], v[138:139]
	v_fmac_f64_e32 v[190:191], v[146:147], v[136:137]
	v_add_f64 v[196:197], v[188:189], v[190:191]
	ds_read_b128 v[188:191], v2 offset:1792
	v_fma_f64 v[240:241], v[180:181], v[156:157], -v[158:159]
	ds_read_b128 v[156:159], v2 offset:1808
	s_waitcnt vmcnt(5)
	v_mul_f64 v[198:199], v[152:153], v[142:143]
	v_fmac_f64_e32 v[198:199], v[154:155], v[140:141]
	s_waitcnt vmcnt(4) lgkmcnt(1)
	v_mul_f64 v[180:181], v[188:189], v[150:151]
	v_add_f64 v[196:197], v[196:197], v[198:199]
	v_fmac_f64_e32 v[180:181], v[190:191], v[148:149]
	v_mul_f64 v[162:163], v[194:195], v[162:163]
	v_add_f64 v[198:199], v[196:197], v[180:181]
	v_fma_f64 v[196:197], v[192:193], v[160:161], -v[162:163]
	ds_read_b128 v[160:163], v2 offset:1824
	s_waitcnt vmcnt(3) lgkmcnt(1)
	v_mul_f64 v[192:193], v[156:157], v[166:167]
	ds_read_b128 v[180:183], v2 offset:1840
	v_fmac_f64_e32 v[192:193], v[158:159], v[164:165]
	v_mul_f64 v[170:171], v[186:187], v[170:171]
	v_add_f64 v[192:193], v[198:199], v[192:193]
	v_fma_f64 v[198:199], v[184:185], v[168:169], -v[170:171]
	ds_read_b128 v[168:171], v2 offset:1856
	s_waitcnt vmcnt(2) lgkmcnt(2)
	v_mul_f64 v[184:185], v[160:161], v[174:175]
	v_fmac_f64_e32 v[184:185], v[162:163], v[172:173]
	s_waitcnt vmcnt(1) lgkmcnt(1)
	v_mul_f64 v[186:187], v[180:181], v[178:179]
	v_add_f64 v[184:185], v[192:193], v[184:185]
	v_fmac_f64_e32 v[186:187], v[182:183], v[176:177]
	v_add_f64 v[184:185], v[184:185], v[186:187]
	s_waitcnt vmcnt(0) lgkmcnt(0)
	v_mul_f64 v[186:187], v[168:169], v[202:203]
	v_fmac_f64_e32 v[186:187], v[170:171], v[200:201]
	v_add_f64 v[248:249], v[184:185], v[186:187]
	scratch_load_dwordx4 v[184:187], off, off offset:944
	ds_read_b128 v[192:195], v2 offset:1872
	v_add_f64 v[242:243], v[242:243], 0
	v_add_f64 v[242:243], v[242:243], v[246:247]
	;; [unrolled: 1-line block ×4, first 2 shown]
	v_mul_f64 v[6:7], v[66:67], v[6:7]
	v_add_f64 v[196:197], v[196:197], v[198:199]
	v_fma_f64 v[4:5], v[64:65], v[4:5], -v[6:7]
	v_mul_f64 v[6:7], v[78:79], v[10:11]
	v_add_f64 v[4:5], v[196:197], v[4:5]
	v_fma_f64 v[6:7], v[76:77], v[8:9], -v[6:7]
	v_add_f64 v[4:5], v[4:5], v[6:7]
	v_mul_f64 v[6:7], v[74:75], v[14:15]
	v_fma_f64 v[6:7], v[72:73], v[12:13], -v[6:7]
	v_add_f64 v[4:5], v[4:5], v[6:7]
	v_mul_f64 v[6:7], v[70:71], v[18:19]
	;; [unrolled: 3-line block ×23, first 2 shown]
	s_waitcnt vmcnt(0) lgkmcnt(0)
	v_mul_f64 v[2:3], v[192:193], v[186:187]
	v_fmac_f64_e32 v[2:3], v[194:195], v[184:185]
	v_add_f64 v[2:3], v[248:249], v[2:3]
	scratch_load_dwordx4 v[248:251], off, off offset:400
	v_fma_f64 v[6:7], v[156:157], v[164:165], -v[6:7]
	v_add_f64 v[4:5], v[4:5], v[6:7]
	v_mul_f64 v[6:7], v[162:163], v[174:175]
	v_fma_f64 v[6:7], v[160:161], v[172:173], -v[6:7]
	v_add_f64 v[4:5], v[4:5], v[6:7]
	v_mul_f64 v[6:7], v[182:183], v[178:179]
	;; [unrolled: 3-line block ×4, first 2 shown]
	v_fma_f64 v[6:7], v[192:193], v[184:185], -v[6:7]
	v_add_f64 v[4:5], v[4:5], v[6:7]
	s_waitcnt vmcnt(0)
	v_add_f64 v[4:5], v[248:249], -v[4:5]
	v_add_f64 v[6:7], v[250:251], -v[2:3]
	scratch_store_dwordx4 off, v[4:7], off offset:400
	s_and_saveexec_b64 s[0:1], vcc
	s_cbranch_execz .LBB58_321
; %bb.320:
	scratch_load_dwordx4 v[2:5], off, s62
	v_mov_b32_e32 v6, 0
	v_mov_b32_e32 v7, v6
	;; [unrolled: 1-line block ×4, first 2 shown]
	v_accvgpr_read_b32 v0, a119
	scratch_store_dwordx4 off, v[6:9], off offset:384
	s_waitcnt vmcnt(1)
	ds_write_b128 v0, v[2:5]
.LBB58_321:
	s_or_b64 exec, exec, s[0:1]
	s_waitcnt lgkmcnt(0)
	; wave barrier
	scratch_load_dwordx4 v[184:187], off, off offset:400
	scratch_load_dwordx4 v[188:191], off, off offset:416
	;; [unrolled: 1-line block ×32, first 2 shown]
	v_mov_b32_e32 v2, 0
	ds_read_b128 v[192:195], v2 offset:1328
	ds_read_b128 v[204:207], v2 offset:1344
	;; [unrolled: 1-line block ×16, first 2 shown]
	v_cmp_lt_u32_e32 vcc, 22, v244
	s_waitcnt vmcnt(31) lgkmcnt(14)
	v_mul_f64 v[104:105], v[192:193], v[186:187]
	s_waitcnt vmcnt(30)
	v_mul_f64 v[106:107], v[204:205], v[190:191]
	v_fmac_f64_e32 v[104:105], v[194:195], v[184:185]
	s_waitcnt vmcnt(29) lgkmcnt(13)
	v_mul_f64 v[112:113], v[216:217], v[198:199]
	v_fmac_f64_e32 v[106:107], v[206:207], v[188:189]
	v_add_f64 v[104:105], v[104:105], 0
	s_waitcnt vmcnt(28) lgkmcnt(12)
	v_mul_f64 v[114:115], v[224:225], v[202:203]
	v_fmac_f64_e32 v[112:113], v[218:219], v[196:197]
	v_add_f64 v[104:105], v[104:105], v[106:107]
	;; [unrolled: 4-line block ×10, first 2 shown]
	ds_read_b128 v[152:155], v2 offset:1584
	ds_read_b128 v[156:159], v2 offset:1600
	s_waitcnt vmcnt(19) lgkmcnt(5)
	v_mul_f64 v[164:165], v[124:125], v[26:27]
	v_fmac_f64_e32 v[162:163], v[134:135], v[20:21]
	v_add_f64 v[104:105], v[104:105], v[160:161]
	s_waitcnt vmcnt(18) lgkmcnt(4)
	v_mul_f64 v[166:167], v[120:121], v[30:31]
	v_fmac_f64_e32 v[164:165], v[126:127], v[24:25]
	v_add_f64 v[104:105], v[104:105], v[162:163]
	s_waitcnt vmcnt(17) lgkmcnt(3)
	v_mul_f64 v[168:169], v[116:117], v[34:35]
	v_fmac_f64_e32 v[166:167], v[122:123], v[28:29]
	v_add_f64 v[104:105], v[104:105], v[164:165]
	s_waitcnt vmcnt(16) lgkmcnt(2)
	v_mul_f64 v[170:171], v[108:109], v[38:39]
	v_fmac_f64_e32 v[168:169], v[118:119], v[32:33]
	v_add_f64 v[104:105], v[104:105], v[166:167]
	v_add_f64 v[112:113], v[104:105], v[168:169]
	v_fmac_f64_e32 v[170:171], v[110:111], v[36:37]
	scratch_load_dwordx4 v[104:107], off, off offset:912
	s_waitcnt vmcnt(16) lgkmcnt(1)
	v_mul_f64 v[114:115], v[152:153], v[42:43]
	v_add_f64 v[112:113], v[112:113], v[170:171]
	v_fmac_f64_e32 v[114:115], v[154:155], v[40:41]
	v_add_f64 v[128:129], v[112:113], v[114:115]
	scratch_load_dwordx4 v[112:115], off, off offset:928
	s_waitcnt vmcnt(16) lgkmcnt(0)
	v_mul_f64 v[130:131], v[156:157], v[46:47]
	v_fmac_f64_e32 v[130:131], v[158:159], v[44:45]
	v_add_f64 v[168:169], v[128:129], v[130:131]
	scratch_load_dwordx4 v[128:131], off, off offset:944
	ds_read_b128 v[160:163], v2 offset:1616
	ds_read_b128 v[164:167], v2 offset:1632
	v_mul_f64 v[186:187], v[194:195], v[186:187]
	v_fma_f64 v[240:241], v[192:193], v[184:185], -v[186:187]
	ds_read_b128 v[184:187], v2 offset:1712
	s_waitcnt vmcnt(16) lgkmcnt(2)
	v_mul_f64 v[170:171], v[160:161], v[50:51]
	v_fmac_f64_e32 v[170:171], v[162:163], v[48:49]
	s_waitcnt vmcnt(15) lgkmcnt(1)
	v_mul_f64 v[174:175], v[164:165], v[54:55]
	v_add_f64 v[172:173], v[168:169], v[170:171]
	ds_read_b128 v[168:171], v2 offset:1648
	v_fmac_f64_e32 v[174:175], v[166:167], v[52:53]
	v_add_f64 v[176:177], v[172:173], v[174:175]
	ds_read_b128 v[172:175], v2 offset:1664
	v_mul_f64 v[190:191], v[206:207], v[190:191]
	s_waitcnt vmcnt(14) lgkmcnt(1)
	v_mul_f64 v[178:179], v[168:169], v[58:59]
	v_fmac_f64_e32 v[178:179], v[170:171], v[56:57]
	v_add_f64 v[180:181], v[176:177], v[178:179]
	s_waitcnt vmcnt(13) lgkmcnt(0)
	v_mul_f64 v[182:183], v[172:173], v[62:63]
	ds_read_b128 v[176:179], v2 offset:1680
	v_fmac_f64_e32 v[182:183], v[174:175], v[60:61]
	v_add_f64 v[232:233], v[180:181], v[182:183]
	ds_read_b128 v[180:183], v2 offset:1696
	v_fma_f64 v[242:243], v[204:205], v[188:189], -v[190:191]
	s_waitcnt vmcnt(12) lgkmcnt(1)
	v_mul_f64 v[234:235], v[176:177], v[66:67]
	v_fmac_f64_e32 v[234:235], v[178:179], v[64:65]
	v_add_f64 v[232:233], v[232:233], v[234:235]
	s_waitcnt vmcnt(11) lgkmcnt(0)
	v_mul_f64 v[192:193], v[180:181], v[70:71]
	v_fmac_f64_e32 v[192:193], v[182:183], v[68:69]
	ds_read_b128 v[188:191], v2 offset:1728
	s_waitcnt vmcnt(10)
	v_mul_f64 v[194:195], v[184:185], v[74:75]
	v_add_f64 v[192:193], v[232:233], v[192:193]
	v_fmac_f64_e32 v[194:195], v[186:187], v[72:73]
	v_add_f64 v[204:205], v[192:193], v[194:195]
	ds_read_b128 v[192:195], v2 offset:1744
	v_mul_f64 v[198:199], v[218:219], v[198:199]
	v_fma_f64 v[254:255], v[216:217], v[196:197], -v[198:199]
	ds_read_b128 v[196:199], v2 offset:1760
	s_waitcnt vmcnt(9) lgkmcnt(2)
	v_mul_f64 v[206:207], v[188:189], v[78:79]
	v_fmac_f64_e32 v[206:207], v[190:191], v[76:77]
	v_add_f64 v[204:205], v[204:205], v[206:207]
	s_waitcnt vmcnt(8) lgkmcnt(1)
	v_mul_f64 v[206:207], v[192:193], v[82:83]
	v_fmac_f64_e32 v[206:207], v[194:195], v[80:81]
	v_mul_f64 v[202:203], v[226:227], v[202:203]
	v_add_f64 v[204:205], v[204:205], v[206:207]
	v_fma_f64 v[234:235], v[224:225], v[200:201], -v[202:203]
	ds_read_b128 v[200:203], v2 offset:1776
	s_waitcnt vmcnt(7) lgkmcnt(1)
	v_mul_f64 v[206:207], v[196:197], v[86:87]
	v_fmac_f64_e32 v[206:207], v[198:199], v[84:85]
	v_add_f64 v[216:217], v[204:205], v[206:207]
	ds_read_b128 v[204:207], v2 offset:1792
	v_mul_f64 v[210:211], v[230:231], v[210:211]
	v_fma_f64 v[236:237], v[228:229], v[208:209], -v[210:211]
	ds_read_b128 v[208:211], v2 offset:1808
	s_waitcnt vmcnt(6) lgkmcnt(2)
	v_mul_f64 v[218:219], v[200:201], v[90:91]
	v_fmac_f64_e32 v[218:219], v[202:203], v[88:89]
	v_add_f64 v[216:217], v[216:217], v[218:219]
	s_waitcnt vmcnt(5) lgkmcnt(1)
	v_mul_f64 v[218:219], v[204:205], v[94:95]
	v_fmac_f64_e32 v[218:219], v[206:207], v[92:93]
	v_mul_f64 v[214:215], v[248:249], v[214:215]
	v_fma_f64 v[238:239], v[246:247], v[212:213], -v[214:215]
	ds_read_b128 v[212:215], v2 offset:1824
	v_add_f64 v[216:217], v[216:217], v[218:219]
	s_waitcnt vmcnt(4) lgkmcnt(1)
	v_mul_f64 v[218:219], v[208:209], v[102:103]
	v_fmac_f64_e32 v[218:219], v[210:211], v[100:101]
	v_add_f64 v[224:225], v[216:217], v[218:219]
	ds_read_b128 v[216:219], v2 offset:1840
	v_mul_f64 v[222:223], v[252:253], v[222:223]
	v_fma_f64 v[246:247], v[250:251], v[220:221], -v[222:223]
	ds_read_b128 v[220:223], v2 offset:1856
	s_waitcnt vmcnt(3) lgkmcnt(2)
	v_mul_f64 v[226:227], v[212:213], v[98:99]
	v_fmac_f64_e32 v[226:227], v[214:215], v[96:97]
	v_add_f64 v[224:225], v[224:225], v[226:227]
	s_waitcnt vmcnt(2) lgkmcnt(1)
	v_mul_f64 v[226:227], v[216:217], v[106:107]
	v_fmac_f64_e32 v[226:227], v[218:219], v[104:105]
	v_add_f64 v[224:225], v[224:225], v[226:227]
	s_waitcnt vmcnt(1) lgkmcnt(0)
	v_mul_f64 v[226:227], v[220:221], v[114:115]
	v_fmac_f64_e32 v[226:227], v[222:223], v[112:113]
	v_add_f64 v[228:229], v[224:225], v[226:227]
	ds_read_b128 v[224:227], v2 offset:1872
	v_mul_f64 v[6:7], v[150:151], v[6:7]
	v_fma_f64 v[4:5], v[148:149], v[4:5], -v[6:7]
	v_mul_f64 v[6:7], v[146:147], v[10:11]
	v_fma_f64 v[6:7], v[144:145], v[8:9], -v[6:7]
	s_waitcnt vmcnt(0) lgkmcnt(0)
	v_mul_f64 v[230:231], v[224:225], v[130:131]
	v_fmac_f64_e32 v[230:231], v[226:227], v[128:129]
	v_add_f64 v[232:233], v[228:229], v[230:231]
	v_add_f64 v[228:229], v[240:241], 0
	;; [unrolled: 1-line block ×4, first 2 shown]
	scratch_load_dwordx4 v[228:231], off, off offset:384
	v_add_f64 v[234:235], v[248:249], v[234:235]
	v_add_f64 v[234:235], v[234:235], v[236:237]
	;; [unrolled: 1-line block ×6, first 2 shown]
	v_mul_f64 v[6:7], v[142:143], v[14:15]
	v_fma_f64 v[6:7], v[140:141], v[12:13], -v[6:7]
	v_add_f64 v[4:5], v[4:5], v[6:7]
	v_mul_f64 v[6:7], v[138:139], v[18:19]
	v_fma_f64 v[6:7], v[136:137], v[16:17], -v[6:7]
	v_add_f64 v[4:5], v[4:5], v[6:7]
	;; [unrolled: 3-line block ×26, first 2 shown]
	s_waitcnt vmcnt(0)
	v_add_f64 v[4:5], v[228:229], -v[4:5]
	v_add_f64 v[6:7], v[230:231], -v[232:233]
	scratch_store_dwordx4 off, v[4:7], off offset:384
	s_and_saveexec_b64 s[0:1], vcc
	s_cbranch_execz .LBB58_323
; %bb.322:
	scratch_load_dwordx4 v[6:9], off, s61
	v_mov_b32_e32 v3, v2
	v_mov_b32_e32 v4, v2
	v_mov_b32_e32 v5, v2
	v_accvgpr_read_b32 v0, a119
	scratch_store_dwordx4 off, v[2:5], off offset:368
	s_waitcnt vmcnt(1)
	ds_write_b128 v0, v[6:9]
.LBB58_323:
	s_or_b64 exec, exec, s[0:1]
	s_waitcnt lgkmcnt(0)
	; wave barrier
	scratch_load_dwordx4 v[140:143], off, off offset:384
	scratch_load_dwordx4 v[144:147], off, off offset:400
	;; [unrolled: 1-line block ×16, first 2 shown]
	ds_read_b128 v[208:211], v2 offset:1312
	ds_read_b128 v[200:203], v2 offset:1328
	ds_read_b128 v[188:191], v2 offset:1344
	scratch_load_dwordx4 v[40:43], off, off offset:640
	ds_read_b128 v[204:207], v2 offset:1360
	ds_read_b128 v[192:195], v2 offset:1376
	;; [unrolled: 1-line block ×3, first 2 shown]
	scratch_load_dwordx4 v[44:47], off, off offset:656
	ds_read_b128 v[196:199], v2 offset:1408
	ds_read_b128 v[64:67], v2 offset:1424
	;; [unrolled: 1-line block ×4, first 2 shown]
	scratch_load_dwordx4 v[48:51], off, off offset:672
	ds_read_b128 v[72:75], v2 offset:1472
	ds_read_b128 v[68:71], v2 offset:1488
	scratch_load_dwordx4 v[56:59], off, off offset:688
	ds_read_b128 v[92:95], v2 offset:1504
	ds_read_b128 v[88:91], v2 offset:1520
	;; [unrolled: 1-line block ×4, first 2 shown]
	scratch_load_dwordx4 v[76:79], off, off offset:704
	scratch_load_dwordx4 v[96:99], off, off offset:720
	scratch_load_dwordx4 v[100:103], off, off offset:736
	scratch_load_dwordx4 v[104:107], off, off offset:752
	scratch_load_dwordx4 v[108:111], off, off offset:768
	scratch_load_dwordx4 v[112:115], off, off offset:784
	scratch_load_dwordx4 v[116:119], off, off offset:800
	scratch_load_dwordx4 v[120:123], off, off offset:816
	scratch_load_dwordx4 v[124:127], off, off offset:832
	scratch_load_dwordx4 v[128:131], off, off offset:848
	scratch_load_dwordx4 v[136:139], off, off offset:864
	scratch_load_dwordx4 v[132:135], off, off offset:880
	ds_read_b128 v[168:171], v2 offset:1568
	v_accvgpr_write_b32 a118, v244
	v_cmp_lt_u32_e32 vcc, 21, v244
	s_waitcnt vmcnt(31) lgkmcnt(14)
	v_mul_f64 v[172:173], v[208:209], v[142:143]
	s_waitcnt vmcnt(30)
	v_mul_f64 v[174:175], v[200:201], v[146:147]
	v_fmac_f64_e32 v[172:173], v[210:211], v[140:141]
	s_waitcnt vmcnt(29)
	v_mul_f64 v[176:177], v[188:189], v[150:151]
	v_fmac_f64_e32 v[174:175], v[202:203], v[144:145]
	v_add_f64 v[172:173], v[172:173], 0
	s_waitcnt vmcnt(28) lgkmcnt(13)
	v_mul_f64 v[178:179], v[204:205], v[154:155]
	v_fmac_f64_e32 v[176:177], v[190:191], v[148:149]
	v_add_f64 v[172:173], v[172:173], v[174:175]
	s_waitcnt vmcnt(27) lgkmcnt(12)
	;; [unrolled: 4-line block ×10, first 2 shown]
	v_mul_f64 v[224:225], v[92:93], v[26:27]
	v_fmac_f64_e32 v[222:223], v[70:71], v[20:21]
	v_add_f64 v[172:173], v[172:173], v[220:221]
	ds_read_b128 v[212:215], v2 offset:1584
	s_waitcnt vmcnt(18) lgkmcnt(4)
	v_mul_f64 v[226:227], v[88:89], v[30:31]
	v_fmac_f64_e32 v[224:225], v[94:95], v[24:25]
	v_add_f64 v[172:173], v[172:173], v[222:223]
	ds_read_b128 v[216:219], v2 offset:1600
	ds_read_b128 v[220:223], v2 offset:1616
	s_waitcnt vmcnt(17) lgkmcnt(5)
	v_mul_f64 v[228:229], v[84:85], v[34:35]
	v_fmac_f64_e32 v[226:227], v[90:91], v[28:29]
	v_add_f64 v[172:173], v[172:173], v[224:225]
	s_waitcnt vmcnt(16) lgkmcnt(4)
	v_mul_f64 v[230:231], v[80:81], v[38:39]
	v_fmac_f64_e32 v[228:229], v[86:87], v[32:33]
	v_add_f64 v[172:173], v[172:173], v[226:227]
	v_add_f64 v[176:177], v[172:173], v[228:229]
	v_fmac_f64_e32 v[230:231], v[82:83], v[36:37]
	s_waitcnt vmcnt(15) lgkmcnt(3)
	v_mul_f64 v[178:179], v[168:169], v[42:43]
	v_add_f64 v[176:177], v[176:177], v[230:231]
	v_fmac_f64_e32 v[178:179], v[170:171], v[40:41]
	s_waitcnt vmcnt(14) lgkmcnt(2)
	v_mul_f64 v[182:183], v[212:213], v[46:47]
	;; [unrolled: 4-line block ×3, first 2 shown]
	v_add_f64 v[224:225], v[180:181], v[182:183]
	v_fmac_f64_e32 v[226:227], v[218:219], v[48:49]
	v_add_f64 v[228:229], v[224:225], v[226:227]
	ds_read_b128 v[224:227], v2 offset:1632
	s_waitcnt vmcnt(12) lgkmcnt(1)
	v_mul_f64 v[230:231], v[220:221], v[58:59]
	v_fmac_f64_e32 v[230:231], v[222:223], v[56:57]
	v_add_f64 v[232:233], v[228:229], v[230:231]
	ds_read_b128 v[228:231], v2 offset:1648
	s_waitcnt vmcnt(11) lgkmcnt(1)
	v_mul_f64 v[234:235], v[224:225], v[78:79]
	;; [unrolled: 5-line block ×4, first 2 shown]
	v_fmac_f64_e32 v[242:243], v[234:235], v[100:101]
	v_mul_f64 v[142:143], v[210:211], v[142:143]
	v_add_f64 v[240:241], v[240:241], v[242:243]
	v_fma_f64 v[242:243], v[208:209], v[140:141], -v[142:143]
	ds_read_b128 v[140:143], v2 offset:1696
	s_waitcnt vmcnt(8) lgkmcnt(1)
	v_mul_f64 v[208:209], v[236:237], v[106:107]
	v_fmac_f64_e32 v[208:209], v[238:239], v[104:105]
	v_mul_f64 v[146:147], v[202:203], v[146:147]
	v_add_f64 v[208:209], v[240:241], v[208:209]
	v_fma_f64 v[240:241], v[200:201], v[144:145], -v[146:147]
	ds_read_b128 v[144:147], v2 offset:1712
	s_waitcnt vmcnt(7) lgkmcnt(1)
	v_mul_f64 v[200:201], v[140:141], v[110:111]
	scratch_load_dwordx4 v[172:175], off, off offset:896
	v_fmac_f64_e32 v[200:201], v[142:143], v[108:109]
	v_add_f64 v[208:209], v[208:209], v[200:201]
	ds_read_b128 v[200:203], v2 offset:1728
	v_mul_f64 v[150:151], v[190:191], v[150:151]
	scratch_load_dwordx4 v[176:179], off, off offset:912
	scratch_load_dwordx4 v[180:183], off, off offset:928
	v_fma_f64 v[246:247], v[188:189], v[148:149], -v[150:151]
	ds_read_b128 v[148:151], v2 offset:1744
	s_waitcnt vmcnt(9) lgkmcnt(2)
	v_mul_f64 v[210:211], v[144:145], v[114:115]
	v_fmac_f64_e32 v[210:211], v[146:147], v[112:113]
	s_waitcnt vmcnt(8) lgkmcnt(1)
	v_mul_f64 v[188:189], v[200:201], v[118:119]
	v_add_f64 v[208:209], v[208:209], v[210:211]
	v_fmac_f64_e32 v[188:189], v[202:203], v[116:117]
	v_mul_f64 v[154:155], v[206:207], v[154:155]
	s_waitcnt vmcnt(7) lgkmcnt(0)
	v_mul_f64 v[190:191], v[148:149], v[122:123]
	v_add_f64 v[188:189], v[208:209], v[188:189]
	v_fma_f64 v[248:249], v[204:205], v[152:153], -v[154:155]
	ds_read_b128 v[152:155], v2 offset:1760
	v_fmac_f64_e32 v[190:191], v[150:151], v[120:121]
	v_add_f64 v[204:205], v[188:189], v[190:191]
	ds_read_b128 v[188:191], v2 offset:1776
	v_mul_f64 v[158:159], v[194:195], v[158:159]
	s_waitcnt vmcnt(6) lgkmcnt(1)
	v_mul_f64 v[206:207], v[152:153], v[126:127]
	v_fmac_f64_e32 v[206:207], v[154:155], v[124:125]
	v_fma_f64 v[250:251], v[192:193], v[156:157], -v[158:159]
	s_waitcnt vmcnt(5) lgkmcnt(0)
	v_mul_f64 v[192:193], v[188:189], v[130:131]
	v_add_f64 v[204:205], v[204:205], v[206:207]
	v_fmac_f64_e32 v[192:193], v[190:191], v[128:129]
	v_mul_f64 v[162:163], v[186:187], v[162:163]
	v_add_f64 v[242:243], v[242:243], 0
	v_fma_f64 v[208:209], v[184:185], v[160:161], -v[162:163]
	v_add_f64 v[184:185], v[204:205], v[192:193]
	scratch_load_dwordx4 v[204:207], off, off offset:944
	v_add_f64 v[240:241], v[242:243], v[240:241]
	v_add_f64 v[240:241], v[240:241], v[246:247]
	;; [unrolled: 1-line block ×4, first 2 shown]
	scratch_load_dwordx4 v[248:251], off, off offset:368
	v_mul_f64 v[166:167], v[198:199], v[166:167]
	v_fma_f64 v[210:211], v[196:197], v[164:165], -v[166:167]
	v_add_f64 v[208:209], v[246:247], v[208:209]
	v_mul_f64 v[6:7], v[66:67], v[6:7]
	v_add_f64 v[208:209], v[208:209], v[210:211]
	v_fma_f64 v[4:5], v[64:65], v[4:5], -v[6:7]
	v_mul_f64 v[6:7], v[62:63], v[10:11]
	v_add_f64 v[4:5], v[208:209], v[4:5]
	v_fma_f64 v[6:7], v[60:61], v[8:9], -v[6:7]
	v_add_f64 v[4:5], v[4:5], v[6:7]
	v_mul_f64 v[6:7], v[54:55], v[14:15]
	v_fma_f64 v[6:7], v[52:53], v[12:13], -v[6:7]
	v_add_f64 v[4:5], v[4:5], v[6:7]
	v_mul_f64 v[6:7], v[74:75], v[18:19]
	;; [unrolled: 3-line block ×12, first 2 shown]
	v_fma_f64 v[6:7], v[224:225], v[76:77], -v[6:7]
	ds_read_b128 v[156:159], v2 offset:1792
	ds_read_b128 v[160:163], v2 offset:1808
	v_add_f64 v[4:5], v[4:5], v[6:7]
	v_mul_f64 v[6:7], v[230:231], v[98:99]
	v_fma_f64 v[6:7], v[228:229], v[96:97], -v[6:7]
	v_add_f64 v[4:5], v[4:5], v[6:7]
	v_mul_f64 v[6:7], v[234:235], v[102:103]
	v_fma_f64 v[6:7], v[232:233], v[100:101], -v[6:7]
	v_add_f64 v[4:5], v[4:5], v[6:7]
	v_mul_f64 v[6:7], v[238:239], v[106:107]
	s_waitcnt vmcnt(6) lgkmcnt(1)
	v_mul_f64 v[186:187], v[156:157], v[138:139]
	v_fma_f64 v[6:7], v[236:237], v[104:105], -v[6:7]
	v_fmac_f64_e32 v[186:187], v[158:159], v[136:137]
	v_add_f64 v[4:5], v[4:5], v[6:7]
	v_mul_f64 v[6:7], v[142:143], v[110:111]
	v_add_f64 v[192:193], v[184:185], v[186:187]
	ds_read_b128 v[184:187], v2 offset:1824
	ds_read_b128 v[164:167], v2 offset:1840
	v_fma_f64 v[6:7], v[140:141], v[108:109], -v[6:7]
	v_add_f64 v[4:5], v[4:5], v[6:7]
	v_mul_f64 v[6:7], v[146:147], v[114:115]
	v_fma_f64 v[6:7], v[144:145], v[112:113], -v[6:7]
	s_waitcnt vmcnt(5) lgkmcnt(2)
	v_mul_f64 v[194:195], v[160:161], v[134:135]
	v_add_f64 v[4:5], v[4:5], v[6:7]
	v_mul_f64 v[6:7], v[202:203], v[118:119]
	v_fmac_f64_e32 v[194:195], v[162:163], v[132:133]
	v_fma_f64 v[6:7], v[200:201], v[116:117], -v[6:7]
	v_add_f64 v[192:193], v[192:193], v[194:195]
	s_waitcnt vmcnt(4) lgkmcnt(1)
	v_mul_f64 v[194:195], v[184:185], v[174:175]
	v_add_f64 v[4:5], v[4:5], v[6:7]
	v_mul_f64 v[6:7], v[150:151], v[122:123]
	v_fmac_f64_e32 v[194:195], v[186:187], v[172:173]
	v_fma_f64 v[6:7], v[148:149], v[120:121], -v[6:7]
	v_add_f64 v[192:193], v[192:193], v[194:195]
	;; [unrolled: 7-line block ×3, first 2 shown]
	ds_read_b128 v[192:195], v2 offset:1856
	v_add_f64 v[4:5], v[4:5], v[6:7]
	v_mul_f64 v[6:7], v[190:191], v[130:131]
	v_fma_f64 v[6:7], v[188:189], v[128:129], -v[6:7]
	v_add_f64 v[4:5], v[4:5], v[6:7]
	v_mul_f64 v[6:7], v[158:159], v[138:139]
	v_fma_f64 v[6:7], v[156:157], v[136:137], -v[6:7]
	v_add_f64 v[4:5], v[4:5], v[6:7]
	v_mul_f64 v[6:7], v[162:163], v[134:135]
	s_waitcnt vmcnt(2) lgkmcnt(0)
	v_mul_f64 v[198:199], v[192:193], v[182:183]
	v_fma_f64 v[6:7], v[160:161], v[132:133], -v[6:7]
	v_fmac_f64_e32 v[198:199], v[194:195], v[180:181]
	v_add_f64 v[4:5], v[4:5], v[6:7]
	v_mul_f64 v[6:7], v[186:187], v[174:175]
	v_add_f64 v[252:253], v[196:197], v[198:199]
	ds_read_b128 v[196:199], v2 offset:1872
	v_fma_f64 v[6:7], v[184:185], v[172:173], -v[6:7]
	v_add_f64 v[4:5], v[4:5], v[6:7]
	v_mul_f64 v[6:7], v[166:167], v[178:179]
	v_fma_f64 v[6:7], v[164:165], v[176:177], -v[6:7]
	v_add_f64 v[4:5], v[4:5], v[6:7]
	v_mul_f64 v[6:7], v[194:195], v[182:183]
	v_fma_f64 v[6:7], v[192:193], v[180:181], -v[6:7]
	s_waitcnt vmcnt(1) lgkmcnt(0)
	v_mul_f64 v[2:3], v[196:197], v[206:207]
	v_add_f64 v[4:5], v[4:5], v[6:7]
	v_mul_f64 v[6:7], v[198:199], v[206:207]
	v_fmac_f64_e32 v[2:3], v[198:199], v[204:205]
	v_fma_f64 v[6:7], v[196:197], v[204:205], -v[6:7]
	v_add_f64 v[2:3], v[252:253], v[2:3]
	v_add_f64 v[4:5], v[4:5], v[6:7]
	s_waitcnt vmcnt(0)
	v_add_f64 v[4:5], v[248:249], -v[4:5]
	v_add_f64 v[6:7], v[250:251], -v[2:3]
	scratch_store_dwordx4 off, v[4:7], off offset:368
	s_and_saveexec_b64 s[0:1], vcc
	s_cbranch_execz .LBB58_325
; %bb.324:
	scratch_load_dwordx4 v[2:5], off, s60
	v_mov_b32_e32 v6, 0
	v_mov_b32_e32 v7, v6
	;; [unrolled: 1-line block ×4, first 2 shown]
	v_accvgpr_read_b32 v0, a119
	scratch_store_dwordx4 off, v[6:9], off offset:352
	s_waitcnt vmcnt(1)
	ds_write_b128 v0, v[2:5]
.LBB58_325:
	s_or_b64 exec, exec, s[0:1]
	s_waitcnt lgkmcnt(0)
	; wave barrier
	scratch_load_dwordx4 v[168:171], off, off offset:368
	scratch_load_dwordx4 v[172:175], off, off offset:384
	;; [unrolled: 1-line block ×32, first 2 shown]
	v_mov_b32_e32 v2, 0
	ds_read_b128 v[176:179], v2 offset:1296
	ds_read_b128 v[188:191], v2 offset:1312
	;; [unrolled: 1-line block ×17, first 2 shown]
	v_accvgpr_read_b32 v0, a118
	v_cmp_lt_u32_e32 vcc, 20, v0
	s_waitcnt vmcnt(31) lgkmcnt(14)
	v_mul_f64 v[104:105], v[176:177], v[170:171]
	s_waitcnt vmcnt(30)
	v_mul_f64 v[106:107], v[188:189], v[174:175]
	v_fmac_f64_e32 v[104:105], v[178:179], v[168:169]
	s_waitcnt vmcnt(29)
	v_mul_f64 v[108:109], v[200:201], v[182:183]
	v_fmac_f64_e32 v[106:107], v[190:191], v[172:173]
	v_add_f64 v[104:105], v[104:105], 0
	s_waitcnt vmcnt(28) lgkmcnt(13)
	v_mul_f64 v[110:111], v[212:213], v[186:187]
	v_fmac_f64_e32 v[108:109], v[202:203], v[180:181]
	v_add_f64 v[104:105], v[104:105], v[106:107]
	s_waitcnt vmcnt(27) lgkmcnt(12)
	;; [unrolled: 4-line block ×12, first 2 shown]
	v_mul_f64 v[156:157], v[112:113], v[26:27]
	v_fmac_f64_e32 v[154:155], v[118:119], v[20:21]
	v_add_f64 v[104:105], v[104:105], v[152:153]
	v_fmac_f64_e32 v[156:157], v[114:115], v[24:25]
	v_add_f64 v[104:105], v[104:105], v[154:155]
	s_waitcnt vmcnt(16) lgkmcnt(1)
	v_mul_f64 v[106:107], v[100:101], v[30:31]
	v_add_f64 v[104:105], v[104:105], v[156:157]
	v_fmac_f64_e32 v[106:107], v[102:103], v[28:29]
	v_add_f64 v[108:109], v[104:105], v[106:107]
	ds_read_b128 v[144:147], v2 offset:1568
	ds_read_b128 v[148:151], v2 offset:1584
	scratch_load_dwordx4 v[104:107], off, off offset:880
	s_waitcnt vmcnt(16) lgkmcnt(2)
	v_mul_f64 v[110:111], v[96:97], v[34:35]
	v_fmac_f64_e32 v[110:111], v[98:99], v[32:33]
	v_add_f64 v[120:121], v[108:109], v[110:111]
	scratch_load_dwordx4 v[108:111], off, off offset:896
	s_waitcnt vmcnt(16) lgkmcnt(1)
	v_mul_f64 v[122:123], v[144:145], v[38:39]
	v_fmac_f64_e32 v[122:123], v[146:147], v[36:37]
	v_add_f64 v[132:133], v[120:121], v[122:123]
	s_waitcnt vmcnt(15) lgkmcnt(0)
	v_mul_f64 v[134:135], v[148:149], v[42:43]
	scratch_load_dwordx4 v[120:123], off, off offset:912
	v_fmac_f64_e32 v[134:135], v[150:151], v[40:41]
	v_add_f64 v[160:161], v[132:133], v[134:135]
	scratch_load_dwordx4 v[132:135], off, off offset:928
	ds_read_b128 v[152:155], v2 offset:1600
	ds_read_b128 v[156:159], v2 offset:1616
	v_mul_f64 v[170:171], v[178:179], v[170:171]
	v_fma_f64 v[240:241], v[176:177], v[168:169], -v[170:171]
	ds_read_b128 v[168:171], v2 offset:1664
	s_waitcnt vmcnt(16) lgkmcnt(2)
	v_mul_f64 v[162:163], v[152:153], v[46:47]
	v_fmac_f64_e32 v[162:163], v[154:155], v[44:45]
	s_waitcnt vmcnt(15) lgkmcnt(1)
	v_mul_f64 v[166:167], v[156:157], v[50:51]
	v_add_f64 v[164:165], v[160:161], v[162:163]
	ds_read_b128 v[160:163], v2 offset:1632
	v_fmac_f64_e32 v[166:167], v[158:159], v[48:49]
	v_add_f64 v[232:233], v[164:165], v[166:167]
	ds_read_b128 v[164:167], v2 offset:1648
	v_mul_f64 v[174:175], v[190:191], v[174:175]
	s_waitcnt vmcnt(14) lgkmcnt(1)
	v_mul_f64 v[234:235], v[160:161], v[54:55]
	v_fmac_f64_e32 v[234:235], v[162:163], v[52:53]
	v_add_f64 v[232:233], v[232:233], v[234:235]
	s_waitcnt vmcnt(13) lgkmcnt(0)
	v_mul_f64 v[176:177], v[164:165], v[58:59]
	v_fmac_f64_e32 v[176:177], v[166:167], v[56:57]
	v_fma_f64 v[242:243], v[188:189], v[172:173], -v[174:175]
	ds_read_b128 v[172:175], v2 offset:1680
	s_waitcnt vmcnt(12)
	v_mul_f64 v[178:179], v[168:169], v[62:63]
	v_add_f64 v[176:177], v[232:233], v[176:177]
	v_fmac_f64_e32 v[178:179], v[170:171], v[60:61]
	v_add_f64 v[188:189], v[176:177], v[178:179]
	ds_read_b128 v[176:179], v2 offset:1696
	v_mul_f64 v[182:183], v[202:203], v[182:183]
	v_fma_f64 v[254:255], v[200:201], v[180:181], -v[182:183]
	ds_read_b128 v[180:183], v2 offset:1712
	s_waitcnt vmcnt(11) lgkmcnt(2)
	v_mul_f64 v[190:191], v[172:173], v[66:67]
	v_fmac_f64_e32 v[190:191], v[174:175], v[64:65]
	v_add_f64 v[188:189], v[188:189], v[190:191]
	s_waitcnt vmcnt(10) lgkmcnt(1)
	v_mul_f64 v[190:191], v[176:177], v[70:71]
	v_fmac_f64_e32 v[190:191], v[178:179], v[68:69]
	v_mul_f64 v[186:187], v[214:215], v[186:187]
	v_fma_f64 v[244:245], v[212:213], v[184:185], -v[186:187]
	ds_read_b128 v[184:187], v2 offset:1728
	v_add_f64 v[188:189], v[188:189], v[190:191]
	s_waitcnt vmcnt(9) lgkmcnt(1)
	v_mul_f64 v[190:191], v[180:181], v[74:75]
	v_fmac_f64_e32 v[190:191], v[182:183], v[72:73]
	v_add_f64 v[200:201], v[188:189], v[190:191]
	ds_read_b128 v[188:191], v2 offset:1744
	v_mul_f64 v[194:195], v[222:223], v[194:195]
	v_fma_f64 v[232:233], v[220:221], v[192:193], -v[194:195]
	ds_read_b128 v[192:195], v2 offset:1760
	s_waitcnt vmcnt(8) lgkmcnt(2)
	v_mul_f64 v[202:203], v[184:185], v[78:79]
	v_fmac_f64_e32 v[202:203], v[186:187], v[76:77]
	v_add_f64 v[200:201], v[200:201], v[202:203]
	s_waitcnt vmcnt(7) lgkmcnt(1)
	v_mul_f64 v[202:203], v[188:189], v[82:83]
	v_fmac_f64_e32 v[202:203], v[190:191], v[80:81]
	v_mul_f64 v[198:199], v[226:227], v[198:199]
	v_add_f64 v[200:201], v[200:201], v[202:203]
	v_fma_f64 v[234:235], v[224:225], v[196:197], -v[198:199]
	ds_read_b128 v[196:199], v2 offset:1776
	s_waitcnt vmcnt(6) lgkmcnt(1)
	v_mul_f64 v[202:203], v[192:193], v[86:87]
	v_fmac_f64_e32 v[202:203], v[194:195], v[84:85]
	v_add_f64 v[212:213], v[200:201], v[202:203]
	ds_read_b128 v[200:203], v2 offset:1792
	v_mul_f64 v[206:207], v[230:231], v[206:207]
	v_fma_f64 v[236:237], v[228:229], v[204:205], -v[206:207]
	ds_read_b128 v[204:207], v2 offset:1808
	s_waitcnt vmcnt(5) lgkmcnt(2)
	v_mul_f64 v[214:215], v[196:197], v[94:95]
	v_fmac_f64_e32 v[214:215], v[198:199], v[92:93]
	v_add_f64 v[212:213], v[212:213], v[214:215]
	s_waitcnt vmcnt(4) lgkmcnt(1)
	v_mul_f64 v[214:215], v[200:201], v[90:91]
	v_fmac_f64_e32 v[214:215], v[202:203], v[88:89]
	v_mul_f64 v[210:211], v[248:249], v[210:211]
	v_fma_f64 v[238:239], v[246:247], v[208:209], -v[210:211]
	ds_read_b128 v[208:211], v2 offset:1824
	v_add_f64 v[212:213], v[212:213], v[214:215]
	s_waitcnt vmcnt(3) lgkmcnt(1)
	v_mul_f64 v[214:215], v[204:205], v[106:107]
	v_fmac_f64_e32 v[214:215], v[206:207], v[104:105]
	v_add_f64 v[220:221], v[212:213], v[214:215]
	ds_read_b128 v[212:215], v2 offset:1840
	v_mul_f64 v[218:219], v[252:253], v[218:219]
	v_fma_f64 v[246:247], v[250:251], v[216:217], -v[218:219]
	ds_read_b128 v[216:219], v2 offset:1856
	ds_read_b128 v[224:227], v2 offset:1872
	s_waitcnt vmcnt(2) lgkmcnt(3)
	v_mul_f64 v[222:223], v[208:209], v[110:111]
	v_fmac_f64_e32 v[222:223], v[210:211], v[108:109]
	v_add_f64 v[220:221], v[220:221], v[222:223]
	s_waitcnt vmcnt(1) lgkmcnt(2)
	v_mul_f64 v[222:223], v[212:213], v[122:123]
	v_fmac_f64_e32 v[222:223], v[214:215], v[120:121]
	v_add_f64 v[220:221], v[220:221], v[222:223]
	;; [unrolled: 4-line block ×3, first 2 shown]
	scratch_load_dwordx4 v[220:223], off, off offset:944
	v_mul_f64 v[6:7], v[142:143], v[6:7]
	v_fma_f64 v[4:5], v[140:141], v[4:5], -v[6:7]
	v_mul_f64 v[6:7], v[138:139], v[10:11]
	v_fma_f64 v[6:7], v[136:137], v[8:9], -v[6:7]
	s_waitcnt vmcnt(0) lgkmcnt(0)
	v_mul_f64 v[230:231], v[224:225], v[222:223]
	v_fmac_f64_e32 v[230:231], v[226:227], v[220:221]
	v_add_f64 v[250:251], v[228:229], v[230:231]
	v_add_f64 v[228:229], v[240:241], 0
	;; [unrolled: 1-line block ×6, first 2 shown]
	scratch_load_dwordx4 v[228:231], off, off offset:352
	v_add_f64 v[232:233], v[248:249], v[234:235]
	v_add_f64 v[232:233], v[232:233], v[236:237]
	;; [unrolled: 1-line block ×6, first 2 shown]
	v_mul_f64 v[6:7], v[130:131], v[14:15]
	v_fma_f64 v[6:7], v[128:129], v[12:13], -v[6:7]
	v_add_f64 v[4:5], v[4:5], v[6:7]
	v_mul_f64 v[6:7], v[126:127], v[18:19]
	v_fma_f64 v[6:7], v[124:125], v[16:17], -v[6:7]
	v_add_f64 v[4:5], v[4:5], v[6:7]
	;; [unrolled: 3-line block ×26, first 2 shown]
	s_waitcnt vmcnt(0)
	v_add_f64 v[4:5], v[228:229], -v[4:5]
	v_add_f64 v[6:7], v[230:231], -v[250:251]
	scratch_store_dwordx4 off, v[4:7], off offset:352
	s_and_saveexec_b64 s[0:1], vcc
	s_cbranch_execz .LBB58_327
; %bb.326:
	scratch_load_dwordx4 v[6:9], off, s59
	v_mov_b32_e32 v3, v2
	v_mov_b32_e32 v4, v2
	;; [unrolled: 1-line block ×3, first 2 shown]
	v_accvgpr_read_b32 v0, a119
	scratch_store_dwordx4 off, v[2:5], off offset:336
	s_waitcnt vmcnt(1)
	ds_write_b128 v0, v[6:9]
.LBB58_327:
	s_or_b64 exec, exec, s[0:1]
	s_waitcnt lgkmcnt(0)
	; wave barrier
	scratch_load_dwordx4 v[168:171], off, off offset:352
	scratch_load_dwordx4 v[172:175], off, off offset:368
	;; [unrolled: 1-line block ×16, first 2 shown]
	ds_read_b128 v[232:235], v2 offset:1280
	ds_read_b128 v[176:179], v2 offset:1296
	scratch_load_dwordx4 v[32:35], off, off offset:608
	ds_read_b128 v[236:239], v2 offset:1312
	ds_read_b128 v[188:191], v2 offset:1328
	;; [unrolled: 1-line block ×5, first 2 shown]
	scratch_load_dwordx4 v[36:39], off, off offset:624
	ds_read_b128 v[224:227], v2 offset:1392
	ds_read_b128 v[220:223], v2 offset:1408
	;; [unrolled: 1-line block ×3, first 2 shown]
	scratch_load_dwordx4 v[40:43], off, off offset:640
	ds_read_b128 v[64:67], v2 offset:1440
	ds_read_b128 v[60:63], v2 offset:1456
	;; [unrolled: 1-line block ×4, first 2 shown]
	scratch_load_dwordx4 v[48:51], off, off offset:656
	ds_read_b128 v[80:83], v2 offset:1504
	ds_read_b128 v[72:75], v2 offset:1520
	;; [unrolled: 1-line block ×3, first 2 shown]
	scratch_load_dwordx4 v[76:79], off, off offset:672
	scratch_load_dwordx4 v[84:87], off, off offset:688
	;; [unrolled: 1-line block ×12, first 2 shown]
	v_accvgpr_read_b32 v0, a118
	v_cmp_lt_u32_e32 vcc, 19, v0
	s_waitcnt vmcnt(31) lgkmcnt(14)
	v_mul_f64 v[128:129], v[232:233], v[170:171]
	s_waitcnt vmcnt(30)
	v_mul_f64 v[130:131], v[176:177], v[174:175]
	v_fmac_f64_e32 v[128:129], v[234:235], v[168:169]
	s_waitcnt vmcnt(29)
	v_mul_f64 v[132:133], v[236:237], v[182:183]
	v_fmac_f64_e32 v[130:131], v[178:179], v[172:173]
	v_add_f64 v[128:129], v[128:129], 0
	s_waitcnt vmcnt(28) lgkmcnt(13)
	v_mul_f64 v[134:135], v[188:189], v[186:187]
	v_fmac_f64_e32 v[132:133], v[238:239], v[180:181]
	v_add_f64 v[128:129], v[128:129], v[130:131]
	s_waitcnt vmcnt(27) lgkmcnt(12)
	;; [unrolled: 4-line block ×13, first 2 shown]
	v_mul_f64 v[158:159], v[72:73], v[30:31]
	v_fmac_f64_e32 v[156:157], v[82:83], v[24:25]
	v_add_f64 v[128:129], v[128:129], v[154:155]
	v_add_f64 v[128:129], v[128:129], v[156:157]
	v_fmac_f64_e32 v[158:159], v[74:75], v[28:29]
	v_add_f64 v[132:133], v[128:129], v[158:159]
	ds_read_b128 v[144:147], v2 offset:1552
	ds_read_b128 v[148:151], v2 offset:1568
	scratch_load_dwordx4 v[128:131], off, off offset:864
	s_waitcnt vmcnt(16) lgkmcnt(2)
	v_mul_f64 v[134:135], v[68:69], v[34:35]
	v_fmac_f64_e32 v[134:135], v[70:71], v[32:33]
	s_waitcnt vmcnt(15) lgkmcnt(1)
	v_mul_f64 v[138:139], v[144:145], v[38:39]
	v_add_f64 v[136:137], v[132:133], v[134:135]
	scratch_load_dwordx4 v[132:135], off, off offset:880
	v_fmac_f64_e32 v[138:139], v[146:147], v[36:37]
	v_add_f64 v[140:141], v[136:137], v[138:139]
	s_waitcnt vmcnt(15) lgkmcnt(0)
	v_mul_f64 v[142:143], v[148:149], v[42:43]
	scratch_load_dwordx4 v[136:139], off, off offset:896
	v_fmac_f64_e32 v[142:143], v[150:151], v[40:41]
	v_add_f64 v[160:161], v[140:141], v[142:143]
	scratch_load_dwordx4 v[140:143], off, off offset:912
	ds_read_b128 v[152:155], v2 offset:1584
	ds_read_b128 v[156:159], v2 offset:1600
	v_mul_f64 v[170:171], v[234:235], v[170:171]
	v_mul_f64 v[174:175], v[178:179], v[174:175]
	;; [unrolled: 1-line block ×3, first 2 shown]
	s_waitcnt vmcnt(16) lgkmcnt(1)
	v_mul_f64 v[162:163], v[152:153], v[50:51]
	v_fmac_f64_e32 v[162:163], v[154:155], v[48:49]
	v_add_f64 v[164:165], v[160:161], v[162:163]
	ds_read_b128 v[160:163], v2 offset:1616
	s_waitcnt vmcnt(15) lgkmcnt(1)
	v_mul_f64 v[166:167], v[156:157], v[78:79]
	v_fmac_f64_e32 v[166:167], v[158:159], v[76:77]
	v_add_f64 v[240:241], v[164:165], v[166:167]
	ds_read_b128 v[164:167], v2 offset:1632
	s_waitcnt vmcnt(14) lgkmcnt(1)
	v_mul_f64 v[242:243], v[160:161], v[86:87]
	v_fmac_f64_e32 v[242:243], v[162:163], v[84:85]
	v_add_f64 v[240:241], v[240:241], v[242:243]
	v_fma_f64 v[242:243], v[232:233], v[168:169], -v[170:171]
	ds_read_b128 v[168:171], v2 offset:1648
	s_waitcnt vmcnt(13) lgkmcnt(1)
	v_mul_f64 v[232:233], v[164:165], v[90:91]
	v_fmac_f64_e32 v[232:233], v[166:167], v[88:89]
	v_add_f64 v[232:233], v[240:241], v[232:233]
	v_fma_f64 v[240:241], v[176:177], v[172:173], -v[174:175]
	ds_read_b128 v[172:175], v2 offset:1664
	s_waitcnt vmcnt(12) lgkmcnt(1)
	v_mul_f64 v[176:177], v[168:169], v[94:95]
	v_fmac_f64_e32 v[176:177], v[170:171], v[92:93]
	v_add_f64 v[232:233], v[232:233], v[176:177]
	ds_read_b128 v[176:179], v2 offset:1680
	v_fma_f64 v[236:237], v[236:237], v[180:181], -v[182:183]
	ds_read_b128 v[180:183], v2 offset:1696
	s_waitcnt vmcnt(11) lgkmcnt(2)
	v_mul_f64 v[234:235], v[172:173], v[98:99]
	v_fmac_f64_e32 v[234:235], v[174:175], v[96:97]
	v_add_f64 v[232:233], v[232:233], v[234:235]
	s_waitcnt vmcnt(10) lgkmcnt(1)
	v_mul_f64 v[234:235], v[176:177], v[102:103]
	v_fmac_f64_e32 v[234:235], v[178:179], v[100:101]
	v_mul_f64 v[186:187], v[190:191], v[186:187]
	s_waitcnt vmcnt(9) lgkmcnt(0)
	v_mul_f64 v[190:191], v[180:181], v[106:107]
	v_fma_f64 v[238:239], v[188:189], v[184:185], -v[186:187]
	ds_read_b128 v[184:187], v2 offset:1712
	v_add_f64 v[188:189], v[232:233], v[234:235]
	v_fmac_f64_e32 v[190:191], v[182:183], v[104:105]
	v_add_f64 v[232:233], v[188:189], v[190:191]
	ds_read_b128 v[188:191], v2 offset:1728
	v_mul_f64 v[194:195], v[230:231], v[194:195]
	v_fma_f64 v[244:245], v[228:229], v[192:193], -v[194:195]
	ds_read_b128 v[192:195], v2 offset:1744
	s_waitcnt vmcnt(8) lgkmcnt(2)
	v_mul_f64 v[234:235], v[184:185], v[110:111]
	v_fmac_f64_e32 v[234:235], v[186:187], v[108:109]
	s_waitcnt vmcnt(7) lgkmcnt(1)
	v_mul_f64 v[228:229], v[188:189], v[114:115]
	v_mul_f64 v[198:199], v[202:203], v[198:199]
	v_add_f64 v[232:233], v[232:233], v[234:235]
	v_fmac_f64_e32 v[228:229], v[190:191], v[112:113]
	v_fma_f64 v[250:251], v[200:201], v[196:197], -v[198:199]
	ds_read_b128 v[196:199], v2 offset:1760
	s_waitcnt vmcnt(6) lgkmcnt(1)
	v_mul_f64 v[200:201], v[192:193], v[118:119]
	v_add_f64 v[228:229], v[232:233], v[228:229]
	v_fmac_f64_e32 v[200:201], v[194:195], v[116:117]
	v_add_f64 v[228:229], v[228:229], v[200:201]
	ds_read_b128 v[200:203], v2 offset:1776
	v_mul_f64 v[206:207], v[214:215], v[206:207]
	v_add_f64 v[242:243], v[242:243], 0
	v_fma_f64 v[252:253], v[212:213], v[204:205], -v[206:207]
	ds_read_b128 v[204:207], v2 offset:1792
	v_add_f64 v[240:241], v[242:243], v[240:241]
	v_add_f64 v[236:237], v[240:241], v[236:237]
	;; [unrolled: 1-line block ×3, first 2 shown]
	s_waitcnt vmcnt(5) lgkmcnt(2)
	v_mul_f64 v[230:231], v[196:197], v[126:127]
	v_add_f64 v[236:237], v[236:237], v[244:245]
	v_fmac_f64_e32 v[230:231], v[198:199], v[124:125]
	s_waitcnt vmcnt(4) lgkmcnt(1)
	v_mul_f64 v[212:213], v[200:201], v[122:123]
	v_add_f64 v[236:237], v[236:237], v[250:251]
	v_add_f64 v[228:229], v[228:229], v[230:231]
	v_fmac_f64_e32 v[212:213], v[202:203], v[120:121]
	v_mul_f64 v[210:211], v[226:227], v[210:211]
	v_add_f64 v[250:251], v[236:237], v[252:253]
	scratch_load_dwordx4 v[236:239], off, off offset:336
	s_waitcnt vmcnt(4) lgkmcnt(0)
	v_mul_f64 v[214:215], v[204:205], v[130:131]
	v_fma_f64 v[246:247], v[224:225], v[208:209], -v[210:211]
	ds_read_b128 v[208:211], v2 offset:1808
	v_add_f64 v[212:213], v[228:229], v[212:213]
	v_fmac_f64_e32 v[214:215], v[206:207], v[128:129]
	v_add_f64 v[224:225], v[212:213], v[214:215]
	ds_read_b128 v[212:215], v2 offset:1824
	v_mul_f64 v[218:219], v[222:223], v[218:219]
	v_fma_f64 v[248:249], v[220:221], v[216:217], -v[218:219]
	ds_read_b128 v[216:219], v2 offset:1840
	s_waitcnt vmcnt(3) lgkmcnt(2)
	v_mul_f64 v[220:221], v[208:209], v[134:135]
	v_fmac_f64_e32 v[220:221], v[210:211], v[132:133]
	s_waitcnt vmcnt(2) lgkmcnt(1)
	v_mul_f64 v[222:223], v[212:213], v[138:139]
	v_add_f64 v[220:221], v[224:225], v[220:221]
	v_fmac_f64_e32 v[222:223], v[214:215], v[136:137]
	v_add_f64 v[220:221], v[220:221], v[222:223]
	ds_read_b128 v[224:227], v2 offset:1856
	scratch_load_dwordx4 v[232:235], off, off offset:944
	s_waitcnt vmcnt(2) lgkmcnt(1)
	v_mul_f64 v[222:223], v[216:217], v[142:143]
	v_fmac_f64_e32 v[222:223], v[218:219], v[140:141]
	v_add_f64 v[228:229], v[220:221], v[222:223]
	scratch_load_dwordx4 v[220:223], off, off offset:928
	v_add_f64 v[240:241], v[250:251], v[246:247]
	v_mul_f64 v[6:7], v[46:47], v[6:7]
	v_add_f64 v[240:241], v[240:241], v[248:249]
	v_fma_f64 v[4:5], v[44:45], v[4:5], -v[6:7]
	v_mul_f64 v[6:7], v[66:67], v[10:11]
	v_add_f64 v[4:5], v[240:241], v[4:5]
	v_fma_f64 v[6:7], v[64:65], v[8:9], -v[6:7]
	v_add_f64 v[4:5], v[4:5], v[6:7]
	v_mul_f64 v[6:7], v[62:63], v[14:15]
	v_fma_f64 v[6:7], v[60:61], v[12:13], -v[6:7]
	v_add_f64 v[4:5], v[4:5], v[6:7]
	v_mul_f64 v[6:7], v[58:59], v[18:19]
	;; [unrolled: 3-line block ×24, first 2 shown]
	v_fma_f64 v[6:7], v[212:213], v[136:137], -v[6:7]
	s_waitcnt vmcnt(0) lgkmcnt(0)
	v_mul_f64 v[230:231], v[224:225], v[222:223]
	v_fmac_f64_e32 v[230:231], v[226:227], v[220:221]
	v_add_f64 v[254:255], v[228:229], v[230:231]
	ds_read_b128 v[228:231], v2 offset:1872
	v_add_f64 v[4:5], v[4:5], v[6:7]
	v_mul_f64 v[6:7], v[218:219], v[142:143]
	v_fma_f64 v[6:7], v[216:217], v[140:141], -v[6:7]
	v_add_f64 v[4:5], v[4:5], v[6:7]
	v_mul_f64 v[6:7], v[226:227], v[222:223]
	v_fma_f64 v[6:7], v[224:225], v[220:221], -v[6:7]
	s_waitcnt lgkmcnt(0)
	v_mul_f64 v[2:3], v[228:229], v[234:235]
	v_add_f64 v[4:5], v[4:5], v[6:7]
	v_mul_f64 v[6:7], v[230:231], v[234:235]
	v_fmac_f64_e32 v[2:3], v[230:231], v[232:233]
	v_fma_f64 v[6:7], v[228:229], v[232:233], -v[6:7]
	v_add_f64 v[2:3], v[254:255], v[2:3]
	v_add_f64 v[4:5], v[4:5], v[6:7]
	v_add_f64 v[4:5], v[236:237], -v[4:5]
	v_add_f64 v[6:7], v[238:239], -v[2:3]
	scratch_store_dwordx4 off, v[4:7], off offset:336
	s_and_saveexec_b64 s[0:1], vcc
	s_cbranch_execz .LBB58_329
; %bb.328:
	scratch_load_dwordx4 v[2:5], off, s58
	v_mov_b32_e32 v6, 0
	v_mov_b32_e32 v7, v6
	;; [unrolled: 1-line block ×4, first 2 shown]
	v_accvgpr_read_b32 v0, a119
	scratch_store_dwordx4 off, v[6:9], off offset:320
	s_waitcnt vmcnt(1)
	ds_write_b128 v0, v[2:5]
.LBB58_329:
	s_or_b64 exec, exec, s[0:1]
	s_waitcnt lgkmcnt(0)
	; wave barrier
	scratch_load_dwordx4 v[80:83], off, off offset:336
	scratch_load_dwordx4 v[84:87], off, off offset:352
	scratch_load_dwordx4 v[88:91], off, off offset:368
	scratch_load_dwordx4 v[92:95], off, off offset:384
	scratch_load_dwordx4 v[96:99], off, off offset:400
	scratch_load_dwordx4 v[100:103], off, off offset:416
	scratch_load_dwordx4 v[104:107], off, off offset:432
	scratch_load_dwordx4 v[108:111], off, off offset:448
	scratch_load_dwordx4 v[112:115], off, off offset:464
	scratch_load_dwordx4 v[116:119], off, off offset:480
	scratch_load_dwordx4 v[120:123], off, off offset:496
	scratch_load_dwordx4 v[234:237], off, off offset:512
	scratch_load_dwordx4 v[8:11], off, off offset:528
	scratch_load_dwordx4 v[12:15], off, off offset:544
	scratch_load_dwordx4 v[16:19], off, off offset:560
	scratch_load_dwordx4 v[20:23], off, off offset:576
	scratch_load_dwordx4 v[24:27], off, off offset:592
	scratch_load_dwordx4 v[28:31], off, off offset:608
	scratch_load_dwordx4 v[32:35], off, off offset:624
	scratch_load_dwordx4 v[36:39], off, off offset:640
	scratch_load_dwordx4 v[40:43], off, off offset:656
	scratch_load_dwordx4 v[44:47], off, off offset:672
	scratch_load_dwordx4 v[48:51], off, off offset:688
	scratch_load_dwordx4 v[52:55], off, off offset:704
	scratch_load_dwordx4 v[56:59], off, off offset:720
	scratch_load_dwordx4 v[60:63], off, off offset:736
	scratch_load_dwordx4 v[64:67], off, off offset:752
	scratch_load_dwordx4 v[68:71], off, off offset:768
	scratch_load_dwordx4 v[72:75], off, off offset:784
	scratch_load_dwordx4 v[76:79], off, off offset:800
	scratch_load_dwordx4 v[124:127], off, off offset:816
	v_mov_b32_e32 v2, 0
	ds_read_b128 v[196:199], v2 offset:1264
	ds_read_b128 v[200:203], v2 offset:1280
	ds_read_b128 v[204:207], v2 offset:1296
	ds_read_b128 v[208:211], v2 offset:1312
	ds_read_b128 v[212:215], v2 offset:1328
	ds_read_b128 v[216:219], v2 offset:1344
	ds_read_b128 v[220:223], v2 offset:1360
	ds_read_b128 v[224:227], v2 offset:1376
	ds_read_b128 v[228:231], v2 offset:1392
	ds_read_b128 v[246:249], v2 offset:1408
	ds_read_b128 v[250:253], v2 offset:1424
	ds_read_b128 v[156:159], v2 offset:1440
	ds_read_b128 v[148:151], v2 offset:1456
	ds_read_b128 v[144:147], v2 offset:1472
	ds_read_b128 v[136:139], v2 offset:1488
	ds_read_b128 v[132:135], v2 offset:1504
	ds_read_b128 v[128:131], v2 offset:1520
	ds_read_b128 v[184:187], v2 offset:1568
	ds_read_b128 v[188:191], v2 offset:1584
	ds_read_b128 v[192:195], v2 offset:1600
	s_waitcnt vmcnt(30) lgkmcnt(14)
	v_mul_f64 v[140:141], v[196:197], v[82:83]
	s_waitcnt vmcnt(29)
	v_mul_f64 v[142:143], v[200:201], v[86:87]
	v_fmac_f64_e32 v[140:141], v[198:199], v[80:81]
	s_waitcnt vmcnt(28)
	v_mul_f64 v[152:153], v[204:205], v[90:91]
	v_fmac_f64_e32 v[142:143], v[202:203], v[84:85]
	v_add_f64 v[140:141], v[140:141], 0
	s_waitcnt vmcnt(27)
	v_mul_f64 v[154:155], v[208:209], v[94:95]
	v_fmac_f64_e32 v[152:153], v[206:207], v[88:89]
	v_add_f64 v[140:141], v[140:141], v[142:143]
	;; [unrolled: 4-line block ×4, first 2 shown]
	s_waitcnt vmcnt(24) lgkmcnt(13)
	v_mul_f64 v[164:165], v[220:221], v[106:107]
	v_fmac_f64_e32 v[162:163], v[218:219], v[100:101]
	v_add_f64 v[140:141], v[140:141], v[160:161]
	s_waitcnt vmcnt(23) lgkmcnt(12)
	v_mul_f64 v[166:167], v[224:225], v[110:111]
	v_fmac_f64_e32 v[164:165], v[222:223], v[104:105]
	v_add_f64 v[140:141], v[140:141], v[162:163]
	s_waitcnt vmcnt(22) lgkmcnt(11)
	v_mul_f64 v[168:169], v[228:229], v[114:115]
	v_fmac_f64_e32 v[166:167], v[226:227], v[108:109]
	v_add_f64 v[140:141], v[140:141], v[164:165]
	s_waitcnt vmcnt(21) lgkmcnt(10)
	v_mul_f64 v[170:171], v[246:247], v[118:119]
	v_fmac_f64_e32 v[168:169], v[230:231], v[112:113]
	v_add_f64 v[140:141], v[140:141], v[166:167]
	s_waitcnt vmcnt(20) lgkmcnt(9)
	v_mul_f64 v[172:173], v[250:251], v[122:123]
	v_fmac_f64_e32 v[170:171], v[248:249], v[116:117]
	v_add_f64 v[140:141], v[140:141], v[168:169]
	s_waitcnt vmcnt(19) lgkmcnt(8)
	v_mul_f64 v[174:175], v[156:157], v[236:237]
	v_fmac_f64_e32 v[172:173], v[252:253], v[120:121]
	v_add_f64 v[140:141], v[140:141], v[170:171]
	s_waitcnt vmcnt(18) lgkmcnt(7)
	v_mul_f64 v[176:177], v[148:149], v[10:11]
	v_fmac_f64_e32 v[174:175], v[158:159], v[234:235]
	v_add_f64 v[140:141], v[140:141], v[172:173]
	s_waitcnt vmcnt(17) lgkmcnt(6)
	v_mul_f64 v[178:179], v[144:145], v[14:15]
	v_fmac_f64_e32 v[176:177], v[150:151], v[8:9]
	v_add_f64 v[140:141], v[140:141], v[174:175]
	v_fmac_f64_e32 v[178:179], v[146:147], v[12:13]
	v_add_f64 v[140:141], v[140:141], v[176:177]
	v_add_f64 v[140:141], v[140:141], v[178:179]
	ds_read_b128 v[176:179], v2 offset:1536
	s_waitcnt vmcnt(16) lgkmcnt(6)
	v_mul_f64 v[180:181], v[136:137], v[18:19]
	s_waitcnt vmcnt(15) lgkmcnt(5)
	v_mul_f64 v[182:183], v[132:133], v[22:23]
	v_fmac_f64_e32 v[180:181], v[138:139], v[16:17]
	v_add_f64 v[152:153], v[140:141], v[180:181]
	v_fmac_f64_e32 v[182:183], v[134:135], v[20:21]
	scratch_load_dwordx4 v[140:143], off, off offset:832
	s_waitcnt vmcnt(15) lgkmcnt(4)
	v_mul_f64 v[154:155], v[128:129], v[26:27]
	v_add_f64 v[152:153], v[152:153], v[182:183]
	v_fmac_f64_e32 v[154:155], v[130:131], v[24:25]
	v_add_f64 v[160:161], v[152:153], v[154:155]
	ds_read_b128 v[180:183], v2 offset:1552
	s_waitcnt vmcnt(14) lgkmcnt(1)
	v_mul_f64 v[162:163], v[176:177], v[30:31]
	scratch_load_dwordx4 v[152:155], off, off offset:848
	v_fmac_f64_e32 v[162:163], v[178:179], v[28:29]
	v_add_f64 v[164:165], v[160:161], v[162:163]
	scratch_load_dwordx4 v[160:163], off, off offset:864
	s_waitcnt vmcnt(15) lgkmcnt(0)
	v_mul_f64 v[166:167], v[180:181], v[34:35]
	v_fmac_f64_e32 v[166:167], v[182:183], v[32:33]
	v_add_f64 v[168:169], v[164:165], v[166:167]
	s_waitcnt vmcnt(14)
	v_mul_f64 v[170:171], v[184:185], v[38:39]
	scratch_load_dwordx4 v[164:167], off, off offset:880
	v_fmac_f64_e32 v[170:171], v[186:187], v[36:37]
	v_add_f64 v[168:169], v[168:169], v[170:171]
	s_waitcnt vmcnt(14)
	v_mul_f64 v[170:171], v[188:189], v[42:43]
	scratch_load_dwordx4 v[172:175], off, off offset:896
	v_fmac_f64_e32 v[170:171], v[190:191], v[40:41]
	v_add_f64 v[232:233], v[168:169], v[170:171]
	scratch_load_dwordx4 v[168:171], off, off offset:912
	v_mul_f64 v[82:83], v[198:199], v[82:83]
	v_fma_f64 v[240:241], v[196:197], v[80:81], -v[82:83]
	ds_read_b128 v[196:199], v2 offset:1616
	s_waitcnt vmcnt(15)
	v_mul_f64 v[80:81], v[192:193], v[46:47]
	v_fmac_f64_e32 v[80:81], v[194:195], v[44:45]
	v_add_f64 v[232:233], v[232:233], v[80:81]
	v_mul_f64 v[80:81], v[202:203], v[86:87]
	v_fma_f64 v[242:243], v[200:201], v[84:85], -v[80:81]
	scratch_load_dwordx4 v[80:83], off, off offset:928
	ds_read_b128 v[84:87], v2 offset:1632
	v_mul_f64 v[90:91], v[206:207], v[90:91]
	v_fma_f64 v[244:245], v[204:205], v[88:89], -v[90:91]
	ds_read_b128 v[88:91], v2 offset:1648
	s_waitcnt vmcnt(15) lgkmcnt(2)
	v_mul_f64 v[200:201], v[196:197], v[50:51]
	v_fmac_f64_e32 v[200:201], v[198:199], v[48:49]
	s_waitcnt vmcnt(14) lgkmcnt(1)
	v_mul_f64 v[202:203], v[84:85], v[54:55]
	v_add_f64 v[200:201], v[232:233], v[200:201]
	v_fmac_f64_e32 v[202:203], v[86:87], v[52:53]
	v_mul_f64 v[94:95], v[210:211], v[94:95]
	v_fma_f64 v[254:255], v[208:209], v[92:93], -v[94:95]
	ds_read_b128 v[92:95], v2 offset:1664
	v_add_f64 v[200:201], v[200:201], v[202:203]
	s_waitcnt vmcnt(13) lgkmcnt(1)
	v_mul_f64 v[202:203], v[88:89], v[58:59]
	v_fmac_f64_e32 v[202:203], v[90:91], v[56:57]
	v_add_f64 v[204:205], v[200:201], v[202:203]
	ds_read_b128 v[200:203], v2 offset:1680
	v_mul_f64 v[98:99], v[214:215], v[98:99]
	v_fma_f64 v[232:233], v[212:213], v[96:97], -v[98:99]
	ds_read_b128 v[96:99], v2 offset:1696
	s_waitcnt vmcnt(12) lgkmcnt(2)
	v_mul_f64 v[206:207], v[92:93], v[62:63]
	v_fmac_f64_e32 v[206:207], v[94:95], v[60:61]
	v_add_f64 v[204:205], v[204:205], v[206:207]
	s_waitcnt vmcnt(11) lgkmcnt(1)
	v_mul_f64 v[206:207], v[200:201], v[66:67]
	v_fmac_f64_e32 v[206:207], v[202:203], v[64:65]
	v_mul_f64 v[102:103], v[218:219], v[102:103]
	v_add_f64 v[204:205], v[204:205], v[206:207]
	v_fma_f64 v[4:5], v[216:217], v[100:101], -v[102:103]
	ds_read_b128 v[100:103], v2 offset:1712
	s_waitcnt vmcnt(10) lgkmcnt(1)
	v_mul_f64 v[206:207], v[96:97], v[70:71]
	v_fmac_f64_e32 v[206:207], v[98:99], v[68:69]
	v_add_f64 v[208:209], v[204:205], v[206:207]
	ds_read_b128 v[204:207], v2 offset:1728
	v_mul_f64 v[106:107], v[222:223], v[106:107]
	v_fma_f64 v[0:1], v[220:221], v[104:105], -v[106:107]
	ds_read_b128 v[104:107], v2 offset:1744
	s_waitcnt vmcnt(9) lgkmcnt(2)
	v_mul_f64 v[210:211], v[100:101], v[74:75]
	v_fmac_f64_e32 v[210:211], v[102:103], v[72:73]
	v_add_f64 v[208:209], v[208:209], v[210:211]
	s_waitcnt vmcnt(8) lgkmcnt(1)
	v_mul_f64 v[210:211], v[204:205], v[78:79]
	v_fmac_f64_e32 v[210:211], v[206:207], v[76:77]
	v_mul_f64 v[6:7], v[226:227], v[110:111]
	v_fma_f64 v[6:7], v[224:225], v[108:109], -v[6:7]
	ds_read_b128 v[108:111], v2 offset:1760
	v_add_f64 v[208:209], v[208:209], v[210:211]
	s_waitcnt vmcnt(7) lgkmcnt(1)
	v_mul_f64 v[210:211], v[104:105], v[126:127]
	v_fmac_f64_e32 v[210:211], v[106:107], v[124:125]
	v_mul_f64 v[114:115], v[230:231], v[114:115]
	v_add_f64 v[212:213], v[208:209], v[210:211]
	ds_read_b128 v[208:211], v2 offset:1776
	v_fma_f64 v[112:113], v[228:229], v[112:113], -v[114:115]
	v_accvgpr_write_b32 a121, v113
	v_accvgpr_write_b32 a120, v112
	ds_read_b128 v[112:115], v2 offset:1792
	s_waitcnt vmcnt(6) lgkmcnt(2)
	v_mul_f64 v[214:215], v[108:109], v[142:143]
	v_fmac_f64_e32 v[214:215], v[110:111], v[140:141]
	v_add_f64 v[212:213], v[212:213], v[214:215]
	s_waitcnt vmcnt(5) lgkmcnt(1)
	v_mul_f64 v[214:215], v[208:209], v[154:155]
	v_fmac_f64_e32 v[214:215], v[210:211], v[152:153]
	v_mul_f64 v[118:119], v[248:249], v[118:119]
	v_add_f64 v[212:213], v[212:213], v[214:215]
	v_fma_f64 v[238:239], v[246:247], v[116:117], -v[118:119]
	ds_read_b128 v[116:119], v2 offset:1808
	s_waitcnt vmcnt(4) lgkmcnt(1)
	v_mul_f64 v[214:215], v[112:113], v[162:163]
	v_fmac_f64_e32 v[214:215], v[114:115], v[160:161]
	v_add_f64 v[216:217], v[212:213], v[214:215]
	ds_read_b128 v[212:215], v2 offset:1824
	v_mul_f64 v[122:123], v[252:253], v[122:123]
	v_fma_f64 v[246:247], v[250:251], v[120:121], -v[122:123]
	ds_read_b128 v[120:123], v2 offset:1840
	s_waitcnt vmcnt(3) lgkmcnt(2)
	v_mul_f64 v[218:219], v[116:117], v[166:167]
	v_fmac_f64_e32 v[218:219], v[118:119], v[164:165]
	v_add_f64 v[216:217], v[216:217], v[218:219]
	s_waitcnt vmcnt(2) lgkmcnt(1)
	v_mul_f64 v[218:219], v[212:213], v[174:175]
	v_fmac_f64_e32 v[218:219], v[214:215], v[172:173]
	v_add_f64 v[216:217], v[216:217], v[218:219]
	s_waitcnt vmcnt(1) lgkmcnt(0)
	v_mul_f64 v[218:219], v[120:121], v[170:171]
	v_fmac_f64_e32 v[218:219], v[122:123], v[168:169]
	v_add_f64 v[220:221], v[216:217], v[218:219]
	ds_read_b128 v[216:219], v2 offset:1856
	ds_read_b128 v[224:227], v2 offset:1872
	s_waitcnt vmcnt(0) lgkmcnt(1)
	v_mul_f64 v[222:223], v[216:217], v[82:83]
	v_fmac_f64_e32 v[222:223], v[218:219], v[80:81]
	v_add_f64 v[228:229], v[220:221], v[222:223]
	scratch_load_dwordx4 v[220:223], off, off offset:944
	s_waitcnt vmcnt(0) lgkmcnt(0)
	v_mul_f64 v[230:231], v[224:225], v[222:223]
	v_fmac_f64_e32 v[230:231], v[226:227], v[220:221]
	v_add_f64 v[250:251], v[228:229], v[230:231]
	v_add_f64 v[228:229], v[240:241], 0
	;; [unrolled: 1-line block ×7, first 2 shown]
	scratch_load_dwordx4 v[228:231], off, off offset:320
	v_add_f64 v[248:249], v[4:5], v[0:1]
	v_accvgpr_read_b32 v4, a120
	v_add_f64 v[0:1], v[248:249], v[6:7]
	v_accvgpr_read_b32 v5, a121
	v_add_f64 v[0:1], v[0:1], v[4:5]
	v_add_f64 v[0:1], v[0:1], v[238:239]
	v_mul_f64 v[4:5], v[158:159], v[236:237]
	v_add_f64 v[0:1], v[0:1], v[246:247]
	v_fma_f64 v[4:5], v[156:157], v[234:235], -v[4:5]
	v_add_f64 v[0:1], v[0:1], v[4:5]
	v_mul_f64 v[4:5], v[150:151], v[10:11]
	v_fma_f64 v[4:5], v[148:149], v[8:9], -v[4:5]
	v_add_f64 v[0:1], v[0:1], v[4:5]
	v_mul_f64 v[4:5], v[146:147], v[14:15]
	;; [unrolled: 3-line block ×27, first 2 shown]
	v_fma_f64 v[4:5], v[224:225], v[220:221], -v[4:5]
	v_add_f64 v[0:1], v[0:1], v[4:5]
	s_waitcnt vmcnt(0)
	v_add_f64 v[4:5], v[228:229], -v[0:1]
	v_accvgpr_read_b32 v0, a118
	v_add_f64 v[6:7], v[230:231], -v[250:251]
	v_cmp_lt_u32_e32 vcc, 18, v0
	scratch_store_dwordx4 off, v[4:7], off offset:320
	s_and_saveexec_b64 s[0:1], vcc
	s_cbranch_execz .LBB58_331
; %bb.330:
	scratch_load_dwordx4 v[6:9], off, s57
	v_mov_b32_e32 v3, v2
	v_mov_b32_e32 v4, v2
	v_mov_b32_e32 v5, v2
	v_accvgpr_read_b32 v0, a119
	scratch_store_dwordx4 off, v[2:5], off offset:304
	s_waitcnt vmcnt(1)
	ds_write_b128 v0, v[6:9]
.LBB58_331:
	s_or_b64 exec, exec, s[0:1]
	s_waitcnt lgkmcnt(0)
	; wave barrier
	scratch_load_dwordx4 v[132:135], off, off offset:320
	scratch_load_dwordx4 v[160:163], off, off offset:336
	;; [unrolled: 1-line block ×16, first 2 shown]
	ds_read_b128 v[156:159], v2 offset:1248
	ds_read_b128 v[172:175], v2 offset:1264
	scratch_load_dwordx4 v[24:27], off, off offset:576
	ds_read_b128 v[232:235], v2 offset:1280
	ds_read_b128 v[228:231], v2 offset:1296
	scratch_load_dwordx4 v[28:31], off, off offset:592
	ds_read_b128 v[236:239], v2 offset:1312
	ds_read_b128 v[184:187], v2 offset:1328
	;; [unrolled: 1-line block ×5, first 2 shown]
	scratch_load_dwordx4 v[32:35], off, off offset:608
	ds_read_b128 v[220:223], v2 offset:1392
	ds_read_b128 v[216:219], v2 offset:1408
	ds_read_b128 v[40:43], v2 offset:1424
	scratch_load_dwordx4 v[36:39], off, off offset:624
	ds_read_b128 v[64:67], v2 offset:1440
	ds_read_b128 v[60:63], v2 offset:1456
	;; [unrolled: 1-line block ×5, first 2 shown]
	scratch_load_dwordx4 v[52:55], off, off offset:640
	scratch_load_dwordx4 v[68:71], off, off offset:656
	;; [unrolled: 1-line block ×11, first 2 shown]
	ds_read_b128 v[144:147], v2 offset:1552
	ds_read_b128 v[148:151], v2 offset:1568
	;; [unrolled: 1-line block ×3, first 2 shown]
	s_waitcnt vmcnt(30) lgkmcnt(14)
	v_mul_f64 v[0:1], v[156:157], v[134:135]
	s_waitcnt vmcnt(29)
	v_mul_f64 v[108:109], v[172:173], v[162:163]
	v_fmac_f64_e32 v[0:1], v[158:159], v[132:133]
	s_waitcnt vmcnt(28)
	v_mul_f64 v[110:111], v[232:233], v[166:167]
	v_fmac_f64_e32 v[108:109], v[174:175], v[160:161]
	v_add_f64 v[0:1], v[0:1], 0
	s_waitcnt vmcnt(27)
	v_mul_f64 v[112:113], v[228:229], v[170:171]
	v_fmac_f64_e32 v[110:111], v[234:235], v[164:165]
	v_add_f64 v[0:1], v[0:1], v[108:109]
	;; [unrolled: 4-line block ×4, first 2 shown]
	s_waitcnt vmcnt(24) lgkmcnt(13)
	v_mul_f64 v[118:119], v[224:225], v[190:191]
	v_fmac_f64_e32 v[116:117], v[186:187], v[180:181]
	v_add_f64 v[0:1], v[0:1], v[114:115]
	s_waitcnt vmcnt(23) lgkmcnt(12)
	v_mul_f64 v[120:121], v[196:197], v[194:195]
	v_fmac_f64_e32 v[118:119], v[226:227], v[188:189]
	v_add_f64 v[0:1], v[0:1], v[116:117]
	;; [unrolled: 4-line block ×9, first 2 shown]
	v_fmac_f64_e32 v[138:139], v[58:59], v[16:17]
	v_add_f64 v[0:1], v[0:1], v[136:137]
	v_add_f64 v[0:1], v[0:1], v[138:139]
	ds_read_b128 v[136:139], v2 offset:1520
	s_waitcnt vmcnt(15) lgkmcnt(5)
	v_mul_f64 v[140:141], v[48:49], v[22:23]
	v_fmac_f64_e32 v[140:141], v[50:51], v[20:21]
	s_waitcnt vmcnt(14) lgkmcnt(4)
	v_mul_f64 v[112:113], v[44:45], v[26:27]
	scratch_load_dwordx4 v[108:111], off, off offset:816
	v_add_f64 v[0:1], v[0:1], v[140:141]
	v_fmac_f64_e32 v[112:113], v[46:47], v[24:25]
	v_add_f64 v[0:1], v[0:1], v[112:113]
	scratch_load_dwordx4 v[112:115], off, off offset:832
	ds_read_b128 v[140:143], v2 offset:1536
	s_waitcnt vmcnt(15) lgkmcnt(1)
	v_mul_f64 v[116:117], v[136:137], v[30:31]
	v_fmac_f64_e32 v[116:117], v[138:139], v[28:29]
	v_add_f64 v[0:1], v[0:1], v[116:117]
	scratch_load_dwordx4 v[116:119], off, off offset:848
	s_waitcnt vmcnt(15) lgkmcnt(0)
	v_mul_f64 v[120:121], v[140:141], v[34:35]
	v_fmac_f64_e32 v[120:121], v[142:143], v[32:33]
	s_waitcnt vmcnt(14)
	v_mul_f64 v[124:125], v[144:145], v[38:39]
	v_add_f64 v[0:1], v[0:1], v[120:121]
	scratch_load_dwordx4 v[120:123], off, off offset:864
	v_fmac_f64_e32 v[124:125], v[146:147], v[36:37]
	v_add_f64 v[0:1], v[0:1], v[124:125]
	s_waitcnt vmcnt(14)
	v_mul_f64 v[124:125], v[148:149], v[54:55]
	scratch_load_dwordx4 v[128:131], off, off offset:880
	v_fmac_f64_e32 v[124:125], v[150:151], v[52:53]
	v_add_f64 v[0:1], v[0:1], v[124:125]
	scratch_load_dwordx4 v[124:127], off, off offset:896
	v_mul_f64 v[134:135], v[158:159], v[134:135]
	v_fma_f64 v[240:241], v[156:157], v[132:133], -v[134:135]
	ds_read_b128 v[156:159], v2 offset:1600
	s_waitcnt vmcnt(15)
	v_mul_f64 v[132:133], v[152:153], v[70:71]
	v_fmac_f64_e32 v[132:133], v[154:155], v[68:69]
	v_add_f64 v[0:1], v[0:1], v[132:133]
	v_mul_f64 v[132:133], v[174:175], v[162:163]
	v_fma_f64 v[242:243], v[172:173], v[160:161], -v[132:133]
	scratch_load_dwordx4 v[132:135], off, off offset:912
	ds_read_b128 v[160:163], v2 offset:1616
	v_mul_f64 v[166:167], v[234:235], v[166:167]
	v_fma_f64 v[244:245], v[232:233], v[164:165], -v[166:167]
	ds_read_b128 v[164:167], v2 offset:1632
	s_waitcnt vmcnt(15) lgkmcnt(2)
	v_mul_f64 v[172:173], v[156:157], v[74:75]
	v_fmac_f64_e32 v[172:173], v[158:159], v[72:73]
	v_add_f64 v[0:1], v[0:1], v[172:173]
	s_waitcnt vmcnt(14) lgkmcnt(1)
	v_mul_f64 v[172:173], v[160:161], v[78:79]
	v_fmac_f64_e32 v[172:173], v[162:163], v[76:77]
	v_mul_f64 v[170:171], v[230:231], v[170:171]
	v_fma_f64 v[250:251], v[228:229], v[168:169], -v[170:171]
	ds_read_b128 v[168:171], v2 offset:1648
	v_add_f64 v[0:1], v[0:1], v[172:173]
	s_waitcnt vmcnt(13) lgkmcnt(1)
	v_mul_f64 v[172:173], v[164:165], v[82:83]
	v_fmac_f64_e32 v[172:173], v[166:167], v[80:81]
	v_add_f64 v[0:1], v[0:1], v[172:173]
	ds_read_b128 v[172:175], v2 offset:1664
	v_mul_f64 v[178:179], v[238:239], v[178:179]
	v_fma_f64 v[236:237], v[236:237], v[176:177], -v[178:179]
	ds_read_b128 v[176:179], v2 offset:1680
	s_waitcnt vmcnt(12) lgkmcnt(2)
	v_mul_f64 v[228:229], v[168:169], v[86:87]
	v_fmac_f64_e32 v[228:229], v[170:171], v[84:85]
	v_add_f64 v[0:1], v[0:1], v[228:229]
	s_waitcnt vmcnt(11) lgkmcnt(1)
	v_mul_f64 v[228:229], v[172:173], v[90:91]
	v_mul_f64 v[182:183], v[186:187], v[182:183]
	v_fmac_f64_e32 v[228:229], v[174:175], v[88:89]
	v_fma_f64 v[238:239], v[184:185], v[180:181], -v[182:183]
	ds_read_b128 v[180:183], v2 offset:1696
	s_waitcnt vmcnt(10) lgkmcnt(1)
	v_mul_f64 v[184:185], v[176:177], v[94:95]
	v_add_f64 v[0:1], v[0:1], v[228:229]
	v_fmac_f64_e32 v[184:185], v[178:179], v[92:93]
	v_add_f64 v[0:1], v[0:1], v[184:185]
	ds_read_b128 v[184:187], v2 offset:1712
	v_mul_f64 v[190:191], v[226:227], v[190:191]
	v_fma_f64 v[252:253], v[224:225], v[188:189], -v[190:191]
	ds_read_b128 v[188:191], v2 offset:1728
	s_waitcnt vmcnt(9) lgkmcnt(2)
	v_mul_f64 v[228:229], v[180:181], v[98:99]
	v_fmac_f64_e32 v[228:229], v[182:183], v[96:97]
	s_waitcnt vmcnt(8) lgkmcnt(1)
	v_mul_f64 v[224:225], v[184:185], v[102:103]
	v_mul_f64 v[194:195], v[198:199], v[194:195]
	v_add_f64 v[0:1], v[0:1], v[228:229]
	v_fmac_f64_e32 v[224:225], v[186:187], v[100:101]
	v_fma_f64 v[254:255], v[196:197], v[192:193], -v[194:195]
	s_waitcnt vmcnt(7) lgkmcnt(0)
	v_mul_f64 v[196:197], v[188:189], v[106:107]
	ds_read_b128 v[192:195], v2 offset:1744
	v_add_f64 v[0:1], v[0:1], v[224:225]
	v_fmac_f64_e32 v[196:197], v[190:191], v[104:105]
	v_add_f64 v[0:1], v[0:1], v[196:197]
	ds_read_b128 v[196:199], v2 offset:1760
	v_mul_f64 v[202:203], v[210:211], v[202:203]
	v_fma_f64 v[246:247], v[208:209], v[200:201], -v[202:203]
	ds_read_b128 v[200:203], v2 offset:1776
	s_waitcnt vmcnt(6) lgkmcnt(2)
	v_mul_f64 v[224:225], v[192:193], v[110:111]
	v_fmac_f64_e32 v[224:225], v[194:195], v[108:109]
	s_waitcnt vmcnt(5) lgkmcnt(1)
	v_mul_f64 v[208:209], v[196:197], v[114:115]
	v_add_f64 v[0:1], v[0:1], v[224:225]
	v_fmac_f64_e32 v[208:209], v[198:199], v[112:113]
	v_add_f64 v[208:209], v[0:1], v[208:209]
	v_mul_f64 v[0:1], v[222:223], v[206:207]
	v_fma_f64 v[0:1], v[220:221], v[204:205], -v[0:1]
	ds_read_b128 v[204:207], v2 offset:1792
	s_waitcnt vmcnt(4) lgkmcnt(1)
	v_mul_f64 v[210:211], v[200:201], v[118:119]
	v_fmac_f64_e32 v[210:211], v[202:203], v[116:117]
	v_add_f64 v[220:221], v[208:209], v[210:211]
	ds_read_b128 v[208:211], v2 offset:1808
	v_mul_f64 v[214:215], v[218:219], v[214:215]
	v_fma_f64 v[248:249], v[216:217], v[212:213], -v[214:215]
	ds_read_b128 v[212:215], v2 offset:1824
	s_waitcnt vmcnt(3) lgkmcnt(2)
	v_mul_f64 v[216:217], v[204:205], v[122:123]
	v_fmac_f64_e32 v[216:217], v[206:207], v[120:121]
	s_waitcnt vmcnt(2) lgkmcnt(1)
	v_mul_f64 v[218:219], v[208:209], v[130:131]
	v_add_f64 v[216:217], v[220:221], v[216:217]
	v_fmac_f64_e32 v[218:219], v[210:211], v[128:129]
	v_add_f64 v[216:217], v[216:217], v[218:219]
	s_waitcnt vmcnt(1) lgkmcnt(0)
	v_mul_f64 v[218:219], v[212:213], v[126:127]
	v_fmac_f64_e32 v[218:219], v[214:215], v[124:125]
	v_add_f64 v[220:221], v[216:217], v[218:219]
	ds_read_b128 v[216:219], v2 offset:1840
	ds_read_b128 v[224:227], v2 offset:1856
	scratch_load_dwordx4 v[232:235], off, off offset:944
	v_accvgpr_write_b32 a121, v1
	v_accvgpr_write_b32 a120, v0
	s_waitcnt vmcnt(1) lgkmcnt(1)
	v_mul_f64 v[222:223], v[216:217], v[134:135]
	v_fmac_f64_e32 v[222:223], v[218:219], v[132:133]
	v_add_f64 v[228:229], v[220:221], v[222:223]
	scratch_load_dwordx4 v[220:223], off, off offset:928
	v_mul_f64 v[6:7], v[42:43], v[6:7]
	v_fma_f64 v[4:5], v[40:41], v[4:5], -v[6:7]
	s_waitcnt vmcnt(0) lgkmcnt(0)
	v_mul_f64 v[230:231], v[224:225], v[222:223]
	v_fmac_f64_e32 v[230:231], v[226:227], v[220:221]
	v_add_f64 v[0:1], v[228:229], v[230:231]
	ds_read_b128 v[228:231], v2 offset:1872
	s_waitcnt lgkmcnt(0)
	v_mul_f64 v[2:3], v[228:229], v[234:235]
	v_fmac_f64_e32 v[2:3], v[230:231], v[232:233]
	v_add_f64 v[2:3], v[0:1], v[2:3]
	v_add_f64 v[0:1], v[240:241], 0
	;; [unrolled: 1-line block ×7, first 2 shown]
	scratch_load_dwordx4 v[236:239], off, off offset:304
	v_add_f64 v[0:1], v[0:1], v[252:253]
	v_add_f64 v[0:1], v[0:1], v[254:255]
	;; [unrolled: 1-line block ×3, first 2 shown]
	v_accvgpr_read_b32 v0, a120
	v_accvgpr_read_b32 v1, a121
	v_add_f64 v[0:1], v[250:251], v[0:1]
	v_add_f64 v[0:1], v[0:1], v[248:249]
	;; [unrolled: 1-line block ×3, first 2 shown]
	v_mul_f64 v[4:5], v[66:67], v[10:11]
	v_fma_f64 v[4:5], v[64:65], v[8:9], -v[4:5]
	v_add_f64 v[0:1], v[0:1], v[4:5]
	v_mul_f64 v[4:5], v[62:63], v[14:15]
	v_fma_f64 v[4:5], v[60:61], v[12:13], -v[4:5]
	v_add_f64 v[0:1], v[0:1], v[4:5]
	;; [unrolled: 3-line block ×28, first 2 shown]
	s_waitcnt vmcnt(0)
	v_add_f64 v[4:5], v[236:237], -v[0:1]
	v_accvgpr_read_b32 v0, a118
	v_add_f64 v[6:7], v[238:239], -v[2:3]
	v_cmp_lt_u32_e32 vcc, 17, v0
	scratch_store_dwordx4 off, v[4:7], off offset:304
	s_and_saveexec_b64 s[0:1], vcc
	s_cbranch_execz .LBB58_333
; %bb.332:
	scratch_load_dwordx4 v[2:5], off, s56
	v_mov_b32_e32 v6, 0
	v_mov_b32_e32 v7, v6
	;; [unrolled: 1-line block ×4, first 2 shown]
	v_accvgpr_read_b32 v0, a119
	scratch_store_dwordx4 off, v[6:9], off offset:288
	s_waitcnt vmcnt(1)
	ds_write_b128 v0, v[2:5]
.LBB58_333:
	s_or_b64 exec, exec, s[0:1]
	s_waitcnt lgkmcnt(0)
	; wave barrier
	scratch_load_dwordx4 v[112:115], off, off offset:304
	scratch_load_dwordx4 v[116:119], off, off offset:320
	;; [unrolled: 1-line block ×30, first 2 shown]
	v_mov_b32_e32 v2, 0
	ds_read_b128 v[144:147], v2 offset:1232
	ds_read_b128 v[156:159], v2 offset:1248
	;; [unrolled: 1-line block ×20, first 2 shown]
	s_waitcnt vmcnt(29) lgkmcnt(14)
	v_mul_f64 v[0:1], v[144:145], v[114:115]
	s_waitcnt vmcnt(28)
	v_mul_f64 v[88:89], v[156:157], v[118:119]
	v_fmac_f64_e32 v[0:1], v[146:147], v[112:113]
	s_waitcnt vmcnt(27)
	v_mul_f64 v[90:91], v[168:169], v[122:123]
	v_fmac_f64_e32 v[88:89], v[158:159], v[116:117]
	v_add_f64 v[0:1], v[0:1], 0
	s_waitcnt vmcnt(26)
	v_mul_f64 v[92:93], v[180:181], v[154:155]
	v_fmac_f64_e32 v[90:91], v[170:171], v[120:121]
	v_add_f64 v[0:1], v[0:1], v[88:89]
	;; [unrolled: 4-line block ×4, first 2 shown]
	s_waitcnt vmcnt(23) lgkmcnt(13)
	v_mul_f64 v[98:99], v[212:213], v[174:175]
	v_fmac_f64_e32 v[96:97], v[206:207], v[164:165]
	v_add_f64 v[0:1], v[0:1], v[94:95]
	s_waitcnt vmcnt(22) lgkmcnt(12)
	v_mul_f64 v[100:101], v[216:217], v[178:179]
	v_fmac_f64_e32 v[98:99], v[214:215], v[172:173]
	v_add_f64 v[0:1], v[0:1], v[96:97]
	;; [unrolled: 4-line block ×9, first 2 shown]
	v_fmac_f64_e32 v[126:127], v[82:83], v[8:9]
	v_add_f64 v[0:1], v[0:1], v[124:125]
	scratch_load_dwordx4 v[88:91], off, off offset:784
	s_waitcnt vmcnt(15) lgkmcnt(4)
	v_mul_f64 v[128:129], v[76:77], v[236:237]
	v_add_f64 v[0:1], v[0:1], v[126:127]
	ds_read_b128 v[124:127], v2 offset:1504
	v_fmac_f64_e32 v[128:129], v[78:79], v[234:235]
	v_add_f64 v[0:1], v[0:1], v[128:129]
	ds_read_b128 v[128:131], v2 offset:1520
	s_waitcnt vmcnt(14) lgkmcnt(5)
	v_mul_f64 v[92:93], v[72:73], v[18:19]
	v_fmac_f64_e32 v[92:93], v[74:75], v[16:17]
	v_add_f64 v[0:1], v[0:1], v[92:93]
	s_waitcnt vmcnt(13) lgkmcnt(1)
	v_mul_f64 v[96:97], v[124:125], v[22:23]
	scratch_load_dwordx4 v[92:95], off, off offset:800
	v_fmac_f64_e32 v[96:97], v[126:127], v[20:21]
	v_add_f64 v[0:1], v[0:1], v[96:97]
	s_waitcnt vmcnt(13) lgkmcnt(0)
	v_mul_f64 v[100:101], v[128:129], v[26:27]
	scratch_load_dwordx4 v[96:99], off, off offset:816
	v_fmac_f64_e32 v[100:101], v[130:131], v[24:25]
	v_add_f64 v[0:1], v[0:1], v[100:101]
	scratch_load_dwordx4 v[100:103], off, off offset:832
	s_waitcnt vmcnt(14)
	v_mul_f64 v[104:105], v[132:133], v[30:31]
	v_fmac_f64_e32 v[104:105], v[134:135], v[28:29]
	v_add_f64 v[0:1], v[0:1], v[104:105]
	s_waitcnt vmcnt(13)
	v_mul_f64 v[104:105], v[136:137], v[34:35]
	v_fmac_f64_e32 v[104:105], v[138:139], v[32:33]
	v_add_f64 v[0:1], v[0:1], v[104:105]
	scratch_load_dwordx4 v[104:107], off, off offset:848
	s_waitcnt vmcnt(13)
	v_mul_f64 v[108:109], v[140:141], v[38:39]
	v_fmac_f64_e32 v[108:109], v[142:143], v[36:37]
	v_add_f64 v[0:1], v[0:1], v[108:109]
	scratch_load_dwordx4 v[108:111], off, off offset:864
	v_mul_f64 v[114:115], v[146:147], v[114:115]
	v_fma_f64 v[240:241], v[144:145], v[112:113], -v[114:115]
	v_mul_f64 v[112:113], v[158:159], v[118:119]
	ds_read_b128 v[148:151], v2 offset:1584
	ds_read_b128 v[144:147], v2 offset:1600
	v_fma_f64 v[242:243], v[156:157], v[116:117], -v[112:113]
	scratch_load_dwordx4 v[116:119], off, off offset:880
	scratch_load_dwordx4 v[112:115], off, off offset:896
	v_mul_f64 v[122:123], v[170:171], v[122:123]
	v_fma_f64 v[244:245], v[168:169], v[120:121], -v[122:123]
	scratch_load_dwordx4 v[120:123], off, off offset:912
	s_waitcnt vmcnt(16) lgkmcnt(1)
	v_mul_f64 v[156:157], v[148:149], v[42:43]
	v_fmac_f64_e32 v[156:157], v[150:151], v[40:41]
	v_mul_f64 v[154:155], v[182:183], v[154:155]
	v_add_f64 v[0:1], v[0:1], v[156:157]
	v_fma_f64 v[254:255], v[180:181], v[152:153], -v[154:155]
	ds_read_b128 v[152:155], v2 offset:1616
	s_waitcnt vmcnt(15) lgkmcnt(1)
	v_mul_f64 v[156:157], v[144:145], v[46:47]
	v_fmac_f64_e32 v[156:157], v[146:147], v[44:45]
	v_add_f64 v[0:1], v[0:1], v[156:157]
	ds_read_b128 v[156:159], v2 offset:1632
	v_mul_f64 v[162:163], v[194:195], v[162:163]
	v_fma_f64 v[232:233], v[192:193], v[160:161], -v[162:163]
	ds_read_b128 v[160:163], v2 offset:1648
	s_waitcnt vmcnt(14) lgkmcnt(2)
	v_mul_f64 v[168:169], v[152:153], v[50:51]
	v_fmac_f64_e32 v[168:169], v[154:155], v[48:49]
	v_mul_f64 v[166:167], v[206:207], v[166:167]
	v_add_f64 v[0:1], v[0:1], v[168:169]
	s_waitcnt vmcnt(13) lgkmcnt(1)
	v_mul_f64 v[168:169], v[156:157], v[54:55]
	v_fma_f64 v[12:13], v[204:205], v[164:165], -v[166:167]
	ds_read_b128 v[164:167], v2 offset:1664
	v_accvgpr_write_b32 a123, v7
	v_fmac_f64_e32 v[168:169], v[158:159], v[52:53]
	v_accvgpr_write_b32 a122, v6
	v_accvgpr_write_b32 a121, v5
	;; [unrolled: 1-line block ×3, first 2 shown]
	v_add_f64 v[0:1], v[0:1], v[168:169]
	s_waitcnt vmcnt(12) lgkmcnt(1)
	v_mul_f64 v[6:7], v[160:161], v[58:59]
	ds_read_b128 v[168:171], v2 offset:1680
	v_fmac_f64_e32 v[6:7], v[162:163], v[56:57]
	v_accvgpr_write_b32 a127, v11
	v_add_f64 v[0:1], v[0:1], v[6:7]
	v_mul_f64 v[6:7], v[214:215], v[174:175]
	v_accvgpr_write_b32 a126, v10
	v_accvgpr_write_b32 a125, v9
	;; [unrolled: 1-line block ×3, first 2 shown]
	v_fma_f64 v[8:9], v[212:213], v[172:173], -v[6:7]
	s_waitcnt vmcnt(11) lgkmcnt(1)
	v_mul_f64 v[6:7], v[164:165], v[62:63]
	v_fmac_f64_e32 v[6:7], v[166:167], v[60:61]
	ds_read_b128 v[172:175], v2 offset:1696
	v_add_f64 v[0:1], v[0:1], v[6:7]
	s_waitcnt vmcnt(10) lgkmcnt(1)
	v_mul_f64 v[6:7], v[168:169], v[66:67]
	v_fmac_f64_e32 v[6:7], v[170:171], v[64:65]
	v_add_f64 v[0:1], v[0:1], v[6:7]
	v_mul_f64 v[6:7], v[218:219], v[178:179]
	v_fma_f64 v[10:11], v[216:217], v[176:177], -v[6:7]
	ds_read_b128 v[176:179], v2 offset:1712
	ds_read_b128 v[180:183], v2 offset:1728
	s_waitcnt vmcnt(9) lgkmcnt(2)
	v_mul_f64 v[6:7], v[172:173], v[70:71]
	v_fmac_f64_e32 v[6:7], v[174:175], v[68:69]
	v_add_f64 v[0:1], v[0:1], v[6:7]
	s_waitcnt vmcnt(8) lgkmcnt(1)
	v_mul_f64 v[6:7], v[176:177], v[90:91]
	v_fmac_f64_e32 v[6:7], v[178:179], v[88:89]
	v_add_f64 v[0:1], v[0:1], v[6:7]
	v_mul_f64 v[6:7], v[222:223], v[186:187]
	v_fma_f64 v[4:5], v[220:221], v[184:185], -v[6:7]
	ds_read_b128 v[184:187], v2 offset:1744
	v_mul_f64 v[6:7], v[226:227], v[190:191]
	v_fma_f64 v[6:7], v[224:225], v[188:189], -v[6:7]
	ds_read_b128 v[188:191], v2 offset:1760
	s_waitcnt vmcnt(7) lgkmcnt(2)
	v_mul_f64 v[14:15], v[180:181], v[94:95]
	v_fmac_f64_e32 v[14:15], v[182:183], v[92:93]
	v_add_f64 v[0:1], v[0:1], v[14:15]
	s_waitcnt vmcnt(6) lgkmcnt(1)
	v_mul_f64 v[14:15], v[184:185], v[98:99]
	v_fmac_f64_e32 v[14:15], v[186:187], v[96:97]
	v_add_f64 v[0:1], v[0:1], v[14:15]
	s_waitcnt vmcnt(5) lgkmcnt(0)
	v_mul_f64 v[14:15], v[188:189], v[102:103]
	ds_read_b128 v[192:195], v2 offset:1776
	v_fmac_f64_e32 v[14:15], v[190:191], v[100:101]
	v_add_f64 v[14:15], v[0:1], v[14:15]
	v_mul_f64 v[0:1], v[230:231], v[198:199]
	v_fma_f64 v[0:1], v[228:229], v[196:197], -v[0:1]
	ds_read_b128 v[196:199], v2 offset:1792
	v_mul_f64 v[202:203], v[248:249], v[202:203]
	s_waitcnt vmcnt(4) lgkmcnt(1)
	v_mul_f64 v[204:205], v[192:193], v[106:107]
	v_fma_f64 v[238:239], v[246:247], v[200:201], -v[202:203]
	ds_read_b128 v[200:203], v2 offset:1808
	v_fmac_f64_e32 v[204:205], v[194:195], v[104:105]
	v_add_f64 v[14:15], v[14:15], v[204:205]
	ds_read_b128 v[204:207], v2 offset:1824
	s_waitcnt vmcnt(3) lgkmcnt(2)
	v_mul_f64 v[212:213], v[196:197], v[110:111]
	v_mul_f64 v[210:211], v[252:253], v[210:211]
	v_fmac_f64_e32 v[212:213], v[198:199], v[108:109]
	v_fma_f64 v[246:247], v[250:251], v[208:209], -v[210:211]
	ds_read_b128 v[208:211], v2 offset:1840
	ds_read_b128 v[216:219], v2 offset:1856
	v_add_f64 v[14:15], v[14:15], v[212:213]
	s_waitcnt vmcnt(2) lgkmcnt(3)
	v_mul_f64 v[212:213], v[200:201], v[118:119]
	v_fmac_f64_e32 v[212:213], v[202:203], v[116:117]
	v_add_f64 v[14:15], v[14:15], v[212:213]
	s_waitcnt vmcnt(1) lgkmcnt(2)
	v_mul_f64 v[212:213], v[204:205], v[114:115]
	v_fmac_f64_e32 v[212:213], v[206:207], v[112:113]
	;; [unrolled: 4-line block ×3, first 2 shown]
	v_add_f64 v[14:15], v[14:15], v[212:213]
	scratch_load_dwordx4 v[212:215], off, off offset:928
	ds_read_b128 v[224:227], v2 offset:1872
	s_waitcnt vmcnt(0) lgkmcnt(1)
	v_mul_f64 v[220:221], v[216:217], v[214:215]
	v_fmac_f64_e32 v[220:221], v[218:219], v[212:213]
	v_add_f64 v[14:15], v[14:15], v[220:221]
	scratch_load_dwordx4 v[220:223], off, off offset:944
	s_waitcnt vmcnt(0) lgkmcnt(0)
	v_mul_f64 v[228:229], v[224:225], v[222:223]
	v_fmac_f64_e32 v[228:229], v[226:227], v[220:221]
	v_add_f64 v[250:251], v[14:15], v[228:229]
	scratch_load_dwordx4 v[228:231], off, off offset:288
	v_add_f64 v[14:15], v[240:241], 0
	v_add_f64 v[14:15], v[14:15], v[242:243]
	;; [unrolled: 1-line block ×10, first 2 shown]
	v_accvgpr_read_b32 v6, a120
	v_accvgpr_read_b32 v8, a122
	;; [unrolled: 1-line block ×3, first 2 shown]
	v_add_f64 v[0:1], v[4:5], v[0:1]
	v_accvgpr_read_b32 v7, a121
	v_mul_f64 v[4:5], v[86:87], v[8:9]
	v_add_f64 v[0:1], v[0:1], v[238:239]
	v_fma_f64 v[4:5], v[84:85], v[6:7], -v[4:5]
	v_accvgpr_read_b32 v6, a124
	v_add_f64 v[0:1], v[0:1], v[246:247]
	v_accvgpr_read_b32 v8, a126
	v_accvgpr_read_b32 v9, a127
	v_add_f64 v[0:1], v[0:1], v[4:5]
	v_accvgpr_read_b32 v7, a125
	v_mul_f64 v[4:5], v[82:83], v[8:9]
	v_fma_f64 v[4:5], v[80:81], v[6:7], -v[4:5]
	v_add_f64 v[0:1], v[0:1], v[4:5]
	v_mul_f64 v[4:5], v[78:79], v[236:237]
	v_fma_f64 v[4:5], v[76:77], v[234:235], -v[4:5]
	v_add_f64 v[0:1], v[0:1], v[4:5]
	;; [unrolled: 3-line block ×27, first 2 shown]
	s_waitcnt vmcnt(0)
	v_add_f64 v[4:5], v[228:229], -v[0:1]
	v_accvgpr_read_b32 v0, a118
	v_add_f64 v[6:7], v[230:231], -v[250:251]
	v_cmp_lt_u32_e32 vcc, 16, v0
	scratch_store_dwordx4 off, v[4:7], off offset:288
	s_and_saveexec_b64 s[0:1], vcc
	s_cbranch_execz .LBB58_335
; %bb.334:
	scratch_load_dwordx4 v[6:9], off, s55
	v_mov_b32_e32 v3, v2
	v_mov_b32_e32 v4, v2
	;; [unrolled: 1-line block ×3, first 2 shown]
	v_accvgpr_read_b32 v0, a119
	scratch_store_dwordx4 off, v[2:5], off offset:272
	s_waitcnt vmcnt(1)
	ds_write_b128 v0, v[6:9]
.LBB58_335:
	s_or_b64 exec, exec, s[0:1]
	s_waitcnt lgkmcnt(0)
	; wave barrier
	scratch_load_dwordx4 v[88:91], off, off offset:288
	scratch_load_dwordx4 v[92:95], off, off offset:304
	;; [unrolled: 1-line block ×17, first 2 shown]
	ds_read_b128 v[212:215], v2 offset:1216
	ds_read_b128 v[204:207], v2 offset:1232
	;; [unrolled: 1-line block ×3, first 2 shown]
	scratch_load_dwordx4 v[20:23], off, off offset:560
	ds_read_b128 v[216:219], v2 offset:1264
	ds_read_b128 v[208:211], v2 offset:1280
	;; [unrolled: 1-line block ×5, first 2 shown]
	scratch_load_dwordx4 v[24:27], off, off offset:576
	ds_read_b128 v[180:183], v2 offset:1344
	ds_read_b128 v[160:163], v2 offset:1360
	;; [unrolled: 1-line block ×3, first 2 shown]
	scratch_load_dwordx4 v[28:31], off, off offset:592
	ds_read_b128 v[172:175], v2 offset:1392
	ds_read_b128 v[148:151], v2 offset:1408
	;; [unrolled: 1-line block ×5, first 2 shown]
	scratch_load_dwordx4 v[36:39], off, off offset:608
	ds_read_b128 v[48:51], v2 offset:1472
	scratch_load_dwordx4 v[52:55], off, off offset:624
	scratch_load_dwordx4 v[56:59], off, off offset:640
	;; [unrolled: 1-line block ×9, first 2 shown]
	ds_read_b128 v[140:143], v2 offset:1488
	ds_read_b128 v[232:235], v2 offset:1552
	;; [unrolled: 1-line block ×3, first 2 shown]
	s_waitcnt vmcnt(29) lgkmcnt(14)
	v_mul_f64 v[0:1], v[212:213], v[90:91]
	s_waitcnt vmcnt(28)
	v_mul_f64 v[152:153], v[204:205], v[94:95]
	v_fmac_f64_e32 v[0:1], v[214:215], v[88:89]
	s_waitcnt vmcnt(27)
	v_mul_f64 v[154:155], v[196:197], v[98:99]
	v_fmac_f64_e32 v[152:153], v[206:207], v[92:93]
	v_add_f64 v[0:1], v[0:1], 0
	s_waitcnt vmcnt(26)
	v_mul_f64 v[164:165], v[216:217], v[102:103]
	v_fmac_f64_e32 v[154:155], v[198:199], v[96:97]
	v_add_f64 v[0:1], v[0:1], v[152:153]
	;; [unrolled: 4-line block ×4, first 2 shown]
	s_waitcnt vmcnt(23) lgkmcnt(13)
	v_mul_f64 v[170:171], v[184:185], v[114:115]
	v_fmac_f64_e32 v[168:169], v[202:203], v[108:109]
	v_add_f64 v[0:1], v[0:1], v[166:167]
	s_waitcnt vmcnt(22) lgkmcnt(12)
	v_mul_f64 v[176:177], v[156:157], v[118:119]
	v_fmac_f64_e32 v[170:171], v[186:187], v[112:113]
	v_add_f64 v[0:1], v[0:1], v[168:169]
	;; [unrolled: 4-line block ×10, first 2 shown]
	v_fmac_f64_e32 v[224:225], v[34:35], v[12:13]
	v_add_f64 v[0:1], v[0:1], v[222:223]
	ds_read_b128 v[220:223], v2 offset:1504
	v_add_f64 v[0:1], v[0:1], v[224:225]
	ds_read_b128 v[224:227], v2 offset:1520
	s_waitcnt vmcnt(13) lgkmcnt(5)
	v_mul_f64 v[164:165], v[48:49], v[18:19]
	scratch_load_dwordx4 v[152:155], off, off offset:768
	v_fmac_f64_e32 v[164:165], v[50:51], v[16:17]
	s_waitcnt vmcnt(13) lgkmcnt(4)
	v_mul_f64 v[168:169], v[140:141], v[22:23]
	v_add_f64 v[0:1], v[0:1], v[164:165]
	v_fmac_f64_e32 v[168:169], v[142:143], v[20:21]
	scratch_load_dwordx4 v[164:167], off, off offset:784
	v_add_f64 v[0:1], v[0:1], v[168:169]
	s_waitcnt vmcnt(13) lgkmcnt(1)
	v_mul_f64 v[176:177], v[220:221], v[26:27]
	scratch_load_dwordx4 v[168:171], off, off offset:800
	v_fmac_f64_e32 v[176:177], v[222:223], v[24:25]
	s_waitcnt vmcnt(13) lgkmcnt(0)
	v_mul_f64 v[188:189], v[224:225], v[30:31]
	v_add_f64 v[0:1], v[0:1], v[176:177]
	scratch_load_dwordx4 v[176:179], off, off offset:816
	v_fmac_f64_e32 v[188:189], v[226:227], v[28:29]
	v_add_f64 v[0:1], v[0:1], v[188:189]
	s_waitcnt vmcnt(13)
	v_mul_f64 v[188:189], v[228:229], v[38:39]
	v_fmac_f64_e32 v[188:189], v[230:231], v[36:37]
	v_add_f64 v[0:1], v[0:1], v[188:189]
	scratch_load_dwordx4 v[188:191], off, off offset:832
	s_waitcnt vmcnt(13)
	v_mul_f64 v[192:193], v[232:233], v[54:55]
	v_fmac_f64_e32 v[192:193], v[234:235], v[52:53]
	v_mul_f64 v[90:91], v[214:215], v[90:91]
	v_add_f64 v[0:1], v[0:1], v[192:193]
	scratch_load_dwordx4 v[192:195], off, off offset:848
	v_fma_f64 v[240:241], v[212:213], v[88:89], -v[90:91]
	v_mul_f64 v[88:89], v[206:207], v[94:95]
	ds_read_b128 v[236:239], v2 offset:1568
	ds_read_b128 v[212:215], v2 offset:1584
	v_fma_f64 v[242:243], v[204:205], v[92:93], -v[88:89]
	scratch_load_dwordx4 v[92:95], off, off offset:864
	scratch_load_dwordx4 v[88:91], off, off offset:880
	v_mul_f64 v[98:99], v[198:199], v[98:99]
	v_fma_f64 v[244:245], v[196:197], v[96:97], -v[98:99]
	scratch_load_dwordx4 v[96:99], off, off offset:896
	s_waitcnt vmcnt(16) lgkmcnt(1)
	v_mul_f64 v[204:205], v[236:237], v[58:59]
	v_mul_f64 v[102:103], v[218:219], v[102:103]
	v_fmac_f64_e32 v[204:205], v[238:239], v[56:57]
	v_fma_f64 v[216:217], v[216:217], v[100:101], -v[102:103]
	ds_read_b128 v[100:103], v2 offset:1600
	s_waitcnt vmcnt(15) lgkmcnt(1)
	v_mul_f64 v[196:197], v[212:213], v[62:63]
	v_add_f64 v[0:1], v[0:1], v[204:205]
	v_fmac_f64_e32 v[196:197], v[214:215], v[60:61]
	v_add_f64 v[0:1], v[0:1], v[196:197]
	ds_read_b128 v[196:199], v2 offset:1616
	v_mul_f64 v[106:107], v[210:211], v[106:107]
	v_fma_f64 v[218:219], v[208:209], v[104:105], -v[106:107]
	ds_read_b128 v[104:107], v2 offset:1632
	s_waitcnt vmcnt(14) lgkmcnt(2)
	v_mul_f64 v[204:205], v[100:101], v[66:67]
	v_fmac_f64_e32 v[204:205], v[102:103], v[64:65]
	v_add_f64 v[0:1], v[0:1], v[204:205]
	s_waitcnt vmcnt(13) lgkmcnt(1)
	v_mul_f64 v[204:205], v[196:197], v[70:71]
	v_mul_f64 v[110:111], v[202:203], v[110:111]
	v_fmac_f64_e32 v[204:205], v[198:199], v[68:69]
	v_fma_f64 v[250:251], v[200:201], v[108:109], -v[110:111]
	ds_read_b128 v[108:111], v2 offset:1648
	s_waitcnt vmcnt(12) lgkmcnt(1)
	v_mul_f64 v[200:201], v[104:105], v[74:75]
	v_add_f64 v[0:1], v[0:1], v[204:205]
	v_fmac_f64_e32 v[200:201], v[106:107], v[72:73]
	v_add_f64 v[0:1], v[0:1], v[200:201]
	ds_read_b128 v[200:203], v2 offset:1664
	v_mul_f64 v[114:115], v[186:187], v[114:115]
	v_fma_f64 v[252:253], v[184:185], v[112:113], -v[114:115]
	ds_read_b128 v[112:115], v2 offset:1680
	s_waitcnt vmcnt(11) lgkmcnt(2)
	v_mul_f64 v[184:185], v[108:109], v[78:79]
	v_fmac_f64_e32 v[184:185], v[110:111], v[76:77]
	v_add_f64 v[0:1], v[0:1], v[184:185]
	s_waitcnt vmcnt(10) lgkmcnt(1)
	v_mul_f64 v[184:185], v[200:201], v[82:83]
	v_mul_f64 v[118:119], v[158:159], v[118:119]
	v_fmac_f64_e32 v[184:185], v[202:203], v[80:81]
	v_fma_f64 v[254:255], v[156:157], v[116:117], -v[118:119]
	s_waitcnt vmcnt(9) lgkmcnt(0)
	v_mul_f64 v[156:157], v[112:113], v[86:87]
	v_add_f64 v[0:1], v[0:1], v[184:185]
	ds_read_b128 v[116:119], v2 offset:1696
	v_fmac_f64_e32 v[156:157], v[114:115], v[84:85]
	v_add_f64 v[0:1], v[0:1], v[156:157]
	ds_read_b128 v[156:159], v2 offset:1712
	v_mul_f64 v[122:123], v[182:183], v[122:123]
	v_fma_f64 v[246:247], v[180:181], v[120:121], -v[122:123]
	ds_read_b128 v[120:123], v2 offset:1728
	v_accvgpr_write_b32 a123, v7
	v_mul_f64 v[126:127], v[162:163], v[126:127]
	v_accvgpr_write_b32 a122, v6
	v_accvgpr_write_b32 a121, v5
	;; [unrolled: 1-line block ×3, first 2 shown]
	v_fma_f64 v[4:5], v[160:161], v[124:125], -v[126:127]
	ds_read_b128 v[124:127], v2 offset:1744
	s_waitcnt vmcnt(8) lgkmcnt(3)
	v_mul_f64 v[184:185], v[116:117], v[154:155]
	v_fmac_f64_e32 v[184:185], v[118:119], v[152:153]
	s_waitcnt vmcnt(7) lgkmcnt(2)
	v_mul_f64 v[180:181], v[156:157], v[166:167]
	v_add_f64 v[0:1], v[0:1], v[184:185]
	v_fmac_f64_e32 v[180:181], v[158:159], v[164:165]
	s_waitcnt vmcnt(6) lgkmcnt(1)
	v_mul_f64 v[6:7], v[120:121], v[170:171]
	ds_read_b128 v[160:163], v2 offset:1760
	v_add_f64 v[0:1], v[0:1], v[180:181]
	v_fmac_f64_e32 v[6:7], v[122:123], v[168:169]
	v_add_f64 v[0:1], v[0:1], v[6:7]
	s_waitcnt vmcnt(5) lgkmcnt(1)
	v_mul_f64 v[6:7], v[124:125], v[178:179]
	v_fmac_f64_e32 v[6:7], v[126:127], v[176:177]
	v_add_f64 v[0:1], v[0:1], v[6:7]
	v_mul_f64 v[6:7], v[146:147], v[130:131]
	v_fma_f64 v[6:7], v[144:145], v[128:129], -v[6:7]
	ds_read_b128 v[128:131], v2 offset:1776
	s_waitcnt vmcnt(4) lgkmcnt(1)
	v_mul_f64 v[144:145], v[160:161], v[190:191]
	v_fmac_f64_e32 v[144:145], v[162:163], v[188:189]
	v_add_f64 v[180:181], v[0:1], v[144:145]
	v_mul_f64 v[0:1], v[174:175], v[134:135]
	v_fma_f64 v[0:1], v[172:173], v[132:133], -v[0:1]
	ds_read_b128 v[132:135], v2 offset:1792
	ds_read_b128 v[144:147], v2 offset:1808
	v_mul_f64 v[138:139], v[150:151], v[138:139]
	v_fma_f64 v[248:249], v[148:149], v[136:137], -v[138:139]
	ds_read_b128 v[136:139], v2 offset:1824
	s_waitcnt vmcnt(3) lgkmcnt(3)
	v_mul_f64 v[172:173], v[128:129], v[194:195]
	v_fmac_f64_e32 v[172:173], v[130:131], v[192:193]
	s_waitcnt vmcnt(2) lgkmcnt(2)
	v_mul_f64 v[148:149], v[132:133], v[94:95]
	v_add_f64 v[172:173], v[180:181], v[172:173]
	v_fmac_f64_e32 v[148:149], v[134:135], v[92:93]
	s_waitcnt vmcnt(1) lgkmcnt(1)
	v_mul_f64 v[150:151], v[144:145], v[90:91]
	v_add_f64 v[148:149], v[172:173], v[148:149]
	v_fmac_f64_e32 v[150:151], v[146:147], v[88:89]
	v_add_f64 v[148:149], v[148:149], v[150:151]
	ds_read_b128 v[172:175], v2 offset:1840
	scratch_load_dwordx4 v[208:211], off, off offset:944
	s_waitcnt vmcnt(1) lgkmcnt(1)
	v_mul_f64 v[150:151], v[136:137], v[98:99]
	v_fmac_f64_e32 v[150:151], v[138:139], v[96:97]
	v_add_f64 v[180:181], v[148:149], v[150:151]
	scratch_load_dwordx4 v[148:151], off, off offset:912
	ds_read_b128 v[184:187], v2 offset:1856
	v_accvgpr_write_b32 a125, v1
	v_accvgpr_write_b32 a124, v0
	s_waitcnt vmcnt(0) lgkmcnt(1)
	v_mul_f64 v[182:183], v[172:173], v[150:151]
	v_fmac_f64_e32 v[182:183], v[174:175], v[148:149]
	v_add_f64 v[204:205], v[180:181], v[182:183]
	scratch_load_dwordx4 v[180:183], off, off offset:928
	s_waitcnt vmcnt(0) lgkmcnt(0)
	v_mul_f64 v[206:207], v[184:185], v[182:183]
	v_fmac_f64_e32 v[206:207], v[186:187], v[180:181]
	v_add_f64 v[0:1], v[204:205], v[206:207]
	ds_read_b128 v[204:207], v2 offset:1872
	s_waitcnt lgkmcnt(0)
	v_mul_f64 v[2:3], v[204:205], v[210:211]
	v_fmac_f64_e32 v[2:3], v[206:207], v[208:209]
	v_add_f64 v[2:3], v[0:1], v[2:3]
	v_add_f64 v[0:1], v[240:241], 0
	;; [unrolled: 1-line block ×6, first 2 shown]
	scratch_load_dwordx4 v[216:219], off, off offset:272
	v_add_f64 v[0:1], v[0:1], v[250:251]
	v_add_f64 v[0:1], v[0:1], v[252:253]
	;; [unrolled: 1-line block ×6, first 2 shown]
	v_accvgpr_read_b32 v0, a124
	v_accvgpr_read_b32 v243, a123
	;; [unrolled: 1-line block ×4, first 2 shown]
	v_add_f64 v[0:1], v[250:251], v[0:1]
	v_accvgpr_read_b32 v241, a121
	v_accvgpr_read_b32 v240, a120
	v_mul_f64 v[4:5], v[46:47], v[242:243]
	v_add_f64 v[0:1], v[0:1], v[248:249]
	v_fma_f64 v[4:5], v[44:45], v[240:241], -v[4:5]
	v_add_f64 v[0:1], v[0:1], v[4:5]
	v_mul_f64 v[4:5], v[42:43], v[10:11]
	v_fma_f64 v[4:5], v[40:41], v[8:9], -v[4:5]
	v_add_f64 v[0:1], v[0:1], v[4:5]
	v_mul_f64 v[4:5], v[34:35], v[14:15]
	;; [unrolled: 3-line block ×28, first 2 shown]
	v_fma_f64 v[4:5], v[204:205], v[208:209], -v[4:5]
	v_add_f64 v[0:1], v[0:1], v[4:5]
	s_waitcnt vmcnt(0)
	v_add_f64 v[4:5], v[216:217], -v[0:1]
	v_accvgpr_read_b32 v0, a118
	v_add_f64 v[6:7], v[218:219], -v[2:3]
	v_cmp_lt_u32_e32 vcc, 15, v0
	scratch_store_dwordx4 off, v[4:7], off offset:272
	s_and_saveexec_b64 s[0:1], vcc
	s_cbranch_execz .LBB58_337
; %bb.336:
	scratch_load_dwordx4 v[2:5], off, s54
	v_mov_b32_e32 v6, 0
	v_mov_b32_e32 v7, v6
	;; [unrolled: 1-line block ×4, first 2 shown]
	v_accvgpr_read_b32 v0, a119
	scratch_store_dwordx4 off, v[6:9], off offset:256
	s_waitcnt vmcnt(1)
	ds_write_b128 v0, v[2:5]
.LBB58_337:
	s_or_b64 exec, exec, s[0:1]
	s_waitcnt lgkmcnt(0)
	; wave barrier
	scratch_load_dwordx4 v[96:99], off, off offset:272
	scratch_load_dwordx4 v[100:103], off, off offset:288
	;; [unrolled: 1-line block ×30, first 2 shown]
	v_mov_b32_e32 v2, 0
	ds_read_b128 v[136:139], v2 offset:1200
	ds_read_b128 v[144:147], v2 offset:1216
	ds_read_b128 v[148:151], v2 offset:1232
	ds_read_b128 v[164:167], v2 offset:1248
	ds_read_b128 v[176:179], v2 offset:1264
	ds_read_b128 v[188:191], v2 offset:1280
	ds_read_b128 v[200:203], v2 offset:1296
	ds_read_b128 v[208:211], v2 offset:1312
	ds_read_b128 v[212:215], v2 offset:1328
	ds_read_b128 v[216:219], v2 offset:1344
	ds_read_b128 v[220:223], v2 offset:1360
	ds_read_b128 v[224:227], v2 offset:1376
	ds_read_b128 v[228:231], v2 offset:1392
	ds_read_b128 v[246:249], v2 offset:1408
	ds_read_b128 v[250:253], v2 offset:1424
	ds_read_b128 v[68:71], v2 offset:1440
	ds_read_b128 v[64:67], v2 offset:1456
	ds_read_b128 v[124:127], v2 offset:1504
	ds_read_b128 v[128:131], v2 offset:1520
	ds_read_b128 v[132:135], v2 offset:1536
	s_waitcnt vmcnt(29) lgkmcnt(14)
	v_mul_f64 v[0:1], v[136:137], v[98:99]
	s_waitcnt vmcnt(28)
	v_mul_f64 v[72:73], v[144:145], v[102:103]
	v_fmac_f64_e32 v[0:1], v[138:139], v[96:97]
	s_waitcnt vmcnt(27)
	v_mul_f64 v[74:75], v[148:149], v[106:107]
	v_fmac_f64_e32 v[72:73], v[146:147], v[100:101]
	v_add_f64 v[0:1], v[0:1], 0
	s_waitcnt vmcnt(26)
	v_mul_f64 v[76:77], v[164:165], v[110:111]
	v_fmac_f64_e32 v[74:75], v[150:151], v[104:105]
	v_add_f64 v[0:1], v[0:1], v[72:73]
	;; [unrolled: 4-line block ×4, first 2 shown]
	s_waitcnt vmcnt(23) lgkmcnt(13)
	v_mul_f64 v[82:83], v[200:201], v[158:159]
	v_fmac_f64_e32 v[80:81], v[190:191], v[152:153]
	v_add_f64 v[0:1], v[0:1], v[78:79]
	s_waitcnt vmcnt(22) lgkmcnt(12)
	v_mul_f64 v[84:85], v[208:209], v[162:163]
	v_fmac_f64_e32 v[82:83], v[202:203], v[156:157]
	v_add_f64 v[0:1], v[0:1], v[80:81]
	s_waitcnt vmcnt(21) lgkmcnt(11)
	v_mul_f64 v[86:87], v[212:213], v[170:171]
	v_fmac_f64_e32 v[84:85], v[210:211], v[160:161]
	v_add_f64 v[0:1], v[0:1], v[82:83]
	s_waitcnt vmcnt(20) lgkmcnt(10)
	v_mul_f64 v[88:89], v[216:217], v[174:175]
	v_fmac_f64_e32 v[86:87], v[214:215], v[168:169]
	v_add_f64 v[0:1], v[0:1], v[84:85]
	s_waitcnt vmcnt(19) lgkmcnt(9)
	v_mul_f64 v[90:91], v[220:221], v[182:183]
	v_fmac_f64_e32 v[88:89], v[218:219], v[172:173]
	v_add_f64 v[0:1], v[0:1], v[86:87]
	s_waitcnt vmcnt(18) lgkmcnt(8)
	v_mul_f64 v[92:93], v[224:225], v[186:187]
	v_fmac_f64_e32 v[90:91], v[222:223], v[180:181]
	v_add_f64 v[0:1], v[0:1], v[88:89]
	s_waitcnt vmcnt(17) lgkmcnt(7)
	v_mul_f64 v[94:95], v[228:229], v[194:195]
	v_fmac_f64_e32 v[92:93], v[226:227], v[184:185]
	v_add_f64 v[0:1], v[0:1], v[90:91]
	s_waitcnt vmcnt(16) lgkmcnt(6)
	v_mul_f64 v[116:117], v[246:247], v[198:199]
	v_fmac_f64_e32 v[94:95], v[230:231], v[192:193]
	v_add_f64 v[0:1], v[0:1], v[92:93]
	s_waitcnt vmcnt(15) lgkmcnt(5)
	v_mul_f64 v[118:119], v[250:251], v[206:207]
	v_fmac_f64_e32 v[116:117], v[248:249], v[196:197]
	v_add_f64 v[0:1], v[0:1], v[94:95]
	s_waitcnt vmcnt(14) lgkmcnt(4)
	v_mul_f64 v[120:121], v[68:69], v[6:7]
	v_fmac_f64_e32 v[118:119], v[252:253], v[204:205]
	v_accvgpr_write_b32 a123, v7
	v_add_f64 v[0:1], v[0:1], v[116:117]
	v_fmac_f64_e32 v[120:121], v[70:71], v[4:5]
	v_accvgpr_write_b32 a122, v6
	v_accvgpr_write_b32 a121, v5
	;; [unrolled: 1-line block ×3, first 2 shown]
	v_add_f64 v[0:1], v[0:1], v[118:119]
	ds_read_b128 v[116:119], v2 offset:1472
	s_waitcnt vmcnt(13)
	v_mov_b64_e32 v[4:5], v[8:9]
	v_mov_b64_e32 v[6:7], v[10:11]
	s_waitcnt lgkmcnt(4)
	v_mul_f64 v[76:77], v[64:65], v[6:7]
	scratch_load_dwordx4 v[72:75], off, off offset:752
	v_add_f64 v[0:1], v[0:1], v[120:121]
	v_fmac_f64_e32 v[76:77], v[66:67], v[4:5]
	s_waitcnt vmcnt(13)
	v_mov_b64_e32 v[4:5], v[12:13]
	v_add_f64 v[0:1], v[0:1], v[76:77]
	v_mov_b64_e32 v[6:7], v[14:15]
	scratch_load_dwordx4 v[76:79], off, off offset:768
	ds_read_b128 v[120:123], v2 offset:1488
	s_waitcnt lgkmcnt(1)
	v_mul_f64 v[80:81], v[116:117], v[6:7]
	v_fmac_f64_e32 v[80:81], v[118:119], v[4:5]
	v_add_f64 v[0:1], v[0:1], v[80:81]
	scratch_load_dwordx4 v[80:83], off, off offset:784
	s_waitcnt vmcnt(14) lgkmcnt(0)
	v_mul_f64 v[84:85], v[120:121], v[236:237]
	v_fmac_f64_e32 v[84:85], v[122:123], v[234:235]
	s_waitcnt vmcnt(13)
	v_mul_f64 v[88:89], v[124:125], v[22:23]
	v_add_f64 v[0:1], v[0:1], v[84:85]
	v_fmac_f64_e32 v[88:89], v[126:127], v[20:21]
	scratch_load_dwordx4 v[84:87], off, off offset:800
	v_add_f64 v[0:1], v[0:1], v[88:89]
	s_waitcnt vmcnt(13)
	v_mul_f64 v[88:89], v[128:129], v[26:27]
	v_fmac_f64_e32 v[88:89], v[130:131], v[24:25]
	v_add_f64 v[0:1], v[0:1], v[88:89]
	scratch_load_dwordx4 v[88:91], off, off offset:816
	s_waitcnt vmcnt(13)
	v_mul_f64 v[92:93], v[132:133], v[30:31]
	v_fmac_f64_e32 v[92:93], v[134:135], v[28:29]
	v_add_f64 v[0:1], v[0:1], v[92:93]
	scratch_load_dwordx4 v[92:95], off, off offset:832
	v_mul_f64 v[98:99], v[138:139], v[98:99]
	v_fma_f64 v[240:241], v[136:137], v[96:97], -v[98:99]
	v_mul_f64 v[96:97], v[146:147], v[102:103]
	ds_read_b128 v[140:143], v2 offset:1552
	ds_read_b128 v[136:139], v2 offset:1568
	v_fma_f64 v[242:243], v[144:145], v[100:101], -v[96:97]
	scratch_load_dwordx4 v[100:103], off, off offset:848
	scratch_load_dwordx4 v[96:99], off, off offset:864
	s_waitcnt vmcnt(15) lgkmcnt(1)
	v_mul_f64 v[144:145], v[140:141], v[34:35]
	v_fmac_f64_e32 v[144:145], v[142:143], v[32:33]
	v_mul_f64 v[106:107], v[150:151], v[106:107]
	v_add_f64 v[0:1], v[0:1], v[144:145]
	s_waitcnt vmcnt(14) lgkmcnt(0)
	v_mul_f64 v[144:145], v[136:137], v[38:39]
	v_fma_f64 v[244:245], v[148:149], v[104:105], -v[106:107]
	v_mul_f64 v[104:105], v[166:167], v[110:111]
	v_fmac_f64_e32 v[144:145], v[138:139], v[36:37]
	v_fma_f64 v[254:255], v[164:165], v[108:109], -v[104:105]
	scratch_load_dwordx4 v[104:107], off, off offset:880
	v_add_f64 v[0:1], v[0:1], v[144:145]
	ds_read_b128 v[144:147], v2 offset:1584
	ds_read_b128 v[148:151], v2 offset:1600
	v_mul_f64 v[108:109], v[178:179], v[114:115]
	v_fma_f64 v[232:233], v[176:177], v[112:113], -v[108:109]
	scratch_load_dwordx4 v[108:111], off, off offset:896
	s_waitcnt vmcnt(15) lgkmcnt(1)
	v_mul_f64 v[112:113], v[144:145], v[42:43]
	v_fmac_f64_e32 v[112:113], v[146:147], v[40:41]
	v_add_f64 v[0:1], v[0:1], v[112:113]
	v_mul_f64 v[112:113], v[190:191], v[154:155]
	v_fma_f64 v[16:17], v[188:189], v[152:153], -v[112:113]
	scratch_load_dwordx4 v[112:115], off, off offset:912
	ds_read_b128 v[152:155], v2 offset:1616
	s_waitcnt vmcnt(15) lgkmcnt(1)
	v_mul_f64 v[6:7], v[148:149], v[46:47]
	v_fmac_f64_e32 v[6:7], v[150:151], v[44:45]
	v_accvgpr_write_b32 a131, v15
	v_add_f64 v[0:1], v[0:1], v[6:7]
	v_mul_f64 v[6:7], v[202:203], v[158:159]
	v_accvgpr_write_b32 a130, v14
	v_accvgpr_write_b32 a129, v13
	;; [unrolled: 1-line block ×3, first 2 shown]
	v_fma_f64 v[12:13], v[200:201], v[156:157], -v[6:7]
	ds_read_b128 v[156:159], v2 offset:1632
	s_waitcnt vmcnt(14) lgkmcnt(1)
	v_mul_f64 v[6:7], v[152:153], v[50:51]
	v_fmac_f64_e32 v[6:7], v[154:155], v[48:49]
	v_accvgpr_write_b32 a127, v11
	v_add_f64 v[0:1], v[0:1], v[6:7]
	v_mul_f64 v[6:7], v[210:211], v[162:163]
	v_accvgpr_write_b32 a126, v10
	v_accvgpr_write_b32 a125, v9
	;; [unrolled: 1-line block ×3, first 2 shown]
	v_fma_f64 v[10:11], v[208:209], v[160:161], -v[6:7]
	ds_read_b128 v[160:163], v2 offset:1648
	ds_read_b128 v[164:167], v2 offset:1664
	s_waitcnt vmcnt(13) lgkmcnt(2)
	v_mul_f64 v[6:7], v[156:157], v[54:55]
	v_fmac_f64_e32 v[6:7], v[158:159], v[52:53]
	v_add_f64 v[0:1], v[0:1], v[6:7]
	s_waitcnt vmcnt(12) lgkmcnt(1)
	v_mul_f64 v[6:7], v[160:161], v[62:63]
	v_fmac_f64_e32 v[6:7], v[162:163], v[60:61]
	v_add_f64 v[0:1], v[0:1], v[6:7]
	v_mul_f64 v[6:7], v[214:215], v[170:171]
	v_fma_f64 v[8:9], v[212:213], v[168:169], -v[6:7]
	s_waitcnt vmcnt(11) lgkmcnt(0)
	v_mul_f64 v[6:7], v[164:165], v[58:59]
	v_fmac_f64_e32 v[6:7], v[166:167], v[56:57]
	ds_read_b128 v[168:171], v2 offset:1680
	v_add_f64 v[0:1], v[0:1], v[6:7]
	v_mul_f64 v[6:7], v[218:219], v[174:175]
	v_fma_f64 v[14:15], v[216:217], v[172:173], -v[6:7]
	ds_read_b128 v[172:175], v2 offset:1696
	s_waitcnt vmcnt(10) lgkmcnt(1)
	v_mul_f64 v[6:7], v[168:169], v[74:75]
	ds_read_b128 v[176:179], v2 offset:1712
	v_fmac_f64_e32 v[6:7], v[170:171], v[72:73]
	v_add_f64 v[0:1], v[0:1], v[6:7]
	s_waitcnt vmcnt(9) lgkmcnt(1)
	v_mul_f64 v[6:7], v[172:173], v[78:79]
	v_fmac_f64_e32 v[6:7], v[174:175], v[76:77]
	v_add_f64 v[0:1], v[0:1], v[6:7]
	v_mul_f64 v[6:7], v[222:223], v[182:183]
	v_fma_f64 v[4:5], v[220:221], v[180:181], -v[6:7]
	ds_read_b128 v[180:183], v2 offset:1728
	s_waitcnt vmcnt(8) lgkmcnt(1)
	v_mul_f64 v[6:7], v[176:177], v[82:83]
	v_fmac_f64_e32 v[6:7], v[178:179], v[80:81]
	v_add_f64 v[0:1], v[0:1], v[6:7]
	v_mul_f64 v[6:7], v[226:227], v[186:187]
	v_fma_f64 v[6:7], v[224:225], v[184:185], -v[6:7]
	ds_read_b128 v[184:187], v2 offset:1744
	ds_read_b128 v[188:191], v2 offset:1760
	s_waitcnt vmcnt(7) lgkmcnt(2)
	v_mul_f64 v[18:19], v[180:181], v[86:87]
	v_fmac_f64_e32 v[18:19], v[182:183], v[84:85]
	v_add_f64 v[0:1], v[0:1], v[18:19]
	s_waitcnt vmcnt(6) lgkmcnt(1)
	v_mul_f64 v[18:19], v[184:185], v[90:91]
	v_fmac_f64_e32 v[18:19], v[186:187], v[88:89]
	v_add_f64 v[18:19], v[0:1], v[18:19]
	v_mul_f64 v[0:1], v[230:231], v[194:195]
	v_fma_f64 v[0:1], v[228:229], v[192:193], -v[0:1]
	ds_read_b128 v[192:195], v2 offset:1776
	s_waitcnt vmcnt(5) lgkmcnt(1)
	v_mul_f64 v[200:201], v[188:189], v[94:95]
	v_fmac_f64_e32 v[200:201], v[190:191], v[92:93]
	v_mul_f64 v[198:199], v[248:249], v[198:199]
	v_fma_f64 v[238:239], v[246:247], v[196:197], -v[198:199]
	ds_read_b128 v[196:199], v2 offset:1792
	v_add_f64 v[18:19], v[18:19], v[200:201]
	s_waitcnt vmcnt(4) lgkmcnt(1)
	v_mul_f64 v[200:201], v[192:193], v[102:103]
	v_fmac_f64_e32 v[200:201], v[194:195], v[100:101]
	v_add_f64 v[18:19], v[18:19], v[200:201]
	ds_read_b128 v[200:203], v2 offset:1808
	v_mul_f64 v[206:207], v[252:253], v[206:207]
	v_fma_f64 v[246:247], v[250:251], v[204:205], -v[206:207]
	ds_read_b128 v[204:207], v2 offset:1824
	s_waitcnt vmcnt(3) lgkmcnt(2)
	v_mul_f64 v[208:209], v[196:197], v[98:99]
	v_fmac_f64_e32 v[208:209], v[198:199], v[96:97]
	v_add_f64 v[18:19], v[18:19], v[208:209]
	s_waitcnt vmcnt(2) lgkmcnt(1)
	v_mul_f64 v[208:209], v[200:201], v[106:107]
	v_fmac_f64_e32 v[208:209], v[202:203], v[104:105]
	v_add_f64 v[18:19], v[18:19], v[208:209]
	;; [unrolled: 4-line block ×3, first 2 shown]
	ds_read_b128 v[208:211], v2 offset:1840
	ds_read_b128 v[216:219], v2 offset:1856
	;; [unrolled: 1-line block ×3, first 2 shown]
	s_waitcnt vmcnt(0) lgkmcnt(2)
	v_mul_f64 v[212:213], v[208:209], v[114:115]
	v_fmac_f64_e32 v[212:213], v[210:211], v[112:113]
	v_add_f64 v[18:19], v[18:19], v[212:213]
	scratch_load_dwordx4 v[212:215], off, off offset:928
	s_waitcnt vmcnt(0) lgkmcnt(1)
	v_mul_f64 v[220:221], v[216:217], v[214:215]
	v_fmac_f64_e32 v[220:221], v[218:219], v[212:213]
	v_add_f64 v[18:19], v[18:19], v[220:221]
	scratch_load_dwordx4 v[220:223], off, off offset:944
	;; [unrolled: 5-line block ×3, first 2 shown]
	v_add_f64 v[18:19], v[240:241], 0
	v_add_f64 v[18:19], v[18:19], v[242:243]
	;; [unrolled: 1-line block ×12, first 2 shown]
	v_accvgpr_read_b32 v6, a120
	v_accvgpr_read_b32 v8, a122
	;; [unrolled: 1-line block ×3, first 2 shown]
	v_add_f64 v[0:1], v[4:5], v[0:1]
	v_accvgpr_read_b32 v7, a121
	v_mul_f64 v[4:5], v[70:71], v[8:9]
	v_add_f64 v[0:1], v[0:1], v[238:239]
	v_fma_f64 v[4:5], v[68:69], v[6:7], -v[4:5]
	v_accvgpr_read_b32 v6, a124
	v_add_f64 v[0:1], v[0:1], v[246:247]
	v_accvgpr_read_b32 v8, a126
	v_accvgpr_read_b32 v9, a127
	v_add_f64 v[0:1], v[0:1], v[4:5]
	v_accvgpr_read_b32 v7, a125
	v_mul_f64 v[4:5], v[66:67], v[8:9]
	v_fma_f64 v[4:5], v[64:65], v[6:7], -v[4:5]
	v_accvgpr_read_b32 v6, a128
	v_accvgpr_read_b32 v8, a130
	;; [unrolled: 1-line block ×3, first 2 shown]
	v_add_f64 v[0:1], v[0:1], v[4:5]
	v_accvgpr_read_b32 v7, a129
	v_mul_f64 v[4:5], v[118:119], v[8:9]
	v_fma_f64 v[4:5], v[116:117], v[6:7], -v[4:5]
	v_add_f64 v[0:1], v[0:1], v[4:5]
	v_mul_f64 v[4:5], v[122:123], v[236:237]
	v_fma_f64 v[4:5], v[120:121], v[234:235], -v[4:5]
	v_add_f64 v[0:1], v[0:1], v[4:5]
	;; [unrolled: 3-line block ×26, first 2 shown]
	s_waitcnt vmcnt(0)
	v_add_f64 v[4:5], v[228:229], -v[0:1]
	v_accvgpr_read_b32 v0, a118
	v_add_f64 v[6:7], v[230:231], -v[250:251]
	v_cmp_lt_u32_e32 vcc, 14, v0
	scratch_store_dwordx4 off, v[4:7], off offset:256
	s_and_saveexec_b64 s[0:1], vcc
	s_cbranch_execz .LBB58_339
; %bb.338:
	scratch_load_dwordx4 v[6:9], off, s53
	v_mov_b32_e32 v3, v2
	v_mov_b32_e32 v4, v2
	;; [unrolled: 1-line block ×3, first 2 shown]
	v_accvgpr_read_b32 v0, a119
	scratch_store_dwordx4 off, v[2:5], off offset:240
	s_waitcnt vmcnt(1)
	ds_write_b128 v0, v[6:9]
.LBB58_339:
	s_or_b64 exec, exec, s[0:1]
	s_waitcnt lgkmcnt(0)
	; wave barrier
	scratch_load_dwordx4 v[72:75], off, off offset:256
	scratch_load_dwordx4 v[76:79], off, off offset:272
	;; [unrolled: 1-line block ×17, first 2 shown]
	ds_read_b128 v[176:179], v2 offset:1184
	ds_read_b128 v[192:195], v2 offset:1200
	ds_read_b128 v[188:191], v2 offset:1216
	scratch_load_dwordx4 v[20:23], off, off offset:528
	ds_read_b128 v[236:239], v2 offset:1232
	ds_read_b128 v[232:235], v2 offset:1248
	;; [unrolled: 1-line block ×5, first 2 shown]
	scratch_load_dwordx4 v[168:171], off, off offset:544
	ds_read_b128 v[224:227], v2 offset:1312
	ds_read_b128 v[212:215], v2 offset:1328
	ds_read_b128 v[200:203], v2 offset:1344
	scratch_load_dwordx4 v[12:15], off, off offset:560
	ds_read_b128 v[216:219], v2 offset:1360
	ds_read_b128 v[204:207], v2 offset:1376
	ds_read_b128 v[196:199], v2 offset:1392
	ds_read_b128 v[184:187], v2 offset:1408
	ds_read_b128 v[16:19], v2 offset:1424
	scratch_load_dwordx4 v[28:31], off, off offset:576
	ds_read_b128 v[32:35], v2 offset:1440
	scratch_load_dwordx4 v[36:39], off, off offset:592
	scratch_load_dwordx4 v[40:43], off, off offset:608
	;; [unrolled: 1-line block ×9, first 2 shown]
	ds_read_b128 v[132:135], v2 offset:1456
	s_waitcnt lgkmcnt(2)
	v_accvgpr_write_b32 a127, v19
	v_accvgpr_write_b32 a126, v18
	;; [unrolled: 1-line block ×4, first 2 shown]
	ds_read_b128 v[172:175], v2 offset:1520
	s_waitcnt vmcnt(29)
	v_mul_f64 v[0:1], v[176:177], v[74:75]
	s_waitcnt vmcnt(28)
	v_mul_f64 v[136:137], v[192:193], v[78:79]
	v_fmac_f64_e32 v[0:1], v[178:179], v[72:73]
	s_waitcnt vmcnt(27)
	v_mul_f64 v[138:139], v[188:189], v[82:83]
	v_fmac_f64_e32 v[136:137], v[194:195], v[76:77]
	v_add_f64 v[0:1], v[0:1], 0
	s_waitcnt vmcnt(26)
	v_mul_f64 v[140:141], v[236:237], v[86:87]
	v_fmac_f64_e32 v[138:139], v[190:191], v[80:81]
	v_add_f64 v[0:1], v[0:1], v[136:137]
	;; [unrolled: 4-line block ×14, first 2 shown]
	v_fmac_f64_e32 v[164:165], v[18:19], v[4:5]
	v_add_f64 v[0:1], v[0:1], v[162:163]
	s_waitcnt vmcnt(13) lgkmcnt(2)
	v_mul_f64 v[140:141], v[32:33], v[26:27]
	scratch_load_dwordx4 v[136:139], off, off offset:736
	v_add_f64 v[0:1], v[0:1], v[164:165]
	v_fmac_f64_e32 v[140:141], v[34:35], v[24:25]
	v_add_f64 v[0:1], v[0:1], v[140:141]
	ds_read_b128 v[160:163], v2 offset:1472
	scratch_load_dwordx4 v[140:143], off, off offset:752
	ds_read_b128 v[164:167], v2 offset:1488
	s_waitcnt vmcnt(13)
	v_mov_b64_e32 v[16:17], v[168:169]
	v_mov_b64_e32 v[18:19], v[170:171]
	ds_read_b128 v[168:171], v2 offset:1504
	s_waitcnt lgkmcnt(4)
	v_mul_f64 v[144:145], v[132:133], v[22:23]
	v_fmac_f64_e32 v[144:145], v[134:135], v[20:21]
	s_waitcnt lgkmcnt(2)
	v_mul_f64 v[148:149], v[160:161], v[18:19]
	v_add_f64 v[0:1], v[0:1], v[144:145]
	v_fmac_f64_e32 v[148:149], v[162:163], v[16:17]
	s_waitcnt vmcnt(12) lgkmcnt(1)
	v_mul_f64 v[152:153], v[164:165], v[14:15]
	scratch_load_dwordx4 v[144:147], off, off offset:768
	v_add_f64 v[0:1], v[0:1], v[148:149]
	v_fmac_f64_e32 v[152:153], v[166:167], v[12:13]
	scratch_load_dwordx4 v[148:151], off, off offset:784
	v_add_f64 v[0:1], v[0:1], v[152:153]
	s_waitcnt vmcnt(13) lgkmcnt(0)
	v_mul_f64 v[152:153], v[168:169], v[30:31]
	v_fmac_f64_e32 v[152:153], v[170:171], v[28:29]
	v_add_f64 v[0:1], v[0:1], v[152:153]
	scratch_load_dwordx4 v[152:155], off, off offset:800
	s_waitcnt vmcnt(13)
	v_mul_f64 v[156:157], v[172:173], v[38:39]
	v_fmac_f64_e32 v[156:157], v[174:175], v[36:37]
	v_mul_f64 v[74:75], v[178:179], v[74:75]
	v_add_f64 v[0:1], v[0:1], v[156:157]
	scratch_load_dwordx4 v[156:159], off, off offset:816
	v_fma_f64 v[240:241], v[176:177], v[72:73], -v[74:75]
	v_mul_f64 v[72:73], v[194:195], v[78:79]
	ds_read_b128 v[180:183], v2 offset:1536
	ds_read_b128 v[176:179], v2 offset:1552
	v_fma_f64 v[242:243], v[192:193], v[76:77], -v[72:73]
	scratch_load_dwordx4 v[76:79], off, off offset:832
	scratch_load_dwordx4 v[72:75], off, off offset:848
	v_mul_f64 v[82:83], v[190:191], v[82:83]
	v_fma_f64 v[244:245], v[188:189], v[80:81], -v[82:83]
	v_mul_f64 v[80:81], v[238:239], v[86:87]
	v_fma_f64 v[236:237], v[236:237], v[84:85], -v[80:81]
	scratch_load_dwordx4 v[80:83], off, off offset:864
	ds_read_b128 v[188:191], v2 offset:1568
	v_mul_f64 v[84:85], v[234:235], v[90:91]
	s_waitcnt vmcnt(16) lgkmcnt(2)
	v_mul_f64 v[192:193], v[180:181], v[42:43]
	v_fma_f64 v[238:239], v[232:233], v[88:89], -v[84:85]
	scratch_load_dwordx4 v[84:87], off, off offset:880
	v_fmac_f64_e32 v[192:193], v[182:183], v[40:41]
	v_add_f64 v[0:1], v[0:1], v[192:193]
	s_waitcnt vmcnt(16) lgkmcnt(1)
	v_mul_f64 v[192:193], v[176:177], v[46:47]
	v_fmac_f64_e32 v[192:193], v[178:179], v[44:45]
	v_add_f64 v[0:1], v[0:1], v[192:193]
	ds_read_b128 v[192:195], v2 offset:1584
	s_waitcnt vmcnt(15) lgkmcnt(1)
	v_mul_f64 v[88:89], v[188:189], v[50:51]
	v_fmac_f64_e32 v[88:89], v[190:191], v[48:49]
	v_add_f64 v[0:1], v[0:1], v[88:89]
	v_mul_f64 v[88:89], v[230:231], v[94:95]
	v_fma_f64 v[250:251], v[228:229], v[92:93], -v[88:89]
	scratch_load_dwordx4 v[88:91], off, off offset:896
	scratch_load_dwordx4 v[232:235], off, off offset:944
	ds_read_b128 v[92:95], v2 offset:1600
	v_mul_f64 v[98:99], v[222:223], v[98:99]
	v_fma_f64 v[252:253], v[220:221], v[96:97], -v[98:99]
	ds_read_b128 v[96:99], v2 offset:1616
	v_mul_f64 v[102:103], v[210:211], v[102:103]
	s_waitcnt vmcnt(16) lgkmcnt(2)
	v_mul_f64 v[228:229], v[192:193], v[54:55]
	v_fma_f64 v[254:255], v[208:209], v[100:101], -v[102:103]
	ds_read_b128 v[100:103], v2 offset:1632
	ds_read_b128 v[208:211], v2 offset:1648
	v_fmac_f64_e32 v[228:229], v[194:195], v[52:53]
	s_waitcnt vmcnt(15) lgkmcnt(3)
	v_mul_f64 v[220:221], v[92:93], v[58:59]
	v_add_f64 v[0:1], v[0:1], v[228:229]
	v_fmac_f64_e32 v[220:221], v[94:95], v[56:57]
	v_mul_f64 v[106:107], v[226:227], v[106:107]
	v_add_f64 v[0:1], v[0:1], v[220:221]
	s_waitcnt vmcnt(14) lgkmcnt(2)
	v_mul_f64 v[220:221], v[96:97], v[62:63]
	v_fma_f64 v[246:247], v[224:225], v[104:105], -v[106:107]
	ds_read_b128 v[104:107], v2 offset:1664
	v_fmac_f64_e32 v[220:221], v[98:99], v[60:61]
	v_mul_f64 v[110:111], v[214:215], v[110:111]
	v_add_f64 v[0:1], v[0:1], v[220:221]
	s_waitcnt vmcnt(13) lgkmcnt(2)
	v_mul_f64 v[220:221], v[100:101], v[70:71]
	v_fma_f64 v[8:9], v[212:213], v[108:109], -v[110:111]
	ds_read_b128 v[108:111], v2 offset:1680
	v_fmac_f64_e32 v[220:221], v[102:103], v[68:69]
	v_accvgpr_write_b32 a123, v7
	v_add_f64 v[0:1], v[0:1], v[220:221]
	s_waitcnt vmcnt(12) lgkmcnt(2)
	v_mul_f64 v[220:221], v[208:209], v[66:67]
	v_accvgpr_write_b32 a122, v6
	v_accvgpr_write_b32 a121, v5
	;; [unrolled: 1-line block ×3, first 2 shown]
	v_fmac_f64_e32 v[220:221], v[210:211], v[64:65]
	s_waitcnt vmcnt(11) lgkmcnt(1)
	v_mul_f64 v[6:7], v[104:105], v[138:139]
	v_add_f64 v[0:1], v[0:1], v[220:221]
	v_fmac_f64_e32 v[6:7], v[106:107], v[136:137]
	v_add_f64 v[0:1], v[0:1], v[6:7]
	s_waitcnt vmcnt(10) lgkmcnt(0)
	v_mul_f64 v[6:7], v[108:109], v[142:143]
	v_fmac_f64_e32 v[6:7], v[110:111], v[140:141]
	ds_read_b128 v[212:215], v2 offset:1696
	v_add_f64 v[0:1], v[0:1], v[6:7]
	v_mul_f64 v[6:7], v[202:203], v[114:115]
	v_fma_f64 v[6:7], v[200:201], v[112:113], -v[6:7]
	ds_read_b128 v[112:115], v2 offset:1712
	v_mul_f64 v[118:119], v[218:219], v[118:119]
	v_fma_f64 v[4:5], v[216:217], v[116:117], -v[118:119]
	ds_read_b128 v[116:119], v2 offset:1728
	s_waitcnt vmcnt(9) lgkmcnt(2)
	v_mul_f64 v[200:201], v[212:213], v[146:147]
	v_fmac_f64_e32 v[200:201], v[214:215], v[144:145]
	s_waitcnt vmcnt(8) lgkmcnt(1)
	v_mul_f64 v[10:11], v[112:113], v[150:151]
	v_add_f64 v[0:1], v[0:1], v[200:201]
	v_fmac_f64_e32 v[10:11], v[114:115], v[148:149]
	v_add_f64 v[0:1], v[0:1], v[10:11]
	ds_read_b128 v[200:203], v2 offset:1744
	s_waitcnt vmcnt(7) lgkmcnt(1)
	v_mul_f64 v[10:11], v[116:117], v[154:155]
	v_fmac_f64_e32 v[10:11], v[118:119], v[152:153]
	v_add_f64 v[10:11], v[0:1], v[10:11]
	v_mul_f64 v[0:1], v[206:207], v[122:123]
	v_fma_f64 v[0:1], v[204:205], v[120:121], -v[0:1]
	ds_read_b128 v[120:123], v2 offset:1760
	v_mul_f64 v[126:127], v[198:199], v[126:127]
	v_fma_f64 v[124:125], v[196:197], v[124:125], -v[126:127]
	s_waitcnt vmcnt(6) lgkmcnt(1)
	v_mul_f64 v[204:205], v[200:201], v[158:159]
	v_accvgpr_write_b32 a129, v125
	v_fmac_f64_e32 v[204:205], v[202:203], v[156:157]
	v_accvgpr_write_b32 a128, v124
	ds_read_b128 v[124:127], v2 offset:1776
	s_waitcnt vmcnt(5) lgkmcnt(1)
	v_mul_f64 v[196:197], v[120:121], v[78:79]
	v_add_f64 v[10:11], v[10:11], v[204:205]
	v_fmac_f64_e32 v[196:197], v[122:123], v[76:77]
	v_add_f64 v[10:11], v[10:11], v[196:197]
	ds_read_b128 v[196:199], v2 offset:1792
	v_mul_f64 v[130:131], v[186:187], v[130:131]
	v_fma_f64 v[248:249], v[184:185], v[128:129], -v[130:131]
	ds_read_b128 v[128:131], v2 offset:1808
	s_waitcnt vmcnt(4) lgkmcnt(2)
	v_mul_f64 v[184:185], v[124:125], v[74:75]
	v_fmac_f64_e32 v[184:185], v[126:127], v[72:73]
	v_add_f64 v[10:11], v[10:11], v[184:185]
	s_waitcnt vmcnt(3) lgkmcnt(1)
	v_mul_f64 v[184:185], v[196:197], v[82:83]
	v_fmac_f64_e32 v[184:185], v[198:199], v[80:81]
	v_add_f64 v[10:11], v[10:11], v[184:185]
	s_waitcnt vmcnt(2) lgkmcnt(0)
	v_mul_f64 v[184:185], v[128:129], v[86:87]
	v_fmac_f64_e32 v[184:185], v[130:131], v[84:85]
	v_add_f64 v[10:11], v[10:11], v[184:185]
	ds_read_b128 v[184:187], v2 offset:1824
	ds_read_b128 v[216:219], v2 offset:1840
	;; [unrolled: 1-line block ×3, first 2 shown]
	s_waitcnt vmcnt(1) lgkmcnt(2)
	v_mul_f64 v[204:205], v[184:185], v[90:91]
	v_fmac_f64_e32 v[204:205], v[186:187], v[88:89]
	v_add_f64 v[10:11], v[10:11], v[204:205]
	scratch_load_dwordx4 v[204:207], off, off offset:912
	s_waitcnt vmcnt(0) lgkmcnt(1)
	v_mul_f64 v[220:221], v[216:217], v[206:207]
	v_fmac_f64_e32 v[220:221], v[218:219], v[204:205]
	v_add_f64 v[10:11], v[10:11], v[220:221]
	scratch_load_dwordx4 v[220:223], off, off offset:928
	s_waitcnt vmcnt(0) lgkmcnt(0)
	v_mul_f64 v[228:229], v[224:225], v[222:223]
	v_fmac_f64_e32 v[228:229], v[226:227], v[220:221]
	v_add_f64 v[10:11], v[10:11], v[228:229]
	ds_read_b128 v[228:231], v2 offset:1872
	s_waitcnt lgkmcnt(0)
	v_mul_f64 v[2:3], v[228:229], v[234:235]
	v_fmac_f64_e32 v[2:3], v[230:231], v[232:233]
	v_add_f64 v[2:3], v[10:11], v[2:3]
	v_add_f64 v[10:11], v[240:241], 0
	v_add_f64 v[10:11], v[10:11], v[242:243]
	v_add_f64 v[10:11], v[10:11], v[244:245]
	v_add_f64 v[10:11], v[10:11], v[236:237]
	v_add_f64 v[10:11], v[10:11], v[238:239]
	scratch_load_dwordx4 v[236:239], off, off offset:240
	v_add_f64 v[10:11], v[10:11], v[250:251]
	v_add_f64 v[10:11], v[10:11], v[252:253]
	;; [unrolled: 1-line block ×8, first 2 shown]
	v_accvgpr_read_b32 v0, a128
	v_accvgpr_read_b32 v6, a120
	v_accvgpr_read_b32 v243, a127
	v_accvgpr_read_b32 v1, a129
	v_accvgpr_read_b32 v8, a122
	v_accvgpr_read_b32 v9, a123
	v_accvgpr_read_b32 v242, a126
	v_add_f64 v[0:1], v[250:251], v[0:1]
	v_accvgpr_read_b32 v7, a121
	v_accvgpr_read_b32 v241, a125
	;; [unrolled: 1-line block ×3, first 2 shown]
	v_mul_f64 v[4:5], v[242:243], v[8:9]
	v_add_f64 v[0:1], v[0:1], v[248:249]
	v_fma_f64 v[4:5], v[240:241], v[6:7], -v[4:5]
	v_add_f64 v[0:1], v[0:1], v[4:5]
	v_mul_f64 v[4:5], v[34:35], v[26:27]
	v_fma_f64 v[4:5], v[32:33], v[24:25], -v[4:5]
	v_add_f64 v[0:1], v[0:1], v[4:5]
	v_mul_f64 v[4:5], v[134:135], v[22:23]
	;; [unrolled: 3-line block ×28, first 2 shown]
	v_fma_f64 v[4:5], v[228:229], v[232:233], -v[4:5]
	v_add_f64 v[0:1], v[0:1], v[4:5]
	s_waitcnt vmcnt(0)
	v_add_f64 v[4:5], v[236:237], -v[0:1]
	v_accvgpr_read_b32 v0, a118
	v_add_f64 v[6:7], v[238:239], -v[2:3]
	v_cmp_lt_u32_e32 vcc, 13, v0
	scratch_store_dwordx4 off, v[4:7], off offset:240
	s_and_saveexec_b64 s[0:1], vcc
	s_cbranch_execz .LBB58_341
; %bb.340:
	scratch_load_dwordx4 v[2:5], off, s52
	v_mov_b32_e32 v6, 0
	v_mov_b32_e32 v7, v6
	;; [unrolled: 1-line block ×4, first 2 shown]
	v_accvgpr_read_b32 v0, a119
	scratch_store_dwordx4 off, v[6:9], off offset:224
	s_waitcnt vmcnt(1)
	ds_write_b128 v0, v[2:5]
.LBB58_341:
	s_or_b64 exec, exec, s[0:1]
	s_waitcnt lgkmcnt(0)
	; wave barrier
	scratch_load_dwordx4 v[80:83], off, off offset:240
	scratch_load_dwordx4 v[84:87], off, off offset:256
	;; [unrolled: 1-line block ×29, first 2 shown]
	v_mov_b32_e32 v2, 0
	ds_read_b128 v[132:135], v2 offset:1168
	ds_read_b128 v[136:139], v2 offset:1184
	ds_read_b128 v[140:143], v2 offset:1200
	ds_read_b128 v[148:151], v2 offset:1216
	ds_read_b128 v[160:163], v2 offset:1232
	ds_read_b128 v[172:175], v2 offset:1248
	ds_read_b128 v[184:187], v2 offset:1264
	ds_read_b128 v[196:199], v2 offset:1280
	ds_read_b128 v[204:207], v2 offset:1296
	ds_read_b128 v[208:211], v2 offset:1312
	ds_read_b128 v[212:215], v2 offset:1328
	ds_read_b128 v[216:219], v2 offset:1344
	ds_read_b128 v[220:223], v2 offset:1360
	ds_read_b128 v[224:227], v2 offset:1376
	ds_read_b128 v[228:231], v2 offset:1392
	ds_read_b128 v[246:249], v2 offset:1408
	ds_read_b128 v[250:253], v2 offset:1424
	ds_read_b128 v[52:55], v2 offset:1440
	ds_read_b128 v[116:119], v2 offset:1488
	ds_read_b128 v[120:123], v2 offset:1504
	ds_read_b128 v[124:127], v2 offset:1520
	ds_read_b128 v[128:131], v2 offset:1536
	s_waitcnt vmcnt(28) lgkmcnt(14)
	v_mul_f64 v[0:1], v[132:133], v[82:83]
	s_waitcnt vmcnt(27)
	v_mul_f64 v[56:57], v[136:137], v[86:87]
	v_fmac_f64_e32 v[0:1], v[134:135], v[80:81]
	s_waitcnt vmcnt(26)
	v_mul_f64 v[58:59], v[140:141], v[90:91]
	v_fmac_f64_e32 v[56:57], v[138:139], v[84:85]
	v_add_f64 v[0:1], v[0:1], 0
	s_waitcnt vmcnt(25)
	v_mul_f64 v[60:61], v[148:149], v[94:95]
	v_fmac_f64_e32 v[58:59], v[142:143], v[88:89]
	v_add_f64 v[0:1], v[0:1], v[56:57]
	;; [unrolled: 4-line block ×6, first 2 shown]
	s_waitcnt vmcnt(20) lgkmcnt(13)
	v_mul_f64 v[70:71], v[204:205], v[154:155]
	v_fmac_f64_e32 v[68:69], v[198:199], v[144:145]
	v_add_f64 v[0:1], v[0:1], v[66:67]
	s_waitcnt vmcnt(19) lgkmcnt(12)
	v_mul_f64 v[72:73], v[208:209], v[158:159]
	v_fmac_f64_e32 v[70:71], v[206:207], v[152:153]
	v_add_f64 v[0:1], v[0:1], v[68:69]
	;; [unrolled: 4-line block ×8, first 2 shown]
	v_fmac_f64_e32 v[112:113], v[248:249], v[192:193]
	v_add_f64 v[0:1], v[0:1], v[110:111]
	s_waitcnt vmcnt(12) lgkmcnt(5)
	v_mul_f64 v[60:61], v[250:251], v[202:203]
	scratch_load_dwordx4 v[56:59], off, off offset:704
	ds_read_b128 v[108:111], v2 offset:1456
	v_add_f64 v[0:1], v[0:1], v[112:113]
	v_fmac_f64_e32 v[60:61], v[252:253], v[200:201]
	v_add_f64 v[0:1], v[0:1], v[60:61]
	s_waitcnt vmcnt(12) lgkmcnt(5)
	v_mul_f64 v[64:65], v[52:53], v[6:7]
	scratch_load_dwordx4 v[60:63], off, off offset:720
	v_accvgpr_write_b32 a123, v7
	v_fmac_f64_e32 v[64:65], v[54:55], v[4:5]
	v_accvgpr_write_b32 a122, v6
	v_accvgpr_write_b32 a121, v5
	;; [unrolled: 1-line block ×3, first 2 shown]
	ds_read_b128 v[112:115], v2 offset:1472
	s_waitcnt vmcnt(12)
	v_mov_b64_e32 v[4:5], v[8:9]
	v_mov_b64_e32 v[6:7], v[10:11]
	s_waitcnt lgkmcnt(1)
	v_mul_f64 v[68:69], v[108:109], v[6:7]
	v_fmac_f64_e32 v[68:69], v[110:111], v[4:5]
	s_waitcnt vmcnt(11)
	v_mov_b64_e32 v[4:5], v[12:13]
	v_add_f64 v[0:1], v[0:1], v[64:65]
	v_mov_b64_e32 v[6:7], v[14:15]
	scratch_load_dwordx4 v[64:67], off, off offset:736
	v_add_f64 v[0:1], v[0:1], v[68:69]
	s_waitcnt lgkmcnt(0)
	v_mul_f64 v[68:69], v[112:113], v[6:7]
	v_fmac_f64_e32 v[68:69], v[114:115], v[4:5]
	s_waitcnt vmcnt(11)
	v_mov_b64_e32 v[4:5], v[16:17]
	v_add_f64 v[0:1], v[0:1], v[68:69]
	scratch_load_dwordx4 v[68:71], off, off offset:752
	v_mov_b64_e32 v[6:7], v[18:19]
	v_mul_f64 v[76:77], v[116:117], v[6:7]
	scratch_load_dwordx4 v[72:75], off, off offset:768
	v_fmac_f64_e32 v[76:77], v[118:119], v[4:5]
	v_add_f64 v[0:1], v[0:1], v[76:77]
	s_waitcnt vmcnt(12)
	v_mul_f64 v[76:77], v[120:121], v[236:237]
	v_fmac_f64_e32 v[76:77], v[122:123], v[234:235]
	v_add_f64 v[0:1], v[0:1], v[76:77]
	scratch_load_dwordx4 v[76:79], off, off offset:784
	v_mul_f64 v[82:83], v[134:135], v[82:83]
	v_fma_f64 v[240:241], v[132:133], v[80:81], -v[82:83]
	scratch_load_dwordx4 v[80:83], off, off offset:800
	v_mul_f64 v[86:87], v[138:139], v[86:87]
	v_fma_f64 v[242:243], v[136:137], v[84:85], -v[86:87]
	scratch_load_dwordx4 v[84:87], off, off offset:816
	v_mul_f64 v[90:91], v[142:143], v[90:91]
	s_waitcnt vmcnt(14)
	v_mul_f64 v[132:133], v[124:125], v[26:27]
	v_fma_f64 v[244:245], v[140:141], v[88:89], -v[90:91]
	scratch_load_dwordx4 v[88:91], off, off offset:832
	v_fmac_f64_e32 v[132:133], v[126:127], v[24:25]
	s_waitcnt vmcnt(14)
	v_mul_f64 v[136:137], v[128:129], v[30:31]
	v_mul_f64 v[94:95], v[150:151], v[94:95]
	v_add_f64 v[0:1], v[0:1], v[132:133]
	v_fmac_f64_e32 v[136:137], v[130:131], v[28:29]
	v_fma_f64 v[254:255], v[148:149], v[92:93], -v[94:95]
	v_mul_f64 v[92:93], v[162:163], v[98:99]
	ds_read_b128 v[132:135], v2 offset:1552
	v_add_f64 v[0:1], v[0:1], v[136:137]
	ds_read_b128 v[136:139], v2 offset:1568
	v_fma_f64 v[232:233], v[160:161], v[96:97], -v[92:93]
	scratch_load_dwordx4 v[96:99], off, off offset:848
	scratch_load_dwordx4 v[92:95], off, off offset:864
	v_mul_f64 v[102:103], v[174:175], v[102:103]
	v_fma_f64 v[20:21], v[172:173], v[100:101], -v[102:103]
	scratch_load_dwordx4 v[100:103], off, off offset:880
	v_accvgpr_write_b32 a135, v19
	v_mul_f64 v[6:7], v[186:187], v[106:107]
	v_accvgpr_write_b32 a134, v18
	v_accvgpr_write_b32 a133, v17
	;; [unrolled: 1-line block ×3, first 2 shown]
	v_fma_f64 v[16:17], v[184:185], v[104:105], -v[6:7]
	scratch_load_dwordx4 v[104:107], off, off offset:896
	s_waitcnt vmcnt(17) lgkmcnt(1)
	v_mul_f64 v[140:141], v[132:133], v[34:35]
	v_fmac_f64_e32 v[140:141], v[134:135], v[32:33]
	v_add_f64 v[0:1], v[0:1], v[140:141]
	ds_read_b128 v[140:143], v2 offset:1584
	v_accvgpr_write_b32 a131, v15
	v_mul_f64 v[6:7], v[198:199], v[146:147]
	v_accvgpr_write_b32 a130, v14
	v_accvgpr_write_b32 a129, v13
	;; [unrolled: 1-line block ×3, first 2 shown]
	v_fma_f64 v[12:13], v[196:197], v[144:145], -v[6:7]
	ds_read_b128 v[144:147], v2 offset:1600
	s_waitcnt vmcnt(16) lgkmcnt(2)
	v_mul_f64 v[148:149], v[136:137], v[38:39]
	v_fmac_f64_e32 v[148:149], v[138:139], v[36:37]
	v_add_f64 v[0:1], v[0:1], v[148:149]
	s_waitcnt vmcnt(15) lgkmcnt(1)
	v_mul_f64 v[6:7], v[140:141], v[42:43]
	ds_read_b128 v[148:151], v2 offset:1616
	v_fmac_f64_e32 v[6:7], v[142:143], v[40:41]
	v_add_f64 v[0:1], v[0:1], v[6:7]
	s_waitcnt vmcnt(14) lgkmcnt(1)
	v_mul_f64 v[6:7], v[144:145], v[46:47]
	v_fmac_f64_e32 v[6:7], v[146:147], v[44:45]
	v_accvgpr_write_b32 a127, v11
	v_add_f64 v[0:1], v[0:1], v[6:7]
	v_mul_f64 v[6:7], v[206:207], v[154:155]
	v_accvgpr_write_b32 a126, v10
	v_accvgpr_write_b32 a125, v9
	;; [unrolled: 1-line block ×3, first 2 shown]
	v_fma_f64 v[10:11], v[204:205], v[152:153], -v[6:7]
	ds_read_b128 v[152:155], v2 offset:1632
	s_waitcnt vmcnt(13) lgkmcnt(1)
	v_mul_f64 v[6:7], v[148:149], v[50:51]
	v_fmac_f64_e32 v[6:7], v[150:151], v[48:49]
	v_add_f64 v[0:1], v[0:1], v[6:7]
	v_mul_f64 v[6:7], v[210:211], v[158:159]
	v_fma_f64 v[14:15], v[208:209], v[156:157], -v[6:7]
	ds_read_b128 v[156:159], v2 offset:1648
	ds_read_b128 v[160:163], v2 offset:1664
	s_waitcnt vmcnt(12) lgkmcnt(2)
	v_mul_f64 v[6:7], v[152:153], v[58:59]
	v_fmac_f64_e32 v[6:7], v[154:155], v[56:57]
	v_add_f64 v[0:1], v[0:1], v[6:7]
	s_waitcnt vmcnt(11) lgkmcnt(1)
	v_mul_f64 v[6:7], v[156:157], v[62:63]
	v_fmac_f64_e32 v[6:7], v[158:159], v[60:61]
	v_add_f64 v[0:1], v[0:1], v[6:7]
	v_mul_f64 v[6:7], v[214:215], v[166:167]
	v_fma_f64 v[8:9], v[212:213], v[164:165], -v[6:7]
	ds_read_b128 v[164:167], v2 offset:1680
	v_mul_f64 v[18:19], v[218:219], v[170:171]
	v_fma_f64 v[18:19], v[216:217], v[168:169], -v[18:19]
	ds_read_b128 v[168:171], v2 offset:1696
	s_waitcnt vmcnt(10) lgkmcnt(2)
	v_mul_f64 v[6:7], v[160:161], v[66:67]
	v_fmac_f64_e32 v[6:7], v[162:163], v[64:65]
	v_add_f64 v[0:1], v[0:1], v[6:7]
	s_waitcnt vmcnt(9) lgkmcnt(1)
	v_mul_f64 v[6:7], v[164:165], v[70:71]
	ds_read_b128 v[172:175], v2 offset:1712
	v_fmac_f64_e32 v[6:7], v[166:167], v[68:69]
	v_add_f64 v[0:1], v[0:1], v[6:7]
	s_waitcnt vmcnt(8) lgkmcnt(1)
	v_mul_f64 v[6:7], v[168:169], v[74:75]
	v_fmac_f64_e32 v[6:7], v[170:171], v[72:73]
	v_add_f64 v[0:1], v[0:1], v[6:7]
	v_mul_f64 v[6:7], v[222:223], v[178:179]
	v_fma_f64 v[4:5], v[220:221], v[176:177], -v[6:7]
	ds_read_b128 v[176:179], v2 offset:1728
	s_waitcnt vmcnt(7) lgkmcnt(1)
	v_mul_f64 v[6:7], v[172:173], v[78:79]
	v_fmac_f64_e32 v[6:7], v[174:175], v[76:77]
	v_add_f64 v[0:1], v[0:1], v[6:7]
	v_mul_f64 v[6:7], v[226:227], v[182:183]
	v_fma_f64 v[6:7], v[224:225], v[180:181], -v[6:7]
	ds_read_b128 v[180:183], v2 offset:1744
	ds_read_b128 v[184:187], v2 offset:1760
	s_waitcnt vmcnt(6) lgkmcnt(2)
	v_mul_f64 v[22:23], v[176:177], v[82:83]
	v_fmac_f64_e32 v[22:23], v[178:179], v[80:81]
	v_add_f64 v[0:1], v[0:1], v[22:23]
	s_waitcnt vmcnt(5) lgkmcnt(1)
	v_mul_f64 v[22:23], v[180:181], v[86:87]
	v_fmac_f64_e32 v[22:23], v[182:183], v[84:85]
	v_add_f64 v[22:23], v[0:1], v[22:23]
	v_mul_f64 v[0:1], v[230:231], v[190:191]
	v_fma_f64 v[0:1], v[228:229], v[188:189], -v[0:1]
	ds_read_b128 v[188:191], v2 offset:1776
	s_waitcnt vmcnt(4) lgkmcnt(1)
	v_mul_f64 v[196:197], v[184:185], v[90:91]
	v_fmac_f64_e32 v[196:197], v[186:187], v[88:89]
	v_mul_f64 v[194:195], v[248:249], v[194:195]
	v_fma_f64 v[238:239], v[246:247], v[192:193], -v[194:195]
	ds_read_b128 v[192:195], v2 offset:1792
	v_add_f64 v[22:23], v[22:23], v[196:197]
	s_waitcnt vmcnt(3) lgkmcnt(1)
	v_mul_f64 v[196:197], v[188:189], v[98:99]
	v_fmac_f64_e32 v[196:197], v[190:191], v[96:97]
	v_add_f64 v[22:23], v[22:23], v[196:197]
	ds_read_b128 v[196:199], v2 offset:1808
	v_mul_f64 v[202:203], v[252:253], v[202:203]
	v_fma_f64 v[246:247], v[250:251], v[200:201], -v[202:203]
	ds_read_b128 v[200:203], v2 offset:1824
	s_waitcnt vmcnt(2) lgkmcnt(2)
	v_mul_f64 v[204:205], v[192:193], v[94:95]
	v_fmac_f64_e32 v[204:205], v[194:195], v[92:93]
	v_add_f64 v[22:23], v[22:23], v[204:205]
	s_waitcnt vmcnt(1) lgkmcnt(1)
	v_mul_f64 v[204:205], v[196:197], v[102:103]
	v_fmac_f64_e32 v[204:205], v[198:199], v[100:101]
	v_add_f64 v[22:23], v[22:23], v[204:205]
	;; [unrolled: 4-line block ×3, first 2 shown]
	scratch_load_dwordx4 v[204:207], off, off offset:912
	ds_read_b128 v[208:211], v2 offset:1840
	ds_read_b128 v[216:219], v2 offset:1856
	;; [unrolled: 1-line block ×3, first 2 shown]
	s_waitcnt vmcnt(0) lgkmcnt(2)
	v_mul_f64 v[212:213], v[208:209], v[206:207]
	v_fmac_f64_e32 v[212:213], v[210:211], v[204:205]
	v_add_f64 v[22:23], v[22:23], v[212:213]
	scratch_load_dwordx4 v[212:215], off, off offset:928
	s_waitcnt vmcnt(0) lgkmcnt(1)
	v_mul_f64 v[220:221], v[216:217], v[214:215]
	v_fmac_f64_e32 v[220:221], v[218:219], v[212:213]
	v_add_f64 v[22:23], v[22:23], v[220:221]
	scratch_load_dwordx4 v[220:223], off, off offset:944
	;; [unrolled: 5-line block ×3, first 2 shown]
	v_add_f64 v[22:23], v[240:241], 0
	v_add_f64 v[22:23], v[22:23], v[242:243]
	;; [unrolled: 1-line block ×14, first 2 shown]
	v_accvgpr_read_b32 v6, a120
	v_accvgpr_read_b32 v8, a122
	;; [unrolled: 1-line block ×3, first 2 shown]
	v_add_f64 v[0:1], v[4:5], v[0:1]
	v_accvgpr_read_b32 v7, a121
	v_mul_f64 v[4:5], v[54:55], v[8:9]
	v_add_f64 v[0:1], v[0:1], v[238:239]
	v_fma_f64 v[4:5], v[52:53], v[6:7], -v[4:5]
	v_accvgpr_read_b32 v6, a124
	v_add_f64 v[0:1], v[0:1], v[246:247]
	v_accvgpr_read_b32 v8, a126
	v_accvgpr_read_b32 v9, a127
	v_add_f64 v[0:1], v[0:1], v[4:5]
	v_accvgpr_read_b32 v7, a125
	v_mul_f64 v[4:5], v[110:111], v[8:9]
	v_fma_f64 v[4:5], v[108:109], v[6:7], -v[4:5]
	v_accvgpr_read_b32 v6, a128
	v_accvgpr_read_b32 v8, a130
	;; [unrolled: 1-line block ×3, first 2 shown]
	v_add_f64 v[0:1], v[0:1], v[4:5]
	v_accvgpr_read_b32 v7, a129
	v_mul_f64 v[4:5], v[114:115], v[8:9]
	v_fma_f64 v[4:5], v[112:113], v[6:7], -v[4:5]
	v_accvgpr_read_b32 v6, a132
	v_accvgpr_read_b32 v8, a134
	;; [unrolled: 1-line block ×3, first 2 shown]
	v_add_f64 v[0:1], v[0:1], v[4:5]
	v_accvgpr_read_b32 v7, a133
	v_mul_f64 v[4:5], v[118:119], v[8:9]
	v_fma_f64 v[4:5], v[116:117], v[6:7], -v[4:5]
	v_add_f64 v[0:1], v[0:1], v[4:5]
	v_mul_f64 v[4:5], v[122:123], v[236:237]
	v_fma_f64 v[4:5], v[120:121], v[234:235], -v[4:5]
	v_add_f64 v[0:1], v[0:1], v[4:5]
	;; [unrolled: 3-line block ×25, first 2 shown]
	s_waitcnt vmcnt(0)
	v_add_f64 v[4:5], v[228:229], -v[0:1]
	v_accvgpr_read_b32 v0, a118
	v_add_f64 v[6:7], v[230:231], -v[250:251]
	v_cmp_lt_u32_e32 vcc, 12, v0
	scratch_store_dwordx4 off, v[4:7], off offset:224
	s_and_saveexec_b64 s[0:1], vcc
	s_cbranch_execz .LBB58_343
; %bb.342:
	scratch_load_dwordx4 v[6:9], off, s51
	v_mov_b32_e32 v3, v2
	v_mov_b32_e32 v4, v2
	;; [unrolled: 1-line block ×3, first 2 shown]
	v_accvgpr_read_b32 v0, a119
	scratch_store_dwordx4 off, v[2:5], off offset:208
	s_waitcnt vmcnt(1)
	ds_write_b128 v0, v[6:9]
.LBB58_343:
	s_or_b64 exec, exec, s[0:1]
	s_waitcnt lgkmcnt(0)
	; wave barrier
	scratch_load_dwordx4 v[80:83], off, off offset:224
	scratch_load_dwordx4 v[84:87], off, off offset:240
	;; [unrolled: 1-line block ×17, first 2 shown]
	ds_read_b128 v[136:139], v2 offset:1152
	ds_read_b128 v[132:135], v2 offset:1168
	scratch_load_dwordx4 v[4:7], off, off offset:496
	ds_read_b128 v[236:239], v2 offset:1184
	ds_read_b128 v[228:231], v2 offset:1200
	;; [unrolled: 1-line block ×5, first 2 shown]
	scratch_load_dwordx4 v[8:11], off, off offset:512
	ds_read_b128 v[232:235], v2 offset:1264
	ds_read_b128 v[216:219], v2 offset:1280
	;; [unrolled: 1-line block ×3, first 2 shown]
	scratch_load_dwordx4 v[12:15], off, off offset:528
	ds_read_b128 v[220:223], v2 offset:1312
	ds_read_b128 v[172:175], v2 offset:1328
	;; [unrolled: 1-line block ×5, first 2 shown]
	scratch_load_dwordx4 v[16:19], off, off offset:544
	ds_read_b128 v[208:211], v2 offset:1392
	ds_read_b128 v[204:207], v2 offset:1408
	;; [unrolled: 1-line block ×3, first 2 shown]
	scratch_load_dwordx4 v[24:27], off, off offset:560
	scratch_load_dwordx4 v[28:31], off, off offset:576
	;; [unrolled: 1-line block ×8, first 2 shown]
	ds_read_b128 v[116:119], v2 offset:1472
	ds_read_b128 v[120:123], v2 offset:1488
	;; [unrolled: 1-line block ×4, first 2 shown]
	s_waitcnt vmcnt(28) lgkmcnt(14)
	v_mul_f64 v[0:1], v[136:137], v[82:83]
	s_waitcnt vmcnt(27)
	v_mul_f64 v[56:57], v[132:133], v[86:87]
	v_fmac_f64_e32 v[0:1], v[138:139], v[80:81]
	s_waitcnt vmcnt(26)
	v_mul_f64 v[58:59], v[236:237], v[90:91]
	v_fmac_f64_e32 v[56:57], v[134:135], v[84:85]
	v_add_f64 v[0:1], v[0:1], 0
	s_waitcnt vmcnt(25)
	v_mul_f64 v[60:61], v[228:229], v[94:95]
	v_fmac_f64_e32 v[58:59], v[238:239], v[88:89]
	v_add_f64 v[0:1], v[0:1], v[56:57]
	;; [unrolled: 4-line block ×6, first 2 shown]
	s_waitcnt vmcnt(20) lgkmcnt(13)
	v_mul_f64 v[70:71], v[216:217], v[154:155]
	v_fmac_f64_e32 v[68:69], v[234:235], v[144:145]
	v_add_f64 v[0:1], v[0:1], v[66:67]
	s_waitcnt vmcnt(19) lgkmcnt(12)
	v_mul_f64 v[72:73], v[160:161], v[158:159]
	v_fmac_f64_e32 v[70:71], v[218:219], v[152:153]
	v_add_f64 v[0:1], v[0:1], v[68:69]
	;; [unrolled: 4-line block ×7, first 2 shown]
	v_fmac_f64_e32 v[110:111], v[198:199], v[188:189]
	v_add_f64 v[0:1], v[0:1], v[108:109]
	s_waitcnt vmcnt(13) lgkmcnt(6)
	v_mul_f64 v[112:113], v[208:209], v[194:195]
	v_add_f64 v[0:1], v[0:1], v[110:111]
	scratch_load_dwordx4 v[56:59], off, off offset:688
	scratch_load_dwordx4 v[60:63], off, off offset:704
	ds_read_b128 v[108:111], v2 offset:1440
	s_waitcnt vmcnt(14) lgkmcnt(6)
	v_mul_f64 v[114:115], v[204:205], v[202:203]
	v_fmac_f64_e32 v[112:113], v[210:211], v[192:193]
	v_add_f64 v[0:1], v[0:1], v[112:113]
	v_fmac_f64_e32 v[114:115], v[206:207], v[200:201]
	s_waitcnt vmcnt(13) lgkmcnt(5)
	v_mul_f64 v[64:65], v[20:21], v[6:7]
	v_accvgpr_write_b32 a123, v7
	v_add_f64 v[0:1], v[0:1], v[114:115]
	v_fmac_f64_e32 v[64:65], v[22:23], v[4:5]
	v_accvgpr_write_b32 a122, v6
	v_accvgpr_write_b32 a121, v5
	;; [unrolled: 1-line block ×3, first 2 shown]
	ds_read_b128 v[112:115], v2 offset:1456
	s_waitcnt vmcnt(12)
	v_mov_b64_e32 v[4:5], v[8:9]
	v_mov_b64_e32 v[6:7], v[10:11]
	s_waitcnt lgkmcnt(1)
	v_mul_f64 v[68:69], v[108:109], v[6:7]
	v_fmac_f64_e32 v[68:69], v[110:111], v[4:5]
	s_waitcnt vmcnt(11)
	v_mov_b64_e32 v[4:5], v[12:13]
	v_add_f64 v[0:1], v[0:1], v[64:65]
	v_mov_b64_e32 v[6:7], v[14:15]
	v_add_f64 v[0:1], v[0:1], v[68:69]
	s_waitcnt lgkmcnt(0)
	v_mul_f64 v[68:69], v[112:113], v[6:7]
	scratch_load_dwordx4 v[64:67], off, off offset:720
	v_fmac_f64_e32 v[68:69], v[114:115], v[4:5]
	v_add_f64 v[0:1], v[0:1], v[68:69]
	scratch_load_dwordx4 v[68:71], off, off offset:736
	scratch_load_dwordx4 v[72:75], off, off offset:752
	s_waitcnt vmcnt(13)
	v_mul_f64 v[76:77], v[116:117], v[18:19]
	v_fmac_f64_e32 v[76:77], v[118:119], v[16:17]
	v_add_f64 v[0:1], v[0:1], v[76:77]
	s_waitcnt vmcnt(12)
	v_mul_f64 v[76:77], v[120:121], v[26:27]
	v_fmac_f64_e32 v[76:77], v[122:123], v[24:25]
	v_add_f64 v[0:1], v[0:1], v[76:77]
	scratch_load_dwordx4 v[76:79], off, off offset:768
	v_mul_f64 v[82:83], v[138:139], v[82:83]
	v_fma_f64 v[240:241], v[136:137], v[80:81], -v[82:83]
	scratch_load_dwordx4 v[80:83], off, off offset:784
	v_mul_f64 v[86:87], v[134:135], v[86:87]
	v_fma_f64 v[242:243], v[132:133], v[84:85], -v[86:87]
	scratch_load_dwordx4 v[84:87], off, off offset:800
	s_waitcnt vmcnt(14)
	v_mul_f64 v[136:137], v[124:125], v[30:31]
	v_mul_f64 v[90:91], v[238:239], v[90:91]
	v_fmac_f64_e32 v[136:137], v[126:127], v[28:29]
	v_fma_f64 v[236:237], v[236:237], v[88:89], -v[90:91]
	scratch_load_dwordx4 v[88:91], off, off offset:816
	v_add_f64 v[0:1], v[0:1], v[136:137]
	s_waitcnt vmcnt(14)
	v_mul_f64 v[136:137], v[128:129], v[34:35]
	v_mul_f64 v[94:95], v[230:231], v[94:95]
	v_fmac_f64_e32 v[136:137], v[130:131], v[32:33]
	v_fma_f64 v[238:239], v[228:229], v[92:93], -v[94:95]
	v_mul_f64 v[92:93], v[226:227], v[98:99]
	ds_read_b128 v[132:135], v2 offset:1536
	v_add_f64 v[0:1], v[0:1], v[136:137]
	ds_read_b128 v[136:139], v2 offset:1552
	v_fma_f64 v[244:245], v[224:225], v[96:97], -v[92:93]
	scratch_load_dwordx4 v[96:99], off, off offset:832
	scratch_load_dwordx4 v[92:95], off, off offset:848
	v_mul_f64 v[102:103], v[150:151], v[102:103]
	v_fma_f64 v[250:251], v[148:149], v[100:101], -v[102:103]
	scratch_load_dwordx4 v[100:103], off, off offset:864
	v_mul_f64 v[106:107], v[142:143], v[106:107]
	v_fma_f64 v[252:253], v[140:141], v[104:105], -v[106:107]
	v_mul_f64 v[104:105], v[234:235], v[146:147]
	v_fma_f64 v[254:255], v[232:233], v[144:145], -v[104:105]
	scratch_load_dwordx4 v[104:107], off, off offset:880
	ds_read_b128 v[140:143], v2 offset:1568
	ds_read_b128 v[144:147], v2 offset:1584
	s_waitcnt vmcnt(17) lgkmcnt(3)
	v_mul_f64 v[228:229], v[132:133], v[38:39]
	v_fmac_f64_e32 v[228:229], v[134:135], v[36:37]
	s_waitcnt vmcnt(16) lgkmcnt(2)
	v_mul_f64 v[224:225], v[136:137], v[42:43]
	v_add_f64 v[0:1], v[0:1], v[228:229]
	v_fmac_f64_e32 v[224:225], v[138:139], v[40:41]
	s_waitcnt vmcnt(15) lgkmcnt(1)
	v_mul_f64 v[148:149], v[140:141], v[46:47]
	v_add_f64 v[0:1], v[0:1], v[224:225]
	v_fmac_f64_e32 v[148:149], v[142:143], v[44:45]
	v_add_f64 v[0:1], v[0:1], v[148:149]
	ds_read_b128 v[148:151], v2 offset:1600
	v_mul_f64 v[154:155], v[218:219], v[154:155]
	v_fma_f64 v[246:247], v[216:217], v[152:153], -v[154:155]
	ds_read_b128 v[152:155], v2 offset:1616
	v_accvgpr_write_b32 a131, v15
	v_mul_f64 v[158:159], v[162:163], v[158:159]
	v_accvgpr_write_b32 a130, v14
	v_accvgpr_write_b32 a129, v13
	;; [unrolled: 1-line block ×3, first 2 shown]
	v_fma_f64 v[12:13], v[160:161], v[156:157], -v[158:159]
	ds_read_b128 v[156:159], v2 offset:1632
	ds_read_b128 v[160:163], v2 offset:1648
	s_waitcnt vmcnt(14) lgkmcnt(4)
	v_mul_f64 v[224:225], v[144:145], v[50:51]
	v_fmac_f64_e32 v[224:225], v[146:147], v[48:49]
	s_waitcnt vmcnt(13) lgkmcnt(3)
	v_mul_f64 v[216:217], v[148:149], v[54:55]
	v_add_f64 v[0:1], v[0:1], v[224:225]
	v_fmac_f64_e32 v[216:217], v[150:151], v[52:53]
	s_waitcnt vmcnt(12) lgkmcnt(2)
	v_mul_f64 v[6:7], v[152:153], v[58:59]
	v_add_f64 v[0:1], v[0:1], v[216:217]
	v_fmac_f64_e32 v[6:7], v[154:155], v[56:57]
	v_add_f64 v[0:1], v[0:1], v[6:7]
	s_waitcnt vmcnt(11) lgkmcnt(1)
	v_mul_f64 v[6:7], v[156:157], v[62:63]
	v_fmac_f64_e32 v[6:7], v[158:159], v[60:61]
	v_accvgpr_write_b32 a127, v11
	v_add_f64 v[0:1], v[0:1], v[6:7]
	v_mul_f64 v[6:7], v[222:223], v[166:167]
	v_accvgpr_write_b32 a126, v10
	v_accvgpr_write_b32 a125, v9
	;; [unrolled: 1-line block ×3, first 2 shown]
	v_fma_f64 v[8:9], v[220:221], v[164:165], -v[6:7]
	ds_read_b128 v[164:167], v2 offset:1664
	v_mul_f64 v[170:171], v[174:175], v[170:171]
	v_fma_f64 v[6:7], v[172:173], v[168:169], -v[170:171]
	ds_read_b128 v[168:171], v2 offset:1680
	s_waitcnt vmcnt(10) lgkmcnt(2)
	v_mul_f64 v[216:217], v[160:161], v[66:67]
	v_fmac_f64_e32 v[216:217], v[162:163], v[64:65]
	s_waitcnt vmcnt(9) lgkmcnt(1)
	v_mul_f64 v[10:11], v[164:165], v[70:71]
	v_add_f64 v[0:1], v[0:1], v[216:217]
	v_fmac_f64_e32 v[10:11], v[166:167], v[68:69]
	v_add_f64 v[0:1], v[0:1], v[10:11]
	s_waitcnt vmcnt(8) lgkmcnt(0)
	v_mul_f64 v[10:11], v[168:169], v[74:75]
	v_fmac_f64_e32 v[10:11], v[170:171], v[72:73]
	ds_read_b128 v[172:175], v2 offset:1696
	v_add_f64 v[0:1], v[0:1], v[10:11]
	v_mul_f64 v[10:11], v[214:215], v[178:179]
	v_fma_f64 v[10:11], v[212:213], v[176:177], -v[10:11]
	ds_read_b128 v[176:179], v2 offset:1712
	v_mul_f64 v[182:183], v[186:187], v[182:183]
	v_fma_f64 v[4:5], v[184:185], v[180:181], -v[182:183]
	ds_read_b128 v[180:183], v2 offset:1728
	ds_read_b128 v[184:187], v2 offset:1744
	s_waitcnt vmcnt(7) lgkmcnt(3)
	v_mul_f64 v[212:213], v[172:173], v[78:79]
	v_fmac_f64_e32 v[212:213], v[174:175], v[76:77]
	s_waitcnt vmcnt(6) lgkmcnt(2)
	v_mul_f64 v[14:15], v[176:177], v[82:83]
	v_add_f64 v[0:1], v[0:1], v[212:213]
	v_fmac_f64_e32 v[14:15], v[178:179], v[80:81]
	v_add_f64 v[0:1], v[0:1], v[14:15]
	s_waitcnt vmcnt(5) lgkmcnt(1)
	v_mul_f64 v[14:15], v[180:181], v[86:87]
	v_fmac_f64_e32 v[14:15], v[182:183], v[84:85]
	v_add_f64 v[14:15], v[0:1], v[14:15]
	v_mul_f64 v[0:1], v[198:199], v[190:191]
	v_fma_f64 v[0:1], v[196:197], v[188:189], -v[0:1]
	ds_read_b128 v[188:191], v2 offset:1760
	v_mul_f64 v[194:195], v[210:211], v[194:195]
	s_waitcnt vmcnt(4) lgkmcnt(1)
	v_mul_f64 v[196:197], v[184:185], v[90:91]
	v_fma_f64 v[192:193], v[208:209], v[192:193], -v[194:195]
	v_fmac_f64_e32 v[196:197], v[186:187], v[88:89]
	v_accvgpr_write_b32 a132, v192
	v_accvgpr_write_b32 a133, v193
	ds_read_b128 v[192:195], v2 offset:1776
	v_add_f64 v[14:15], v[14:15], v[196:197]
	s_waitcnt vmcnt(3) lgkmcnt(1)
	v_mul_f64 v[196:197], v[188:189], v[98:99]
	v_fmac_f64_e32 v[196:197], v[190:191], v[96:97]
	v_add_f64 v[14:15], v[14:15], v[196:197]
	ds_read_b128 v[196:199], v2 offset:1792
	v_mul_f64 v[202:203], v[206:207], v[202:203]
	v_fma_f64 v[248:249], v[204:205], v[200:201], -v[202:203]
	ds_read_b128 v[200:203], v2 offset:1808
	s_waitcnt vmcnt(2) lgkmcnt(2)
	v_mul_f64 v[204:205], v[192:193], v[94:95]
	v_fmac_f64_e32 v[204:205], v[194:195], v[92:93]
	v_add_f64 v[14:15], v[14:15], v[204:205]
	s_waitcnt vmcnt(1) lgkmcnt(1)
	v_mul_f64 v[204:205], v[196:197], v[102:103]
	v_fmac_f64_e32 v[204:205], v[198:199], v[100:101]
	v_add_f64 v[14:15], v[14:15], v[204:205]
	;; [unrolled: 4-line block ×3, first 2 shown]
	scratch_load_dwordx4 v[204:207], off, off offset:896
	scratch_load_dwordx4 v[232:235], off, off offset:944
	ds_read_b128 v[208:211], v2 offset:1824
	ds_read_b128 v[216:219], v2 offset:1840
	;; [unrolled: 1-line block ×3, first 2 shown]
	s_waitcnt vmcnt(1) lgkmcnt(2)
	v_mul_f64 v[212:213], v[208:209], v[206:207]
	v_fmac_f64_e32 v[212:213], v[210:211], v[204:205]
	v_add_f64 v[14:15], v[14:15], v[212:213]
	scratch_load_dwordx4 v[212:215], off, off offset:912
	s_waitcnt vmcnt(0) lgkmcnt(1)
	v_mul_f64 v[220:221], v[216:217], v[214:215]
	v_fmac_f64_e32 v[220:221], v[218:219], v[212:213]
	v_add_f64 v[14:15], v[14:15], v[220:221]
	scratch_load_dwordx4 v[220:223], off, off offset:928
	s_waitcnt vmcnt(0) lgkmcnt(0)
	v_mul_f64 v[228:229], v[224:225], v[222:223]
	v_fmac_f64_e32 v[228:229], v[226:227], v[220:221]
	v_add_f64 v[14:15], v[14:15], v[228:229]
	ds_read_b128 v[228:231], v2 offset:1872
	s_waitcnt lgkmcnt(0)
	v_mul_f64 v[2:3], v[228:229], v[234:235]
	v_fmac_f64_e32 v[2:3], v[230:231], v[232:233]
	v_add_f64 v[2:3], v[14:15], v[2:3]
	v_add_f64 v[14:15], v[240:241], 0
	;; [unrolled: 1-line block ×5, first 2 shown]
	scratch_load_dwordx4 v[236:239], off, off offset:208
	v_add_f64 v[14:15], v[14:15], v[244:245]
	v_add_f64 v[14:15], v[14:15], v[250:251]
	;; [unrolled: 1-line block ×10, first 2 shown]
	v_accvgpr_read_b32 v6, a120
	v_add_f64 v[250:251], v[4:5], v[0:1]
	v_accvgpr_read_b32 v0, a132
	v_accvgpr_read_b32 v8, a122
	;; [unrolled: 1-line block ×5, first 2 shown]
	v_mul_f64 v[4:5], v[22:23], v[8:9]
	v_add_f64 v[0:1], v[250:251], v[0:1]
	v_fma_f64 v[4:5], v[20:21], v[6:7], -v[4:5]
	v_accvgpr_read_b32 v6, a124
	v_add_f64 v[0:1], v[0:1], v[248:249]
	v_accvgpr_read_b32 v8, a126
	v_accvgpr_read_b32 v9, a127
	v_add_f64 v[0:1], v[0:1], v[4:5]
	v_accvgpr_read_b32 v7, a125
	v_mul_f64 v[4:5], v[110:111], v[8:9]
	v_fma_f64 v[4:5], v[108:109], v[6:7], -v[4:5]
	v_accvgpr_read_b32 v6, a128
	v_accvgpr_read_b32 v8, a130
	;; [unrolled: 1-line block ×3, first 2 shown]
	v_add_f64 v[0:1], v[0:1], v[4:5]
	v_accvgpr_read_b32 v7, a129
	v_mul_f64 v[4:5], v[114:115], v[8:9]
	v_fma_f64 v[4:5], v[112:113], v[6:7], -v[4:5]
	v_add_f64 v[0:1], v[0:1], v[4:5]
	v_mul_f64 v[4:5], v[118:119], v[18:19]
	v_fma_f64 v[4:5], v[116:117], v[16:17], -v[4:5]
	v_add_f64 v[0:1], v[0:1], v[4:5]
	;; [unrolled: 3-line block ×27, first 2 shown]
	s_waitcnt vmcnt(0)
	v_add_f64 v[4:5], v[236:237], -v[0:1]
	v_accvgpr_read_b32 v0, a118
	v_add_f64 v[6:7], v[238:239], -v[2:3]
	v_cmp_lt_u32_e32 vcc, 11, v0
	scratch_store_dwordx4 off, v[4:7], off offset:208
	s_and_saveexec_b64 s[0:1], vcc
	s_cbranch_execz .LBB58_345
; %bb.344:
	scratch_load_dwordx4 v[2:5], off, s50
	v_mov_b32_e32 v6, 0
	v_mov_b32_e32 v7, v6
	;; [unrolled: 1-line block ×4, first 2 shown]
	v_accvgpr_read_b32 v0, a119
	scratch_store_dwordx4 off, v[6:9], off offset:192
	s_waitcnt vmcnt(1)
	ds_write_b128 v0, v[2:5]
.LBB58_345:
	s_or_b64 exec, exec, s[0:1]
	s_waitcnt lgkmcnt(0)
	; wave barrier
	scratch_load_dwordx4 v[68:71], off, off offset:208
	scratch_load_dwordx4 v[72:75], off, off offset:224
	;; [unrolled: 1-line block ×28, first 2 shown]
	v_mov_b32_e32 v2, 0
	ds_read_b128 v[124:127], v2 offset:1136
	ds_read_b128 v[128:131], v2 offset:1152
	;; [unrolled: 1-line block ×23, first 2 shown]
	s_waitcnt vmcnt(27) lgkmcnt(14)
	v_mul_f64 v[0:1], v[124:125], v[70:71]
	s_waitcnt vmcnt(26)
	v_mul_f64 v[40:41], v[128:129], v[74:75]
	v_fmac_f64_e32 v[0:1], v[126:127], v[68:69]
	s_waitcnt vmcnt(25)
	v_mul_f64 v[42:43], v[132:133], v[78:79]
	v_fmac_f64_e32 v[40:41], v[130:131], v[72:73]
	v_add_f64 v[0:1], v[0:1], 0
	s_waitcnt vmcnt(24)
	v_mul_f64 v[44:45], v[136:137], v[82:83]
	v_fmac_f64_e32 v[42:43], v[134:135], v[76:77]
	v_add_f64 v[0:1], v[0:1], v[40:41]
	;; [unrolled: 4-line block ×7, first 2 shown]
	s_waitcnt vmcnt(18) lgkmcnt(13)
	v_mul_f64 v[56:57], v[200:201], v[146:147]
	v_fmac_f64_e32 v[54:55], v[194:195], v[112:113]
	v_add_f64 v[0:1], v[0:1], v[52:53]
	s_waitcnt vmcnt(17) lgkmcnt(12)
	v_mul_f64 v[58:59], v[204:205], v[150:151]
	v_fmac_f64_e32 v[56:57], v[202:203], v[144:145]
	v_add_f64 v[0:1], v[0:1], v[54:55]
	;; [unrolled: 4-line block ×7, first 2 shown]
	scratch_load_dwordx4 v[40:43], off, off offset:656
	scratch_load_dwordx4 v[44:47], off, off offset:672
	s_waitcnt vmcnt(13) lgkmcnt(6)
	v_mul_f64 v[102:103], v[228:229], v[186:187]
	v_fmac_f64_e32 v[100:101], v[226:227], v[176:177]
	v_add_f64 v[0:1], v[0:1], v[66:67]
	v_add_f64 v[0:1], v[0:1], v[100:101]
	v_fmac_f64_e32 v[102:103], v[230:231], v[184:185]
	v_add_f64 v[0:1], v[0:1], v[102:103]
	ds_read_b128 v[100:103], v2 offset:1440
	s_waitcnt vmcnt(12) lgkmcnt(6)
	v_mul_f64 v[48:49], v[246:247], v[190:191]
	v_fmac_f64_e32 v[48:49], v[248:249], v[188:189]
	v_add_f64 v[0:1], v[0:1], v[48:49]
	s_waitcnt vmcnt(11) lgkmcnt(5)
	v_mul_f64 v[48:49], v[250:251], v[198:199]
	v_fmac_f64_e32 v[48:49], v[252:253], v[196:197]
	v_add_f64 v[0:1], v[0:1], v[48:49]
	scratch_load_dwordx4 v[48:51], off, off offset:688
	scratch_load_dwordx4 v[52:55], off, off offset:704
	s_waitcnt vmcnt(12) lgkmcnt(0)
	v_mul_f64 v[56:57], v[100:101], v[6:7]
	v_accvgpr_write_b32 a123, v7
	v_fmac_f64_e32 v[56:57], v[102:103], v[4:5]
	v_accvgpr_write_b32 a122, v6
	v_accvgpr_write_b32 a121, v5
	;; [unrolled: 1-line block ×3, first 2 shown]
	s_waitcnt vmcnt(11)
	v_mov_b64_e32 v[4:5], v[8:9]
	v_mov_b64_e32 v[6:7], v[10:11]
	v_add_f64 v[0:1], v[0:1], v[56:57]
	v_mul_f64 v[56:57], v[104:105], v[6:7]
	v_fmac_f64_e32 v[56:57], v[106:107], v[4:5]
	v_add_f64 v[0:1], v[0:1], v[56:57]
	scratch_load_dwordx4 v[56:59], off, off offset:720
	s_waitcnt vmcnt(11)
	v_mov_b64_e32 v[4:5], v[12:13]
	v_mov_b64_e32 v[6:7], v[14:15]
	v_mul_f64 v[60:61], v[108:109], v[6:7]
	v_fmac_f64_e32 v[60:61], v[110:111], v[4:5]
	s_waitcnt vmcnt(10)
	v_mov_b64_e32 v[4:5], v[16:17]
	v_mov_b64_e32 v[6:7], v[18:19]
	v_add_f64 v[0:1], v[0:1], v[60:61]
	scratch_load_dwordx4 v[60:63], off, off offset:736
	v_mul_f64 v[64:65], v[116:117], v[6:7]
	v_fmac_f64_e32 v[64:65], v[118:119], v[4:5]
	v_add_f64 v[0:1], v[0:1], v[64:65]
	scratch_load_dwordx4 v[64:67], off, off offset:752
	v_mul_f64 v[70:71], v[126:127], v[70:71]
	s_waitcnt vmcnt(11)
	v_mov_b64_e32 v[4:5], v[20:21]
	v_fma_f64 v[240:241], v[124:125], v[68:69], -v[70:71]
	v_mov_b64_e32 v[6:7], v[22:23]
	scratch_load_dwordx4 v[68:71], off, off offset:768
	v_mul_f64 v[124:125], v[120:121], v[6:7]
	v_mul_f64 v[74:75], v[130:131], v[74:75]
	v_fmac_f64_e32 v[124:125], v[122:123], v[4:5]
	v_fma_f64 v[242:243], v[128:129], v[72:73], -v[74:75]
	scratch_load_dwordx4 v[72:75], off, off offset:784
	v_mul_f64 v[78:79], v[134:135], v[78:79]
	v_add_f64 v[0:1], v[0:1], v[124:125]
	ds_read_b128 v[124:127], v2 offset:1520
	ds_read_b128 v[128:131], v2 offset:1536
	v_fma_f64 v[244:245], v[132:133], v[76:77], -v[78:79]
	v_mul_f64 v[76:77], v[138:139], v[82:83]
	v_fma_f64 v[254:255], v[136:137], v[80:81], -v[76:77]
	scratch_load_dwordx4 v[76:79], off, off offset:800
	s_waitcnt vmcnt(13) lgkmcnt(1)
	v_mul_f64 v[132:133], v[124:125], v[236:237]
	v_fmac_f64_e32 v[132:133], v[126:127], v[234:235]
	v_add_f64 v[0:1], v[0:1], v[132:133]
	s_waitcnt vmcnt(12) lgkmcnt(0)
	v_mul_f64 v[132:133], v[128:129], v[30:31]
	scratch_load_dwordx4 v[80:83], off, off offset:816
	v_fmac_f64_e32 v[132:133], v[130:131], v[28:29]
	v_mul_f64 v[86:87], v[142:143], v[86:87]
	v_add_f64 v[0:1], v[0:1], v[132:133]
	v_fma_f64 v[232:233], v[140:141], v[84:85], -v[86:87]
	ds_read_b128 v[132:135], v2 offset:1552
	v_mul_f64 v[84:85], v[158:159], v[90:91]
	v_fma_f64 v[24:25], v[156:157], v[88:89], -v[84:85]
	scratch_load_dwordx4 v[88:91], off, off offset:832
	scratch_load_dwordx4 v[84:87], off, off offset:848
	v_accvgpr_write_b32 a139, v23
	v_mul_f64 v[6:7], v[170:171], v[94:95]
	v_accvgpr_write_b32 a138, v22
	v_accvgpr_write_b32 a137, v21
	;; [unrolled: 1-line block ×3, first 2 shown]
	v_fma_f64 v[20:21], v[168:169], v[92:93], -v[6:7]
	s_waitcnt vmcnt(14) lgkmcnt(0)
	v_mul_f64 v[6:7], v[132:133], v[34:35]
	v_fmac_f64_e32 v[6:7], v[134:135], v[32:33]
	v_accvgpr_write_b32 a135, v19
	v_add_f64 v[0:1], v[0:1], v[6:7]
	v_mul_f64 v[6:7], v[182:183], v[98:99]
	v_accvgpr_write_b32 a134, v18
	v_accvgpr_write_b32 a133, v17
	;; [unrolled: 1-line block ×3, first 2 shown]
	ds_read_b128 v[136:139], v2 offset:1568
	v_fma_f64 v[16:17], v[180:181], v[96:97], -v[6:7]
	scratch_load_dwordx4 v[96:99], off, off offset:864
	scratch_load_dwordx4 v[92:95], off, off offset:880
	v_accvgpr_write_b32 a131, v15
	v_mul_f64 v[6:7], v[194:195], v[114:115]
	v_accvgpr_write_b32 a130, v14
	v_accvgpr_write_b32 a129, v13
	;; [unrolled: 1-line block ×3, first 2 shown]
	v_fma_f64 v[12:13], v[192:193], v[112:113], -v[6:7]
	scratch_load_dwordx4 v[112:115], off, off offset:896
	ds_read_b128 v[140:143], v2 offset:1584
	s_waitcnt vmcnt(16) lgkmcnt(1)
	v_mul_f64 v[6:7], v[136:137], v[38:39]
	v_fmac_f64_e32 v[6:7], v[138:139], v[36:37]
	v_add_f64 v[0:1], v[0:1], v[6:7]
	v_mul_f64 v[6:7], v[202:203], v[146:147]
	v_fma_f64 v[14:15], v[200:201], v[144:145], -v[6:7]
	ds_read_b128 v[144:147], v2 offset:1600
	s_waitcnt vmcnt(15) lgkmcnt(1)
	v_mul_f64 v[6:7], v[140:141], v[42:43]
	v_fmac_f64_e32 v[6:7], v[142:143], v[40:41]
	v_accvgpr_write_b32 a127, v11
	v_add_f64 v[0:1], v[0:1], v[6:7]
	v_mul_f64 v[6:7], v[206:207], v[150:151]
	v_accvgpr_write_b32 a126, v10
	v_accvgpr_write_b32 a125, v9
	;; [unrolled: 1-line block ×3, first 2 shown]
	v_fma_f64 v[10:11], v[204:205], v[148:149], -v[6:7]
	ds_read_b128 v[148:151], v2 offset:1616
	v_mul_f64 v[18:19], v[210:211], v[154:155]
	v_fma_f64 v[18:19], v[208:209], v[152:153], -v[18:19]
	ds_read_b128 v[152:155], v2 offset:1632
	s_waitcnt vmcnt(14) lgkmcnt(2)
	v_mul_f64 v[6:7], v[144:145], v[46:47]
	v_fmac_f64_e32 v[6:7], v[146:147], v[44:45]
	v_add_f64 v[0:1], v[0:1], v[6:7]
	s_waitcnt vmcnt(13) lgkmcnt(1)
	v_mul_f64 v[6:7], v[148:149], v[50:51]
	ds_read_b128 v[156:159], v2 offset:1648
	v_fmac_f64_e32 v[6:7], v[150:151], v[48:49]
	v_add_f64 v[0:1], v[0:1], v[6:7]
	s_waitcnt vmcnt(12) lgkmcnt(1)
	v_mul_f64 v[6:7], v[152:153], v[54:55]
	v_fmac_f64_e32 v[6:7], v[154:155], v[52:53]
	v_add_f64 v[0:1], v[0:1], v[6:7]
	v_mul_f64 v[6:7], v[214:215], v[162:163]
	v_fma_f64 v[8:9], v[212:213], v[160:161], -v[6:7]
	ds_read_b128 v[160:163], v2 offset:1664
	s_waitcnt vmcnt(11) lgkmcnt(1)
	v_mul_f64 v[6:7], v[156:157], v[58:59]
	v_fmac_f64_e32 v[6:7], v[158:159], v[56:57]
	v_add_f64 v[0:1], v[0:1], v[6:7]
	v_mul_f64 v[6:7], v[218:219], v[166:167]
	v_fma_f64 v[22:23], v[216:217], v[164:165], -v[6:7]
	ds_read_b128 v[164:167], v2 offset:1680
	ds_read_b128 v[168:171], v2 offset:1696
	s_waitcnt vmcnt(10) lgkmcnt(2)
	v_mul_f64 v[6:7], v[160:161], v[62:63]
	v_fmac_f64_e32 v[6:7], v[162:163], v[60:61]
	v_add_f64 v[0:1], v[0:1], v[6:7]
	s_waitcnt vmcnt(9) lgkmcnt(1)
	v_mul_f64 v[6:7], v[164:165], v[66:67]
	v_fmac_f64_e32 v[6:7], v[166:167], v[64:65]
	v_add_f64 v[0:1], v[0:1], v[6:7]
	v_mul_f64 v[6:7], v[222:223], v[174:175]
	v_fma_f64 v[4:5], v[220:221], v[172:173], -v[6:7]
	ds_read_b128 v[172:175], v2 offset:1712
	v_mul_f64 v[6:7], v[226:227], v[178:179]
	v_fma_f64 v[6:7], v[224:225], v[176:177], -v[6:7]
	ds_read_b128 v[176:179], v2 offset:1728
	s_waitcnt vmcnt(8) lgkmcnt(2)
	v_mul_f64 v[26:27], v[168:169], v[70:71]
	v_fmac_f64_e32 v[26:27], v[170:171], v[68:69]
	v_add_f64 v[0:1], v[0:1], v[26:27]
	s_waitcnt vmcnt(7) lgkmcnt(1)
	v_mul_f64 v[26:27], v[172:173], v[74:75]
	v_fmac_f64_e32 v[26:27], v[174:175], v[72:73]
	v_add_f64 v[0:1], v[0:1], v[26:27]
	s_waitcnt vmcnt(6) lgkmcnt(0)
	v_mul_f64 v[26:27], v[176:177], v[78:79]
	v_fmac_f64_e32 v[26:27], v[178:179], v[76:77]
	ds_read_b128 v[180:183], v2 offset:1744
	v_add_f64 v[26:27], v[0:1], v[26:27]
	v_mul_f64 v[0:1], v[230:231], v[186:187]
	v_fma_f64 v[0:1], v[228:229], v[184:185], -v[0:1]
	ds_read_b128 v[184:187], v2 offset:1760
	s_waitcnt vmcnt(5) lgkmcnt(1)
	v_mul_f64 v[192:193], v[180:181], v[82:83]
	v_fmac_f64_e32 v[192:193], v[182:183], v[80:81]
	v_mul_f64 v[190:191], v[248:249], v[190:191]
	v_add_f64 v[26:27], v[26:27], v[192:193]
	v_fma_f64 v[238:239], v[246:247], v[188:189], -v[190:191]
	ds_read_b128 v[188:191], v2 offset:1776
	s_waitcnt vmcnt(4) lgkmcnt(1)
	v_mul_f64 v[192:193], v[184:185], v[90:91]
	v_fmac_f64_e32 v[192:193], v[186:187], v[88:89]
	v_add_f64 v[26:27], v[26:27], v[192:193]
	ds_read_b128 v[192:195], v2 offset:1792
	v_mul_f64 v[198:199], v[252:253], v[198:199]
	v_fma_f64 v[246:247], v[250:251], v[196:197], -v[198:199]
	ds_read_b128 v[196:199], v2 offset:1808
	ds_read_b128 v[208:211], v2 offset:1840
	s_waitcnt vmcnt(3) lgkmcnt(3)
	v_mul_f64 v[200:201], v[188:189], v[86:87]
	v_fmac_f64_e32 v[200:201], v[190:191], v[84:85]
	v_add_f64 v[26:27], v[26:27], v[200:201]
	s_waitcnt vmcnt(2) lgkmcnt(2)
	v_mul_f64 v[200:201], v[192:193], v[98:99]
	v_fmac_f64_e32 v[200:201], v[194:195], v[96:97]
	v_add_f64 v[26:27], v[26:27], v[200:201]
	;; [unrolled: 4-line block ×3, first 2 shown]
	ds_read_b128 v[200:203], v2 offset:1824
	ds_read_b128 v[216:219], v2 offset:1856
	;; [unrolled: 1-line block ×3, first 2 shown]
	s_waitcnt vmcnt(0) lgkmcnt(2)
	v_mul_f64 v[204:205], v[200:201], v[114:115]
	v_fmac_f64_e32 v[204:205], v[202:203], v[112:113]
	v_add_f64 v[26:27], v[26:27], v[204:205]
	scratch_load_dwordx4 v[204:207], off, off offset:912
	s_waitcnt vmcnt(0)
	v_mul_f64 v[212:213], v[208:209], v[206:207]
	v_fmac_f64_e32 v[212:213], v[210:211], v[204:205]
	v_add_f64 v[26:27], v[26:27], v[212:213]
	scratch_load_dwordx4 v[212:215], off, off offset:928
	s_waitcnt vmcnt(0) lgkmcnt(1)
	v_mul_f64 v[220:221], v[216:217], v[214:215]
	v_fmac_f64_e32 v[220:221], v[218:219], v[212:213]
	v_add_f64 v[26:27], v[26:27], v[220:221]
	scratch_load_dwordx4 v[220:223], off, off offset:944
	s_waitcnt vmcnt(0) lgkmcnt(0)
	v_mul_f64 v[228:229], v[224:225], v[222:223]
	v_fmac_f64_e32 v[228:229], v[226:227], v[220:221]
	v_add_f64 v[250:251], v[26:27], v[228:229]
	scratch_load_dwordx4 v[228:231], off, off offset:192
	v_add_f64 v[26:27], v[240:241], 0
	v_add_f64 v[26:27], v[26:27], v[242:243]
	;; [unrolled: 1-line block ×16, first 2 shown]
	v_accvgpr_read_b32 v6, a120
	v_accvgpr_read_b32 v8, a122
	;; [unrolled: 1-line block ×3, first 2 shown]
	v_add_f64 v[0:1], v[4:5], v[0:1]
	v_accvgpr_read_b32 v7, a121
	v_mul_f64 v[4:5], v[102:103], v[8:9]
	v_add_f64 v[0:1], v[0:1], v[238:239]
	v_fma_f64 v[4:5], v[100:101], v[6:7], -v[4:5]
	v_accvgpr_read_b32 v6, a124
	v_add_f64 v[0:1], v[0:1], v[246:247]
	v_accvgpr_read_b32 v8, a126
	v_accvgpr_read_b32 v9, a127
	v_add_f64 v[0:1], v[0:1], v[4:5]
	v_accvgpr_read_b32 v7, a125
	v_mul_f64 v[4:5], v[106:107], v[8:9]
	v_fma_f64 v[4:5], v[104:105], v[6:7], -v[4:5]
	v_accvgpr_read_b32 v6, a128
	v_accvgpr_read_b32 v8, a130
	v_accvgpr_read_b32 v9, a131
	v_add_f64 v[0:1], v[0:1], v[4:5]
	v_accvgpr_read_b32 v7, a129
	v_mul_f64 v[4:5], v[110:111], v[8:9]
	v_fma_f64 v[4:5], v[108:109], v[6:7], -v[4:5]
	v_accvgpr_read_b32 v6, a132
	;; [unrolled: 7-line block ×3, first 2 shown]
	v_accvgpr_read_b32 v8, a138
	v_accvgpr_read_b32 v9, a139
	v_add_f64 v[0:1], v[0:1], v[4:5]
	v_accvgpr_read_b32 v7, a137
	v_mul_f64 v[4:5], v[122:123], v[8:9]
	v_fma_f64 v[4:5], v[120:121], v[6:7], -v[4:5]
	v_add_f64 v[0:1], v[0:1], v[4:5]
	v_mul_f64 v[4:5], v[126:127], v[236:237]
	v_fma_f64 v[4:5], v[124:125], v[234:235], -v[4:5]
	v_add_f64 v[0:1], v[0:1], v[4:5]
	;; [unrolled: 3-line block ×24, first 2 shown]
	s_waitcnt vmcnt(0)
	v_add_f64 v[4:5], v[228:229], -v[0:1]
	v_accvgpr_read_b32 v0, a118
	v_add_f64 v[6:7], v[230:231], -v[250:251]
	v_cmp_lt_u32_e32 vcc, 10, v0
	scratch_store_dwordx4 off, v[4:7], off offset:192
	s_and_saveexec_b64 s[0:1], vcc
	s_cbranch_execz .LBB58_347
; %bb.346:
	scratch_load_dwordx4 v[6:9], off, s49
	v_mov_b32_e32 v3, v2
	v_mov_b32_e32 v4, v2
	;; [unrolled: 1-line block ×3, first 2 shown]
	v_accvgpr_read_b32 v0, a119
	scratch_store_dwordx4 off, v[2:5], off offset:176
	s_waitcnt vmcnt(1)
	ds_write_b128 v0, v[6:9]
.LBB58_347:
	s_or_b64 exec, exec, s[0:1]
	s_waitcnt lgkmcnt(0)
	; wave barrier
	scratch_load_dwordx4 v[40:43], off, off offset:192
	scratch_load_dwordx4 v[44:47], off, off offset:208
	;; [unrolled: 1-line block ×18, first 2 shown]
	ds_read_b128 v[164:167], v2 offset:1120
	ds_read_b128 v[232:235], v2 offset:1136
	ds_read_b128 v[168:171], v2 offset:1152
	ds_read_b128 v[220:223], v2 offset:1168
	ds_read_b128 v[172:175], v2 offset:1184
	ds_read_b128 v[176:179], v2 offset:1200
	scratch_load_dwordx4 v[140:143], off, off offset:480
	ds_read_b128 v[224:227], v2 offset:1216
	ds_read_b128 v[212:215], v2 offset:1232
	;; [unrolled: 1-line block ×3, first 2 shown]
	scratch_load_dwordx4 v[4:7], off, off offset:496
	ds_read_b128 v[228:231], v2 offset:1264
	ds_read_b128 v[216:219], v2 offset:1280
	;; [unrolled: 1-line block ×5, first 2 shown]
	scratch_load_dwordx4 v[8:11], off, off offset:512
	ds_read_b128 v[208:211], v2 offset:1344
	ds_read_b128 v[196:199], v2 offset:1360
	;; [unrolled: 1-line block ×3, first 2 shown]
	scratch_load_dwordx4 v[12:15], off, off offset:528
	ds_read_b128 v[200:203], v2 offset:1392
	scratch_load_dwordx4 v[16:19], off, off offset:544
	scratch_load_dwordx4 v[20:23], off, off offset:560
	;; [unrolled: 1-line block ×7, first 2 shown]
	ds_read_b128 v[236:239], v2 offset:1408
	ds_read_b128 v[156:159], v2 offset:1472
	;; [unrolled: 1-line block ×4, first 2 shown]
	s_waitcnt vmcnt(28) lgkmcnt(14)
	v_mul_f64 v[0:1], v[164:165], v[42:43]
	s_waitcnt vmcnt(27)
	v_mul_f64 v[108:109], v[232:233], v[46:47]
	v_fmac_f64_e32 v[0:1], v[166:167], v[40:41]
	s_waitcnt vmcnt(26)
	v_mul_f64 v[110:111], v[168:169], v[50:51]
	v_fmac_f64_e32 v[108:109], v[234:235], v[44:45]
	v_add_f64 v[0:1], v[0:1], 0
	s_waitcnt vmcnt(25)
	v_mul_f64 v[116:117], v[220:221], v[54:55]
	v_fmac_f64_e32 v[110:111], v[170:171], v[48:49]
	v_add_f64 v[0:1], v[0:1], v[108:109]
	;; [unrolled: 4-line block ×6, first 2 shown]
	s_waitcnt vmcnt(20) lgkmcnt(13)
	v_mul_f64 v[126:127], v[180:181], v[78:79]
	v_fmac_f64_e32 v[124:125], v[214:215], v[68:69]
	v_add_f64 v[0:1], v[0:1], v[122:123]
	s_waitcnt vmcnt(19) lgkmcnt(12)
	v_mul_f64 v[128:129], v[228:229], v[82:83]
	v_fmac_f64_e32 v[126:127], v[182:183], v[76:77]
	v_add_f64 v[0:1], v[0:1], v[124:125]
	;; [unrolled: 4-line block ×9, first 2 shown]
	v_add_f64 v[0:1], v[0:1], v[148:149]
	v_fmac_f64_e32 v[150:151], v[186:187], v[112:113]
	s_waitcnt vmcnt(11) lgkmcnt(4)
	v_mul_f64 v[116:117], v[200:201], v[138:139]
	v_add_f64 v[0:1], v[0:1], v[150:151]
	v_fmac_f64_e32 v[116:117], v[202:203], v[136:137]
	v_add_f64 v[0:1], v[0:1], v[116:117]
	ds_read_b128 v[144:147], v2 offset:1424
	s_waitcnt vmcnt(10) lgkmcnt(4)
	v_mul_f64 v[116:117], v[236:237], v[142:143]
	scratch_load_dwordx4 v[108:111], off, off offset:656
	v_fmac_f64_e32 v[116:117], v[238:239], v[140:141]
	v_add_f64 v[0:1], v[0:1], v[116:117]
	scratch_load_dwordx4 v[116:119], off, off offset:672
	ds_read_b128 v[148:151], v2 offset:1440
	scratch_load_dwordx4 v[120:123], off, off offset:688
	s_waitcnt vmcnt(12) lgkmcnt(1)
	v_mul_f64 v[124:125], v[144:145], v[6:7]
	v_fmac_f64_e32 v[124:125], v[146:147], v[4:5]
	v_add_f64 v[0:1], v[0:1], v[124:125]
	s_waitcnt vmcnt(11) lgkmcnt(0)
	v_mul_f64 v[124:125], v[148:149], v[10:11]
	v_fmac_f64_e32 v[124:125], v[150:151], v[8:9]
	s_waitcnt vmcnt(10)
	v_mul_f64 v[128:129], v[152:153], v[14:15]
	v_add_f64 v[0:1], v[0:1], v[124:125]
	scratch_load_dwordx4 v[124:127], off, off offset:704
	v_fmac_f64_e32 v[128:129], v[154:155], v[12:13]
	v_add_f64 v[0:1], v[0:1], v[128:129]
	scratch_load_dwordx4 v[128:131], off, off offset:720
	s_waitcnt vmcnt(11)
	v_mul_f64 v[132:133], v[156:157], v[18:19]
	v_fmac_f64_e32 v[132:133], v[158:159], v[16:17]
	v_add_f64 v[0:1], v[0:1], v[132:133]
	scratch_load_dwordx4 v[132:135], off, off offset:736
	v_mul_f64 v[42:43], v[166:167], v[42:43]
	v_fma_f64 v[240:241], v[164:165], v[40:41], -v[42:43]
	scratch_load_dwordx4 v[40:43], off, off offset:752
	v_mul_f64 v[46:47], v[234:235], v[46:47]
	v_fma_f64 v[242:243], v[232:233], v[44:45], -v[46:47]
	;; [unrolled: 3-line block ×3, first 2 shown]
	v_mul_f64 v[48:49], v[222:223], v[54:55]
	v_fma_f64 v[250:251], v[220:221], v[52:53], -v[48:49]
	scratch_load_dwordx4 v[48:51], off, off offset:784
	scratch_load_dwordx4 v[52:55], off, off offset:800
	s_waitcnt vmcnt(15)
	v_mul_f64 v[164:165], v[160:161], v[22:23]
	v_fmac_f64_e32 v[164:165], v[162:163], v[20:21]
	v_add_f64 v[0:1], v[0:1], v[164:165]
	ds_read_b128 v[164:167], v2 offset:1504
	ds_read_b128 v[168:171], v2 offset:1520
	v_mul_f64 v[58:59], v[174:175], v[58:59]
	v_fma_f64 v[252:253], v[172:173], v[56:57], -v[58:59]
	ds_read_b128 v[172:175], v2 offset:1536
	v_mul_f64 v[56:57], v[178:179], v[62:63]
	v_fma_f64 v[254:255], v[176:177], v[60:61], -v[56:57]
	scratch_load_dwordx4 v[60:63], off, off offset:816
	scratch_load_dwordx4 v[56:59], off, off offset:832
	s_waitcnt vmcnt(16) lgkmcnt(2)
	v_mul_f64 v[232:233], v[164:165], v[34:35]
	v_fmac_f64_e32 v[232:233], v[166:167], v[32:33]
	s_waitcnt vmcnt(15) lgkmcnt(1)
	v_mul_f64 v[220:221], v[168:169], v[38:39]
	v_mul_f64 v[66:67], v[226:227], v[66:67]
	v_add_f64 v[0:1], v[0:1], v[232:233]
	v_fmac_f64_e32 v[220:221], v[170:171], v[36:37]
	v_fma_f64 v[246:247], v[224:225], v[64:65], -v[66:67]
	s_waitcnt vmcnt(14) lgkmcnt(0)
	v_mul_f64 v[64:65], v[172:173], v[30:31]
	v_add_f64 v[0:1], v[0:1], v[220:221]
	v_fmac_f64_e32 v[64:65], v[174:175], v[28:29]
	v_accvgpr_write_b32 a147, v23
	v_add_f64 v[0:1], v[0:1], v[64:65]
	v_mul_f64 v[64:65], v[214:215], v[70:71]
	v_accvgpr_write_b32 a146, v22
	v_accvgpr_write_b32 a145, v21
	;; [unrolled: 1-line block ×3, first 2 shown]
	ds_read_b128 v[176:179], v2 offset:1552
	v_fma_f64 v[20:21], v[212:213], v[68:69], -v[64:65]
	scratch_load_dwordx4 v[68:71], off, off offset:848
	scratch_load_dwordx4 v[64:67], off, off offset:864
	v_accvgpr_write_b32 a131, v7
	v_accvgpr_write_b32 a130, v6
	;; [unrolled: 1-line block ×5, first 2 shown]
	v_mul_f64 v[6:7], v[182:183], v[78:79]
	v_accvgpr_write_b32 a142, v18
	v_accvgpr_write_b32 a141, v17
	;; [unrolled: 1-line block ×3, first 2 shown]
	v_fma_f64 v[16:17], v[180:181], v[76:77], -v[6:7]
	s_waitcnt vmcnt(15) lgkmcnt(0)
	v_mul_f64 v[76:77], v[176:177], v[26:27]
	v_fmac_f64_e32 v[76:77], v[178:179], v[24:25]
	v_accvgpr_write_b32 a139, v15
	v_add_f64 v[0:1], v[0:1], v[76:77]
	v_mul_f64 v[76:77], v[230:231], v[82:83]
	v_accvgpr_write_b32 a138, v14
	v_accvgpr_write_b32 a137, v13
	;; [unrolled: 1-line block ×3, first 2 shown]
	v_fma_f64 v[12:13], v[228:229], v[80:81], -v[76:77]
	scratch_load_dwordx4 v[76:79], off, off offset:880
	scratch_load_dwordx4 v[232:235], off, off offset:944
	ds_read_b128 v[180:183], v2 offset:1568
	ds_read_b128 v[80:83], v2 offset:1584
	v_accvgpr_write_b32 a135, v11
	v_accvgpr_write_b32 a134, v10
	;; [unrolled: 1-line block ×4, first 2 shown]
	s_waitcnt vmcnt(16) lgkmcnt(1)
	v_mul_f64 v[10:11], v[180:181], v[74:75]
	v_fmac_f64_e32 v[10:11], v[182:183], v[72:73]
	v_add_f64 v[0:1], v[0:1], v[10:11]
	v_mul_f64 v[10:11], v[218:219], v[86:87]
	v_fma_f64 v[10:11], v[216:217], v[84:85], -v[10:11]
	ds_read_b128 v[84:87], v2 offset:1600
	v_mul_f64 v[90:91], v[190:191], v[90:91]
	v_fma_f64 v[8:9], v[188:189], v[88:89], -v[90:91]
	ds_read_b128 v[88:91], v2 offset:1616
	s_waitcnt vmcnt(15) lgkmcnt(2)
	v_mul_f64 v[212:213], v[80:81], v[110:111]
	v_fmac_f64_e32 v[212:213], v[82:83], v[108:109]
	s_waitcnt vmcnt(14) lgkmcnt(1)
	v_mul_f64 v[14:15], v[84:85], v[118:119]
	v_add_f64 v[0:1], v[0:1], v[212:213]
	v_fmac_f64_e32 v[14:15], v[86:87], v[116:117]
	v_add_f64 v[0:1], v[0:1], v[14:15]
	s_waitcnt vmcnt(13) lgkmcnt(0)
	v_mul_f64 v[14:15], v[88:89], v[122:123]
	v_fmac_f64_e32 v[14:15], v[90:91], v[120:121]
	ds_read_b128 v[188:191], v2 offset:1632
	v_add_f64 v[0:1], v[0:1], v[14:15]
	v_mul_f64 v[14:15], v[206:207], v[94:95]
	v_fma_f64 v[14:15], v[204:205], v[92:93], -v[14:15]
	ds_read_b128 v[92:95], v2 offset:1648
	v_mul_f64 v[98:99], v[194:195], v[98:99]
	v_fma_f64 v[6:7], v[192:193], v[96:97], -v[98:99]
	ds_read_b128 v[96:99], v2 offset:1664
	ds_read_b128 v[192:195], v2 offset:1680
	s_waitcnt vmcnt(12) lgkmcnt(3)
	v_mul_f64 v[204:205], v[188:189], v[126:127]
	v_fmac_f64_e32 v[204:205], v[190:191], v[124:125]
	s_waitcnt vmcnt(11) lgkmcnt(2)
	v_mul_f64 v[18:19], v[92:93], v[130:131]
	v_add_f64 v[0:1], v[0:1], v[204:205]
	v_fmac_f64_e32 v[18:19], v[94:95], v[128:129]
	v_add_f64 v[0:1], v[0:1], v[18:19]
	s_waitcnt vmcnt(10) lgkmcnt(1)
	v_mul_f64 v[18:19], v[96:97], v[134:135]
	v_fmac_f64_e32 v[18:19], v[98:99], v[132:133]
	v_add_f64 v[0:1], v[0:1], v[18:19]
	v_mul_f64 v[18:19], v[210:211], v[102:103]
	v_fma_f64 v[18:19], v[208:209], v[100:101], -v[18:19]
	ds_read_b128 v[100:103], v2 offset:1696
	v_mul_f64 v[106:107], v[198:199], v[106:107]
	v_fma_f64 v[4:5], v[196:197], v[104:105], -v[106:107]
	ds_read_b128 v[104:107], v2 offset:1712
	s_waitcnt vmcnt(9) lgkmcnt(2)
	v_mul_f64 v[204:205], v[192:193], v[42:43]
	v_fmac_f64_e32 v[204:205], v[194:195], v[40:41]
	s_waitcnt vmcnt(8) lgkmcnt(1)
	v_mul_f64 v[22:23], v[100:101], v[46:47]
	v_add_f64 v[0:1], v[0:1], v[204:205]
	v_fmac_f64_e32 v[22:23], v[102:103], v[44:45]
	v_add_f64 v[0:1], v[0:1], v[22:23]
	s_waitcnt vmcnt(7) lgkmcnt(0)
	v_mul_f64 v[22:23], v[104:105], v[50:51]
	ds_read_b128 v[196:199], v2 offset:1728
	v_fmac_f64_e32 v[22:23], v[106:107], v[48:49]
	v_add_f64 v[0:1], v[0:1], v[22:23]
	v_mul_f64 v[22:23], v[186:187], v[114:115]
	v_fma_f64 v[22:23], v[184:185], v[112:113], -v[22:23]
	ds_read_b128 v[112:115], v2 offset:1744
	s_waitcnt vmcnt(6) lgkmcnt(1)
	v_mul_f64 v[184:185], v[196:197], v[54:55]
	v_fmac_f64_e32 v[184:185], v[198:199], v[52:53]
	v_add_f64 v[184:185], v[0:1], v[184:185]
	v_mul_f64 v[0:1], v[202:203], v[138:139]
	v_fma_f64 v[0:1], v[200:201], v[136:137], -v[0:1]
	ds_read_b128 v[136:139], v2 offset:1760
	s_waitcnt vmcnt(5) lgkmcnt(1)
	v_mul_f64 v[186:187], v[112:113], v[62:63]
	v_fmac_f64_e32 v[186:187], v[114:115], v[60:61]
	v_add_f64 v[200:201], v[184:185], v[186:187]
	ds_read_b128 v[184:187], v2 offset:1776
	v_mul_f64 v[142:143], v[238:239], v[142:143]
	v_fma_f64 v[248:249], v[236:237], v[140:141], -v[142:143]
	ds_read_b128 v[140:143], v2 offset:1792
	ds_read_b128 v[208:211], v2 offset:1824
	s_waitcnt vmcnt(4) lgkmcnt(3)
	v_mul_f64 v[202:203], v[136:137], v[58:59]
	v_fmac_f64_e32 v[202:203], v[138:139], v[56:57]
	v_add_f64 v[200:201], v[200:201], v[202:203]
	s_waitcnt vmcnt(3) lgkmcnt(2)
	v_mul_f64 v[202:203], v[184:185], v[70:71]
	v_fmac_f64_e32 v[202:203], v[186:187], v[68:69]
	v_add_f64 v[200:201], v[200:201], v[202:203]
	;; [unrolled: 4-line block ×3, first 2 shown]
	ds_read_b128 v[200:203], v2 offset:1808
	ds_read_b128 v[216:219], v2 offset:1840
	;; [unrolled: 1-line block ×3, first 2 shown]
	s_waitcnt vmcnt(1) lgkmcnt(2)
	v_mul_f64 v[206:207], v[200:201], v[78:79]
	v_fmac_f64_e32 v[206:207], v[202:203], v[76:77]
	v_add_f64 v[212:213], v[204:205], v[206:207]
	scratch_load_dwordx4 v[204:207], off, off offset:896
	s_waitcnt vmcnt(0)
	v_mul_f64 v[214:215], v[208:209], v[206:207]
	v_fmac_f64_e32 v[214:215], v[210:211], v[204:205]
	v_add_f64 v[220:221], v[212:213], v[214:215]
	scratch_load_dwordx4 v[212:215], off, off offset:912
	s_waitcnt vmcnt(0) lgkmcnt(1)
	v_mul_f64 v[222:223], v[216:217], v[214:215]
	v_fmac_f64_e32 v[222:223], v[218:219], v[212:213]
	v_add_f64 v[228:229], v[220:221], v[222:223]
	scratch_load_dwordx4 v[220:223], off, off offset:928
	s_waitcnt vmcnt(0) lgkmcnt(0)
	v_mul_f64 v[230:231], v[224:225], v[222:223]
	v_fmac_f64_e32 v[230:231], v[226:227], v[220:221]
	v_add_f64 v[236:237], v[228:229], v[230:231]
	ds_read_b128 v[228:231], v2 offset:1872
	s_waitcnt lgkmcnt(0)
	v_mul_f64 v[2:3], v[228:229], v[234:235]
	v_fmac_f64_e32 v[2:3], v[230:231], v[232:233]
	v_add_f64 v[2:3], v[236:237], v[2:3]
	v_add_f64 v[236:237], v[240:241], 0
	;; [unrolled: 1-line block ×9, first 2 shown]
	scratch_load_dwordx4 v[236:239], off, off offset:176
	v_add_f64 v[16:17], v[20:21], v[16:17]
	v_add_f64 v[12:13], v[16:17], v[12:13]
	;; [unrolled: 1-line block ×8, first 2 shown]
	v_accvgpr_read_b32 v6, a128
	v_accvgpr_read_b32 v8, a130
	;; [unrolled: 1-line block ×3, first 2 shown]
	v_add_f64 v[250:251], v[4:5], v[22:23]
	v_accvgpr_read_b32 v7, a129
	v_mul_f64 v[4:5], v[146:147], v[8:9]
	v_add_f64 v[0:1], v[250:251], v[0:1]
	v_fma_f64 v[4:5], v[144:145], v[6:7], -v[4:5]
	v_accvgpr_read_b32 v6, a132
	v_add_f64 v[0:1], v[0:1], v[248:249]
	v_accvgpr_read_b32 v8, a134
	v_accvgpr_read_b32 v9, a135
	v_add_f64 v[0:1], v[0:1], v[4:5]
	v_accvgpr_read_b32 v7, a133
	v_mul_f64 v[4:5], v[150:151], v[8:9]
	v_fma_f64 v[4:5], v[148:149], v[6:7], -v[4:5]
	v_accvgpr_read_b32 v6, a136
	v_accvgpr_read_b32 v8, a138
	v_accvgpr_read_b32 v9, a139
	v_add_f64 v[0:1], v[0:1], v[4:5]
	v_accvgpr_read_b32 v7, a137
	v_mul_f64 v[4:5], v[154:155], v[8:9]
	v_fma_f64 v[4:5], v[152:153], v[6:7], -v[4:5]
	v_accvgpr_read_b32 v6, a140
	;; [unrolled: 7-line block ×3, first 2 shown]
	v_accvgpr_read_b32 v8, a146
	v_accvgpr_read_b32 v9, a147
	v_add_f64 v[0:1], v[0:1], v[4:5]
	v_accvgpr_read_b32 v7, a145
	v_mul_f64 v[4:5], v[162:163], v[8:9]
	v_fma_f64 v[4:5], v[160:161], v[6:7], -v[4:5]
	v_add_f64 v[0:1], v[0:1], v[4:5]
	v_mul_f64 v[4:5], v[166:167], v[34:35]
	v_fma_f64 v[4:5], v[164:165], v[32:33], -v[4:5]
	v_add_f64 v[0:1], v[0:1], v[4:5]
	;; [unrolled: 3-line block ×25, first 2 shown]
	s_waitcnt vmcnt(0)
	v_add_f64 v[4:5], v[236:237], -v[0:1]
	v_accvgpr_read_b32 v0, a118
	v_add_f64 v[6:7], v[238:239], -v[2:3]
	v_cmp_lt_u32_e32 vcc, 9, v0
	scratch_store_dwordx4 off, v[4:7], off offset:176
	s_and_saveexec_b64 s[0:1], vcc
	s_cbranch_execz .LBB58_349
; %bb.348:
	scratch_load_dwordx4 v[2:5], off, s48
	v_mov_b32_e32 v6, 0
	v_mov_b32_e32 v7, v6
	;; [unrolled: 1-line block ×4, first 2 shown]
	v_accvgpr_read_b32 v0, a119
	scratch_store_dwordx4 off, v[6:9], off offset:160
	s_waitcnt vmcnt(1)
	ds_write_b128 v0, v[2:5]
.LBB58_349:
	s_or_b64 exec, exec, s[0:1]
	s_waitcnt lgkmcnt(0)
	; wave barrier
	scratch_load_dwordx4 v[56:59], off, off offset:176
	scratch_load_dwordx4 v[60:63], off, off offset:192
	;; [unrolled: 1-line block ×28, first 2 shown]
	v_mov_b32_e32 v2, 0
	ds_read_b128 v[116:119], v2 offset:1104
	ds_read_b128 v[120:123], v2 offset:1120
	;; [unrolled: 1-line block ×22, first 2 shown]
	s_waitcnt vmcnt(27) lgkmcnt(14)
	v_mul_f64 v[0:1], v[116:117], v[58:59]
	s_waitcnt vmcnt(26)
	v_mul_f64 v[32:33], v[120:121], v[62:63]
	v_fmac_f64_e32 v[0:1], v[118:119], v[56:57]
	s_waitcnt vmcnt(25)
	v_mul_f64 v[34:35], v[124:125], v[66:67]
	v_fmac_f64_e32 v[32:33], v[122:123], v[60:61]
	v_add_f64 v[0:1], v[0:1], 0
	v_fmac_f64_e32 v[34:35], v[126:127], v[64:65]
	v_add_f64 v[0:1], v[0:1], v[32:33]
	v_add_f64 v[0:1], v[0:1], v[34:35]
	scratch_load_dwordx4 v[32:35], off, off offset:624
	s_waitcnt vmcnt(25)
	v_mul_f64 v[36:37], v[128:129], v[70:71]
	s_waitcnt vmcnt(24)
	v_mul_f64 v[38:39], v[132:133], v[74:75]
	v_fmac_f64_e32 v[36:37], v[130:131], v[68:69]
	s_waitcnt vmcnt(23)
	v_mul_f64 v[40:41], v[140:141], v[78:79]
	v_fmac_f64_e32 v[38:39], v[134:135], v[72:73]
	v_add_f64 v[0:1], v[0:1], v[36:37]
	s_waitcnt vmcnt(22)
	v_mul_f64 v[42:43], v[152:153], v[82:83]
	v_fmac_f64_e32 v[40:41], v[142:143], v[76:77]
	v_add_f64 v[0:1], v[0:1], v[38:39]
	;; [unrolled: 4-line block ×3, first 2 shown]
	s_waitcnt vmcnt(20) lgkmcnt(13)
	v_mul_f64 v[46:47], v[176:177], v[94:95]
	v_fmac_f64_e32 v[44:45], v[166:167], v[84:85]
	v_add_f64 v[0:1], v[0:1], v[42:43]
	s_waitcnt vmcnt(19) lgkmcnt(12)
	v_mul_f64 v[48:49], v[188:189], v[98:99]
	v_fmac_f64_e32 v[46:47], v[178:179], v[92:93]
	v_add_f64 v[0:1], v[0:1], v[44:45]
	;; [unrolled: 4-line block ×9, first 2 shown]
	v_add_f64 v[0:1], v[0:1], v[104:105]
	v_fmac_f64_e32 v[106:107], v[222:223], v[168:169]
	s_waitcnt vmcnt(11) lgkmcnt(4)
	v_mul_f64 v[40:41], v[224:225], v[174:175]
	v_add_f64 v[0:1], v[0:1], v[106:107]
	v_fmac_f64_e32 v[40:41], v[226:227], v[172:173]
	scratch_load_dwordx4 v[36:39], off, off offset:640
	v_add_f64 v[0:1], v[0:1], v[40:41]
	s_waitcnt vmcnt(11) lgkmcnt(3)
	v_mul_f64 v[40:41], v[228:229], v[182:183]
	v_fmac_f64_e32 v[40:41], v[230:231], v[180:181]
	s_waitcnt vmcnt(10) lgkmcnt(2)
	v_mul_f64 v[44:45], v[246:247], v[186:187]
	v_add_f64 v[0:1], v[0:1], v[40:41]
	v_fmac_f64_e32 v[44:45], v[248:249], v[184:185]
	scratch_load_dwordx4 v[40:43], off, off offset:656
	ds_read_b128 v[88:91], v2 offset:1440
	v_add_f64 v[0:1], v[0:1], v[44:45]
	s_waitcnt vmcnt(10) lgkmcnt(2)
	v_mul_f64 v[44:45], v[250:251], v[194:195]
	v_fmac_f64_e32 v[44:45], v[252:253], v[192:193]
	v_add_f64 v[0:1], v[0:1], v[44:45]
	scratch_load_dwordx4 v[44:47], off, off offset:672
	ds_read_b128 v[104:107], v2 offset:1456
	s_waitcnt vmcnt(10) lgkmcnt(1)
	v_mul_f64 v[48:49], v[88:89], v[6:7]
	v_accvgpr_write_b32 a123, v7
	v_fmac_f64_e32 v[48:49], v[90:91], v[4:5]
	v_accvgpr_write_b32 a122, v6
	v_accvgpr_write_b32 a121, v5
	;; [unrolled: 1-line block ×3, first 2 shown]
	s_waitcnt vmcnt(9)
	v_mov_b64_e32 v[4:5], v[8:9]
	v_add_f64 v[0:1], v[0:1], v[48:49]
	scratch_load_dwordx4 v[48:51], off, off offset:688
	v_mov_b64_e32 v[6:7], v[10:11]
	s_waitcnt lgkmcnt(0)
	v_mul_f64 v[52:53], v[104:105], v[6:7]
	v_fmac_f64_e32 v[52:53], v[106:107], v[4:5]
	v_add_f64 v[0:1], v[0:1], v[52:53]
	scratch_load_dwordx4 v[52:55], off, off offset:704
	v_mul_f64 v[58:59], v[118:119], v[58:59]
	s_waitcnt vmcnt(10)
	v_mov_b64_e32 v[4:5], v[12:13]
	v_fma_f64 v[240:241], v[116:117], v[56:57], -v[58:59]
	scratch_load_dwordx4 v[56:59], off, off offset:720
	v_mov_b64_e32 v[6:7], v[14:15]
	v_mul_f64 v[112:113], v[108:109], v[6:7]
	v_fmac_f64_e32 v[112:113], v[110:111], v[4:5]
	v_add_f64 v[0:1], v[0:1], v[112:113]
	ds_read_b128 v[112:115], v2 offset:1488
	ds_read_b128 v[116:119], v2 offset:1504
	v_mul_f64 v[62:63], v[122:123], v[62:63]
	v_fma_f64 v[242:243], v[120:121], v[60:61], -v[62:63]
	scratch_load_dwordx4 v[60:63], off, off offset:736
	s_waitcnt vmcnt(11)
	v_mov_b64_e32 v[4:5], v[16:17]
	v_mul_f64 v[66:67], v[126:127], v[66:67]
	v_mov_b64_e32 v[6:7], v[18:19]
	v_fma_f64 v[244:245], v[124:125], v[64:65], -v[66:67]
	scratch_load_dwordx4 v[64:67], off, off offset:752
	s_waitcnt lgkmcnt(1)
	v_mul_f64 v[120:121], v[112:113], v[6:7]
	v_fmac_f64_e32 v[120:121], v[114:115], v[4:5]
	s_waitcnt vmcnt(11)
	v_mov_b64_e32 v[4:5], v[20:21]
	v_mov_b64_e32 v[6:7], v[22:23]
	v_add_f64 v[0:1], v[0:1], v[120:121]
	s_waitcnt lgkmcnt(0)
	v_mul_f64 v[120:121], v[116:117], v[6:7]
	v_fmac_f64_e32 v[120:121], v[118:119], v[4:5]
	v_mul_f64 v[70:71], v[130:131], v[70:71]
	v_add_f64 v[0:1], v[0:1], v[120:121]
	v_fma_f64 v[254:255], v[128:129], v[68:69], -v[70:71]
	scratch_load_dwordx4 v[68:71], off, off offset:768
	ds_read_b128 v[120:123], v2 offset:1520
	ds_read_b128 v[124:127], v2 offset:1536
	v_mul_f64 v[74:75], v[134:135], v[74:75]
	v_accvgpr_write_b32 a127, v11
	v_fma_f64 v[232:233], v[132:133], v[72:73], -v[74:75]
	scratch_load_dwordx4 v[72:75], off, off offset:784
	v_accvgpr_write_b32 a126, v10
	v_accvgpr_write_b32 a125, v9
	;; [unrolled: 1-line block ×3, first 2 shown]
	v_mul_f64 v[78:79], v[142:143], v[78:79]
	s_waitcnt vmcnt(12)
	v_mov_b64_e32 v[8:9], v[24:25]
	v_fma_f64 v[28:29], v[140:141], v[76:77], -v[78:79]
	v_mov_b64_e32 v[10:11], v[26:27]
	scratch_load_dwordx4 v[76:79], off, off offset:800
	s_waitcnt lgkmcnt(1)
	v_mul_f64 v[6:7], v[120:121], v[10:11]
	v_fmac_f64_e32 v[6:7], v[122:123], v[8:9]
	v_accvgpr_write_b32 a143, v27
	v_add_f64 v[0:1], v[0:1], v[6:7]
	v_mul_f64 v[6:7], v[154:155], v[82:83]
	v_accvgpr_write_b32 a142, v26
	v_accvgpr_write_b32 a141, v25
	;; [unrolled: 1-line block ×3, first 2 shown]
	v_fma_f64 v[24:25], v[152:153], v[80:81], -v[6:7]
	s_waitcnt vmcnt(12) lgkmcnt(0)
	v_mul_f64 v[6:7], v[124:125], v[236:237]
	v_fmac_f64_e32 v[6:7], v[126:127], v[234:235]
	scratch_load_dwordx4 v[80:83], off, off offset:816
	v_accvgpr_write_b32 a139, v23
	v_add_f64 v[0:1], v[0:1], v[6:7]
	v_mul_f64 v[6:7], v[166:167], v[86:87]
	v_accvgpr_write_b32 a138, v22
	v_accvgpr_write_b32 a137, v21
	;; [unrolled: 1-line block ×3, first 2 shown]
	v_fma_f64 v[20:21], v[164:165], v[84:85], -v[6:7]
	scratch_load_dwordx4 v[84:87], off, off offset:832
	ds_read_b128 v[132:135], v2 offset:1552
	ds_read_b128 v[128:131], v2 offset:1568
	v_accvgpr_write_b32 a135, v19
	v_mul_f64 v[6:7], v[178:179], v[94:95]
	v_accvgpr_write_b32 a131, v15
	v_accvgpr_write_b32 a134, v18
	;; [unrolled: 1-line block ×4, first 2 shown]
	v_fma_f64 v[16:17], v[176:177], v[92:93], -v[6:7]
	v_mul_f64 v[6:7], v[190:191], v[98:99]
	v_accvgpr_write_b32 a130, v14
	v_accvgpr_write_b32 a129, v13
	;; [unrolled: 1-line block ×3, first 2 shown]
	v_fma_f64 v[14:15], v[188:189], v[96:97], -v[6:7]
	scratch_load_dwordx4 v[96:99], off, off offset:848
	scratch_load_dwordx4 v[92:95], off, off offset:864
	s_waitcnt vmcnt(15) lgkmcnt(1)
	v_mul_f64 v[6:7], v[132:133], v[34:35]
	v_fmac_f64_e32 v[6:7], v[134:135], v[32:33]
	v_add_f64 v[0:1], v[0:1], v[6:7]
	v_mul_f64 v[6:7], v[198:199], v[102:103]
	v_fma_f64 v[12:13], v[196:197], v[100:101], -v[6:7]
	scratch_load_dwordx4 v[100:103], off, off offset:880
	v_mul_f64 v[6:7], v[202:203], v[138:139]
	v_fma_f64 v[18:19], v[200:201], v[136:137], -v[6:7]
	ds_read_b128 v[136:139], v2 offset:1584
	ds_read_b128 v[140:143], v2 offset:1600
	s_waitcnt vmcnt(15) lgkmcnt(2)
	v_mul_f64 v[6:7], v[128:129], v[38:39]
	v_fmac_f64_e32 v[6:7], v[130:131], v[36:37]
	v_add_f64 v[0:1], v[0:1], v[6:7]
	s_waitcnt vmcnt(14) lgkmcnt(1)
	v_mul_f64 v[6:7], v[136:137], v[42:43]
	v_fmac_f64_e32 v[6:7], v[138:139], v[40:41]
	v_add_f64 v[0:1], v[0:1], v[6:7]
	v_mul_f64 v[6:7], v[206:207], v[146:147]
	v_fma_f64 v[10:11], v[204:205], v[144:145], -v[6:7]
	ds_read_b128 v[144:147], v2 offset:1616
	s_waitcnt vmcnt(13) lgkmcnt(1)
	v_mul_f64 v[6:7], v[140:141], v[46:47]
	v_fmac_f64_e32 v[6:7], v[142:143], v[44:45]
	v_add_f64 v[0:1], v[0:1], v[6:7]
	v_mul_f64 v[6:7], v[210:211], v[150:151]
	v_fma_f64 v[22:23], v[208:209], v[148:149], -v[6:7]
	ds_read_b128 v[148:151], v2 offset:1632
	s_waitcnt vmcnt(12) lgkmcnt(1)
	v_mul_f64 v[6:7], v[144:145], v[50:51]
	ds_read_b128 v[152:155], v2 offset:1648
	v_fmac_f64_e32 v[6:7], v[146:147], v[48:49]
	v_add_f64 v[0:1], v[0:1], v[6:7]
	v_mul_f64 v[6:7], v[214:215], v[158:159]
	v_fma_f64 v[8:9], v[212:213], v[156:157], -v[6:7]
	s_waitcnt vmcnt(11) lgkmcnt(1)
	v_mul_f64 v[6:7], v[148:149], v[54:55]
	v_fmac_f64_e32 v[6:7], v[150:151], v[52:53]
	ds_read_b128 v[156:159], v2 offset:1664
	v_add_f64 v[0:1], v[0:1], v[6:7]
	s_waitcnt vmcnt(10) lgkmcnt(1)
	v_mul_f64 v[6:7], v[152:153], v[58:59]
	v_fmac_f64_e32 v[6:7], v[154:155], v[56:57]
	v_add_f64 v[0:1], v[0:1], v[6:7]
	v_mul_f64 v[6:7], v[218:219], v[162:163]
	v_fma_f64 v[26:27], v[216:217], v[160:161], -v[6:7]
	ds_read_b128 v[160:163], v2 offset:1680
	ds_read_b128 v[164:167], v2 offset:1696
	s_waitcnt vmcnt(9) lgkmcnt(2)
	v_mul_f64 v[6:7], v[156:157], v[62:63]
	v_fmac_f64_e32 v[6:7], v[158:159], v[60:61]
	v_add_f64 v[0:1], v[0:1], v[6:7]
	s_waitcnt vmcnt(8) lgkmcnt(1)
	v_mul_f64 v[6:7], v[160:161], v[66:67]
	v_fmac_f64_e32 v[6:7], v[162:163], v[64:65]
	v_add_f64 v[0:1], v[0:1], v[6:7]
	v_mul_f64 v[6:7], v[222:223], v[170:171]
	v_fma_f64 v[4:5], v[220:221], v[168:169], -v[6:7]
	ds_read_b128 v[168:171], v2 offset:1712
	v_mul_f64 v[6:7], v[226:227], v[174:175]
	v_fma_f64 v[6:7], v[224:225], v[172:173], -v[6:7]
	ds_read_b128 v[172:175], v2 offset:1728
	s_waitcnt vmcnt(7) lgkmcnt(2)
	v_mul_f64 v[30:31], v[164:165], v[70:71]
	v_fmac_f64_e32 v[30:31], v[166:167], v[68:69]
	v_add_f64 v[0:1], v[0:1], v[30:31]
	s_waitcnt vmcnt(6) lgkmcnt(1)
	v_mul_f64 v[30:31], v[168:169], v[74:75]
	v_fmac_f64_e32 v[30:31], v[170:171], v[72:73]
	v_add_f64 v[0:1], v[0:1], v[30:31]
	s_waitcnt vmcnt(5) lgkmcnt(0)
	v_mul_f64 v[30:31], v[172:173], v[78:79]
	ds_read_b128 v[176:179], v2 offset:1744
	v_fmac_f64_e32 v[30:31], v[174:175], v[76:77]
	v_add_f64 v[30:31], v[0:1], v[30:31]
	v_mul_f64 v[0:1], v[230:231], v[182:183]
	v_fma_f64 v[0:1], v[228:229], v[180:181], -v[0:1]
	ds_read_b128 v[180:183], v2 offset:1760
	v_mul_f64 v[186:187], v[248:249], v[186:187]
	s_waitcnt vmcnt(4) lgkmcnt(1)
	v_mul_f64 v[188:189], v[176:177], v[82:83]
	v_fma_f64 v[238:239], v[246:247], v[184:185], -v[186:187]
	ds_read_b128 v[184:187], v2 offset:1776
	v_fmac_f64_e32 v[188:189], v[178:179], v[80:81]
	v_add_f64 v[30:31], v[30:31], v[188:189]
	ds_read_b128 v[188:191], v2 offset:1792
	s_waitcnt vmcnt(3) lgkmcnt(2)
	v_mul_f64 v[196:197], v[180:181], v[86:87]
	v_mul_f64 v[194:195], v[252:253], v[194:195]
	v_fmac_f64_e32 v[196:197], v[182:183], v[84:85]
	v_fma_f64 v[246:247], v[250:251], v[192:193], -v[194:195]
	ds_read_b128 v[192:195], v2 offset:1808
	ds_read_b128 v[200:203], v2 offset:1824
	v_add_f64 v[30:31], v[30:31], v[196:197]
	s_waitcnt vmcnt(2) lgkmcnt(3)
	v_mul_f64 v[196:197], v[184:185], v[98:99]
	v_fmac_f64_e32 v[196:197], v[186:187], v[96:97]
	v_add_f64 v[30:31], v[30:31], v[196:197]
	s_waitcnt vmcnt(1) lgkmcnt(2)
	v_mul_f64 v[196:197], v[188:189], v[94:95]
	v_fmac_f64_e32 v[196:197], v[190:191], v[92:93]
	;; [unrolled: 4-line block ×3, first 2 shown]
	v_add_f64 v[30:31], v[30:31], v[196:197]
	scratch_load_dwordx4 v[196:199], off, off offset:896
	ds_read_b128 v[208:211], v2 offset:1840
	ds_read_b128 v[216:219], v2 offset:1856
	;; [unrolled: 1-line block ×3, first 2 shown]
	s_waitcnt vmcnt(0) lgkmcnt(3)
	v_mul_f64 v[204:205], v[200:201], v[198:199]
	v_fmac_f64_e32 v[204:205], v[202:203], v[196:197]
	v_add_f64 v[30:31], v[30:31], v[204:205]
	scratch_load_dwordx4 v[204:207], off, off offset:912
	s_waitcnt vmcnt(0) lgkmcnt(2)
	v_mul_f64 v[212:213], v[208:209], v[206:207]
	v_fmac_f64_e32 v[212:213], v[210:211], v[204:205]
	v_add_f64 v[30:31], v[30:31], v[212:213]
	scratch_load_dwordx4 v[212:215], off, off offset:928
	;; [unrolled: 5-line block ×3, first 2 shown]
	s_waitcnt vmcnt(0) lgkmcnt(0)
	v_mul_f64 v[228:229], v[224:225], v[222:223]
	v_fmac_f64_e32 v[228:229], v[226:227], v[220:221]
	v_add_f64 v[250:251], v[30:31], v[228:229]
	v_add_f64 v[30:31], v[240:241], 0
	;; [unrolled: 1-line block ×3, first 2 shown]
	scratch_load_dwordx4 v[228:231], off, off offset:160
	v_add_f64 v[30:31], v[30:31], v[244:245]
	v_add_f64 v[30:31], v[30:31], v[254:255]
	;; [unrolled: 1-line block ×16, first 2 shown]
	v_accvgpr_read_b32 v6, a120
	v_accvgpr_read_b32 v8, a122
	;; [unrolled: 1-line block ×3, first 2 shown]
	v_add_f64 v[0:1], v[4:5], v[0:1]
	v_accvgpr_read_b32 v7, a121
	v_mul_f64 v[4:5], v[90:91], v[8:9]
	v_add_f64 v[0:1], v[0:1], v[238:239]
	v_fma_f64 v[4:5], v[88:89], v[6:7], -v[4:5]
	v_accvgpr_read_b32 v6, a124
	v_add_f64 v[0:1], v[0:1], v[246:247]
	v_accvgpr_read_b32 v8, a126
	v_accvgpr_read_b32 v9, a127
	v_add_f64 v[0:1], v[0:1], v[4:5]
	v_accvgpr_read_b32 v7, a125
	v_mul_f64 v[4:5], v[106:107], v[8:9]
	v_fma_f64 v[4:5], v[104:105], v[6:7], -v[4:5]
	v_accvgpr_read_b32 v6, a128
	v_accvgpr_read_b32 v8, a130
	v_accvgpr_read_b32 v9, a131
	v_add_f64 v[0:1], v[0:1], v[4:5]
	v_accvgpr_read_b32 v7, a129
	v_mul_f64 v[4:5], v[110:111], v[8:9]
	v_fma_f64 v[4:5], v[108:109], v[6:7], -v[4:5]
	v_accvgpr_read_b32 v6, a132
	;; [unrolled: 7-line block ×4, first 2 shown]
	v_accvgpr_read_b32 v8, a142
	v_accvgpr_read_b32 v9, a143
	v_add_f64 v[0:1], v[0:1], v[4:5]
	v_accvgpr_read_b32 v7, a141
	v_mul_f64 v[4:5], v[122:123], v[8:9]
	v_fma_f64 v[4:5], v[120:121], v[6:7], -v[4:5]
	v_add_f64 v[0:1], v[0:1], v[4:5]
	v_mul_f64 v[4:5], v[126:127], v[236:237]
	v_fma_f64 v[4:5], v[124:125], v[234:235], -v[4:5]
	v_add_f64 v[0:1], v[0:1], v[4:5]
	;; [unrolled: 3-line block ×23, first 2 shown]
	s_waitcnt vmcnt(0)
	v_add_f64 v[4:5], v[228:229], -v[0:1]
	v_accvgpr_read_b32 v0, a118
	v_add_f64 v[6:7], v[230:231], -v[250:251]
	v_cmp_lt_u32_e32 vcc, 8, v0
	scratch_store_dwordx4 off, v[4:7], off offset:160
	s_and_saveexec_b64 s[0:1], vcc
	s_cbranch_execz .LBB58_351
; %bb.350:
	scratch_load_dwordx4 v[6:9], off, s47
	v_mov_b32_e32 v3, v2
	v_mov_b32_e32 v4, v2
	v_mov_b32_e32 v5, v2
	v_accvgpr_read_b32 v0, a119
	scratch_store_dwordx4 off, v[2:5], off offset:144
	s_waitcnt vmcnt(1)
	ds_write_b128 v0, v[6:9]
.LBB58_351:
	s_or_b64 exec, exec, s[0:1]
	s_waitcnt lgkmcnt(0)
	; wave barrier
	scratch_load_dwordx4 v[56:59], off, off offset:160
	scratch_load_dwordx4 v[60:63], off, off offset:176
	;; [unrolled: 1-line block ×18, first 2 shown]
	ds_read_b128 v[116:119], v2 offset:1088
	ds_read_b128 v[220:223], v2 offset:1104
	;; [unrolled: 1-line block ×6, first 2 shown]
	scratch_load_dwordx4 v[180:183], off, off offset:448
	ds_read_b128 v[204:207], v2 offset:1184
	ds_read_b128 v[132:135], v2 offset:1200
	scratch_load_dwordx4 v[184:187], off, off offset:464
	ds_read_b128 v[224:227], v2 offset:1216
	ds_read_b128 v[216:219], v2 offset:1232
	ds_read_b128 v[196:199], v2 offset:1248
	ds_read_b128 v[140:143], v2 offset:1264
	ds_read_b128 v[152:155], v2 offset:1280
	scratch_load_dwordx4 v[192:195], off, off offset:480
	ds_read_b128 v[200:203], v2 offset:1296
	ds_read_b128 v[164:167], v2 offset:1312
	scratch_load_dwordx4 v[4:7], off, off offset:496
	ds_read_b128 v[212:215], v2 offset:1328
	ds_read_b128 v[188:191], v2 offset:1344
	;; [unrolled: 1-line block ×3, first 2 shown]
	scratch_load_dwordx4 v[8:11], off, off offset:512
	scratch_load_dwordx4 v[12:15], off, off offset:528
	;; [unrolled: 1-line block ×6, first 2 shown]
	ds_read_b128 v[228:231], v2 offset:1376
	ds_read_b128 v[232:235], v2 offset:1392
	ds_read_b128 v[236:239], v2 offset:1408
	ds_read_b128 v[108:111], v2 offset:1456
	s_waitcnt vmcnt(27) lgkmcnt(14)
	v_mul_f64 v[0:1], v[116:117], v[58:59]
	s_waitcnt vmcnt(26)
	v_mul_f64 v[32:33], v[220:221], v[62:63]
	v_fmac_f64_e32 v[0:1], v[118:119], v[56:57]
	s_waitcnt vmcnt(25)
	v_mul_f64 v[34:35], v[208:209], v[66:67]
	v_fmac_f64_e32 v[32:33], v[222:223], v[60:61]
	v_add_f64 v[0:1], v[0:1], 0
	v_fmac_f64_e32 v[34:35], v[210:211], v[64:65]
	v_add_f64 v[0:1], v[0:1], v[32:33]
	v_add_f64 v[0:1], v[0:1], v[34:35]
	scratch_load_dwordx4 v[32:35], off, off offset:608
	s_waitcnt vmcnt(25)
	v_mul_f64 v[36:37], v[120:121], v[70:71]
	s_waitcnt vmcnt(24)
	v_mul_f64 v[38:39], v[128:129], v[74:75]
	v_fmac_f64_e32 v[36:37], v[122:123], v[68:69]
	s_waitcnt vmcnt(23)
	v_mul_f64 v[40:41], v[124:125], v[78:79]
	v_fmac_f64_e32 v[38:39], v[130:131], v[72:73]
	v_add_f64 v[0:1], v[0:1], v[36:37]
	s_waitcnt vmcnt(22)
	v_mul_f64 v[42:43], v[204:205], v[82:83]
	v_fmac_f64_e32 v[40:41], v[126:127], v[76:77]
	v_add_f64 v[0:1], v[0:1], v[38:39]
	;; [unrolled: 4-line block ×3, first 2 shown]
	s_waitcnt vmcnt(20) lgkmcnt(13)
	v_mul_f64 v[46:47], v[224:225], v[94:95]
	v_fmac_f64_e32 v[44:45], v[134:135], v[84:85]
	v_add_f64 v[0:1], v[0:1], v[42:43]
	s_waitcnt vmcnt(19) lgkmcnt(12)
	v_mul_f64 v[48:49], v[216:217], v[98:99]
	v_fmac_f64_e32 v[46:47], v[226:227], v[92:93]
	v_add_f64 v[0:1], v[0:1], v[44:45]
	;; [unrolled: 4-line block ×9, first 2 shown]
	v_fmac_f64_e32 v[106:107], v[190:191], v[168:169]
	v_add_f64 v[0:1], v[0:1], v[104:105]
	s_waitcnt vmcnt(11) lgkmcnt(4)
	v_mul_f64 v[40:41], v[176:177], v[174:175]
	v_add_f64 v[0:1], v[0:1], v[106:107]
	v_fmac_f64_e32 v[40:41], v[178:179], v[172:173]
	scratch_load_dwordx4 v[36:39], off, off offset:624
	v_add_f64 v[0:1], v[0:1], v[40:41]
	s_waitcnt vmcnt(11) lgkmcnt(3)
	v_mul_f64 v[40:41], v[228:229], v[182:183]
	v_fmac_f64_e32 v[40:41], v[230:231], v[180:181]
	v_add_f64 v[0:1], v[0:1], v[40:41]
	scratch_load_dwordx4 v[40:43], off, off offset:640
	ds_read_b128 v[88:91], v2 offset:1424
	s_waitcnt vmcnt(11) lgkmcnt(3)
	v_mul_f64 v[44:45], v[232:233], v[186:187]
	v_fmac_f64_e32 v[44:45], v[234:235], v[184:185]
	v_add_f64 v[0:1], v[0:1], v[44:45]
	s_waitcnt vmcnt(10) lgkmcnt(2)
	v_mul_f64 v[44:45], v[236:237], v[194:195]
	v_fmac_f64_e32 v[44:45], v[238:239], v[192:193]
	s_waitcnt vmcnt(9) lgkmcnt(0)
	v_mul_f64 v[48:49], v[88:89], v[6:7]
	ds_read_b128 v[104:107], v2 offset:1440
	v_add_f64 v[0:1], v[0:1], v[44:45]
	scratch_load_dwordx4 v[44:47], off, off offset:656
	v_fmac_f64_e32 v[48:49], v[90:91], v[4:5]
	v_accvgpr_write_b32 a123, v7
	v_add_f64 v[0:1], v[0:1], v[48:49]
	scratch_load_dwordx4 v[48:51], off, off offset:672
	v_accvgpr_write_b32 a122, v6
	v_accvgpr_write_b32 a121, v5
	;; [unrolled: 1-line block ×3, first 2 shown]
	s_waitcnt vmcnt(10)
	v_mov_b64_e32 v[4:5], v[8:9]
	v_mov_b64_e32 v[6:7], v[10:11]
	s_waitcnt lgkmcnt(0)
	v_mul_f64 v[52:53], v[104:105], v[6:7]
	v_fmac_f64_e32 v[52:53], v[106:107], v[4:5]
	v_add_f64 v[0:1], v[0:1], v[52:53]
	scratch_load_dwordx4 v[52:55], off, off offset:688
	v_mul_f64 v[58:59], v[118:119], v[58:59]
	v_fma_f64 v[240:241], v[116:117], v[56:57], -v[58:59]
	scratch_load_dwordx4 v[56:59], off, off offset:704
	v_mul_f64 v[62:63], v[222:223], v[62:63]
	v_fma_f64 v[242:243], v[220:221], v[60:61], -v[62:63]
	scratch_load_dwordx4 v[60:63], off, off offset:720
	s_waitcnt vmcnt(12)
	v_mov_b64_e32 v[4:5], v[12:13]
	v_mul_f64 v[66:67], v[210:211], v[66:67]
	v_mov_b64_e32 v[6:7], v[14:15]
	v_fma_f64 v[244:245], v[208:209], v[64:65], -v[66:67]
	scratch_load_dwordx4 v[64:67], off, off offset:736
	v_mul_f64 v[112:113], v[108:109], v[6:7]
	v_fmac_f64_e32 v[112:113], v[110:111], v[4:5]
	v_add_f64 v[0:1], v[0:1], v[112:113]
	ds_read_b128 v[112:115], v2 offset:1472
	ds_read_b128 v[116:119], v2 offset:1488
	s_waitcnt vmcnt(12)
	v_mov_b64_e32 v[4:5], v[16:17]
	v_mul_f64 v[70:71], v[122:123], v[70:71]
	v_mov_b64_e32 v[6:7], v[18:19]
	v_fma_f64 v[250:251], v[120:121], v[68:69], -v[70:71]
	scratch_load_dwordx4 v[68:71], off, off offset:752
	v_mul_f64 v[74:75], v[130:131], v[74:75]
	s_waitcnt lgkmcnt(1)
	v_mul_f64 v[220:221], v[112:113], v[6:7]
	v_fma_f64 v[252:253], v[128:129], v[72:73], -v[74:75]
	scratch_load_dwordx4 v[72:75], off, off offset:768
	v_fmac_f64_e32 v[220:221], v[114:115], v[4:5]
	s_waitcnt vmcnt(13)
	v_mov_b64_e32 v[4:5], v[20:21]
	ds_read_b128 v[120:123], v2 offset:1504
	v_mul_f64 v[78:79], v[126:127], v[78:79]
	v_mov_b64_e32 v[6:7], v[22:23]
	v_fma_f64 v[254:255], v[124:125], v[76:77], -v[78:79]
	scratch_load_dwordx4 v[76:79], off, off offset:784
	s_waitcnt lgkmcnt(1)
	v_mul_f64 v[208:209], v[116:117], v[6:7]
	ds_read_b128 v[124:127], v2 offset:1520
	v_fmac_f64_e32 v[208:209], v[118:119], v[4:5]
	s_waitcnt vmcnt(13)
	v_mov_b64_e32 v[4:5], v[24:25]
	v_mul_f64 v[82:83], v[206:207], v[82:83]
	v_mov_b64_e32 v[6:7], v[26:27]
	v_fma_f64 v[246:247], v[204:205], v[80:81], -v[82:83]
	scratch_load_dwordx4 v[80:83], off, off offset:800
	v_add_f64 v[0:1], v[0:1], v[220:221]
	s_waitcnt lgkmcnt(1)
	v_mul_f64 v[128:129], v[120:121], v[6:7]
	v_add_f64 v[0:1], v[0:1], v[208:209]
	v_fmac_f64_e32 v[128:129], v[122:123], v[4:5]
	v_add_f64 v[0:1], v[0:1], v[128:129]
	s_waitcnt vmcnt(13) lgkmcnt(0)
	v_mul_f64 v[128:129], v[124:125], v[30:31]
	v_accvgpr_write_b32 a143, v27
	v_fmac_f64_e32 v[128:129], v[126:127], v[28:29]
	v_mul_f64 v[86:87], v[134:135], v[86:87]
	v_accvgpr_write_b32 a142, v26
	v_accvgpr_write_b32 a141, v25
	;; [unrolled: 1-line block ×3, first 2 shown]
	v_add_f64 v[0:1], v[0:1], v[128:129]
	v_fma_f64 v[24:25], v[132:133], v[84:85], -v[86:87]
	scratch_load_dwordx4 v[84:87], off, off offset:816
	ds_read_b128 v[132:135], v2 offset:1536
	ds_read_b128 v[128:131], v2 offset:1552
	v_accvgpr_write_b32 a139, v23
	v_mul_f64 v[6:7], v[226:227], v[94:95]
	v_accvgpr_write_b32 a135, v19
	v_accvgpr_write_b32 a138, v22
	;; [unrolled: 1-line block ×4, first 2 shown]
	v_fma_f64 v[20:21], v[224:225], v[92:93], -v[6:7]
	v_mul_f64 v[92:93], v[218:219], v[98:99]
	v_accvgpr_write_b32 a127, v11
	v_accvgpr_write_b32 a134, v18
	;; [unrolled: 1-line block ×4, first 2 shown]
	v_fma_f64 v[16:17], v[216:217], v[96:97], -v[92:93]
	scratch_load_dwordx4 v[96:99], off, off offset:832
	scratch_load_dwordx4 v[92:95], off, off offset:848
	v_accvgpr_write_b32 a126, v10
	v_accvgpr_write_b32 a125, v9
	;; [unrolled: 1-line block ×3, first 2 shown]
	s_waitcnt vmcnt(15) lgkmcnt(1)
	v_mul_f64 v[10:11], v[132:133], v[34:35]
	v_fmac_f64_e32 v[10:11], v[134:135], v[32:33]
	v_accvgpr_write_b32 a131, v15
	v_add_f64 v[0:1], v[0:1], v[10:11]
	v_mul_f64 v[10:11], v[198:199], v[102:103]
	v_accvgpr_write_b32 a130, v14
	v_accvgpr_write_b32 a129, v13
	;; [unrolled: 1-line block ×3, first 2 shown]
	v_fma_f64 v[12:13], v[196:197], v[100:101], -v[10:11]
	scratch_load_dwordx4 v[100:103], off, off offset:864
	v_mul_f64 v[138:139], v[142:143], v[138:139]
	v_fma_f64 v[10:11], v[140:141], v[136:137], -v[138:139]
	ds_read_b128 v[136:139], v2 offset:1568
	ds_read_b128 v[140:143], v2 offset:1584
	s_waitcnt vmcnt(15) lgkmcnt(2)
	v_mul_f64 v[14:15], v[128:129], v[38:39]
	v_fmac_f64_e32 v[14:15], v[130:131], v[36:37]
	v_add_f64 v[0:1], v[0:1], v[14:15]
	s_waitcnt vmcnt(14) lgkmcnt(1)
	v_mul_f64 v[14:15], v[136:137], v[42:43]
	v_fmac_f64_e32 v[14:15], v[138:139], v[40:41]
	v_add_f64 v[0:1], v[0:1], v[14:15]
	v_mul_f64 v[14:15], v[154:155], v[146:147]
	v_fma_f64 v[14:15], v[152:153], v[144:145], -v[14:15]
	ds_read_b128 v[144:147], v2 offset:1600
	s_waitcnt vmcnt(13) lgkmcnt(1)
	v_mul_f64 v[152:153], v[140:141], v[46:47]
	v_mul_f64 v[150:151], v[202:203], v[150:151]
	v_fmac_f64_e32 v[152:153], v[142:143], v[44:45]
	v_fma_f64 v[8:9], v[200:201], v[148:149], -v[150:151]
	ds_read_b128 v[148:151], v2 offset:1616
	s_waitcnt vmcnt(12) lgkmcnt(1)
	v_mul_f64 v[18:19], v[144:145], v[50:51]
	v_add_f64 v[0:1], v[0:1], v[152:153]
	v_fmac_f64_e32 v[18:19], v[146:147], v[48:49]
	v_add_f64 v[0:1], v[0:1], v[18:19]
	ds_read_b128 v[152:155], v2 offset:1632
	v_mul_f64 v[18:19], v[166:167], v[158:159]
	v_fma_f64 v[18:19], v[164:165], v[156:157], -v[18:19]
	ds_read_b128 v[156:159], v2 offset:1648
	v_mul_f64 v[162:163], v[214:215], v[162:163]
	s_waitcnt vmcnt(11) lgkmcnt(2)
	v_mul_f64 v[164:165], v[148:149], v[54:55]
	v_fma_f64 v[6:7], v[212:213], v[160:161], -v[162:163]
	ds_read_b128 v[160:163], v2 offset:1664
	v_fmac_f64_e32 v[164:165], v[150:151], v[52:53]
	v_add_f64 v[0:1], v[0:1], v[164:165]
	s_waitcnt vmcnt(10) lgkmcnt(2)
	v_mul_f64 v[164:165], v[152:153], v[58:59]
	v_fmac_f64_e32 v[164:165], v[154:155], v[56:57]
	s_waitcnt vmcnt(9) lgkmcnt(1)
	v_mul_f64 v[22:23], v[156:157], v[62:63]
	v_add_f64 v[0:1], v[0:1], v[164:165]
	v_fmac_f64_e32 v[22:23], v[158:159], v[60:61]
	v_add_f64 v[0:1], v[0:1], v[22:23]
	ds_read_b128 v[164:167], v2 offset:1680
	s_waitcnt vmcnt(8) lgkmcnt(1)
	v_mul_f64 v[22:23], v[160:161], v[66:67]
	v_fmac_f64_e32 v[22:23], v[162:163], v[64:65]
	v_add_f64 v[0:1], v[0:1], v[22:23]
	v_mul_f64 v[22:23], v[190:191], v[170:171]
	v_fma_f64 v[22:23], v[188:189], v[168:169], -v[22:23]
	ds_read_b128 v[168:171], v2 offset:1696
	v_mul_f64 v[174:175], v[178:179], v[174:175]
	v_fma_f64 v[4:5], v[176:177], v[172:173], -v[174:175]
	ds_read_b128 v[172:175], v2 offset:1712
	s_waitcnt vmcnt(7) lgkmcnt(2)
	v_mul_f64 v[188:189], v[164:165], v[70:71]
	v_fmac_f64_e32 v[188:189], v[166:167], v[68:69]
	s_waitcnt vmcnt(6) lgkmcnt(1)
	v_mul_f64 v[26:27], v[168:169], v[74:75]
	ds_read_b128 v[176:179], v2 offset:1728
	v_add_f64 v[0:1], v[0:1], v[188:189]
	v_fmac_f64_e32 v[26:27], v[170:171], v[72:73]
	v_add_f64 v[0:1], v[0:1], v[26:27]
	s_waitcnt vmcnt(5) lgkmcnt(1)
	v_mul_f64 v[26:27], v[172:173], v[78:79]
	v_fmac_f64_e32 v[26:27], v[174:175], v[76:77]
	v_add_f64 v[0:1], v[0:1], v[26:27]
	v_mul_f64 v[26:27], v[230:231], v[182:183]
	v_fma_f64 v[26:27], v[228:229], v[180:181], -v[26:27]
	ds_read_b128 v[180:183], v2 offset:1744
	s_waitcnt vmcnt(4) lgkmcnt(1)
	v_mul_f64 v[188:189], v[176:177], v[82:83]
	v_fmac_f64_e32 v[188:189], v[178:179], v[80:81]
	v_add_f64 v[196:197], v[0:1], v[188:189]
	v_mul_f64 v[0:1], v[234:235], v[186:187]
	v_fma_f64 v[0:1], v[232:233], v[184:185], -v[0:1]
	ds_read_b128 v[184:187], v2 offset:1760
	ds_read_b128 v[188:191], v2 offset:1776
	s_waitcnt vmcnt(3) lgkmcnt(2)
	v_mul_f64 v[198:199], v[180:181], v[86:87]
	v_mul_f64 v[194:195], v[238:239], v[194:195]
	v_fmac_f64_e32 v[198:199], v[182:183], v[84:85]
	v_fma_f64 v[248:249], v[236:237], v[192:193], -v[194:195]
	ds_read_b128 v[192:195], v2 offset:1792
	ds_read_b128 v[200:203], v2 offset:1808
	v_add_f64 v[196:197], v[196:197], v[198:199]
	s_waitcnt vmcnt(2) lgkmcnt(3)
	v_mul_f64 v[198:199], v[184:185], v[98:99]
	v_fmac_f64_e32 v[198:199], v[186:187], v[96:97]
	v_add_f64 v[196:197], v[196:197], v[198:199]
	s_waitcnt vmcnt(1) lgkmcnt(2)
	v_mul_f64 v[198:199], v[188:189], v[94:95]
	v_fmac_f64_e32 v[198:199], v[190:191], v[92:93]
	v_add_f64 v[196:197], v[196:197], v[198:199]
	scratch_load_dwordx4 v[232:235], off, off offset:944
	s_waitcnt vmcnt(1) lgkmcnt(1)
	v_mul_f64 v[198:199], v[192:193], v[102:103]
	v_fmac_f64_e32 v[198:199], v[194:195], v[100:101]
	v_add_f64 v[204:205], v[196:197], v[198:199]
	scratch_load_dwordx4 v[196:199], off, off offset:880
	ds_read_b128 v[208:211], v2 offset:1824
	ds_read_b128 v[216:219], v2 offset:1840
	;; [unrolled: 1-line block ×3, first 2 shown]
	s_waitcnt vmcnt(0) lgkmcnt(3)
	v_mul_f64 v[206:207], v[200:201], v[198:199]
	v_fmac_f64_e32 v[206:207], v[202:203], v[196:197]
	v_add_f64 v[212:213], v[204:205], v[206:207]
	scratch_load_dwordx4 v[204:207], off, off offset:896
	s_waitcnt vmcnt(0) lgkmcnt(2)
	v_mul_f64 v[214:215], v[208:209], v[206:207]
	v_fmac_f64_e32 v[214:215], v[210:211], v[204:205]
	v_add_f64 v[220:221], v[212:213], v[214:215]
	scratch_load_dwordx4 v[212:215], off, off offset:912
	;; [unrolled: 5-line block ×3, first 2 shown]
	s_waitcnt vmcnt(0) lgkmcnt(0)
	v_mul_f64 v[230:231], v[224:225], v[222:223]
	v_fmac_f64_e32 v[230:231], v[226:227], v[220:221]
	v_add_f64 v[236:237], v[228:229], v[230:231]
	ds_read_b128 v[228:231], v2 offset:1872
	s_waitcnt lgkmcnt(0)
	v_mul_f64 v[2:3], v[228:229], v[234:235]
	v_fmac_f64_e32 v[2:3], v[230:231], v[232:233]
	v_add_f64 v[2:3], v[236:237], v[2:3]
	v_add_f64 v[236:237], v[240:241], 0
	;; [unrolled: 1-line block ×9, first 2 shown]
	scratch_load_dwordx4 v[236:239], off, off offset:144
	v_add_f64 v[20:21], v[24:25], v[20:21]
	v_add_f64 v[16:17], v[20:21], v[16:17]
	;; [unrolled: 1-line block ×10, first 2 shown]
	v_accvgpr_read_b32 v6, a120
	v_accvgpr_read_b32 v8, a122
	;; [unrolled: 1-line block ×3, first 2 shown]
	v_add_f64 v[250:251], v[4:5], v[26:27]
	v_accvgpr_read_b32 v7, a121
	v_mul_f64 v[4:5], v[90:91], v[8:9]
	v_add_f64 v[0:1], v[250:251], v[0:1]
	v_fma_f64 v[4:5], v[88:89], v[6:7], -v[4:5]
	v_accvgpr_read_b32 v6, a124
	v_add_f64 v[0:1], v[0:1], v[248:249]
	v_accvgpr_read_b32 v8, a126
	v_accvgpr_read_b32 v9, a127
	v_add_f64 v[0:1], v[0:1], v[4:5]
	v_accvgpr_read_b32 v7, a125
	v_mul_f64 v[4:5], v[106:107], v[8:9]
	v_fma_f64 v[4:5], v[104:105], v[6:7], -v[4:5]
	v_accvgpr_read_b32 v6, a128
	v_accvgpr_read_b32 v8, a130
	v_accvgpr_read_b32 v9, a131
	v_add_f64 v[0:1], v[0:1], v[4:5]
	v_accvgpr_read_b32 v7, a129
	v_mul_f64 v[4:5], v[110:111], v[8:9]
	v_fma_f64 v[4:5], v[108:109], v[6:7], -v[4:5]
	v_accvgpr_read_b32 v6, a132
	;; [unrolled: 7-line block ×4, first 2 shown]
	v_accvgpr_read_b32 v8, a142
	v_accvgpr_read_b32 v9, a143
	v_add_f64 v[0:1], v[0:1], v[4:5]
	v_accvgpr_read_b32 v7, a141
	v_mul_f64 v[4:5], v[122:123], v[8:9]
	v_fma_f64 v[4:5], v[120:121], v[6:7], -v[4:5]
	v_add_f64 v[0:1], v[0:1], v[4:5]
	v_mul_f64 v[4:5], v[126:127], v[30:31]
	v_fma_f64 v[4:5], v[124:125], v[28:29], -v[4:5]
	v_add_f64 v[0:1], v[0:1], v[4:5]
	;; [unrolled: 3-line block ×24, first 2 shown]
	s_waitcnt vmcnt(0)
	v_add_f64 v[4:5], v[236:237], -v[0:1]
	v_accvgpr_read_b32 v0, a118
	v_add_f64 v[6:7], v[238:239], -v[2:3]
	v_cmp_lt_u32_e32 vcc, 7, v0
	scratch_store_dwordx4 off, v[4:7], off offset:144
	s_and_saveexec_b64 s[0:1], vcc
	s_cbranch_execz .LBB58_353
; %bb.352:
	scratch_load_dwordx4 v[2:5], off, s46
	v_mov_b32_e32 v6, 0
	v_mov_b32_e32 v7, v6
	v_mov_b32_e32 v8, v6
	v_mov_b32_e32 v9, v6
	v_accvgpr_read_b32 v0, a119
	scratch_store_dwordx4 off, v[6:9], off offset:128
	s_waitcnt vmcnt(1)
	ds_write_b128 v0, v[2:5]
.LBB58_353:
	s_or_b64 exec, exec, s[0:1]
	s_waitcnt lgkmcnt(0)
	; wave barrier
	scratch_load_dwordx4 v[48:51], off, off offset:144
	scratch_load_dwordx4 v[52:55], off, off offset:160
	;; [unrolled: 1-line block ×28, first 2 shown]
	v_mov_b32_e32 v2, 0
	ds_read_b128 v[104:107], v2 offset:1072
	ds_read_b128 v[112:115], v2 offset:1088
	;; [unrolled: 1-line block ×18, first 2 shown]
	scratch_load_dwordx4 a[120:123], off, off offset:592
	scratch_load_dwordx4 a[124:127], off, off offset:608
	ds_read_b128 v[220:223], v2 offset:1360
	ds_read_b128 v[224:227], v2 offset:1376
	;; [unrolled: 1-line block ×4, first 2 shown]
	scratch_load_dwordx4 v[234:237], off, off offset:624
	ds_read_b128 v[250:253], v2 offset:1424
	s_waitcnt vmcnt(30) lgkmcnt(14)
	v_mul_f64 v[0:1], v[104:105], v[50:51]
	s_waitcnt vmcnt(29)
	v_mul_f64 v[24:25], v[112:113], v[54:55]
	v_fmac_f64_e32 v[0:1], v[106:107], v[48:49]
	s_waitcnt vmcnt(28)
	v_mul_f64 v[26:27], v[116:117], v[58:59]
	v_fmac_f64_e32 v[24:25], v[114:115], v[52:53]
	v_add_f64 v[0:1], v[0:1], 0
	s_waitcnt vmcnt(27)
	v_mul_f64 v[28:29], v[120:121], v[62:63]
	v_fmac_f64_e32 v[26:27], v[118:119], v[56:57]
	v_add_f64 v[0:1], v[0:1], v[24:25]
	s_waitcnt vmcnt(26)
	v_mul_f64 v[30:31], v[124:125], v[66:67]
	v_fmac_f64_e32 v[28:29], v[122:123], v[60:61]
	v_add_f64 v[0:1], v[0:1], v[26:27]
	s_waitcnt vmcnt(25)
	v_mul_f64 v[32:33], v[128:129], v[70:71]
	v_fmac_f64_e32 v[30:31], v[126:127], v[64:65]
	v_add_f64 v[0:1], v[0:1], v[28:29]
	s_waitcnt vmcnt(24)
	v_mul_f64 v[34:35], v[132:133], v[74:75]
	v_fmac_f64_e32 v[32:33], v[130:131], v[68:69]
	v_add_f64 v[0:1], v[0:1], v[30:31]
	s_waitcnt vmcnt(23)
	v_mul_f64 v[36:37], v[148:149], v[78:79]
	v_fmac_f64_e32 v[34:35], v[134:135], v[72:73]
	v_add_f64 v[0:1], v[0:1], v[32:33]
	s_waitcnt vmcnt(22)
	v_mul_f64 v[38:39], v[160:161], v[82:83]
	v_fmac_f64_e32 v[36:37], v[150:151], v[76:77]
	v_add_f64 v[0:1], v[0:1], v[34:35]
	s_waitcnt vmcnt(21) lgkmcnt(13)
	v_mul_f64 v[40:41], v[172:173], v[86:87]
	v_fmac_f64_e32 v[38:39], v[162:163], v[80:81]
	v_add_f64 v[0:1], v[0:1], v[36:37]
	s_waitcnt vmcnt(20) lgkmcnt(12)
	v_mul_f64 v[42:43], v[184:185], v[94:95]
	v_fmac_f64_e32 v[40:41], v[174:175], v[84:85]
	v_add_f64 v[0:1], v[0:1], v[38:39]
	;; [unrolled: 4-line block ×8, first 2 shown]
	v_add_f64 v[0:1], v[0:1], v[96:97]
	v_fmac_f64_e32 v[98:99], v[214:215], v[152:153]
	s_waitcnt vmcnt(13) lgkmcnt(5)
	v_mul_f64 v[32:33], v[216:217], v[158:159]
	v_add_f64 v[0:1], v[0:1], v[98:99]
	v_fmac_f64_e32 v[32:33], v[218:219], v[156:157]
	v_add_f64 v[0:1], v[0:1], v[32:33]
	s_waitcnt vmcnt(12) lgkmcnt(4)
	v_mul_f64 v[32:33], v[220:221], v[166:167]
	v_fmac_f64_e32 v[32:33], v[222:223], v[164:165]
	s_waitcnt vmcnt(11) lgkmcnt(3)
	v_mul_f64 v[36:37], v[224:225], v[170:171]
	v_add_f64 v[0:1], v[0:1], v[32:33]
	v_fmac_f64_e32 v[36:37], v[226:227], v[168:169]
	v_add_f64 v[0:1], v[0:1], v[36:37]
	s_waitcnt vmcnt(10) lgkmcnt(2)
	v_mul_f64 v[36:37], v[228:229], v[178:179]
	v_fmac_f64_e32 v[36:37], v[230:231], v[176:177]
	v_add_f64 v[0:1], v[0:1], v[36:37]
	scratch_load_dwordx4 v[36:39], off, off offset:640
	s_waitcnt vmcnt(10) lgkmcnt(1)
	v_mul_f64 v[40:41], v[246:247], v[182:183]
	v_fmac_f64_e32 v[40:41], v[248:249], v[180:181]
	v_add_f64 v[0:1], v[0:1], v[40:41]
	scratch_load_dwordx4 v[40:43], off, off offset:656
	ds_read_b128 v[88:91], v2 offset:1440
	s_waitcnt vmcnt(10) lgkmcnt(1)
	v_mul_f64 v[44:45], v[250:251], v[190:191]
	v_fmac_f64_e32 v[44:45], v[252:253], v[188:189]
	v_add_f64 v[0:1], v[0:1], v[44:45]
	scratch_load_dwordx4 v[44:47], off, off offset:672
	v_mul_f64 v[50:51], v[106:107], v[50:51]
	v_fma_f64 v[240:241], v[104:105], v[48:49], -v[50:51]
	scratch_load_dwordx4 v[48:51], off, off offset:688
	s_waitcnt vmcnt(11) lgkmcnt(0)
	v_mul_f64 v[96:97], v[88:89], v[6:7]
	v_mul_f64 v[54:55], v[114:115], v[54:55]
	v_fmac_f64_e32 v[96:97], v[90:91], v[4:5]
	v_fma_f64 v[242:243], v[112:113], v[52:53], -v[54:55]
	scratch_load_dwordx4 v[52:55], off, off offset:704
	v_add_f64 v[0:1], v[0:1], v[96:97]
	ds_read_b128 v[96:99], v2 offset:1456
	ds_read_b128 v[104:107], v2 offset:1472
	v_accvgpr_write_b32 a131, v7
	v_accvgpr_write_b32 a130, v6
	;; [unrolled: 1-line block ×4, first 2 shown]
	s_waitcnt vmcnt(11)
	v_mov_b64_e32 v[4:5], v[8:9]
	v_mov_b64_e32 v[6:7], v[10:11]
	v_mul_f64 v[58:59], v[118:119], v[58:59]
	s_waitcnt lgkmcnt(1)
	v_mul_f64 v[112:113], v[96:97], v[6:7]
	v_fma_f64 v[244:245], v[116:117], v[56:57], -v[58:59]
	scratch_load_dwordx4 v[56:59], off, off offset:720
	v_fmac_f64_e32 v[112:113], v[98:99], v[4:5]
	s_waitcnt vmcnt(11)
	v_mov_b64_e32 v[4:5], v[12:13]
	v_mul_f64 v[62:63], v[122:123], v[62:63]
	v_mov_b64_e32 v[6:7], v[14:15]
	v_fma_f64 v[254:255], v[120:121], v[60:61], -v[62:63]
	scratch_load_dwordx4 v[60:63], off, off offset:736
	v_add_f64 v[0:1], v[0:1], v[112:113]
	s_waitcnt lgkmcnt(0)
	v_mul_f64 v[112:113], v[104:105], v[6:7]
	v_fmac_f64_e32 v[112:113], v[106:107], v[4:5]
	v_mul_f64 v[66:67], v[126:127], v[66:67]
	v_add_f64 v[0:1], v[0:1], v[112:113]
	ds_read_b128 v[112:115], v2 offset:1488
	ds_read_b128 v[116:119], v2 offset:1504
	v_fma_f64 v[232:233], v[124:125], v[64:65], -v[66:67]
	scratch_load_dwordx4 v[64:67], off, off offset:752
	v_accvgpr_write_b32 a135, v11
	v_accvgpr_write_b32 a134, v10
	;; [unrolled: 1-line block ×4, first 2 shown]
	s_waitcnt vmcnt(12)
	v_mov_b64_e32 v[8:9], v[16:17]
	v_mov_b64_e32 v[10:11], v[18:19]
	v_mul_f64 v[70:71], v[130:131], v[70:71]
	s_waitcnt lgkmcnt(1)
	v_mul_f64 v[6:7], v[112:113], v[10:11]
	v_fma_f64 v[32:33], v[128:129], v[68:69], -v[70:71]
	scratch_load_dwordx4 v[68:71], off, off offset:768
	v_fmac_f64_e32 v[6:7], v[114:115], v[8:9]
	v_add_f64 v[0:1], v[0:1], v[6:7]
	v_mul_f64 v[6:7], v[134:135], v[74:75]
	v_fma_f64 v[28:29], v[132:133], v[72:73], -v[6:7]
	s_waitcnt vmcnt(12)
	v_mov_b64_e32 v[8:9], v[20:21]
	scratch_load_dwordx4 v[72:75], off, off offset:784
	v_mov_b64_e32 v[10:11], v[22:23]
	s_waitcnt lgkmcnt(0)
	v_mul_f64 v[6:7], v[116:117], v[10:11]
	v_fmac_f64_e32 v[6:7], v[118:119], v[8:9]
	v_add_f64 v[0:1], v[0:1], v[6:7]
	v_mul_f64 v[6:7], v[150:151], v[78:79]
	v_fma_f64 v[24:25], v[148:149], v[76:77], -v[6:7]
	scratch_load_dwordx4 v[76:79], off, off offset:800
	ds_read_b128 v[124:127], v2 offset:1520
	ds_read_b128 v[120:123], v2 offset:1536
	v_accvgpr_write_b32 a147, v23
	v_mul_f64 v[6:7], v[162:163], v[82:83]
	v_accvgpr_write_b32 a143, v19
	v_accvgpr_write_b32 a146, v22
	;; [unrolled: 1-line block ×4, first 2 shown]
	v_fma_f64 v[20:21], v[160:161], v[80:81], -v[6:7]
	v_mul_f64 v[6:7], v[174:175], v[86:87]
	s_waitcnt vmcnt(13)
	v_accvgpr_read_b32 v8, a120
	v_accvgpr_write_b32 a142, v18
	v_accvgpr_write_b32 a141, v17
	;; [unrolled: 1-line block ×3, first 2 shown]
	v_fma_f64 v[16:17], v[172:173], v[84:85], -v[6:7]
	scratch_load_dwordx4 v[84:87], off, off offset:816
	scratch_load_dwordx4 v[80:83], off, off offset:832
	v_accvgpr_read_b32 v10, a122
	v_accvgpr_read_b32 v11, a123
	;; [unrolled: 1-line block ×3, first 2 shown]
	s_waitcnt lgkmcnt(1)
	v_mul_f64 v[6:7], v[124:125], v[10:11]
	v_fmac_f64_e32 v[6:7], v[126:127], v[8:9]
	s_waitcnt vmcnt(14)
	v_accvgpr_read_b32 v8, a124
	v_accvgpr_read_b32 v10, a126
	v_accvgpr_read_b32 v11, a127
	v_add_f64 v[0:1], v[0:1], v[6:7]
	v_accvgpr_read_b32 v9, a125
	s_waitcnt lgkmcnt(0)
	v_mul_f64 v[6:7], v[120:121], v[10:11]
	v_fmac_f64_e32 v[6:7], v[122:123], v[8:9]
	v_accvgpr_write_b32 a139, v15
	v_add_f64 v[0:1], v[0:1], v[6:7]
	v_mul_f64 v[6:7], v[186:187], v[94:95]
	v_accvgpr_write_b32 a138, v14
	v_accvgpr_write_b32 a137, v13
	;; [unrolled: 1-line block ×3, first 2 shown]
	v_fma_f64 v[14:15], v[184:185], v[92:93], -v[6:7]
	scratch_load_dwordx4 v[92:95], off, off offset:848
	v_mul_f64 v[6:7], v[194:195], v[102:103]
	v_fma_f64 v[18:19], v[192:193], v[100:101], -v[6:7]
	scratch_load_dwordx4 v[100:103], off, off offset:864
	v_mul_f64 v[6:7], v[198:199], v[110:111]
	v_fma_f64 v[12:13], v[196:197], v[108:109], -v[6:7]
	scratch_load_dwordx4 v[108:111], off, off offset:880
	ds_read_b128 v[128:131], v2 offset:1552
	ds_read_b128 v[132:135], v2 offset:1568
	;; [unrolled: 1-line block ×5, first 2 shown]
	s_waitcnt vmcnt(16) lgkmcnt(4)
	v_mul_f64 v[6:7], v[128:129], v[236:237]
	v_fmac_f64_e32 v[6:7], v[130:131], v[234:235]
	v_add_f64 v[0:1], v[0:1], v[6:7]
	v_mul_f64 v[6:7], v[202:203], v[138:139]
	v_fma_f64 v[22:23], v[200:201], v[136:137], -v[6:7]
	ds_read_b128 v[136:139], v2 offset:1584
	s_waitcnt vmcnt(15) lgkmcnt(4)
	v_mul_f64 v[6:7], v[132:133], v[38:39]
	v_fmac_f64_e32 v[6:7], v[134:135], v[36:37]
	v_add_f64 v[0:1], v[0:1], v[6:7]
	v_mul_f64 v[6:7], v[206:207], v[142:143]
	v_fma_f64 v[10:11], v[204:205], v[140:141], -v[6:7]
	ds_read_b128 v[140:143], v2 offset:1600
	s_waitcnt vmcnt(14) lgkmcnt(1)
	v_mul_f64 v[6:7], v[136:137], v[42:43]
	v_fmac_f64_e32 v[6:7], v[138:139], v[40:41]
	v_add_f64 v[0:1], v[0:1], v[6:7]
	v_mul_f64 v[6:7], v[210:211], v[146:147]
	v_fma_f64 v[26:27], v[208:209], v[144:145], -v[6:7]
	ds_read_b128 v[144:147], v2 offset:1616
	s_waitcnt vmcnt(13) lgkmcnt(1)
	v_mul_f64 v[6:7], v[140:141], v[46:47]
	v_fmac_f64_e32 v[6:7], v[142:143], v[44:45]
	v_add_f64 v[0:1], v[0:1], v[6:7]
	v_mul_f64 v[182:183], v[248:249], v[182:183]
	s_waitcnt vmcnt(12) lgkmcnt(0)
	v_mul_f64 v[6:7], v[144:145], v[50:51]
	v_fmac_f64_e32 v[6:7], v[146:147], v[48:49]
	v_add_f64 v[0:1], v[0:1], v[6:7]
	v_mul_f64 v[6:7], v[214:215], v[154:155]
	v_fma_f64 v[8:9], v[212:213], v[152:153], -v[6:7]
	s_waitcnt vmcnt(11)
	v_mul_f64 v[6:7], v[148:149], v[54:55]
	v_fmac_f64_e32 v[6:7], v[150:151], v[52:53]
	ds_read_b128 v[152:155], v2 offset:1648
	v_add_f64 v[0:1], v[0:1], v[6:7]
	v_mul_f64 v[6:7], v[218:219], v[158:159]
	v_fma_f64 v[30:31], v[216:217], v[156:157], -v[6:7]
	ds_read_b128 v[156:159], v2 offset:1664
	s_waitcnt vmcnt(10) lgkmcnt(1)
	v_mul_f64 v[6:7], v[152:153], v[58:59]
	v_fmac_f64_e32 v[6:7], v[154:155], v[56:57]
	v_add_f64 v[0:1], v[0:1], v[6:7]
	s_waitcnt vmcnt(5)
	v_mul_f64 v[184:185], v[172:173], v[78:79]
	s_waitcnt lgkmcnt(0)
	v_mul_f64 v[6:7], v[156:157], v[62:63]
	v_fmac_f64_e32 v[6:7], v[158:159], v[60:61]
	v_add_f64 v[0:1], v[0:1], v[6:7]
	v_mul_f64 v[6:7], v[222:223], v[166:167]
	v_fma_f64 v[4:5], v[220:221], v[164:165], -v[6:7]
	ds_read_b128 v[164:167], v2 offset:1696
	v_mul_f64 v[6:7], v[160:161], v[66:67]
	v_fmac_f64_e32 v[6:7], v[162:163], v[64:65]
	v_add_f64 v[0:1], v[0:1], v[6:7]
	v_mul_f64 v[6:7], v[226:227], v[170:171]
	v_fma_f64 v[6:7], v[224:225], v[168:169], -v[6:7]
	ds_read_b128 v[168:171], v2 offset:1712
	s_waitcnt lgkmcnt(1)
	v_mul_f64 v[34:35], v[164:165], v[70:71]
	v_fmac_f64_e32 v[34:35], v[166:167], v[68:69]
	v_add_f64 v[0:1], v[0:1], v[34:35]
	v_fmac_f64_e32 v[184:185], v[174:175], v[76:77]
	s_waitcnt lgkmcnt(0)
	v_mul_f64 v[34:35], v[168:169], v[74:75]
	v_fmac_f64_e32 v[34:35], v[170:171], v[72:73]
	v_add_f64 v[34:35], v[0:1], v[34:35]
	v_mul_f64 v[0:1], v[230:231], v[178:179]
	v_fma_f64 v[0:1], v[228:229], v[176:177], -v[0:1]
	ds_read_b128 v[176:179], v2 offset:1744
	v_fma_f64 v[238:239], v[246:247], v[180:181], -v[182:183]
	ds_read_b128 v[180:183], v2 offset:1760
	v_add_f64 v[34:35], v[34:35], v[184:185]
	v_mul_f64 v[190:191], v[252:253], v[190:191]
	s_waitcnt vmcnt(4) lgkmcnt(1)
	v_mul_f64 v[184:185], v[176:177], v[86:87]
	v_fmac_f64_e32 v[184:185], v[178:179], v[84:85]
	v_add_f64 v[34:35], v[34:35], v[184:185]
	ds_read_b128 v[184:187], v2 offset:1776
	v_fma_f64 v[246:247], v[250:251], v[188:189], -v[190:191]
	ds_read_b128 v[188:191], v2 offset:1792
	s_waitcnt vmcnt(3) lgkmcnt(2)
	v_mul_f64 v[192:193], v[180:181], v[82:83]
	v_fmac_f64_e32 v[192:193], v[182:183], v[80:81]
	v_add_f64 v[34:35], v[34:35], v[192:193]
	s_waitcnt vmcnt(2) lgkmcnt(1)
	v_mul_f64 v[192:193], v[184:185], v[94:95]
	v_fmac_f64_e32 v[192:193], v[186:187], v[92:93]
	v_add_f64 v[34:35], v[34:35], v[192:193]
	;; [unrolled: 4-line block ×3, first 2 shown]
	ds_read_b128 v[192:195], v2 offset:1808
	ds_read_b128 v[200:203], v2 offset:1824
	;; [unrolled: 1-line block ×5, first 2 shown]
	s_waitcnt vmcnt(0) lgkmcnt(4)
	v_mul_f64 v[196:197], v[192:193], v[110:111]
	v_fmac_f64_e32 v[196:197], v[194:195], v[108:109]
	v_add_f64 v[34:35], v[34:35], v[196:197]
	scratch_load_dwordx4 v[196:199], off, off offset:896
	s_waitcnt vmcnt(0) lgkmcnt(3)
	v_mul_f64 v[204:205], v[200:201], v[198:199]
	v_fmac_f64_e32 v[204:205], v[202:203], v[196:197]
	v_add_f64 v[34:35], v[34:35], v[204:205]
	scratch_load_dwordx4 v[204:207], off, off offset:912
	;; [unrolled: 5-line block ×4, first 2 shown]
	s_waitcnt vmcnt(0) lgkmcnt(0)
	v_mul_f64 v[228:229], v[224:225], v[222:223]
	v_fmac_f64_e32 v[228:229], v[226:227], v[220:221]
	v_add_f64 v[250:251], v[34:35], v[228:229]
	v_add_f64 v[34:35], v[240:241], 0
	;; [unrolled: 1-line block ×6, first 2 shown]
	scratch_load_dwordx4 v[228:231], off, off offset:128
	v_add_f64 v[32:33], v[34:35], v[32:33]
	v_add_f64 v[28:29], v[32:33], v[28:29]
	;; [unrolled: 1-line block ×15, first 2 shown]
	v_accvgpr_read_b32 v6, a128
	v_accvgpr_read_b32 v8, a130
	;; [unrolled: 1-line block ×3, first 2 shown]
	v_add_f64 v[0:1], v[4:5], v[0:1]
	v_accvgpr_read_b32 v7, a129
	v_mul_f64 v[4:5], v[90:91], v[8:9]
	v_add_f64 v[0:1], v[0:1], v[238:239]
	v_fma_f64 v[4:5], v[88:89], v[6:7], -v[4:5]
	v_accvgpr_read_b32 v6, a132
	v_add_f64 v[0:1], v[0:1], v[246:247]
	v_accvgpr_read_b32 v8, a134
	v_accvgpr_read_b32 v9, a135
	v_add_f64 v[0:1], v[0:1], v[4:5]
	v_accvgpr_read_b32 v7, a133
	v_mul_f64 v[4:5], v[98:99], v[8:9]
	v_fma_f64 v[4:5], v[96:97], v[6:7], -v[4:5]
	v_accvgpr_read_b32 v6, a136
	v_accvgpr_read_b32 v8, a138
	v_accvgpr_read_b32 v9, a139
	v_add_f64 v[0:1], v[0:1], v[4:5]
	v_accvgpr_read_b32 v7, a137
	v_mul_f64 v[4:5], v[106:107], v[8:9]
	v_fma_f64 v[4:5], v[104:105], v[6:7], -v[4:5]
	v_accvgpr_read_b32 v6, a140
	;; [unrolled: 7-line block ×5, first 2 shown]
	v_accvgpr_read_b32 v8, a126
	v_accvgpr_read_b32 v9, a127
	v_add_f64 v[0:1], v[0:1], v[4:5]
	v_accvgpr_read_b32 v7, a125
	v_mul_f64 v[4:5], v[122:123], v[8:9]
	v_fma_f64 v[4:5], v[120:121], v[6:7], -v[4:5]
	v_add_f64 v[0:1], v[0:1], v[4:5]
	v_mul_f64 v[4:5], v[130:131], v[236:237]
	v_fma_f64 v[4:5], v[128:129], v[234:235], -v[4:5]
	v_add_f64 v[0:1], v[0:1], v[4:5]
	;; [unrolled: 3-line block ×22, first 2 shown]
	s_waitcnt vmcnt(0)
	v_add_f64 v[4:5], v[228:229], -v[0:1]
	v_accvgpr_read_b32 v0, a118
	v_add_f64 v[6:7], v[230:231], -v[250:251]
	v_cmp_lt_u32_e32 vcc, 6, v0
	scratch_store_dwordx4 off, v[4:7], off offset:128
	s_and_saveexec_b64 s[0:1], vcc
	s_cbranch_execz .LBB58_355
; %bb.354:
	scratch_load_dwordx4 v[6:9], off, s45
	v_mov_b32_e32 v3, v2
	v_mov_b32_e32 v4, v2
	;; [unrolled: 1-line block ×3, first 2 shown]
	v_accvgpr_read_b32 v0, a119
	scratch_store_dwordx4 off, v[2:5], off offset:112
	s_waitcnt vmcnt(1)
	ds_write_b128 v0, v[6:9]
.LBB58_355:
	s_or_b64 exec, exec, s[0:1]
	s_waitcnt lgkmcnt(0)
	; wave barrier
	scratch_load_dwordx4 v[48:51], off, off offset:128
	scratch_load_dwordx4 v[52:55], off, off offset:144
	;; [unrolled: 1-line block ×18, first 2 shown]
	ds_read_b128 v[104:107], v2 offset:1056
	ds_read_b128 v[208:211], v2 offset:1072
	;; [unrolled: 1-line block ×6, first 2 shown]
	scratch_load_dwordx4 v[164:167], off, off offset:416
	ds_read_b128 v[192:195], v2 offset:1152
	ds_read_b128 v[124:127], v2 offset:1168
	scratch_load_dwordx4 v[168:171], off, off offset:432
	ds_read_b128 v[212:215], v2 offset:1184
	ds_read_b128 v[204:207], v2 offset:1200
	ds_read_b128 v[128:131], v2 offset:1216
	ds_read_b128 v[132:135], v2 offset:1232
	ds_read_b128 v[148:151], v2 offset:1248
	scratch_load_dwordx4 v[176:179], off, off offset:448
	ds_read_b128 v[200:203], v2 offset:1264
	ds_read_b128 v[172:175], v2 offset:1280
	scratch_load_dwordx4 v[180:183], off, off offset:464
	ds_read_b128 v[216:219], v2 offset:1296
	ds_read_b128 v[184:187], v2 offset:1312
	;; [unrolled: 1-line block ×3, first 2 shown]
	scratch_load_dwordx4 v[188:191], off, off offset:480
	scratch_load_dwordx4 v[4:7], off, off offset:496
	;; [unrolled: 1-line block ×8, first 2 shown]
	ds_read_b128 v[220:223], v2 offset:1344
	ds_read_b128 v[224:227], v2 offset:1360
	;; [unrolled: 1-line block ×5, first 2 shown]
	s_waitcnt vmcnt(29) lgkmcnt(14)
	v_mul_f64 v[0:1], v[104:105], v[50:51]
	s_waitcnt vmcnt(28)
	v_mul_f64 v[24:25], v[208:209], v[54:55]
	v_fmac_f64_e32 v[0:1], v[106:107], v[48:49]
	s_waitcnt vmcnt(27)
	v_mul_f64 v[26:27], v[196:197], v[58:59]
	v_fmac_f64_e32 v[24:25], v[210:211], v[52:53]
	v_add_f64 v[0:1], v[0:1], 0
	s_waitcnt vmcnt(26)
	v_mul_f64 v[28:29], v[112:113], v[62:63]
	v_fmac_f64_e32 v[26:27], v[198:199], v[56:57]
	v_add_f64 v[0:1], v[0:1], v[24:25]
	;; [unrolled: 4-line block ×7, first 2 shown]
	s_waitcnt vmcnt(20) lgkmcnt(13)
	v_mul_f64 v[40:41], v[204:205], v[86:87]
	v_fmac_f64_e32 v[38:39], v[214:215], v[80:81]
	v_add_f64 v[0:1], v[0:1], v[36:37]
	s_waitcnt vmcnt(19) lgkmcnt(12)
	v_mul_f64 v[42:43], v[128:129], v[94:95]
	v_fmac_f64_e32 v[40:41], v[206:207], v[84:85]
	v_add_f64 v[0:1], v[0:1], v[38:39]
	;; [unrolled: 4-line block ×8, first 2 shown]
	v_fmac_f64_e32 v[98:99], v[186:187], v[152:153]
	v_add_f64 v[0:1], v[0:1], v[96:97]
	s_waitcnt vmcnt(12) lgkmcnt(5)
	v_mul_f64 v[32:33], v[160:161], v[158:159]
	v_add_f64 v[0:1], v[0:1], v[98:99]
	v_fmac_f64_e32 v[32:33], v[162:163], v[156:157]
	v_add_f64 v[0:1], v[0:1], v[32:33]
	s_waitcnt vmcnt(11) lgkmcnt(4)
	v_mul_f64 v[32:33], v[220:221], v[166:167]
	v_fmac_f64_e32 v[32:33], v[222:223], v[164:165]
	v_add_f64 v[0:1], v[0:1], v[32:33]
	scratch_load_dwordx4 v[32:35], off, off offset:608
	s_waitcnt vmcnt(11) lgkmcnt(3)
	v_mul_f64 v[36:37], v[224:225], v[170:171]
	v_fmac_f64_e32 v[36:37], v[226:227], v[168:169]
	v_add_f64 v[0:1], v[0:1], v[36:37]
	s_waitcnt vmcnt(10) lgkmcnt(2)
	v_mul_f64 v[36:37], v[228:229], v[178:179]
	v_fmac_f64_e32 v[36:37], v[230:231], v[176:177]
	v_add_f64 v[0:1], v[0:1], v[36:37]
	scratch_load_dwordx4 v[36:39], off, off offset:624
	s_waitcnt vmcnt(10) lgkmcnt(1)
	v_mul_f64 v[40:41], v[232:233], v[182:183]
	v_fmac_f64_e32 v[40:41], v[234:235], v[180:181]
	ds_read_b128 v[88:91], v2 offset:1424
	s_waitcnt vmcnt(9) lgkmcnt(1)
	v_mul_f64 v[44:45], v[236:237], v[190:191]
	v_add_f64 v[0:1], v[0:1], v[40:41]
	scratch_load_dwordx4 v[40:43], off, off offset:640
	v_fmac_f64_e32 v[44:45], v[238:239], v[188:189]
	v_add_f64 v[0:1], v[0:1], v[44:45]
	scratch_load_dwordx4 v[44:47], off, off offset:656
	v_mul_f64 v[50:51], v[106:107], v[50:51]
	v_fma_f64 v[240:241], v[104:105], v[48:49], -v[50:51]
	scratch_load_dwordx4 v[48:51], off, off offset:672
	s_waitcnt vmcnt(11) lgkmcnt(0)
	v_mul_f64 v[96:97], v[88:89], v[6:7]
	v_mul_f64 v[54:55], v[210:211], v[54:55]
	v_fmac_f64_e32 v[96:97], v[90:91], v[4:5]
	v_fma_f64 v[242:243], v[208:209], v[52:53], -v[54:55]
	scratch_load_dwordx4 v[52:55], off, off offset:688
	v_mul_f64 v[58:59], v[198:199], v[58:59]
	v_add_f64 v[0:1], v[0:1], v[96:97]
	ds_read_b128 v[96:99], v2 offset:1440
	ds_read_b128 v[104:107], v2 offset:1456
	v_fma_f64 v[244:245], v[196:197], v[56:57], -v[58:59]
	scratch_load_dwordx4 v[56:59], off, off offset:704
	v_mul_f64 v[62:63], v[114:115], v[62:63]
	v_accvgpr_write_b32 a131, v7
	v_fma_f64 v[250:251], v[112:113], v[60:61], -v[62:63]
	scratch_load_dwordx4 v[60:63], off, off offset:720
	v_accvgpr_write_b32 a130, v6
	v_accvgpr_write_b32 a129, v5
	v_accvgpr_write_b32 a128, v4
	s_waitcnt vmcnt(13)
	v_mov_b64_e32 v[4:5], v[8:9]
	v_mov_b64_e32 v[6:7], v[10:11]
	s_waitcnt lgkmcnt(1)
	v_mul_f64 v[208:209], v[96:97], v[6:7]
	v_fmac_f64_e32 v[208:209], v[98:99], v[4:5]
	s_waitcnt vmcnt(12)
	v_mov_b64_e32 v[4:5], v[12:13]
	ds_read_b128 v[112:115], v2 offset:1472
	v_mov_b64_e32 v[6:7], v[14:15]
	s_waitcnt lgkmcnt(1)
	v_mul_f64 v[196:197], v[104:105], v[6:7]
	v_mul_f64 v[66:67], v[122:123], v[66:67]
	;; [unrolled: 1-line block ×3, first 2 shown]
	v_fmac_f64_e32 v[196:197], v[106:107], v[4:5]
	v_fma_f64 v[252:253], v[120:121], v[64:65], -v[66:67]
	scratch_load_dwordx4 v[64:67], off, off offset:736
	v_fma_f64 v[254:255], v[116:117], v[68:69], -v[70:71]
	ds_read_b128 v[116:119], v2 offset:1488
	s_waitcnt vmcnt(12)
	v_mov_b64_e32 v[4:5], v[16:17]
	v_mov_b64_e32 v[6:7], v[18:19]
	scratch_load_dwordx4 v[68:71], off, off offset:752
	s_waitcnt lgkmcnt(1)
	v_mul_f64 v[120:121], v[112:113], v[6:7]
	v_mul_f64 v[74:75], v[194:195], v[74:75]
	v_add_f64 v[0:1], v[0:1], v[208:209]
	v_fmac_f64_e32 v[120:121], v[114:115], v[4:5]
	v_fma_f64 v[246:247], v[192:193], v[72:73], -v[74:75]
	s_waitcnt vmcnt(12)
	v_mov_b64_e32 v[4:5], v[20:21]
	scratch_load_dwordx4 v[72:75], off, off offset:768
	v_add_f64 v[0:1], v[0:1], v[196:197]
	v_mov_b64_e32 v[6:7], v[22:23]
	v_add_f64 v[0:1], v[0:1], v[120:121]
	s_waitcnt lgkmcnt(0)
	v_mul_f64 v[120:121], v[116:117], v[6:7]
	v_fmac_f64_e32 v[120:121], v[118:119], v[4:5]
	v_mul_f64 v[78:79], v[126:127], v[78:79]
	v_add_f64 v[0:1], v[0:1], v[120:121]
	v_fma_f64 v[28:29], v[124:125], v[76:77], -v[78:79]
	scratch_load_dwordx4 v[76:79], off, off offset:784
	ds_read_b128 v[124:127], v2 offset:1504
	ds_read_b128 v[120:123], v2 offset:1520
	v_mul_f64 v[6:7], v[214:215], v[82:83]
	v_fma_f64 v[24:25], v[212:213], v[80:81], -v[6:7]
	s_waitcnt vmcnt(13)
	v_accvgpr_read_b32 v4, a120
	v_accvgpr_write_b32 a135, v11
	v_accvgpr_write_b32 a147, v23
	v_mul_f64 v[80:81], v[206:207], v[86:87]
	v_accvgpr_read_b32 v6, a122
	v_accvgpr_read_b32 v7, a123
	v_accvgpr_write_b32 a134, v10
	v_accvgpr_write_b32 a133, v9
	;; [unrolled: 1-line block ×6, first 2 shown]
	v_fma_f64 v[20:21], v[204:205], v[84:85], -v[80:81]
	scratch_load_dwordx4 v[84:87], off, off offset:800
	v_accvgpr_read_b32 v5, a121
	s_waitcnt lgkmcnt(1)
	v_mul_f64 v[10:11], v[124:125], v[6:7]
	v_fmac_f64_e32 v[10:11], v[126:127], v[4:5]
	s_waitcnt vmcnt(13)
	v_accvgpr_read_b32 v4, a124
	v_accvgpr_read_b32 v6, a126
	;; [unrolled: 1-line block ×3, first 2 shown]
	v_add_f64 v[0:1], v[0:1], v[10:11]
	v_accvgpr_read_b32 v5, a125
	s_waitcnt lgkmcnt(0)
	v_mul_f64 v[10:11], v[120:121], v[6:7]
	v_fmac_f64_e32 v[10:11], v[122:123], v[4:5]
	v_accvgpr_write_b32 a143, v19
	scratch_load_dwordx4 v[80:83], off, off offset:816
	v_add_f64 v[0:1], v[0:1], v[10:11]
	v_mul_f64 v[10:11], v[130:131], v[94:95]
	v_accvgpr_write_b32 a139, v15
	v_accvgpr_write_b32 a142, v18
	;; [unrolled: 1-line block ×4, first 2 shown]
	v_fma_f64 v[16:17], v[128:129], v[92:93], -v[10:11]
	v_mul_f64 v[92:93], v[134:135], v[102:103]
	v_accvgpr_write_b32 a138, v14
	v_accvgpr_write_b32 a137, v13
	;; [unrolled: 1-line block ×3, first 2 shown]
	v_fma_f64 v[12:13], v[132:133], v[100:101], -v[92:93]
	scratch_load_dwordx4 v[92:95], off, off offset:832
	ds_read_b128 v[128:131], v2 offset:1536
	ds_read_b128 v[132:135], v2 offset:1552
	scratch_load_dwordx4 v[100:103], off, off offset:848
	v_mul_f64 v[14:15], v[150:151], v[110:111]
	v_fma_f64 v[14:15], v[148:149], v[108:109], -v[14:15]
	s_waitcnt vmcnt(15) lgkmcnt(1)
	v_mul_f64 v[108:109], v[128:129], v[34:35]
	v_fmac_f64_e32 v[108:109], v[130:131], v[32:33]
	v_add_f64 v[0:1], v[0:1], v[108:109]
	v_mul_f64 v[108:109], v[202:203], v[138:139]
	v_fma_f64 v[10:11], v[200:201], v[136:137], -v[108:109]
	scratch_load_dwordx4 v[108:111], off, off offset:864
	s_waitcnt vmcnt(15) lgkmcnt(0)
	v_mul_f64 v[18:19], v[132:133], v[38:39]
	v_fmac_f64_e32 v[18:19], v[134:135], v[36:37]
	ds_read_b128 v[136:139], v2 offset:1568
	v_add_f64 v[0:1], v[0:1], v[18:19]
	v_mul_f64 v[18:19], v[174:175], v[142:143]
	v_fma_f64 v[18:19], v[172:173], v[140:141], -v[18:19]
	ds_read_b128 v[140:143], v2 offset:1584
	v_mul_f64 v[146:147], v[218:219], v[146:147]
	v_fma_f64 v[8:9], v[216:217], v[144:145], -v[146:147]
	ds_read_b128 v[144:147], v2 offset:1600
	s_waitcnt vmcnt(14) lgkmcnt(2)
	v_mul_f64 v[148:149], v[136:137], v[42:43]
	v_fmac_f64_e32 v[148:149], v[138:139], v[40:41]
	s_waitcnt vmcnt(13) lgkmcnt(1)
	v_mul_f64 v[22:23], v[140:141], v[46:47]
	v_add_f64 v[0:1], v[0:1], v[148:149]
	v_fmac_f64_e32 v[22:23], v[142:143], v[44:45]
	ds_read_b128 v[148:151], v2 offset:1616
	v_add_f64 v[0:1], v[0:1], v[22:23]
	s_waitcnt vmcnt(12) lgkmcnt(1)
	v_mul_f64 v[22:23], v[144:145], v[50:51]
	v_fmac_f64_e32 v[22:23], v[146:147], v[48:49]
	v_add_f64 v[0:1], v[0:1], v[22:23]
	v_mul_f64 v[22:23], v[186:187], v[154:155]
	v_fma_f64 v[22:23], v[184:185], v[152:153], -v[22:23]
	ds_read_b128 v[152:155], v2 offset:1632
	v_mul_f64 v[158:159], v[162:163], v[158:159]
	v_fma_f64 v[6:7], v[160:161], v[156:157], -v[158:159]
	ds_read_b128 v[156:159], v2 offset:1648
	s_waitcnt vmcnt(11) lgkmcnt(2)
	v_mul_f64 v[172:173], v[148:149], v[54:55]
	v_fmac_f64_e32 v[172:173], v[150:151], v[52:53]
	s_waitcnt vmcnt(10) lgkmcnt(1)
	v_mul_f64 v[26:27], v[152:153], v[58:59]
	v_add_f64 v[0:1], v[0:1], v[172:173]
	v_fmac_f64_e32 v[26:27], v[154:155], v[56:57]
	v_add_f64 v[0:1], v[0:1], v[26:27]
	s_waitcnt vmcnt(9) lgkmcnt(0)
	v_mul_f64 v[26:27], v[156:157], v[62:63]
	v_fmac_f64_e32 v[26:27], v[158:159], v[60:61]
	ds_read_b128 v[160:163], v2 offset:1664
	v_add_f64 v[0:1], v[0:1], v[26:27]
	v_mul_f64 v[26:27], v[222:223], v[166:167]
	v_fma_f64 v[26:27], v[220:221], v[164:165], -v[26:27]
	ds_read_b128 v[164:167], v2 offset:1680
	v_mul_f64 v[170:171], v[226:227], v[170:171]
	v_fma_f64 v[4:5], v[224:225], v[168:169], -v[170:171]
	ds_read_b128 v[168:171], v2 offset:1696
	s_waitcnt vmcnt(8) lgkmcnt(2)
	v_mul_f64 v[172:173], v[160:161], v[66:67]
	v_fmac_f64_e32 v[172:173], v[162:163], v[64:65]
	s_waitcnt vmcnt(7) lgkmcnt(1)
	v_mul_f64 v[30:31], v[164:165], v[70:71]
	v_add_f64 v[0:1], v[0:1], v[172:173]
	v_fmac_f64_e32 v[30:31], v[166:167], v[68:69]
	v_add_f64 v[0:1], v[0:1], v[30:31]
	ds_read_b128 v[172:175], v2 offset:1712
	s_waitcnt vmcnt(6) lgkmcnt(1)
	v_mul_f64 v[30:31], v[168:169], v[74:75]
	v_fmac_f64_e32 v[30:31], v[170:171], v[72:73]
	v_add_f64 v[30:31], v[0:1], v[30:31]
	v_mul_f64 v[0:1], v[230:231], v[178:179]
	v_fma_f64 v[0:1], v[228:229], v[176:177], -v[0:1]
	ds_read_b128 v[176:179], v2 offset:1728
	v_mul_f64 v[182:183], v[234:235], v[182:183]
	s_waitcnt vmcnt(5) lgkmcnt(1)
	v_mul_f64 v[184:185], v[172:173], v[78:79]
	v_fma_f64 v[180:181], v[232:233], v[180:181], -v[182:183]
	v_fmac_f64_e32 v[184:185], v[174:175], v[76:77]
	v_accvgpr_write_b32 a148, v180
	v_mul_f64 v[190:191], v[238:239], v[190:191]
	v_accvgpr_write_b32 a149, v181
	ds_read_b128 v[180:183], v2 offset:1744
	v_add_f64 v[30:31], v[30:31], v[184:185]
	v_fma_f64 v[248:249], v[236:237], v[188:189], -v[190:191]
	scratch_load_dwordx4 v[236:239], off, off offset:112
	s_waitcnt vmcnt(5) lgkmcnt(1)
	v_mul_f64 v[184:185], v[176:177], v[86:87]
	v_fmac_f64_e32 v[184:185], v[178:179], v[84:85]
	v_add_f64 v[30:31], v[30:31], v[184:185]
	ds_read_b128 v[184:187], v2 offset:1760
	ds_read_b128 v[188:191], v2 offset:1776
	s_waitcnt vmcnt(4) lgkmcnt(2)
	v_mul_f64 v[192:193], v[180:181], v[82:83]
	v_fmac_f64_e32 v[192:193], v[182:183], v[80:81]
	v_add_f64 v[30:31], v[30:31], v[192:193]
	s_waitcnt vmcnt(3) lgkmcnt(1)
	v_mul_f64 v[192:193], v[184:185], v[94:95]
	v_fmac_f64_e32 v[192:193], v[186:187], v[92:93]
	v_add_f64 v[30:31], v[30:31], v[192:193]
	;; [unrolled: 4-line block ×3, first 2 shown]
	ds_read_b128 v[192:195], v2 offset:1792
	ds_read_b128 v[200:203], v2 offset:1808
	scratch_load_dwordx4 v[232:235], off, off offset:944
	ds_read_b128 v[208:211], v2 offset:1824
	ds_read_b128 v[216:219], v2 offset:1840
	s_waitcnt vmcnt(2) lgkmcnt(3)
	v_mul_f64 v[196:197], v[192:193], v[110:111]
	v_fmac_f64_e32 v[196:197], v[194:195], v[108:109]
	v_add_f64 v[30:31], v[30:31], v[196:197]
	scratch_load_dwordx4 v[196:199], off, off offset:880
	ds_read_b128 v[224:227], v2 offset:1856
	s_waitcnt vmcnt(0) lgkmcnt(3)
	v_mul_f64 v[204:205], v[200:201], v[198:199]
	v_fmac_f64_e32 v[204:205], v[202:203], v[196:197]
	v_add_f64 v[30:31], v[30:31], v[204:205]
	scratch_load_dwordx4 v[204:207], off, off offset:896
	s_waitcnt vmcnt(0) lgkmcnt(2)
	v_mul_f64 v[212:213], v[208:209], v[206:207]
	v_fmac_f64_e32 v[212:213], v[210:211], v[204:205]
	v_add_f64 v[30:31], v[30:31], v[212:213]
	scratch_load_dwordx4 v[212:215], off, off offset:912
	;; [unrolled: 5-line block ×3, first 2 shown]
	s_waitcnt vmcnt(0) lgkmcnt(0)
	v_mul_f64 v[228:229], v[224:225], v[222:223]
	v_fmac_f64_e32 v[228:229], v[226:227], v[220:221]
	v_add_f64 v[30:31], v[30:31], v[228:229]
	ds_read_b128 v[228:231], v2 offset:1872
	s_waitcnt lgkmcnt(0)
	v_mul_f64 v[2:3], v[228:229], v[234:235]
	v_fmac_f64_e32 v[2:3], v[230:231], v[232:233]
	v_add_f64 v[2:3], v[30:31], v[2:3]
	v_add_f64 v[30:31], v[240:241], 0
	;; [unrolled: 1-line block ×21, first 2 shown]
	v_accvgpr_read_b32 v6, a128
	v_add_f64 v[250:251], v[4:5], v[0:1]
	v_accvgpr_read_b32 v0, a148
	v_accvgpr_read_b32 v8, a130
	;; [unrolled: 1-line block ×5, first 2 shown]
	v_mul_f64 v[4:5], v[90:91], v[8:9]
	v_add_f64 v[0:1], v[250:251], v[0:1]
	v_fma_f64 v[4:5], v[88:89], v[6:7], -v[4:5]
	v_accvgpr_read_b32 v6, a132
	v_add_f64 v[0:1], v[0:1], v[248:249]
	v_accvgpr_read_b32 v8, a134
	v_accvgpr_read_b32 v9, a135
	v_add_f64 v[0:1], v[0:1], v[4:5]
	v_accvgpr_read_b32 v7, a133
	v_mul_f64 v[4:5], v[98:99], v[8:9]
	v_fma_f64 v[4:5], v[96:97], v[6:7], -v[4:5]
	v_accvgpr_read_b32 v6, a136
	v_accvgpr_read_b32 v8, a138
	v_accvgpr_read_b32 v9, a139
	v_add_f64 v[0:1], v[0:1], v[4:5]
	v_accvgpr_read_b32 v7, a137
	v_mul_f64 v[4:5], v[106:107], v[8:9]
	v_fma_f64 v[4:5], v[104:105], v[6:7], -v[4:5]
	v_accvgpr_read_b32 v6, a140
	;; [unrolled: 7-line block ×5, first 2 shown]
	v_accvgpr_read_b32 v8, a126
	v_accvgpr_read_b32 v9, a127
	v_add_f64 v[0:1], v[0:1], v[4:5]
	v_accvgpr_read_b32 v7, a125
	v_mul_f64 v[4:5], v[122:123], v[8:9]
	v_fma_f64 v[4:5], v[120:121], v[6:7], -v[4:5]
	v_add_f64 v[0:1], v[0:1], v[4:5]
	v_mul_f64 v[4:5], v[130:131], v[34:35]
	v_fma_f64 v[4:5], v[128:129], v[32:33], -v[4:5]
	v_add_f64 v[0:1], v[0:1], v[4:5]
	;; [unrolled: 3-line block ×23, first 2 shown]
	v_add_f64 v[4:5], v[236:237], -v[0:1]
	v_accvgpr_read_b32 v0, a118
	v_add_f64 v[6:7], v[238:239], -v[2:3]
	v_cmp_lt_u32_e32 vcc, 5, v0
	scratch_store_dwordx4 off, v[4:7], off offset:112
	s_and_saveexec_b64 s[0:1], vcc
	s_cbranch_execz .LBB58_357
; %bb.356:
	scratch_load_dwordx4 v[2:5], off, s44
	v_mov_b32_e32 v6, 0
	v_mov_b32_e32 v7, v6
	;; [unrolled: 1-line block ×4, first 2 shown]
	v_accvgpr_read_b32 v0, a119
	scratch_store_dwordx4 off, v[6:9], off offset:96
	s_waitcnt vmcnt(1)
	ds_write_b128 v0, v[2:5]
.LBB58_357:
	s_or_b64 exec, exec, s[0:1]
	s_waitcnt lgkmcnt(0)
	; wave barrier
	scratch_load_dwordx4 v[40:43], off, off offset:112
	scratch_load_dwordx4 v[44:47], off, off offset:128
	;; [unrolled: 1-line block ×29, first 2 shown]
	v_mov_b32_e32 v2, 0
	ds_read_b128 v[80:83], v2 offset:1040
	ds_read_b128 v[100:103], v2 offset:1056
	;; [unrolled: 1-line block ×18, first 2 shown]
	scratch_load_dwordx4 a[120:123], off, off offset:576
	scratch_load_dwordx4 a[124:127], off, off offset:592
	ds_read_b128 v[228:231], v2 offset:1392
	ds_read_b128 v[246:249], v2 offset:1408
	scratch_load_dwordx4 a[128:131], off, off offset:608
	scratch_load_dwordx4 v[234:237], off, off offset:624
	ds_read_b128 v[250:253], v2 offset:1424
	scratch_load_dwordx4 a[132:135], off, off offset:640
	ds_read_b128 v[224:227], v2 offset:1376
	s_waitcnt vmcnt(33) lgkmcnt(14)
	v_mul_f64 v[0:1], v[80:81], v[42:43]
	s_waitcnt vmcnt(32)
	v_mul_f64 v[20:21], v[100:101], v[46:47]
	v_fmac_f64_e32 v[0:1], v[82:83], v[40:41]
	s_waitcnt vmcnt(31)
	v_mul_f64 v[22:23], v[104:105], v[50:51]
	v_fmac_f64_e32 v[20:21], v[102:103], v[44:45]
	v_add_f64 v[0:1], v[0:1], 0
	s_waitcnt vmcnt(30)
	v_mul_f64 v[24:25], v[108:109], v[54:55]
	v_fmac_f64_e32 v[22:23], v[106:107], v[48:49]
	v_add_f64 v[0:1], v[0:1], v[20:21]
	;; [unrolled: 4-line block ×6, first 2 shown]
	s_waitcnt vmcnt(25) lgkmcnt(13)
	v_mul_f64 v[34:35], v[144:145], v[74:75]
	v_fmac_f64_e32 v[32:33], v[134:135], v[68:69]
	v_add_f64 v[0:1], v[0:1], v[30:31]
	s_waitcnt vmcnt(24) lgkmcnt(12)
	v_mul_f64 v[36:37], v[156:157], v[78:79]
	v_fmac_f64_e32 v[34:35], v[146:147], v[72:73]
	v_add_f64 v[0:1], v[0:1], v[32:33]
	;; [unrolled: 4-line block ×7, first 2 shown]
	v_fmac_f64_e32 v[218:219], v[198:199], v[124:125]
	v_add_f64 v[0:1], v[0:1], v[216:217]
	ds_read_b128 v[212:215], v2 offset:1328
	s_waitcnt vmcnt(18) lgkmcnt(7)
	v_mul_f64 v[220:221], v[200:201], v[130:131]
	v_add_f64 v[0:1], v[0:1], v[218:219]
	ds_read_b128 v[216:219], v2 offset:1344
	v_fmac_f64_e32 v[220:221], v[202:203], v[128:129]
	s_waitcnt vmcnt(17) lgkmcnt(7)
	v_mul_f64 v[20:21], v[204:205], v[138:139]
	v_add_f64 v[0:1], v[0:1], v[220:221]
	v_fmac_f64_e32 v[20:21], v[206:207], v[136:137]
	s_waitcnt vmcnt(16) lgkmcnt(6)
	v_mul_f64 v[24:25], v[208:209], v[142:143]
	ds_read_b128 v[220:223], v2 offset:1360
	v_add_f64 v[0:1], v[0:1], v[20:21]
	v_fmac_f64_e32 v[24:25], v[210:211], v[140:141]
	v_add_f64 v[0:1], v[0:1], v[24:25]
	s_waitcnt vmcnt(15) lgkmcnt(2)
	v_mul_f64 v[24:25], v[212:213], v[150:151]
	v_fmac_f64_e32 v[24:25], v[214:215], v[148:149]
	s_waitcnt vmcnt(14) lgkmcnt(1)
	v_mul_f64 v[28:29], v[216:217], v[154:155]
	v_add_f64 v[0:1], v[0:1], v[24:25]
	v_fmac_f64_e32 v[28:29], v[218:219], v[152:153]
	v_add_f64 v[0:1], v[0:1], v[28:29]
	s_waitcnt vmcnt(13) lgkmcnt(0)
	v_mul_f64 v[28:29], v[220:221], v[162:163]
	v_fmac_f64_e32 v[28:29], v[222:223], v[160:161]
	s_waitcnt vmcnt(12)
	v_mul_f64 v[32:33], v[224:225], v[166:167]
	v_add_f64 v[0:1], v[0:1], v[28:29]
	v_fmac_f64_e32 v[32:33], v[226:227], v[164:165]
	v_add_f64 v[0:1], v[0:1], v[32:33]
	s_waitcnt vmcnt(11)
	v_mul_f64 v[32:33], v[228:229], v[174:175]
	v_fmac_f64_e32 v[32:33], v[230:231], v[172:173]
	s_waitcnt vmcnt(10)
	v_mul_f64 v[36:37], v[246:247], v[178:179]
	v_mul_f64 v[42:43], v[82:83], v[42:43]
	v_add_f64 v[0:1], v[0:1], v[32:33]
	v_fmac_f64_e32 v[36:37], v[248:249], v[176:177]
	v_fma_f64 v[240:241], v[80:81], v[40:41], -v[42:43]
	ds_read_b128 v[80:83], v2 offset:1440
	s_waitcnt vmcnt(9)
	v_mul_f64 v[40:41], v[250:251], v[186:187]
	v_add_f64 v[0:1], v[0:1], v[36:37]
	v_fmac_f64_e32 v[40:41], v[252:253], v[184:185]
	v_add_f64 v[0:1], v[0:1], v[40:41]
	v_mul_f64 v[40:41], v[102:103], v[46:47]
	v_fma_f64 v[242:243], v[100:101], v[44:45], -v[40:41]
	scratch_load_dwordx4 v[40:43], off, off offset:656
	s_waitcnt vmcnt(9) lgkmcnt(0)
	v_mul_f64 v[44:45], v[80:81], v[6:7]
	v_fmac_f64_e32 v[44:45], v[82:83], v[4:5]
	v_add_f64 v[0:1], v[0:1], v[44:45]
	scratch_load_dwordx4 v[44:47], off, off offset:672
	v_mul_f64 v[50:51], v[106:107], v[50:51]
	v_fma_f64 v[244:245], v[104:105], v[48:49], -v[50:51]
	ds_read_b128 v[100:103], v2 offset:1456
	v_mul_f64 v[48:49], v[110:111], v[54:55]
	v_fma_f64 v[254:255], v[108:109], v[52:53], -v[48:49]
	scratch_load_dwordx4 v[52:55], off, off offset:688
	scratch_load_dwordx4 v[48:51], off, off offset:704
	v_accvgpr_write_b32 a139, v7
	v_accvgpr_write_b32 a138, v6
	;; [unrolled: 1-line block ×4, first 2 shown]
	s_waitcnt vmcnt(11)
	v_mov_b64_e32 v[4:5], v[8:9]
	v_mul_f64 v[58:59], v[114:115], v[58:59]
	v_mov_b64_e32 v[6:7], v[10:11]
	v_fma_f64 v[232:233], v[112:113], v[56:57], -v[58:59]
	ds_read_b128 v[104:107], v2 offset:1472
	ds_read_b128 v[108:111], v2 offset:1488
	s_waitcnt lgkmcnt(2)
	v_mul_f64 v[56:57], v[100:101], v[6:7]
	v_fmac_f64_e32 v[56:57], v[102:103], v[4:5]
	v_accvgpr_write_b32 a143, v11
	v_add_f64 v[0:1], v[0:1], v[56:57]
	v_mul_f64 v[56:57], v[118:119], v[62:63]
	v_accvgpr_write_b32 a142, v10
	v_accvgpr_write_b32 a141, v9
	;; [unrolled: 1-line block ×3, first 2 shown]
	v_fma_f64 v[36:37], v[116:117], v[60:61], -v[56:57]
	scratch_load_dwordx4 v[56:59], off, off offset:720
	scratch_load_dwordx4 v[60:63], off, off offset:736
	s_waitcnt vmcnt(12)
	v_mov_b64_e32 v[8:9], v[12:13]
	v_mov_b64_e32 v[10:11], v[14:15]
	s_waitcnt lgkmcnt(1)
	v_mul_f64 v[6:7], v[104:105], v[10:11]
	v_fmac_f64_e32 v[6:7], v[106:107], v[8:9]
	v_add_f64 v[0:1], v[0:1], v[6:7]
	v_mul_f64 v[6:7], v[122:123], v[66:67]
	v_fma_f64 v[32:33], v[120:121], v[64:65], -v[6:7]
	scratch_load_dwordx4 v[64:67], off, off offset:752
	v_mul_f64 v[6:7], v[134:135], v[70:71]
	v_fma_f64 v[28:29], v[132:133], v[68:69], -v[6:7]
	scratch_load_dwordx4 v[68:71], off, off offset:768
	v_mul_f64 v[6:7], v[146:147], v[74:75]
	v_fma_f64 v[24:25], v[144:145], v[72:73], -v[6:7]
	s_waitcnt vmcnt(13)
	v_mov_b64_e32 v[8:9], v[16:17]
	scratch_load_dwordx4 v[72:75], off, off offset:784
	ds_read_b128 v[112:115], v2 offset:1504
	ds_read_b128 v[116:119], v2 offset:1520
	v_mov_b64_e32 v[10:11], v[18:19]
	s_waitcnt lgkmcnt(2)
	v_mul_f64 v[6:7], v[108:109], v[10:11]
	v_fmac_f64_e32 v[6:7], v[110:111], v[8:9]
	v_add_f64 v[0:1], v[0:1], v[6:7]
	v_mul_f64 v[6:7], v[158:159], v[78:79]
	s_waitcnt vmcnt(13)
	v_accvgpr_read_b32 v8, a120
	v_accvgpr_write_b32 a151, v19
	v_fma_f64 v[20:21], v[156:157], v[76:77], -v[6:7]
	v_accvgpr_read_b32 v10, a122
	v_accvgpr_read_b32 v11, a123
	v_mul_f64 v[76:77], v[170:171], v[86:87]
	v_accvgpr_write_b32 a150, v18
	v_accvgpr_write_b32 a149, v17
	v_accvgpr_write_b32 a148, v16
	v_accvgpr_read_b32 v9, a121
	s_waitcnt lgkmcnt(1)
	v_mul_f64 v[6:7], v[112:113], v[10:11]
	v_fma_f64 v[16:17], v[168:169], v[84:85], -v[76:77]
	scratch_load_dwordx4 v[76:79], off, off offset:800
	v_fmac_f64_e32 v[6:7], v[114:115], v[8:9]
	v_accvgpr_write_b32 a147, v15
	v_add_f64 v[0:1], v[0:1], v[6:7]
	v_mul_f64 v[6:7], v[182:183], v[90:91]
	v_mul_f64 v[84:85], v[190:191], v[94:95]
	v_accvgpr_write_b32 a146, v14
	v_accvgpr_write_b32 a145, v13
	;; [unrolled: 1-line block ×3, first 2 shown]
	v_fma_f64 v[18:19], v[180:181], v[88:89], -v[6:7]
	ds_read_b128 v[120:123], v2 offset:1536
	v_fma_f64 v[14:15], v[188:189], v[92:93], -v[84:85]
	scratch_load_dwordx4 v[88:91], off, off offset:816
	scratch_load_dwordx4 v[84:87], off, off offset:832
	v_mul_f64 v[22:23], v[194:195], v[98:99]
	scratch_load_dwordx4 v[92:95], off, off offset:848
	v_fma_f64 v[22:23], v[192:193], v[96:97], -v[22:23]
	v_mul_f64 v[96:97], v[198:199], v[126:127]
	v_fma_f64 v[12:13], v[196:197], v[124:125], -v[96:97]
	scratch_load_dwordx4 v[96:99], off, off offset:864
	s_waitcnt vmcnt(17)
	v_accvgpr_read_b32 v8, a124
	v_accvgpr_read_b32 v10, a126
	v_accvgpr_read_b32 v11, a127
	v_accvgpr_read_b32 v9, a125
	s_waitcnt lgkmcnt(1)
	v_mul_f64 v[6:7], v[116:117], v[10:11]
	ds_read_b128 v[124:127], v2 offset:1552
	v_fmac_f64_e32 v[6:7], v[118:119], v[8:9]
	s_waitcnt vmcnt(16)
	v_accvgpr_read_b32 v8, a128
	v_mul_f64 v[26:27], v[202:203], v[130:131]
	v_accvgpr_read_b32 v10, a130
	v_accvgpr_read_b32 v11, a131
	v_fma_f64 v[26:27], v[200:201], v[128:129], -v[26:27]
	ds_read_b128 v[128:131], v2 offset:1568
	v_add_f64 v[0:1], v[0:1], v[6:7]
	v_accvgpr_read_b32 v9, a129
	s_waitcnt lgkmcnt(2)
	v_mul_f64 v[6:7], v[120:121], v[10:11]
	v_fmac_f64_e32 v[6:7], v[122:123], v[8:9]
	v_add_f64 v[0:1], v[0:1], v[6:7]
	s_waitcnt vmcnt(15) lgkmcnt(1)
	v_mul_f64 v[6:7], v[124:125], v[236:237]
	s_waitcnt vmcnt(14)
	v_accvgpr_read_b32 v8, a132
	ds_read_b128 v[132:135], v2 offset:1584
	v_fmac_f64_e32 v[6:7], v[126:127], v[234:235]
	v_accvgpr_read_b32 v10, a134
	v_accvgpr_read_b32 v11, a135
	v_add_f64 v[0:1], v[0:1], v[6:7]
	v_accvgpr_read_b32 v9, a133
	s_waitcnt lgkmcnt(1)
	v_mul_f64 v[6:7], v[128:129], v[10:11]
	v_fmac_f64_e32 v[6:7], v[130:131], v[8:9]
	v_add_f64 v[0:1], v[0:1], v[6:7]
	v_mul_f64 v[6:7], v[206:207], v[138:139]
	v_fma_f64 v[10:11], v[204:205], v[136:137], -v[6:7]
	ds_read_b128 v[136:139], v2 offset:1600
	s_waitcnt vmcnt(13) lgkmcnt(1)
	v_mul_f64 v[6:7], v[132:133], v[42:43]
	v_fmac_f64_e32 v[6:7], v[134:135], v[40:41]
	v_add_f64 v[0:1], v[0:1], v[6:7]
	v_mul_f64 v[6:7], v[210:211], v[142:143]
	v_fma_f64 v[30:31], v[208:209], v[140:141], -v[6:7]
	ds_read_b128 v[140:143], v2 offset:1616
	ds_read_b128 v[144:147], v2 offset:1632
	s_waitcnt vmcnt(12) lgkmcnt(2)
	v_mul_f64 v[6:7], v[136:137], v[46:47]
	v_fmac_f64_e32 v[6:7], v[138:139], v[44:45]
	v_add_f64 v[0:1], v[0:1], v[6:7]
	s_waitcnt vmcnt(11) lgkmcnt(1)
	v_mul_f64 v[6:7], v[140:141], v[54:55]
	v_fmac_f64_e32 v[6:7], v[142:143], v[52:53]
	v_add_f64 v[0:1], v[0:1], v[6:7]
	v_mul_f64 v[6:7], v[214:215], v[150:151]
	v_fma_f64 v[8:9], v[212:213], v[148:149], -v[6:7]
	ds_read_b128 v[148:151], v2 offset:1648
	v_mul_f64 v[34:35], v[218:219], v[154:155]
	v_fma_f64 v[34:35], v[216:217], v[152:153], -v[34:35]
	ds_read_b128 v[152:155], v2 offset:1664
	s_waitcnt vmcnt(10) lgkmcnt(2)
	v_mul_f64 v[6:7], v[144:145], v[50:51]
	v_fmac_f64_e32 v[6:7], v[146:147], v[48:49]
	v_add_f64 v[0:1], v[0:1], v[6:7]
	s_waitcnt vmcnt(9) lgkmcnt(1)
	v_mul_f64 v[6:7], v[148:149], v[58:59]
	ds_read_b128 v[156:159], v2 offset:1680
	v_fmac_f64_e32 v[6:7], v[150:151], v[56:57]
	v_add_f64 v[0:1], v[0:1], v[6:7]
	s_waitcnt vmcnt(8) lgkmcnt(1)
	v_mul_f64 v[6:7], v[152:153], v[62:63]
	v_fmac_f64_e32 v[6:7], v[154:155], v[60:61]
	v_add_f64 v[0:1], v[0:1], v[6:7]
	v_mul_f64 v[6:7], v[222:223], v[162:163]
	v_fma_f64 v[4:5], v[220:221], v[160:161], -v[6:7]
	ds_read_b128 v[160:163], v2 offset:1696
	s_waitcnt vmcnt(7) lgkmcnt(1)
	v_mul_f64 v[6:7], v[156:157], v[66:67]
	v_fmac_f64_e32 v[6:7], v[158:159], v[64:65]
	v_add_f64 v[0:1], v[0:1], v[6:7]
	v_mul_f64 v[6:7], v[226:227], v[166:167]
	v_fma_f64 v[6:7], v[224:225], v[164:165], -v[6:7]
	ds_read_b128 v[164:167], v2 offset:1712
	ds_read_b128 v[168:171], v2 offset:1728
	s_waitcnt vmcnt(6) lgkmcnt(2)
	v_mul_f64 v[38:39], v[160:161], v[70:71]
	v_fmac_f64_e32 v[38:39], v[162:163], v[68:69]
	v_add_f64 v[0:1], v[0:1], v[38:39]
	s_waitcnt vmcnt(5) lgkmcnt(1)
	v_mul_f64 v[38:39], v[164:165], v[74:75]
	v_fmac_f64_e32 v[38:39], v[166:167], v[72:73]
	v_add_f64 v[38:39], v[0:1], v[38:39]
	v_mul_f64 v[0:1], v[230:231], v[174:175]
	v_fma_f64 v[0:1], v[228:229], v[172:173], -v[0:1]
	ds_read_b128 v[172:175], v2 offset:1744
	s_waitcnt vmcnt(4) lgkmcnt(1)
	v_mul_f64 v[180:181], v[168:169], v[78:79]
	v_fmac_f64_e32 v[180:181], v[170:171], v[76:77]
	v_mul_f64 v[178:179], v[248:249], v[178:179]
	v_fma_f64 v[238:239], v[246:247], v[176:177], -v[178:179]
	ds_read_b128 v[176:179], v2 offset:1760
	v_add_f64 v[38:39], v[38:39], v[180:181]
	s_waitcnt vmcnt(3) lgkmcnt(1)
	v_mul_f64 v[180:181], v[172:173], v[90:91]
	v_fmac_f64_e32 v[180:181], v[174:175], v[88:89]
	v_add_f64 v[38:39], v[38:39], v[180:181]
	ds_read_b128 v[180:183], v2 offset:1776
	v_mul_f64 v[186:187], v[252:253], v[186:187]
	v_fma_f64 v[246:247], v[250:251], v[184:185], -v[186:187]
	ds_read_b128 v[184:187], v2 offset:1792
	s_waitcnt vmcnt(2) lgkmcnt(2)
	v_mul_f64 v[188:189], v[176:177], v[86:87]
	v_fmac_f64_e32 v[188:189], v[178:179], v[84:85]
	v_add_f64 v[38:39], v[38:39], v[188:189]
	s_waitcnt vmcnt(1) lgkmcnt(1)
	v_mul_f64 v[188:189], v[180:181], v[94:95]
	v_fmac_f64_e32 v[188:189], v[182:183], v[92:93]
	v_add_f64 v[38:39], v[38:39], v[188:189]
	;; [unrolled: 4-line block ×3, first 2 shown]
	scratch_load_dwordx4 v[188:191], off, off offset:880
	ds_read_b128 v[192:195], v2 offset:1808
	ds_read_b128 v[200:203], v2 offset:1824
	;; [unrolled: 1-line block ×5, first 2 shown]
	s_waitcnt vmcnt(0) lgkmcnt(4)
	v_mul_f64 v[196:197], v[192:193], v[190:191]
	v_fmac_f64_e32 v[196:197], v[194:195], v[188:189]
	v_add_f64 v[38:39], v[38:39], v[196:197]
	scratch_load_dwordx4 v[196:199], off, off offset:896
	s_waitcnt vmcnt(0) lgkmcnt(3)
	v_mul_f64 v[204:205], v[200:201], v[198:199]
	v_fmac_f64_e32 v[204:205], v[202:203], v[196:197]
	v_add_f64 v[38:39], v[38:39], v[204:205]
	scratch_load_dwordx4 v[204:207], off, off offset:912
	s_waitcnt vmcnt(0) lgkmcnt(2)
	v_mul_f64 v[212:213], v[208:209], v[206:207]
	v_fmac_f64_e32 v[212:213], v[210:211], v[204:205]
	v_add_f64 v[38:39], v[38:39], v[212:213]
	scratch_load_dwordx4 v[212:215], off, off offset:928
	s_waitcnt vmcnt(0) lgkmcnt(1)
	v_mul_f64 v[220:221], v[216:217], v[214:215]
	v_fmac_f64_e32 v[220:221], v[218:219], v[212:213]
	v_add_f64 v[38:39], v[38:39], v[220:221]
	scratch_load_dwordx4 v[220:223], off, off offset:944
	s_waitcnt vmcnt(0) lgkmcnt(0)
	v_mul_f64 v[228:229], v[224:225], v[222:223]
	v_fmac_f64_e32 v[228:229], v[226:227], v[220:221]
	v_add_f64 v[250:251], v[38:39], v[228:229]
	v_add_f64 v[38:39], v[240:241], 0
	;; [unrolled: 1-line block ×8, first 2 shown]
	scratch_load_dwordx4 v[228:231], off, off offset:96
	v_add_f64 v[28:29], v[32:33], v[28:29]
	v_add_f64 v[24:25], v[28:29], v[24:25]
	;; [unrolled: 1-line block ×15, first 2 shown]
	v_accvgpr_read_b32 v6, a136
	v_accvgpr_read_b32 v8, a138
	;; [unrolled: 1-line block ×3, first 2 shown]
	v_add_f64 v[0:1], v[4:5], v[0:1]
	v_accvgpr_read_b32 v7, a137
	v_mul_f64 v[4:5], v[82:83], v[8:9]
	v_add_f64 v[0:1], v[0:1], v[238:239]
	v_fma_f64 v[4:5], v[80:81], v[6:7], -v[4:5]
	v_accvgpr_read_b32 v6, a140
	v_add_f64 v[0:1], v[0:1], v[246:247]
	v_accvgpr_read_b32 v8, a142
	v_accvgpr_read_b32 v9, a143
	v_add_f64 v[0:1], v[0:1], v[4:5]
	v_accvgpr_read_b32 v7, a141
	v_mul_f64 v[4:5], v[102:103], v[8:9]
	v_fma_f64 v[4:5], v[100:101], v[6:7], -v[4:5]
	v_accvgpr_read_b32 v6, a144
	v_accvgpr_read_b32 v8, a146
	v_accvgpr_read_b32 v9, a147
	v_add_f64 v[0:1], v[0:1], v[4:5]
	v_accvgpr_read_b32 v7, a145
	v_mul_f64 v[4:5], v[106:107], v[8:9]
	v_fma_f64 v[4:5], v[104:105], v[6:7], -v[4:5]
	v_accvgpr_read_b32 v6, a148
	;; [unrolled: 7-line block ×5, first 2 shown]
	v_accvgpr_read_b32 v8, a130
	v_accvgpr_read_b32 v9, a131
	v_add_f64 v[0:1], v[0:1], v[4:5]
	v_accvgpr_read_b32 v7, a129
	v_mul_f64 v[4:5], v[122:123], v[8:9]
	v_fma_f64 v[4:5], v[120:121], v[6:7], -v[4:5]
	v_add_f64 v[0:1], v[0:1], v[4:5]
	v_mul_f64 v[4:5], v[126:127], v[236:237]
	v_accvgpr_read_b32 v6, a132
	v_fma_f64 v[4:5], v[124:125], v[234:235], -v[4:5]
	v_accvgpr_read_b32 v8, a134
	v_accvgpr_read_b32 v9, a135
	v_add_f64 v[0:1], v[0:1], v[4:5]
	v_accvgpr_read_b32 v7, a133
	v_mul_f64 v[4:5], v[130:131], v[8:9]
	v_fma_f64 v[4:5], v[128:129], v[6:7], -v[4:5]
	v_add_f64 v[0:1], v[0:1], v[4:5]
	v_mul_f64 v[4:5], v[134:135], v[42:43]
	v_fma_f64 v[4:5], v[132:133], v[40:41], -v[4:5]
	v_add_f64 v[0:1], v[0:1], v[4:5]
	;; [unrolled: 3-line block ×20, first 2 shown]
	s_waitcnt vmcnt(0)
	v_add_f64 v[4:5], v[228:229], -v[0:1]
	v_accvgpr_read_b32 v0, a118
	v_add_f64 v[6:7], v[230:231], -v[250:251]
	v_cmp_lt_u32_e32 vcc, 4, v0
	scratch_store_dwordx4 off, v[4:7], off offset:96
	s_and_saveexec_b64 s[0:1], vcc
	s_cbranch_execz .LBB58_359
; %bb.358:
	scratch_load_dwordx4 v[6:9], off, s43
	v_mov_b32_e32 v3, v2
	v_mov_b32_e32 v4, v2
	;; [unrolled: 1-line block ×3, first 2 shown]
	v_accvgpr_read_b32 v0, a119
	scratch_store_dwordx4 off, v[2:5], off offset:80
	s_waitcnt vmcnt(1)
	ds_write_b128 v0, v[6:9]
.LBB58_359:
	s_or_b64 exec, exec, s[0:1]
	s_waitcnt lgkmcnt(0)
	; wave barrier
	scratch_load_dwordx4 v[40:43], off, off offset:96
	scratch_load_dwordx4 v[44:47], off, off offset:112
	;; [unrolled: 1-line block ×18, first 2 shown]
	ds_read_b128 v[80:83], v2 offset:1024
	ds_read_b128 v[204:207], v2 offset:1040
	ds_read_b128 v[100:103], v2 offset:1056
	ds_read_b128 v[116:119], v2 offset:1072
	ds_read_b128 v[104:107], v2 offset:1088
	ds_read_b128 v[108:111], v2 offset:1104
	scratch_load_dwordx4 v[148:151], off, off offset:384
	ds_read_b128 v[180:183], v2 offset:1120
	ds_read_b128 v[112:115], v2 offset:1136
	scratch_load_dwordx4 v[152:155], off, off offset:400
	ds_read_b128 v[208:211], v2 offset:1152
	ds_read_b128 v[200:203], v2 offset:1168
	;; [unrolled: 1-line block ×5, first 2 shown]
	scratch_load_dwordx4 v[160:163], off, off offset:416
	ds_read_b128 v[196:199], v2 offset:1232
	ds_read_b128 v[192:195], v2 offset:1248
	ds_read_b128 v[156:159], v2 offset:1264
	ds_read_b128 v[144:147], v2 offset:1280
	scratch_load_dwordx4 v[164:167], off, off offset:432
	ds_read_b128 v[168:171], v2 offset:1296
	scratch_load_dwordx4 v[172:175], off, off offset:448
	scratch_load_dwordx4 v[176:179], off, off offset:464
	;; [unrolled: 1-line block ×7, first 2 shown]
	ds_read_b128 v[228:231], v2 offset:1376
	ds_read_b128 v[232:235], v2 offset:1392
	scratch_load_dwordx4 a[124:127], off, off offset:592
	scratch_load_dwordx4 a[128:131], off, off offset:608
	ds_read_b128 v[236:239], v2 offset:1408
	scratch_load_dwordx4 a[120:123], off, off offset:576
	ds_read_b128 v[224:227], v2 offset:1360
	s_waitcnt vmcnt(31) lgkmcnt(14)
	v_mul_f64 v[0:1], v[80:81], v[42:43]
	s_waitcnt vmcnt(30)
	v_mul_f64 v[20:21], v[204:205], v[46:47]
	v_fmac_f64_e32 v[0:1], v[82:83], v[40:41]
	s_waitcnt vmcnt(29)
	v_mul_f64 v[22:23], v[100:101], v[50:51]
	v_fmac_f64_e32 v[20:21], v[206:207], v[44:45]
	v_add_f64 v[0:1], v[0:1], 0
	v_fmac_f64_e32 v[22:23], v[102:103], v[48:49]
	v_add_f64 v[0:1], v[0:1], v[20:21]
	v_add_f64 v[0:1], v[0:1], v[22:23]
	scratch_load_dwordx4 v[20:23], off, off offset:560
	s_waitcnt vmcnt(29)
	v_mul_f64 v[24:25], v[116:117], v[54:55]
	s_waitcnt vmcnt(28)
	v_mul_f64 v[26:27], v[104:105], v[58:59]
	v_fmac_f64_e32 v[24:25], v[118:119], v[52:53]
	s_waitcnt vmcnt(27)
	v_mul_f64 v[28:29], v[108:109], v[62:63]
	v_fmac_f64_e32 v[26:27], v[106:107], v[56:57]
	v_add_f64 v[0:1], v[0:1], v[24:25]
	s_waitcnt vmcnt(26)
	v_mul_f64 v[30:31], v[180:181], v[66:67]
	v_fmac_f64_e32 v[28:29], v[110:111], v[60:61]
	v_add_f64 v[0:1], v[0:1], v[26:27]
	;; [unrolled: 4-line block ×3, first 2 shown]
	s_waitcnt vmcnt(24) lgkmcnt(13)
	v_mul_f64 v[34:35], v[208:209], v[74:75]
	v_fmac_f64_e32 v[32:33], v[114:115], v[68:69]
	v_add_f64 v[0:1], v[0:1], v[30:31]
	s_waitcnt vmcnt(23) lgkmcnt(12)
	v_mul_f64 v[36:37], v[200:201], v[78:79]
	v_fmac_f64_e32 v[34:35], v[210:211], v[72:73]
	v_add_f64 v[0:1], v[0:1], v[32:33]
	;; [unrolled: 4-line block ×8, first 2 shown]
	ds_read_b128 v[212:215], v2 offset:1312
	s_waitcnt vmcnt(16) lgkmcnt(6)
	v_mul_f64 v[222:223], v[144:145], v[138:139]
	v_fmac_f64_e32 v[220:221], v[158:159], v[128:129]
	v_add_f64 v[0:1], v[0:1], v[218:219]
	ds_read_b128 v[216:219], v2 offset:1328
	v_add_f64 v[0:1], v[0:1], v[220:221]
	v_fmac_f64_e32 v[222:223], v[146:147], v[136:137]
	v_add_f64 v[0:1], v[0:1], v[222:223]
	s_waitcnt vmcnt(15) lgkmcnt(6)
	v_mul_f64 v[24:25], v[168:169], v[142:143]
	ds_read_b128 v[220:223], v2 offset:1344
	v_fmac_f64_e32 v[24:25], v[170:171], v[140:141]
	v_add_f64 v[0:1], v[0:1], v[24:25]
	s_waitcnt vmcnt(14) lgkmcnt(2)
	v_mul_f64 v[24:25], v[212:213], v[150:151]
	v_fmac_f64_e32 v[24:25], v[214:215], v[148:149]
	s_waitcnt vmcnt(13) lgkmcnt(1)
	v_mul_f64 v[28:29], v[216:217], v[154:155]
	v_add_f64 v[0:1], v[0:1], v[24:25]
	v_fmac_f64_e32 v[28:29], v[218:219], v[152:153]
	v_add_f64 v[0:1], v[0:1], v[28:29]
	s_waitcnt vmcnt(12) lgkmcnt(0)
	v_mul_f64 v[28:29], v[220:221], v[162:163]
	v_fmac_f64_e32 v[28:29], v[222:223], v[160:161]
	s_waitcnt vmcnt(11)
	v_mul_f64 v[32:33], v[224:225], v[166:167]
	v_add_f64 v[0:1], v[0:1], v[28:29]
	v_fmac_f64_e32 v[32:33], v[226:227], v[164:165]
	v_add_f64 v[0:1], v[0:1], v[32:33]
	s_waitcnt vmcnt(10)
	v_mul_f64 v[32:33], v[228:229], v[174:175]
	v_fmac_f64_e32 v[32:33], v[230:231], v[172:173]
	s_waitcnt vmcnt(9)
	v_mul_f64 v[36:37], v[232:233], v[178:179]
	v_add_f64 v[0:1], v[0:1], v[32:33]
	v_fmac_f64_e32 v[36:37], v[234:235], v[176:177]
	v_mul_f64 v[42:43], v[82:83], v[42:43]
	v_add_f64 v[0:1], v[0:1], v[36:37]
	scratch_load_dwordx4 v[36:39], off, off offset:624
	v_fma_f64 v[240:241], v[80:81], v[40:41], -v[42:43]
	ds_read_b128 v[80:83], v2 offset:1424
	s_waitcnt vmcnt(9)
	v_mul_f64 v[40:41], v[236:237], v[186:187]
	v_fmac_f64_e32 v[40:41], v[238:239], v[184:185]
	v_add_f64 v[0:1], v[0:1], v[40:41]
	v_mul_f64 v[40:41], v[206:207], v[46:47]
	v_fma_f64 v[242:243], v[204:205], v[44:45], -v[40:41]
	scratch_load_dwordx4 v[40:43], off, off offset:640
	s_waitcnt vmcnt(9) lgkmcnt(0)
	v_mul_f64 v[44:45], v[80:81], v[6:7]
	v_fmac_f64_e32 v[44:45], v[82:83], v[4:5]
	v_add_f64 v[0:1], v[0:1], v[44:45]
	scratch_load_dwordx4 v[44:47], off, off offset:656
	v_mul_f64 v[50:51], v[102:103], v[50:51]
	v_fma_f64 v[244:245], v[100:101], v[48:49], -v[50:51]
	ds_read_b128 v[100:103], v2 offset:1440
	v_mul_f64 v[48:49], v[118:119], v[54:55]
	v_fma_f64 v[250:251], v[116:117], v[52:53], -v[48:49]
	scratch_load_dwordx4 v[52:55], off, off offset:672
	scratch_load_dwordx4 v[48:51], off, off offset:688
	v_accvgpr_write_b32 a135, v7
	v_accvgpr_write_b32 a134, v6
	;; [unrolled: 1-line block ×4, first 2 shown]
	s_waitcnt vmcnt(11)
	v_mov_b64_e32 v[4:5], v[8:9]
	v_mul_f64 v[58:59], v[106:107], v[58:59]
	v_mov_b64_e32 v[6:7], v[10:11]
	v_fma_f64 v[252:253], v[104:105], v[56:57], -v[58:59]
	s_waitcnt lgkmcnt(0)
	v_mul_f64 v[56:57], v[100:101], v[6:7]
	ds_read_b128 v[104:107], v2 offset:1456
	v_fmac_f64_e32 v[56:57], v[102:103], v[4:5]
	v_add_f64 v[0:1], v[0:1], v[56:57]
	v_mul_f64 v[56:57], v[110:111], v[62:63]
	v_fma_f64 v[254:255], v[108:109], v[60:61], -v[56:57]
	scratch_load_dwordx4 v[56:59], off, off offset:704
	scratch_load_dwordx4 v[60:63], off, off offset:720
	s_waitcnt vmcnt(12)
	v_mov_b64_e32 v[4:5], v[12:13]
	v_mul_f64 v[66:67], v[182:183], v[66:67]
	v_mov_b64_e32 v[6:7], v[14:15]
	v_fma_f64 v[246:247], v[180:181], v[64:65], -v[66:67]
	v_mul_f64 v[64:65], v[114:115], v[70:71]
	v_fma_f64 v[32:33], v[112:113], v[68:69], -v[64:65]
	ds_read_b128 v[112:115], v2 offset:1488
	s_waitcnt lgkmcnt(1)
	v_mul_f64 v[108:109], v[104:105], v[6:7]
	v_fmac_f64_e32 v[108:109], v[106:107], v[4:5]
	v_add_f64 v[0:1], v[0:1], v[108:109]
	ds_read_b128 v[108:111], v2 offset:1472
	ds_read_b128 v[116:119], v2 offset:1504
	scratch_load_dwordx4 v[64:67], off, off offset:736
	scratch_load_dwordx4 v[68:71], off, off offset:752
	v_mul_f64 v[6:7], v[210:211], v[74:75]
	v_fma_f64 v[28:29], v[208:209], v[72:73], -v[6:7]
	s_waitcnt vmcnt(13)
	v_mov_b64_e32 v[4:5], v[16:17]
	v_mov_b64_e32 v[6:7], v[18:19]
	s_waitcnt lgkmcnt(1)
	v_mul_f64 v[72:73], v[108:109], v[6:7]
	v_fmac_f64_e32 v[72:73], v[110:111], v[4:5]
	v_add_f64 v[0:1], v[0:1], v[72:73]
	v_mul_f64 v[72:73], v[202:203], v[78:79]
	v_fma_f64 v[24:25], v[200:201], v[76:77], -v[72:73]
	scratch_load_dwordx4 v[72:75], off, off offset:768
	s_waitcnt vmcnt(10)
	v_mov_b64_e32 v[4:5], v[20:21]
	v_accvgpr_write_b32 a139, v11
	v_mov_b64_e32 v[6:7], v[22:23]
	v_mul_f64 v[76:77], v[190:191], v[86:87]
	v_accvgpr_write_b32 a138, v10
	v_accvgpr_write_b32 a137, v9
	;; [unrolled: 1-line block ×3, first 2 shown]
	v_mul_f64 v[10:11], v[112:113], v[6:7]
	v_fma_f64 v[248:249], v[188:189], v[84:85], -v[76:77]
	scratch_load_dwordx4 v[76:79], off, off offset:784
	v_fmac_f64_e32 v[10:11], v[114:115], v[4:5]
	v_accvgpr_write_b32 a151, v23
	v_add_f64 v[0:1], v[0:1], v[10:11]
	v_mul_f64 v[10:11], v[122:123], v[90:91]
	v_accvgpr_write_b32 a150, v22
	v_accvgpr_write_b32 a149, v21
	;; [unrolled: 1-line block ×3, first 2 shown]
	v_fma_f64 v[20:21], v[120:121], v[88:89], -v[10:11]
	ds_read_b128 v[120:123], v2 offset:1520
	scratch_load_dwordx4 v[88:91], off, off offset:800
	scratch_load_dwordx4 v[84:87], off, off offset:816
	v_accvgpr_write_b32 a143, v15
	v_accvgpr_write_b32 a142, v14
	;; [unrolled: 1-line block ×5, first 2 shown]
	v_mul_f64 v[14:15], v[134:135], v[94:95]
	v_accvgpr_write_b32 a146, v18
	v_accvgpr_write_b32 a145, v17
	;; [unrolled: 1-line block ×3, first 2 shown]
	v_fma_f64 v[16:17], v[132:133], v[92:93], -v[14:15]
	v_mul_f64 v[92:93], v[198:199], v[98:99]
	v_fma_f64 v[14:15], v[196:197], v[96:97], -v[92:93]
	scratch_load_dwordx4 v[92:95], off, off offset:832
	v_mul_f64 v[96:97], v[158:159], v[130:131]
	v_fma_f64 v[12:13], v[156:157], v[128:129], -v[96:97]
	scratch_load_dwordx4 v[96:99], off, off offset:848
	v_accvgpr_read_b32 v4, a120
	v_accvgpr_read_b32 v6, a122
	;; [unrolled: 1-line block ×4, first 2 shown]
	s_waitcnt lgkmcnt(1)
	v_mul_f64 v[10:11], v[116:117], v[6:7]
	v_mul_f64 v[18:19], v[194:195], v[126:127]
	v_fmac_f64_e32 v[10:11], v[118:119], v[4:5]
	v_accvgpr_read_b32 v4, a124
	v_fma_f64 v[18:19], v[192:193], v[124:125], -v[18:19]
	ds_read_b128 v[124:127], v2 offset:1536
	ds_read_b128 v[128:131], v2 offset:1552
	v_accvgpr_read_b32 v6, a126
	v_accvgpr_read_b32 v7, a127
	v_add_f64 v[0:1], v[0:1], v[10:11]
	v_accvgpr_read_b32 v5, a125
	s_waitcnt lgkmcnt(2)
	v_mul_f64 v[10:11], v[120:121], v[6:7]
	v_fmac_f64_e32 v[10:11], v[122:123], v[4:5]
	v_accvgpr_read_b32 v4, a128
	v_accvgpr_read_b32 v6, a130
	;; [unrolled: 1-line block ×3, first 2 shown]
	v_add_f64 v[0:1], v[0:1], v[10:11]
	v_accvgpr_read_b32 v5, a129
	s_waitcnt lgkmcnt(1)
	v_mul_f64 v[10:11], v[124:125], v[6:7]
	ds_read_b128 v[132:135], v2 offset:1568
	v_fmac_f64_e32 v[10:11], v[126:127], v[4:5]
	v_add_f64 v[0:1], v[0:1], v[10:11]
	s_waitcnt vmcnt(14) lgkmcnt(1)
	v_mul_f64 v[10:11], v[128:129], v[38:39]
	v_fmac_f64_e32 v[10:11], v[130:131], v[36:37]
	v_add_f64 v[0:1], v[0:1], v[10:11]
	v_mul_f64 v[10:11], v[146:147], v[138:139]
	v_fma_f64 v[22:23], v[144:145], v[136:137], -v[10:11]
	ds_read_b128 v[136:139], v2 offset:1584
	s_waitcnt vmcnt(13) lgkmcnt(1)
	v_mul_f64 v[10:11], v[132:133], v[42:43]
	v_fmac_f64_e32 v[10:11], v[134:135], v[40:41]
	v_add_f64 v[0:1], v[0:1], v[10:11]
	v_mul_f64 v[10:11], v[170:171], v[142:143]
	v_fma_f64 v[8:9], v[168:169], v[140:141], -v[10:11]
	ds_read_b128 v[140:143], v2 offset:1600
	ds_read_b128 v[144:147], v2 offset:1616
	s_waitcnt vmcnt(12) lgkmcnt(2)
	v_mul_f64 v[10:11], v[136:137], v[46:47]
	v_fmac_f64_e32 v[10:11], v[138:139], v[44:45]
	v_add_f64 v[0:1], v[0:1], v[10:11]
	s_waitcnt vmcnt(11) lgkmcnt(1)
	v_mul_f64 v[10:11], v[140:141], v[54:55]
	v_fmac_f64_e32 v[10:11], v[142:143], v[52:53]
	v_add_f64 v[0:1], v[0:1], v[10:11]
	v_mul_f64 v[10:11], v[214:215], v[150:151]
	v_fma_f64 v[26:27], v[212:213], v[148:149], -v[10:11]
	ds_read_b128 v[148:151], v2 offset:1632
	v_mul_f64 v[154:155], v[218:219], v[154:155]
	v_fma_f64 v[6:7], v[216:217], v[152:153], -v[154:155]
	ds_read_b128 v[152:155], v2 offset:1648
	s_waitcnt vmcnt(10) lgkmcnt(2)
	v_mul_f64 v[10:11], v[144:145], v[50:51]
	v_fmac_f64_e32 v[10:11], v[146:147], v[48:49]
	v_add_f64 v[0:1], v[0:1], v[10:11]
	s_waitcnt vmcnt(9) lgkmcnt(1)
	v_mul_f64 v[10:11], v[148:149], v[58:59]
	ds_read_b128 v[156:159], v2 offset:1664
	v_fmac_f64_e32 v[10:11], v[150:151], v[56:57]
	v_add_f64 v[0:1], v[0:1], v[10:11]
	s_waitcnt vmcnt(8) lgkmcnt(1)
	v_mul_f64 v[10:11], v[152:153], v[62:63]
	v_fmac_f64_e32 v[10:11], v[154:155], v[60:61]
	v_add_f64 v[0:1], v[0:1], v[10:11]
	v_mul_f64 v[10:11], v[222:223], v[162:163]
	v_fma_f64 v[30:31], v[220:221], v[160:161], -v[10:11]
	ds_read_b128 v[160:163], v2 offset:1680
	s_waitcnt vmcnt(7) lgkmcnt(1)
	v_mul_f64 v[10:11], v[156:157], v[66:67]
	v_fmac_f64_e32 v[10:11], v[158:159], v[64:65]
	v_add_f64 v[0:1], v[0:1], v[10:11]
	v_mul_f64 v[10:11], v[226:227], v[166:167]
	v_fma_f64 v[4:5], v[224:225], v[164:165], -v[10:11]
	ds_read_b128 v[164:167], v2 offset:1696
	ds_read_b128 v[168:171], v2 offset:1712
	s_waitcnt vmcnt(6) lgkmcnt(2)
	v_mul_f64 v[10:11], v[160:161], v[70:71]
	v_fmac_f64_e32 v[10:11], v[162:163], v[68:69]
	v_add_f64 v[0:1], v[0:1], v[10:11]
	s_waitcnt vmcnt(5) lgkmcnt(1)
	v_mul_f64 v[10:11], v[164:165], v[74:75]
	v_fmac_f64_e32 v[10:11], v[166:167], v[72:73]
	v_add_f64 v[10:11], v[0:1], v[10:11]
	v_mul_f64 v[0:1], v[230:231], v[174:175]
	v_fma_f64 v[34:35], v[228:229], v[172:173], -v[0:1]
	ds_read_b128 v[172:175], v2 offset:1728
	s_waitcnt vmcnt(4) lgkmcnt(1)
	v_mul_f64 v[180:181], v[168:169], v[78:79]
	v_fmac_f64_e32 v[180:181], v[170:171], v[76:77]
	v_mul_f64 v[0:1], v[234:235], v[178:179]
	v_fma_f64 v[0:1], v[232:233], v[176:177], -v[0:1]
	ds_read_b128 v[176:179], v2 offset:1744
	v_add_f64 v[10:11], v[10:11], v[180:181]
	s_waitcnt vmcnt(3) lgkmcnt(1)
	v_mul_f64 v[180:181], v[172:173], v[90:91]
	v_fmac_f64_e32 v[180:181], v[174:175], v[88:89]
	v_add_f64 v[188:189], v[10:11], v[180:181]
	ds_read_b128 v[180:183], v2 offset:1760
	v_mul_f64 v[10:11], v[238:239], v[186:187]
	v_fma_f64 v[10:11], v[236:237], v[184:185], -v[10:11]
	ds_read_b128 v[184:187], v2 offset:1776
	s_waitcnt vmcnt(2) lgkmcnt(2)
	v_mul_f64 v[190:191], v[176:177], v[86:87]
	v_fmac_f64_e32 v[190:191], v[178:179], v[84:85]
	v_add_f64 v[188:189], v[188:189], v[190:191]
	s_waitcnt vmcnt(1) lgkmcnt(1)
	v_mul_f64 v[190:191], v[180:181], v[94:95]
	v_fmac_f64_e32 v[190:191], v[182:183], v[92:93]
	v_add_f64 v[188:189], v[188:189], v[190:191]
	;; [unrolled: 4-line block ×3, first 2 shown]
	scratch_load_dwordx4 v[188:191], off, off offset:864
	scratch_load_dwordx4 v[232:235], off, off offset:944
	ds_read_b128 v[192:195], v2 offset:1792
	ds_read_b128 v[200:203], v2 offset:1808
	;; [unrolled: 1-line block ×5, first 2 shown]
	s_waitcnt vmcnt(1) lgkmcnt(4)
	v_mul_f64 v[198:199], v[192:193], v[190:191]
	v_fmac_f64_e32 v[198:199], v[194:195], v[188:189]
	v_add_f64 v[204:205], v[196:197], v[198:199]
	scratch_load_dwordx4 v[196:199], off, off offset:880
	s_waitcnt vmcnt(0) lgkmcnt(3)
	v_mul_f64 v[206:207], v[200:201], v[198:199]
	v_fmac_f64_e32 v[206:207], v[202:203], v[196:197]
	v_add_f64 v[212:213], v[204:205], v[206:207]
	scratch_load_dwordx4 v[204:207], off, off offset:896
	s_waitcnt vmcnt(0) lgkmcnt(2)
	v_mul_f64 v[214:215], v[208:209], v[206:207]
	v_fmac_f64_e32 v[214:215], v[210:211], v[204:205]
	v_add_f64 v[220:221], v[212:213], v[214:215]
	scratch_load_dwordx4 v[212:215], off, off offset:912
	s_waitcnt vmcnt(0) lgkmcnt(1)
	v_mul_f64 v[222:223], v[216:217], v[214:215]
	v_fmac_f64_e32 v[222:223], v[218:219], v[212:213]
	v_add_f64 v[228:229], v[220:221], v[222:223]
	scratch_load_dwordx4 v[220:223], off, off offset:928
	s_waitcnt vmcnt(0) lgkmcnt(0)
	v_mul_f64 v[230:231], v[224:225], v[222:223]
	v_fmac_f64_e32 v[230:231], v[226:227], v[220:221]
	v_add_f64 v[236:237], v[228:229], v[230:231]
	ds_read_b128 v[228:231], v2 offset:1872
	s_waitcnt lgkmcnt(0)
	v_mul_f64 v[2:3], v[228:229], v[234:235]
	v_fmac_f64_e32 v[2:3], v[230:231], v[232:233]
	v_add_f64 v[2:3], v[236:237], v[2:3]
	v_add_f64 v[236:237], v[240:241], 0
	;; [unrolled: 1-line block ×11, first 2 shown]
	scratch_load_dwordx4 v[236:239], off, off offset:80
	v_add_f64 v[24:25], v[24:25], v[248:249]
	v_add_f64 v[20:21], v[24:25], v[20:21]
	;; [unrolled: 1-line block ×12, first 2 shown]
	v_accvgpr_read_b32 v6, a132
	v_accvgpr_read_b32 v8, a134
	;; [unrolled: 1-line block ×3, first 2 shown]
	v_add_f64 v[250:251], v[4:5], v[34:35]
	v_accvgpr_read_b32 v7, a133
	v_mul_f64 v[4:5], v[82:83], v[8:9]
	v_add_f64 v[0:1], v[250:251], v[0:1]
	v_fma_f64 v[4:5], v[80:81], v[6:7], -v[4:5]
	v_accvgpr_read_b32 v6, a136
	v_add_f64 v[0:1], v[0:1], v[10:11]
	v_accvgpr_read_b32 v8, a138
	v_accvgpr_read_b32 v9, a139
	v_add_f64 v[0:1], v[0:1], v[4:5]
	v_accvgpr_read_b32 v7, a137
	v_mul_f64 v[4:5], v[102:103], v[8:9]
	v_fma_f64 v[4:5], v[100:101], v[6:7], -v[4:5]
	v_accvgpr_read_b32 v6, a140
	v_accvgpr_read_b32 v8, a142
	v_accvgpr_read_b32 v9, a143
	v_add_f64 v[0:1], v[0:1], v[4:5]
	v_accvgpr_read_b32 v7, a141
	v_mul_f64 v[4:5], v[106:107], v[8:9]
	v_fma_f64 v[4:5], v[104:105], v[6:7], -v[4:5]
	v_accvgpr_read_b32 v6, a144
	;; [unrolled: 7-line block ×6, first 2 shown]
	v_accvgpr_read_b32 v8, a130
	v_accvgpr_read_b32 v9, a131
	v_add_f64 v[0:1], v[0:1], v[4:5]
	v_accvgpr_read_b32 v7, a129
	v_mul_f64 v[4:5], v[126:127], v[8:9]
	v_fma_f64 v[4:5], v[124:125], v[6:7], -v[4:5]
	v_add_f64 v[0:1], v[0:1], v[4:5]
	v_mul_f64 v[4:5], v[130:131], v[38:39]
	v_fma_f64 v[4:5], v[128:129], v[36:37], -v[4:5]
	v_add_f64 v[0:1], v[0:1], v[4:5]
	;; [unrolled: 3-line block ×22, first 2 shown]
	s_waitcnt vmcnt(0)
	v_add_f64 v[4:5], v[236:237], -v[0:1]
	v_accvgpr_read_b32 v0, a118
	v_add_f64 v[6:7], v[238:239], -v[2:3]
	v_cmp_lt_u32_e32 vcc, 3, v0
	scratch_store_dwordx4 off, v[4:7], off offset:80
	s_and_saveexec_b64 s[0:1], vcc
	s_cbranch_execz .LBB58_361
; %bb.360:
	scratch_load_dwordx4 v[2:5], off, s72
	v_mov_b32_e32 v6, 0
	v_mov_b32_e32 v7, v6
	;; [unrolled: 1-line block ×4, first 2 shown]
	v_accvgpr_read_b32 v0, a119
	scratch_store_dwordx4 off, v[6:9], off offset:64
	s_waitcnt vmcnt(1)
	ds_write_b128 v0, v[2:5]
.LBB58_361:
	s_or_b64 exec, exec, s[0:1]
	s_waitcnt lgkmcnt(0)
	; wave barrier
	scratch_load_dwordx4 v[16:19], off, off offset:80
	scratch_load_dwordx4 v[20:23], off, off offset:96
	;; [unrolled: 1-line block ×30, first 2 shown]
	v_mov_b32_e32 v2, 0
	ds_read_b128 v[84:87], v2 offset:1008
	ds_read_b128 v[96:99], v2 offset:1024
	;; [unrolled: 1-line block ×17, first 2 shown]
	scratch_load_dwordx4 a[120:123], off, off offset:560
	scratch_load_dwordx4 a[124:127], off, off offset:576
	;; [unrolled: 1-line block ×4, first 2 shown]
	ds_read_b128 v[228:231], v2 offset:1376
	ds_read_b128 v[236:239], v2 offset:1392
	scratch_load_dwordx4 a[136:139], off, off offset:624
	ds_read_b128 v[246:249], v2 offset:1408
	ds_read_b128 v[250:253], v2 offset:1424
	;; [unrolled: 1-line block ×3, first 2 shown]
	s_waitcnt vmcnt(34) lgkmcnt(14)
	v_mul_f64 v[0:1], v[84:85], v[18:19]
	s_waitcnt vmcnt(33)
	v_mul_f64 v[40:41], v[96:97], v[22:23]
	v_fmac_f64_e32 v[0:1], v[86:87], v[16:17]
	s_waitcnt vmcnt(32)
	v_mul_f64 v[42:43], v[104:105], v[26:27]
	v_fmac_f64_e32 v[40:41], v[98:99], v[20:21]
	v_add_f64 v[0:1], v[0:1], 0
	s_waitcnt vmcnt(31)
	v_mul_f64 v[48:49], v[108:109], v[30:31]
	v_fmac_f64_e32 v[42:43], v[106:107], v[24:25]
	v_add_f64 v[0:1], v[0:1], v[40:41]
	;; [unrolled: 4-line block ×6, first 2 shown]
	s_waitcnt vmcnt(26) lgkmcnt(13)
	v_mul_f64 v[206:207], v[140:141], v[62:63]
	v_fmac_f64_e32 v[204:205], v[126:127], v[52:53]
	v_add_f64 v[0:1], v[0:1], v[58:59]
	s_waitcnt vmcnt(25) lgkmcnt(12)
	v_mul_f64 v[208:209], v[152:153], v[66:67]
	v_fmac_f64_e32 v[206:207], v[142:143], v[60:61]
	v_add_f64 v[0:1], v[0:1], v[204:205]
	;; [unrolled: 4-line block ×6, first 2 shown]
	ds_read_b128 v[204:207], v2 offset:1280
	ds_read_b128 v[208:211], v2 offset:1296
	s_waitcnt vmcnt(20) lgkmcnt(9)
	v_mul_f64 v[218:219], v[192:193], v[90:91]
	v_fmac_f64_e32 v[216:217], v[190:191], v[80:81]
	v_add_f64 v[0:1], v[0:1], v[214:215]
	s_waitcnt vmcnt(19) lgkmcnt(8)
	v_mul_f64 v[220:221], v[196:197], v[94:95]
	v_fmac_f64_e32 v[218:219], v[194:195], v[88:89]
	v_add_f64 v[0:1], v[0:1], v[216:217]
	v_fmac_f64_e32 v[220:221], v[198:199], v[92:93]
	v_add_f64 v[0:1], v[0:1], v[218:219]
	s_waitcnt vmcnt(18) lgkmcnt(7)
	v_mul_f64 v[40:41], v[200:201], v[102:103]
	ds_read_b128 v[212:215], v2 offset:1312
	ds_read_b128 v[216:219], v2 offset:1328
	v_add_f64 v[0:1], v[0:1], v[220:221]
	v_fmac_f64_e32 v[40:41], v[202:203], v[100:101]
	v_add_f64 v[0:1], v[0:1], v[40:41]
	s_waitcnt vmcnt(17) lgkmcnt(3)
	v_mul_f64 v[40:41], v[204:205], v[130:131]
	v_fmac_f64_e32 v[40:41], v[206:207], v[128:129]
	ds_read_b128 v[220:223], v2 offset:1344
	v_add_f64 v[0:1], v[0:1], v[40:41]
	s_waitcnt vmcnt(16) lgkmcnt(3)
	v_mul_f64 v[40:41], v[208:209], v[134:135]
	v_fmac_f64_e32 v[40:41], v[210:211], v[132:133]
	s_waitcnt vmcnt(15) lgkmcnt(2)
	v_mul_f64 v[48:49], v[212:213], v[138:139]
	v_add_f64 v[0:1], v[0:1], v[40:41]
	v_fmac_f64_e32 v[48:49], v[214:215], v[136:137]
	s_waitcnt vmcnt(14) lgkmcnt(1)
	v_mul_f64 v[56:57], v[216:217], v[146:147]
	v_add_f64 v[0:1], v[0:1], v[48:49]
	v_fmac_f64_e32 v[56:57], v[218:219], v[144:145]
	v_add_f64 v[0:1], v[0:1], v[56:57]
	s_waitcnt vmcnt(13) lgkmcnt(0)
	v_mul_f64 v[56:57], v[220:221], v[150:151]
	v_fmac_f64_e32 v[56:57], v[222:223], v[148:149]
	v_add_f64 v[0:1], v[0:1], v[56:57]
	s_waitcnt vmcnt(12)
	v_mul_f64 v[56:57], v[224:225], v[158:159]
	v_fmac_f64_e32 v[56:57], v[226:227], v[156:157]
	s_waitcnt vmcnt(11)
	v_mul_f64 v[232:233], v[228:229], v[162:163]
	v_add_f64 v[0:1], v[0:1], v[56:57]
	v_fmac_f64_e32 v[232:233], v[230:231], v[160:161]
	v_add_f64 v[0:1], v[0:1], v[232:233]
	s_waitcnt vmcnt(10)
	v_mul_f64 v[232:233], v[236:237], v[170:171]
	v_mul_f64 v[18:19], v[86:87], v[18:19]
	v_fmac_f64_e32 v[232:233], v[238:239], v[168:169]
	v_fma_f64 v[240:241], v[84:85], v[16:17], -v[18:19]
	s_waitcnt vmcnt(9)
	v_mul_f64 v[84:85], v[246:247], v[174:175]
	v_add_f64 v[0:1], v[0:1], v[232:233]
	v_fmac_f64_e32 v[84:85], v[248:249], v[172:173]
	v_add_f64 v[0:1], v[0:1], v[84:85]
	ds_read_b128 v[84:87], v2 offset:1440
	scratch_load_dwordx4 v[56:59], off, off offset:640
	scratch_load_dwordx4 v[40:43], off, off offset:656
	;; [unrolled: 1-line block ×3, first 2 shown]
	v_mul_f64 v[30:31], v[110:111], v[30:31]
	v_mul_f64 v[22:23], v[98:99], v[22:23]
	v_mul_f64 v[26:27], v[106:107], v[26:27]
	v_fma_f64 v[254:255], v[108:109], v[28:29], -v[30:31]
	s_waitcnt vmcnt(11)
	v_mul_f64 v[28:29], v[250:251], v[182:183]
	v_fma_f64 v[242:243], v[96:97], v[20:21], -v[22:23]
	v_fma_f64 v[244:245], v[104:105], v[24:25], -v[26:27]
	v_fmac_f64_e32 v[28:29], v[252:253], v[180:181]
	ds_read_b128 v[104:107], v2 offset:1472
	s_waitcnt vmcnt(10) lgkmcnt(1)
	v_mul_f64 v[96:97], v[84:85], v[6:7]
	v_add_f64 v[0:1], v[0:1], v[28:29]
	v_fmac_f64_e32 v[96:97], v[86:87], v[4:5]
	v_add_f64 v[0:1], v[0:1], v[96:97]
	ds_read_b128 v[96:99], v2 offset:1456
	v_mul_f64 v[34:35], v[114:115], v[34:35]
	v_accvgpr_write_b32 a143, v7
	v_mul_f64 v[38:39], v[118:119], v[38:39]
	v_fma_f64 v[232:233], v[112:113], v[32:33], -v[34:35]
	v_accvgpr_write_b32 a142, v6
	v_accvgpr_write_b32 a141, v5
	;; [unrolled: 1-line block ×3, first 2 shown]
	v_fma_f64 v[32:33], v[116:117], v[36:37], -v[38:39]
	scratch_load_dwordx4 v[36:39], off, off offset:688
	v_mul_f64 v[6:7], v[122:123], v[46:47]
	v_mul_f64 v[46:47], v[126:127], v[54:55]
	v_fma_f64 v[28:29], v[120:121], v[44:45], -v[6:7]
	v_fma_f64 v[24:25], v[124:125], v[52:53], -v[46:47]
	scratch_load_dwordx4 v[52:55], off, off offset:704
	ds_read_b128 v[112:115], v2 offset:1504
	s_waitcnt vmcnt(11) lgkmcnt(1)
	v_mul_f64 v[44:45], v[96:97], v[10:11]
	v_fmac_f64_e32 v[44:45], v[98:99], v[8:9]
	v_add_f64 v[0:1], v[0:1], v[44:45]
	scratch_load_dwordx4 v[44:47], off, off offset:720
	s_waitcnt vmcnt(11)
	v_mov_b64_e32 v[4:5], v[12:13]
	v_mov_b64_e32 v[6:7], v[14:15]
	v_accvgpr_write_b32 a147, v11
	v_mul_f64 v[108:109], v[104:105], v[6:7]
	v_accvgpr_write_b32 a146, v10
	v_accvgpr_write_b32 a145, v9
	;; [unrolled: 1-line block ×3, first 2 shown]
	v_mul_f64 v[10:11], v[142:143], v[62:63]
	v_fmac_f64_e32 v[108:109], v[106:107], v[4:5]
	v_fma_f64 v[20:21], v[140:141], v[60:61], -v[10:11]
	scratch_load_dwordx4 v[60:63], off, off offset:736
	v_add_f64 v[0:1], v[0:1], v[108:109]
	ds_read_b128 v[108:111], v2 offset:1488
	v_mul_f64 v[66:67], v[154:155], v[66:67]
	v_fma_f64 v[16:17], v[152:153], v[64:65], -v[66:67]
	scratch_load_dwordx4 v[64:67], off, off offset:752
	s_waitcnt vmcnt(12)
	v_accvgpr_read_b32 v4, a120
	v_accvgpr_write_b32 a151, v15
	v_accvgpr_read_b32 v6, a122
	v_accvgpr_read_b32 v7, a123
	v_accvgpr_write_b32 a150, v14
	v_accvgpr_write_b32 a149, v13
	;; [unrolled: 1-line block ×3, first 2 shown]
	v_mul_f64 v[14:15], v[166:167], v[70:71]
	v_accvgpr_read_b32 v5, a121
	s_waitcnt lgkmcnt(0)
	v_mul_f64 v[116:117], v[108:109], v[6:7]
	v_fma_f64 v[14:15], v[164:165], v[68:69], -v[14:15]
	v_mul_f64 v[68:69], v[178:179], v[74:75]
	v_fmac_f64_e32 v[116:117], v[110:111], v[4:5]
	s_waitcnt vmcnt(11)
	v_accvgpr_read_b32 v4, a124
	v_fma_f64 v[12:13], v[176:177], v[72:73], -v[68:69]
	scratch_load_dwordx4 v[68:71], off, off offset:768
	v_accvgpr_read_b32 v6, a126
	v_accvgpr_read_b32 v7, a127
	;; [unrolled: 1-line block ×3, first 2 shown]
	v_mul_f64 v[18:19], v[112:113], v[6:7]
	v_add_f64 v[0:1], v[0:1], v[116:117]
	v_fmac_f64_e32 v[18:19], v[114:115], v[4:5]
	scratch_load_dwordx4 v[72:75], off, off offset:784
	v_add_f64 v[0:1], v[0:1], v[18:19]
	v_mul_f64 v[18:19], v[186:187], v[78:79]
	v_fma_f64 v[18:19], v[184:185], v[76:77], -v[18:19]
	ds_read_b128 v[116:119], v2 offset:1520
	v_mul_f64 v[76:77], v[190:191], v[82:83]
	v_fma_f64 v[184:185], v[188:189], v[80:81], -v[76:77]
	scratch_load_dwordx4 v[80:83], off, off offset:800
	scratch_load_dwordx4 v[76:79], off, off offset:816
	ds_read_b128 v[120:123], v2 offset:1536
	s_waitcnt vmcnt(14)
	v_accvgpr_read_b32 v4, a128
	v_mul_f64 v[90:91], v[194:195], v[90:91]
	v_accvgpr_read_b32 v6, a130
	v_accvgpr_read_b32 v7, a131
	v_fma_f64 v[186:187], v[192:193], v[88:89], -v[90:91]
	v_accvgpr_read_b32 v5, a129
	s_waitcnt lgkmcnt(1)
	v_mul_f64 v[88:89], v[116:117], v[6:7]
	v_fmac_f64_e32 v[88:89], v[118:119], v[4:5]
	s_waitcnt vmcnt(13)
	v_accvgpr_read_b32 v4, a132
	v_add_f64 v[0:1], v[0:1], v[88:89]
	v_mul_f64 v[88:89], v[198:199], v[94:95]
	v_mul_f64 v[22:23], v[202:203], v[102:103]
	v_accvgpr_read_b32 v6, a134
	v_accvgpr_read_b32 v7, a135
	v_fma_f64 v[10:11], v[196:197], v[92:93], -v[88:89]
	scratch_load_dwordx4 v[92:95], off, off offset:832
	scratch_load_dwordx4 v[88:91], off, off offset:848
	v_fma_f64 v[22:23], v[200:201], v[100:101], -v[22:23]
	v_accvgpr_read_b32 v5, a133
	s_waitcnt lgkmcnt(0)
	v_mul_f64 v[100:101], v[120:121], v[6:7]
	v_fmac_f64_e32 v[100:101], v[122:123], v[4:5]
	v_add_f64 v[0:1], v[0:1], v[100:101]
	v_mul_f64 v[100:101], v[206:207], v[130:131]
	v_fma_f64 v[8:9], v[204:205], v[128:129], -v[100:101]
	scratch_load_dwordx4 v[100:103], off, off offset:864
	ds_read_b128 v[124:127], v2 offset:1552
	ds_read_b128 v[128:131], v2 offset:1568
	s_waitcnt vmcnt(15)
	v_accvgpr_read_b32 v4, a136
	v_accvgpr_read_b32 v6, a138
	;; [unrolled: 1-line block ×4, first 2 shown]
	s_waitcnt lgkmcnt(1)
	v_mul_f64 v[26:27], v[124:125], v[6:7]
	v_fmac_f64_e32 v[26:27], v[126:127], v[4:5]
	v_add_f64 v[0:1], v[0:1], v[26:27]
	v_mul_f64 v[26:27], v[210:211], v[134:135]
	v_fma_f64 v[26:27], v[208:209], v[132:133], -v[26:27]
	ds_read_b128 v[132:135], v2 offset:1584
	v_mul_f64 v[138:139], v[214:215], v[138:139]
	v_fma_f64 v[6:7], v[212:213], v[136:137], -v[138:139]
	ds_read_b128 v[136:139], v2 offset:1600
	s_waitcnt vmcnt(14) lgkmcnt(2)
	v_mul_f64 v[140:141], v[128:129], v[58:59]
	v_fmac_f64_e32 v[140:141], v[130:131], v[56:57]
	s_waitcnt vmcnt(13) lgkmcnt(1)
	v_mul_f64 v[30:31], v[132:133], v[42:43]
	v_add_f64 v[0:1], v[0:1], v[140:141]
	v_fmac_f64_e32 v[30:31], v[134:135], v[40:41]
	v_add_f64 v[0:1], v[0:1], v[30:31]
	s_waitcnt vmcnt(12) lgkmcnt(0)
	v_mul_f64 v[30:31], v[136:137], v[50:51]
	v_fmac_f64_e32 v[30:31], v[138:139], v[48:49]
	ds_read_b128 v[140:143], v2 offset:1616
	v_add_f64 v[0:1], v[0:1], v[30:31]
	v_mul_f64 v[30:31], v[218:219], v[146:147]
	v_fma_f64 v[30:31], v[216:217], v[144:145], -v[30:31]
	ds_read_b128 v[144:147], v2 offset:1632
	v_mul_f64 v[150:151], v[222:223], v[150:151]
	v_fma_f64 v[4:5], v[220:221], v[148:149], -v[150:151]
	ds_read_b128 v[148:151], v2 offset:1648
	s_waitcnt vmcnt(11) lgkmcnt(2)
	v_mul_f64 v[152:153], v[140:141], v[38:39]
	v_fmac_f64_e32 v[152:153], v[142:143], v[36:37]
	s_waitcnt vmcnt(10) lgkmcnt(1)
	v_mul_f64 v[34:35], v[144:145], v[54:55]
	v_add_f64 v[0:1], v[0:1], v[152:153]
	v_fmac_f64_e32 v[34:35], v[146:147], v[52:53]
	v_add_f64 v[0:1], v[0:1], v[34:35]
	ds_read_b128 v[152:155], v2 offset:1664
	s_waitcnt vmcnt(9) lgkmcnt(1)
	v_mul_f64 v[34:35], v[148:149], v[46:47]
	v_fmac_f64_e32 v[34:35], v[150:151], v[44:45]
	v_add_f64 v[0:1], v[0:1], v[34:35]
	v_mul_f64 v[34:35], v[226:227], v[158:159]
	v_fma_f64 v[34:35], v[224:225], v[156:157], -v[34:35]
	ds_read_b128 v[156:159], v2 offset:1680
	s_waitcnt vmcnt(8) lgkmcnt(1)
	v_mul_f64 v[164:165], v[152:153], v[62:63]
	v_fmac_f64_e32 v[164:165], v[154:155], v[60:61]
	v_mul_f64 v[162:163], v[230:231], v[162:163]
	v_fma_f64 v[234:235], v[228:229], v[160:161], -v[162:163]
	ds_read_b128 v[160:163], v2 offset:1696
	v_add_f64 v[0:1], v[0:1], v[164:165]
	s_waitcnt vmcnt(7) lgkmcnt(1)
	v_mul_f64 v[164:165], v[156:157], v[66:67]
	v_fmac_f64_e32 v[164:165], v[158:159], v[64:65]
	v_add_f64 v[0:1], v[0:1], v[164:165]
	ds_read_b128 v[164:167], v2 offset:1712
	v_mul_f64 v[170:171], v[238:239], v[170:171]
	v_fma_f64 v[236:237], v[236:237], v[168:169], -v[170:171]
	ds_read_b128 v[168:171], v2 offset:1728
	s_waitcnt vmcnt(6) lgkmcnt(2)
	v_mul_f64 v[176:177], v[160:161], v[70:71]
	v_fmac_f64_e32 v[176:177], v[162:163], v[68:69]
	v_add_f64 v[0:1], v[0:1], v[176:177]
	s_waitcnt vmcnt(5) lgkmcnt(1)
	v_mul_f64 v[176:177], v[164:165], v[74:75]
	v_fmac_f64_e32 v[176:177], v[166:167], v[72:73]
	v_mul_f64 v[174:175], v[248:249], v[174:175]
	v_add_f64 v[0:1], v[0:1], v[176:177]
	v_fma_f64 v[238:239], v[246:247], v[172:173], -v[174:175]
	ds_read_b128 v[172:175], v2 offset:1744
	s_waitcnt vmcnt(4) lgkmcnt(1)
	v_mul_f64 v[176:177], v[168:169], v[82:83]
	v_fmac_f64_e32 v[176:177], v[170:171], v[80:81]
	v_add_f64 v[0:1], v[0:1], v[176:177]
	ds_read_b128 v[176:179], v2 offset:1760
	v_mul_f64 v[182:183], v[252:253], v[182:183]
	v_fma_f64 v[246:247], v[250:251], v[180:181], -v[182:183]
	ds_read_b128 v[180:183], v2 offset:1776
	ds_read_b128 v[250:253], v2 offset:1792
	s_waitcnt vmcnt(3) lgkmcnt(3)
	v_mul_f64 v[188:189], v[172:173], v[78:79]
	v_fmac_f64_e32 v[188:189], v[174:175], v[76:77]
	v_add_f64 v[0:1], v[0:1], v[188:189]
	s_waitcnt vmcnt(2) lgkmcnt(2)
	v_mul_f64 v[188:189], v[176:177], v[94:95]
	v_fmac_f64_e32 v[188:189], v[178:179], v[92:93]
	v_add_f64 v[0:1], v[0:1], v[188:189]
	;; [unrolled: 4-line block ×4, first 2 shown]
	scratch_load_dwordx4 v[188:191], off, off offset:880
	ds_read_b128 v[192:195], v2 offset:1808
	ds_read_b128 v[200:203], v2 offset:1824
	;; [unrolled: 1-line block ×5, first 2 shown]
	s_waitcnt vmcnt(0) lgkmcnt(4)
	v_mul_f64 v[196:197], v[192:193], v[190:191]
	v_fmac_f64_e32 v[196:197], v[194:195], v[188:189]
	v_add_f64 v[0:1], v[0:1], v[196:197]
	scratch_load_dwordx4 v[196:199], off, off offset:896
	s_waitcnt vmcnt(0) lgkmcnt(3)
	v_mul_f64 v[204:205], v[200:201], v[198:199]
	v_fmac_f64_e32 v[204:205], v[202:203], v[196:197]
	v_add_f64 v[0:1], v[0:1], v[204:205]
	scratch_load_dwordx4 v[204:207], off, off offset:912
	;; [unrolled: 5-line block ×4, first 2 shown]
	s_waitcnt vmcnt(0) lgkmcnt(0)
	v_mul_f64 v[228:229], v[224:225], v[222:223]
	v_fmac_f64_e32 v[228:229], v[226:227], v[220:221]
	v_add_f64 v[0:1], v[0:1], v[228:229]
	v_add_f64 v[228:229], v[240:241], 0
	v_add_f64 v[228:229], v[228:229], v[242:243]
	v_add_f64 v[228:229], v[228:229], v[244:245]
	v_add_f64 v[228:229], v[228:229], v[254:255]
	v_add_f64 v[228:229], v[228:229], v[232:233]
	v_add_f64 v[32:33], v[228:229], v[32:33]
	v_add_f64 v[28:29], v[32:33], v[28:29]
	v_add_f64 v[24:25], v[28:29], v[24:25]
	scratch_load_dwordx4 v[228:231], off, off offset:64
	v_add_f64 v[20:21], v[24:25], v[20:21]
	v_add_f64 v[16:17], v[20:21], v[16:17]
	v_add_f64 v[14:15], v[16:17], v[14:15]
	v_add_f64 v[12:13], v[14:15], v[12:13]
	v_add_f64 v[12:13], v[12:13], v[18:19]
	v_add_f64 v[12:13], v[12:13], v[184:185]
	v_add_f64 v[12:13], v[12:13], v[186:187]
	v_add_f64 v[10:11], v[12:13], v[10:11]
	v_add_f64 v[10:11], v[10:11], v[22:23]
	v_add_f64 v[8:9], v[10:11], v[8:9]
	v_add_f64 v[8:9], v[8:9], v[26:27]
	v_add_f64 v[6:7], v[8:9], v[6:7]
	v_add_f64 v[6:7], v[6:7], v[30:31]
	v_add_f64 v[4:5], v[6:7], v[4:5]
	v_add_f64 v[248:249], v[4:5], v[34:35]
	v_accvgpr_read_b32 v8, a140
	v_add_f64 v[4:5], v[248:249], v[234:235]
	v_accvgpr_read_b32 v10, a142
	v_accvgpr_read_b32 v11, a143
	v_add_f64 v[4:5], v[4:5], v[236:237]
	v_accvgpr_read_b32 v9, a141
	v_mul_f64 v[6:7], v[86:87], v[10:11]
	v_add_f64 v[4:5], v[4:5], v[238:239]
	v_fma_f64 v[6:7], v[84:85], v[8:9], -v[6:7]
	v_accvgpr_read_b32 v8, a144
	v_add_f64 v[4:5], v[4:5], v[246:247]
	v_accvgpr_read_b32 v10, a146
	v_accvgpr_read_b32 v11, a147
	v_add_f64 v[4:5], v[4:5], v[6:7]
	v_accvgpr_read_b32 v9, a145
	v_mul_f64 v[6:7], v[98:99], v[10:11]
	v_fma_f64 v[6:7], v[96:97], v[8:9], -v[6:7]
	v_accvgpr_read_b32 v8, a148
	v_accvgpr_read_b32 v10, a150
	v_accvgpr_read_b32 v11, a151
	v_add_f64 v[4:5], v[4:5], v[6:7]
	v_accvgpr_read_b32 v9, a149
	v_mul_f64 v[6:7], v[106:107], v[10:11]
	v_fma_f64 v[6:7], v[104:105], v[8:9], -v[6:7]
	v_accvgpr_read_b32 v8, a120
	;; [unrolled: 7-line block ×6, first 2 shown]
	v_accvgpr_read_b32 v10, a138
	v_accvgpr_read_b32 v11, a139
	v_add_f64 v[4:5], v[4:5], v[6:7]
	v_accvgpr_read_b32 v9, a137
	v_mul_f64 v[6:7], v[126:127], v[10:11]
	v_fma_f64 v[6:7], v[124:125], v[8:9], -v[6:7]
	v_add_f64 v[4:5], v[4:5], v[6:7]
	v_mul_f64 v[6:7], v[130:131], v[58:59]
	v_fma_f64 v[6:7], v[128:129], v[56:57], -v[6:7]
	v_add_f64 v[4:5], v[4:5], v[6:7]
	;; [unrolled: 3-line block ×21, first 2 shown]
	s_waitcnt vmcnt(0)
	v_add_f64 v[6:7], v[230:231], -v[0:1]
	v_accvgpr_read_b32 v0, a118
	v_add_f64 v[4:5], v[228:229], -v[4:5]
	v_cmp_lt_u32_e32 vcc, 2, v0
	scratch_store_dwordx4 off, v[4:7], off offset:64
	s_and_saveexec_b64 s[0:1], vcc
	s_cbranch_execz .LBB58_363
; %bb.362:
	scratch_load_dwordx4 v[6:9], off, s73
	v_mov_b32_e32 v3, v2
	v_mov_b32_e32 v4, v2
	;; [unrolled: 1-line block ×3, first 2 shown]
	v_accvgpr_read_b32 v0, a119
	scratch_store_dwordx4 off, v[2:5], off offset:48
	s_waitcnt vmcnt(1)
	ds_write_b128 v0, v[6:9]
.LBB58_363:
	s_or_b64 exec, exec, s[0:1]
	s_waitcnt lgkmcnt(0)
	; wave barrier
	scratch_load_dwordx4 v[16:19], off, off offset:64
	scratch_load_dwordx4 v[20:23], off, off offset:80
	;; [unrolled: 1-line block ×17, first 2 shown]
	ds_read_b128 v[112:115], v2 offset:992
	ds_read_b128 v[96:99], v2 offset:1008
	ds_read_b128 v[84:87], v2 offset:1024
	scratch_load_dwordx4 v[120:123], off, off offset:336
	ds_read_b128 v[184:187], v2 offset:1040
	ds_read_b128 v[140:143], v2 offset:1056
	ds_read_b128 v[104:107], v2 offset:1072
	scratch_load_dwordx4 v[132:135], off, off offset:352
	;; [unrolled: 4-line block ×3, first 2 shown]
	ds_read_b128 v[200:203], v2 offset:1136
	ds_read_b128 v[192:195], v2 offset:1152
	;; [unrolled: 1-line block ×5, first 2 shown]
	scratch_load_dwordx4 v[144:147], off, off offset:384
	ds_read_b128 v[180:183], v2 offset:1216
	ds_read_b128 v[152:155], v2 offset:1232
	ds_read_b128 v[128:131], v2 offset:1248
	scratch_load_dwordx4 v[148:151], off, off offset:400
	scratch_load_dwordx4 v[156:159], off, off offset:416
	;; [unrolled: 1-line block ×13, first 2 shown]
	ds_read_b128 v[204:207], v2 offset:1264
	scratch_load_dwordx4 a[136:139], off, off offset:608
	scratch_load_dwordx4 a[140:143], off, off offset:624
	ds_read_b128 v[228:231], v2 offset:1360
	ds_read_b128 v[232:235], v2 offset:1376
	;; [unrolled: 1-line block ×4, first 2 shown]
	s_waitcnt vmcnt(35) lgkmcnt(14)
	v_mul_f64 v[0:1], v[112:113], v[18:19]
	s_waitcnt vmcnt(34)
	v_mul_f64 v[48:49], v[96:97], v[22:23]
	v_fmac_f64_e32 v[0:1], v[114:115], v[16:17]
	s_waitcnt vmcnt(33)
	v_mul_f64 v[50:51], v[84:85], v[26:27]
	v_fmac_f64_e32 v[48:49], v[98:99], v[20:21]
	v_add_f64 v[0:1], v[0:1], 0
	s_waitcnt vmcnt(32)
	v_mul_f64 v[56:57], v[184:185], v[30:31]
	v_fmac_f64_e32 v[50:51], v[86:87], v[24:25]
	v_add_f64 v[0:1], v[0:1], v[48:49]
	;; [unrolled: 4-line block ×6, first 2 shown]
	s_waitcnt vmcnt(27) lgkmcnt(13)
	v_mul_f64 v[210:211], v[108:109], v[54:55]
	v_fmac_f64_e32 v[208:209], v[166:167], v[44:45]
	v_add_f64 v[0:1], v[0:1], v[66:67]
	s_waitcnt vmcnt(26) lgkmcnt(12)
	v_mul_f64 v[212:213], v[200:201], v[62:63]
	v_fmac_f64_e32 v[210:211], v[110:111], v[52:53]
	v_add_f64 v[0:1], v[0:1], v[208:209]
	;; [unrolled: 4-line block ×8, first 2 shown]
	ds_read_b128 v[208:211], v2 offset:1280
	v_fmac_f64_e32 v[224:225], v[154:155], v[92:93]
	v_add_f64 v[0:1], v[0:1], v[222:223]
	s_waitcnt vmcnt(19) lgkmcnt(6)
	v_mul_f64 v[48:49], v[128:129], v[102:103]
	ds_read_b128 v[212:215], v2 offset:1296
	ds_read_b128 v[216:219], v2 offset:1312
	v_add_f64 v[0:1], v[0:1], v[224:225]
	v_fmac_f64_e32 v[48:49], v[130:131], v[100:101]
	v_add_f64 v[0:1], v[0:1], v[48:49]
	s_waitcnt vmcnt(18) lgkmcnt(7)
	v_mul_f64 v[48:49], v[204:205], v[122:123]
	v_fmac_f64_e32 v[48:49], v[206:207], v[120:121]
	ds_read_b128 v[220:223], v2 offset:1328
	ds_read_b128 v[224:227], v2 offset:1344
	v_add_f64 v[0:1], v[0:1], v[48:49]
	s_waitcnt vmcnt(17) lgkmcnt(4)
	v_mul_f64 v[48:49], v[208:209], v[134:135]
	v_fmac_f64_e32 v[48:49], v[210:211], v[132:133]
	s_waitcnt vmcnt(16) lgkmcnt(3)
	v_mul_f64 v[56:57], v[212:213], v[138:139]
	v_add_f64 v[0:1], v[0:1], v[48:49]
	v_fmac_f64_e32 v[56:57], v[214:215], v[136:137]
	s_waitcnt vmcnt(15) lgkmcnt(2)
	v_mul_f64 v[64:65], v[216:217], v[146:147]
	v_add_f64 v[0:1], v[0:1], v[56:57]
	v_fmac_f64_e32 v[64:65], v[218:219], v[144:145]
	v_add_f64 v[0:1], v[0:1], v[64:65]
	s_waitcnt vmcnt(14) lgkmcnt(1)
	v_mul_f64 v[64:65], v[220:221], v[150:151]
	v_fmac_f64_e32 v[64:65], v[222:223], v[148:149]
	v_add_f64 v[0:1], v[0:1], v[64:65]
	s_waitcnt vmcnt(13) lgkmcnt(0)
	v_mul_f64 v[64:65], v[224:225], v[158:159]
	v_fmac_f64_e32 v[64:65], v[226:227], v[156:157]
	v_mul_f64 v[30:31], v[186:187], v[30:31]
	v_add_f64 v[0:1], v[0:1], v[64:65]
	v_fma_f64 v[252:253], v[184:185], v[28:29], -v[30:31]
	scratch_load_dwordx4 v[64:67], off, off offset:640
	scratch_load_dwordx4 v[184:187], off, off offset:656
	s_waitcnt vmcnt(14)
	v_mul_f64 v[240:241], v[228:229], v[162:163]
	v_mul_f64 v[26:27], v[86:87], v[26:27]
	v_fmac_f64_e32 v[240:241], v[230:231], v[160:161]
	v_fma_f64 v[244:245], v[84:85], v[24:25], -v[26:27]
	ds_read_b128 v[84:87], v2 offset:1424
	v_add_f64 v[0:1], v[0:1], v[240:241]
	s_waitcnt vmcnt(13)
	v_mul_f64 v[240:241], v[232:233], v[170:171]
	v_fmac_f64_e32 v[240:241], v[234:235], v[168:169]
	v_mul_f64 v[18:19], v[114:115], v[18:19]
	v_add_f64 v[0:1], v[0:1], v[240:241]
	v_fma_f64 v[240:241], v[112:113], v[16:17], -v[18:19]
	s_waitcnt vmcnt(12)
	v_mul_f64 v[112:113], v[236:237], v[174:175]
	v_fmac_f64_e32 v[112:113], v[238:239], v[172:173]
	v_mul_f64 v[22:23], v[98:99], v[22:23]
	s_waitcnt vmcnt(11)
	v_mul_f64 v[28:29], v[248:249], v[198:199]
	v_mul_f64 v[38:39], v[106:107], v[38:39]
	v_add_f64 v[0:1], v[0:1], v[112:113]
	v_fma_f64 v[242:243], v[96:97], v[20:21], -v[22:23]
	v_fmac_f64_e32 v[28:29], v[250:251], v[196:197]
	v_fma_f64 v[246:247], v[104:105], v[36:37], -v[38:39]
	ds_read_b128 v[104:107], v2 offset:1456
	s_waitcnt vmcnt(10) lgkmcnt(1)
	v_mul_f64 v[96:97], v[84:85], v[6:7]
	v_add_f64 v[0:1], v[0:1], v[28:29]
	v_fmac_f64_e32 v[96:97], v[86:87], v[4:5]
	scratch_load_dwordx4 v[56:59], off, off offset:672
	v_mul_f64 v[42:43], v[190:191], v[42:43]
	v_add_f64 v[0:1], v[0:1], v[96:97]
	ds_read_b128 v[96:99], v2 offset:1440
	ds_read_b128 v[112:115], v2 offset:1488
	v_fma_f64 v[42:43], v[188:189], v[40:41], -v[42:43]
	v_mul_f64 v[40:41], v[166:167], v[46:47]
	v_fma_f64 v[36:37], v[164:165], v[44:45], -v[40:41]
	scratch_load_dwordx4 v[44:47], off, off offset:688
	v_accvgpr_write_b32 a147, v7
	v_accvgpr_write_b32 a146, v6
	;; [unrolled: 1-line block ×4, first 2 shown]
	s_waitcnt vmcnt(11) lgkmcnt(1)
	v_mul_f64 v[6:7], v[96:97], v[10:11]
	v_fmac_f64_e32 v[6:7], v[98:99], v[8:9]
	v_accvgpr_write_b32 a151, v11
	v_mul_f64 v[34:35], v[142:143], v[34:35]
	v_accvgpr_write_b32 a150, v10
	v_accvgpr_write_b32 a149, v9
	;; [unrolled: 1-line block ×3, first 2 shown]
	v_add_f64 v[0:1], v[0:1], v[6:7]
	scratch_load_dwordx4 v[48:51], off, off offset:704
	v_mul_f64 v[6:7], v[110:111], v[54:55]
	s_waitcnt vmcnt(11)
	v_mul_f64 v[10:11], v[104:105], v[14:15]
	v_fma_f64 v[254:255], v[140:141], v[32:33], -v[34:35]
	v_fma_f64 v[32:33], v[108:109], v[52:53], -v[6:7]
	v_fmac_f64_e32 v[10:11], v[106:107], v[12:13]
	scratch_load_dwordx4 v[52:55], off, off offset:720
	v_add_f64 v[0:1], v[0:1], v[10:11]
	v_mul_f64 v[10:11], v[202:203], v[62:63]
	ds_read_b128 v[108:111], v2 offset:1472
	v_fma_f64 v[28:29], v[200:201], v[60:61], -v[10:11]
	scratch_load_dwordx4 v[60:63], off, off offset:736
	v_mul_f64 v[70:71], v[194:195], v[70:71]
	v_fma_f64 v[24:25], v[192:193], v[68:69], -v[70:71]
	v_mul_f64 v[68:69], v[178:179], v[74:75]
	s_waitcnt vmcnt(12)
	v_accvgpr_read_b32 v4, a120
	v_fma_f64 v[20:21], v[176:177], v[72:73], -v[68:69]
	scratch_load_dwordx4 v[68:71], off, off offset:752
	v_accvgpr_write_b32 a155, v15
	v_accvgpr_read_b32 v6, a122
	v_accvgpr_read_b32 v7, a123
	v_accvgpr_write_b32 a154, v14
	v_accvgpr_write_b32 a153, v13
	v_accvgpr_write_b32 a152, v12
	v_accvgpr_read_b32 v5, a121
	s_waitcnt lgkmcnt(0)
	v_mul_f64 v[14:15], v[108:109], v[6:7]
	v_fmac_f64_e32 v[14:15], v[110:111], v[4:5]
	s_waitcnt vmcnt(12)
	v_accvgpr_read_b32 v4, a124
	v_accvgpr_read_b32 v6, a126
	;; [unrolled: 1-line block ×3, first 2 shown]
	v_add_f64 v[0:1], v[0:1], v[14:15]
	v_accvgpr_read_b32 v5, a125
	v_mul_f64 v[14:15], v[112:113], v[6:7]
	scratch_load_dwordx4 v[72:75], off, off offset:768
	v_fmac_f64_e32 v[14:15], v[114:115], v[4:5]
	v_add_f64 v[0:1], v[0:1], v[14:15]
	v_mul_f64 v[14:15], v[118:119], v[78:79]
	v_fma_f64 v[16:17], v[116:117], v[76:77], -v[14:15]
	ds_read_b128 v[116:119], v2 offset:1504
	v_mul_f64 v[18:19], v[126:127], v[82:83]
	v_fma_f64 v[18:19], v[124:125], v[80:81], -v[18:19]
	scratch_load_dwordx4 v[80:83], off, off offset:784
	scratch_load_dwordx4 v[76:79], off, off offset:800
	s_waitcnt vmcnt(14)
	v_accvgpr_read_b32 v4, a128
	v_accvgpr_read_b32 v6, a130
	;; [unrolled: 1-line block ×4, first 2 shown]
	s_waitcnt lgkmcnt(0)
	v_mul_f64 v[22:23], v[116:117], v[6:7]
	v_fmac_f64_e32 v[22:23], v[118:119], v[4:5]
	v_mul_f64 v[90:91], v[182:183], v[90:91]
	v_add_f64 v[0:1], v[0:1], v[22:23]
	v_mul_f64 v[22:23], v[154:155], v[94:95]
	v_fma_f64 v[14:15], v[180:181], v[88:89], -v[90:91]
	ds_read_b128 v[124:127], v2 offset:1520
	v_fma_f64 v[22:23], v[152:153], v[92:93], -v[22:23]
	scratch_load_dwordx4 v[92:95], off, off offset:816
	scratch_load_dwordx4 v[88:91], off, off offset:832
	v_mul_f64 v[102:103], v[130:131], v[102:103]
	v_fma_f64 v[12:13], v[128:129], v[100:101], -v[102:103]
	scratch_load_dwordx4 v[100:103], off, off offset:848
	s_waitcnt vmcnt(16)
	v_accvgpr_read_b32 v4, a132
	v_accvgpr_read_b32 v6, a134
	;; [unrolled: 1-line block ×3, first 2 shown]
	ds_read_b128 v[128:131], v2 offset:1536
	v_accvgpr_read_b32 v5, a133
	s_waitcnt lgkmcnt(1)
	v_mul_f64 v[26:27], v[124:125], v[6:7]
	v_fmac_f64_e32 v[26:27], v[126:127], v[4:5]
	v_add_f64 v[0:1], v[0:1], v[26:27]
	v_mul_f64 v[26:27], v[206:207], v[122:123]
	v_fma_f64 v[26:27], v[204:205], v[120:121], -v[26:27]
	ds_read_b128 v[120:123], v2 offset:1552
	s_waitcnt vmcnt(15)
	v_accvgpr_read_b32 v4, a136
	v_accvgpr_read_b32 v6, a138
	;; [unrolled: 1-line block ×3, first 2 shown]
	v_mul_f64 v[134:135], v[210:211], v[134:135]
	v_accvgpr_read_b32 v5, a137
	s_waitcnt lgkmcnt(1)
	v_mul_f64 v[140:141], v[128:129], v[6:7]
	v_fma_f64 v[10:11], v[208:209], v[132:133], -v[134:135]
	ds_read_b128 v[132:135], v2 offset:1568
	v_fmac_f64_e32 v[140:141], v[130:131], v[4:5]
	s_waitcnt vmcnt(14)
	v_accvgpr_read_b32 v4, a140
	v_mul_f64 v[138:139], v[214:215], v[138:139]
	v_accvgpr_read_b32 v6, a142
	v_accvgpr_read_b32 v7, a143
	v_fma_f64 v[8:9], v[212:213], v[136:137], -v[138:139]
	ds_read_b128 v[136:139], v2 offset:1584
	v_accvgpr_read_b32 v5, a141
	s_waitcnt lgkmcnt(2)
	v_mul_f64 v[30:31], v[120:121], v[6:7]
	v_add_f64 v[0:1], v[0:1], v[140:141]
	v_fmac_f64_e32 v[30:31], v[122:123], v[4:5]
	v_add_f64 v[0:1], v[0:1], v[30:31]
	s_waitcnt vmcnt(13) lgkmcnt(1)
	v_mul_f64 v[30:31], v[132:133], v[66:67]
	s_waitcnt vmcnt(12)
	v_mov_b64_e32 v[4:5], v[184:185]
	v_fmac_f64_e32 v[30:31], v[134:135], v[64:65]
	v_mov_b64_e32 v[6:7], v[186:187]
	v_add_f64 v[0:1], v[0:1], v[30:31]
	s_waitcnt lgkmcnt(0)
	v_mul_f64 v[30:31], v[136:137], v[6:7]
	v_fmac_f64_e32 v[30:31], v[138:139], v[4:5]
	ds_read_b128 v[140:143], v2 offset:1600
	v_add_f64 v[0:1], v[0:1], v[30:31]
	v_mul_f64 v[30:31], v[218:219], v[146:147]
	v_fma_f64 v[30:31], v[216:217], v[144:145], -v[30:31]
	ds_read_b128 v[144:147], v2 offset:1616
	s_waitcnt vmcnt(11) lgkmcnt(1)
	v_mul_f64 v[34:35], v[140:141], v[58:59]
	v_fmac_f64_e32 v[34:35], v[142:143], v[56:57]
	v_add_f64 v[0:1], v[0:1], v[34:35]
	v_mul_f64 v[34:35], v[222:223], v[150:151]
	s_waitcnt vmcnt(10) lgkmcnt(0)
	v_mul_f64 v[152:153], v[144:145], v[46:47]
	v_fma_f64 v[34:35], v[220:221], v[148:149], -v[34:35]
	ds_read_b128 v[148:151], v2 offset:1632
	v_fmac_f64_e32 v[152:153], v[146:147], v[44:45]
	v_add_f64 v[0:1], v[0:1], v[152:153]
	ds_read_b128 v[152:155], v2 offset:1648
	v_mul_f64 v[158:159], v[226:227], v[158:159]
	v_fma_f64 v[6:7], v[224:225], v[156:157], -v[158:159]
	ds_read_b128 v[156:159], v2 offset:1664
	v_mul_f64 v[162:163], v[230:231], v[162:163]
	s_waitcnt vmcnt(9) lgkmcnt(2)
	v_mul_f64 v[164:165], v[148:149], v[50:51]
	v_fma_f64 v[4:5], v[228:229], v[160:161], -v[162:163]
	ds_read_b128 v[160:163], v2 offset:1680
	v_fmac_f64_e32 v[164:165], v[150:151], v[48:49]
	s_waitcnt vmcnt(8) lgkmcnt(2)
	v_mul_f64 v[38:39], v[152:153], v[54:55]
	v_add_f64 v[0:1], v[0:1], v[164:165]
	v_fmac_f64_e32 v[38:39], v[154:155], v[52:53]
	v_add_f64 v[0:1], v[0:1], v[38:39]
	s_waitcnt vmcnt(7) lgkmcnt(1)
	v_mul_f64 v[38:39], v[156:157], v[62:63]
	v_fmac_f64_e32 v[38:39], v[158:159], v[60:61]
	v_add_f64 v[0:1], v[0:1], v[38:39]
	s_waitcnt vmcnt(6) lgkmcnt(0)
	v_mul_f64 v[38:39], v[160:161], v[70:71]
	ds_read_b128 v[164:167], v2 offset:1696
	v_fmac_f64_e32 v[38:39], v[162:163], v[68:69]
	v_add_f64 v[0:1], v[0:1], v[38:39]
	v_mul_f64 v[38:39], v[234:235], v[170:171]
	v_fma_f64 v[38:39], v[232:233], v[168:169], -v[38:39]
	ds_read_b128 v[168:171], v2 offset:1712
	s_waitcnt vmcnt(5) lgkmcnt(1)
	v_mul_f64 v[40:41], v[164:165], v[74:75]
	v_fmac_f64_e32 v[40:41], v[166:167], v[72:73]
	v_add_f64 v[40:41], v[0:1], v[40:41]
	v_mul_f64 v[0:1], v[238:239], v[174:175]
	v_fma_f64 v[0:1], v[236:237], v[172:173], -v[0:1]
	ds_read_b128 v[172:175], v2 offset:1728
	s_waitcnt vmcnt(4) lgkmcnt(1)
	v_mul_f64 v[176:177], v[168:169], v[82:83]
	v_fmac_f64_e32 v[176:177], v[170:171], v[80:81]
	v_add_f64 v[40:41], v[40:41], v[176:177]
	ds_read_b128 v[176:179], v2 offset:1744
	v_mul_f64 v[180:181], v[250:251], v[198:199]
	v_accvgpr_write_b32 a156, v184
	v_fma_f64 v[248:249], v[248:249], v[196:197], -v[180:181]
	ds_read_b128 v[180:183], v2 offset:1760
	ds_read_b128 v[192:195], v2 offset:1792
	v_accvgpr_write_b32 a157, v185
	v_accvgpr_write_b32 a158, v186
	;; [unrolled: 1-line block ×3, first 2 shown]
	s_waitcnt vmcnt(3) lgkmcnt(3)
	v_mul_f64 v[184:185], v[172:173], v[78:79]
	v_fmac_f64_e32 v[184:185], v[174:175], v[76:77]
	v_add_f64 v[40:41], v[40:41], v[184:185]
	s_waitcnt vmcnt(2) lgkmcnt(2)
	v_mul_f64 v[184:185], v[176:177], v[94:95]
	v_fmac_f64_e32 v[184:185], v[178:179], v[92:93]
	v_add_f64 v[40:41], v[40:41], v[184:185]
	;; [unrolled: 4-line block ×3, first 2 shown]
	ds_read_b128 v[184:187], v2 offset:1776
	ds_read_b128 v[200:203], v2 offset:1808
	scratch_load_dwordx4 v[236:239], off, off offset:48
	scratch_load_dwordx4 v[232:235], off, off offset:944
	ds_read_b128 v[208:211], v2 offset:1824
	ds_read_b128 v[216:219], v2 offset:1840
	s_waitcnt vmcnt(2) lgkmcnt(3)
	v_mul_f64 v[188:189], v[184:185], v[102:103]
	v_fmac_f64_e32 v[188:189], v[186:187], v[100:101]
	v_add_f64 v[40:41], v[40:41], v[188:189]
	scratch_load_dwordx4 v[188:191], off, off offset:864
	ds_read_b128 v[224:227], v2 offset:1856
	s_waitcnt vmcnt(0)
	v_mul_f64 v[196:197], v[192:193], v[190:191]
	v_fmac_f64_e32 v[196:197], v[194:195], v[188:189]
	v_add_f64 v[40:41], v[40:41], v[196:197]
	scratch_load_dwordx4 v[196:199], off, off offset:880
	s_waitcnt vmcnt(0) lgkmcnt(3)
	v_mul_f64 v[204:205], v[200:201], v[198:199]
	v_fmac_f64_e32 v[204:205], v[202:203], v[196:197]
	v_add_f64 v[40:41], v[40:41], v[204:205]
	scratch_load_dwordx4 v[204:207], off, off offset:896
	s_waitcnt vmcnt(0) lgkmcnt(2)
	;; [unrolled: 5-line block ×4, first 2 shown]
	v_mul_f64 v[228:229], v[224:225], v[222:223]
	v_fmac_f64_e32 v[228:229], v[226:227], v[220:221]
	v_add_f64 v[40:41], v[40:41], v[228:229]
	ds_read_b128 v[228:231], v2 offset:1872
	s_waitcnt lgkmcnt(0)
	v_mul_f64 v[2:3], v[228:229], v[234:235]
	v_fmac_f64_e32 v[2:3], v[230:231], v[232:233]
	v_add_f64 v[2:3], v[40:41], v[2:3]
	v_add_f64 v[40:41], v[240:241], 0
	;; [unrolled: 1-line block ×25, first 2 shown]
	v_accvgpr_read_b32 v6, a144
	v_accvgpr_read_b32 v8, a146
	v_accvgpr_read_b32 v9, a147
	v_add_f64 v[250:251], v[4:5], v[38:39]
	v_accvgpr_read_b32 v7, a145
	v_mul_f64 v[4:5], v[86:87], v[8:9]
	v_add_f64 v[0:1], v[250:251], v[0:1]
	v_fma_f64 v[4:5], v[84:85], v[6:7], -v[4:5]
	v_accvgpr_read_b32 v6, a148
	v_add_f64 v[0:1], v[0:1], v[248:249]
	v_accvgpr_read_b32 v8, a150
	v_accvgpr_read_b32 v9, a151
	v_add_f64 v[0:1], v[0:1], v[4:5]
	v_accvgpr_read_b32 v7, a149
	v_mul_f64 v[4:5], v[98:99], v[8:9]
	v_fma_f64 v[4:5], v[96:97], v[6:7], -v[4:5]
	v_accvgpr_read_b32 v6, a152
	v_accvgpr_read_b32 v8, a154
	v_accvgpr_read_b32 v9, a155
	v_add_f64 v[0:1], v[0:1], v[4:5]
	v_accvgpr_read_b32 v7, a153
	v_mul_f64 v[4:5], v[106:107], v[8:9]
	v_fma_f64 v[4:5], v[104:105], v[6:7], -v[4:5]
	v_accvgpr_read_b32 v6, a120
	;; [unrolled: 7-line block ×7, first 2 shown]
	v_accvgpr_read_b32 v8, a142
	v_accvgpr_read_b32 v9, a143
	v_add_f64 v[0:1], v[0:1], v[4:5]
	v_accvgpr_read_b32 v7, a141
	v_mul_f64 v[4:5], v[122:123], v[8:9]
	v_fma_f64 v[4:5], v[120:121], v[6:7], -v[4:5]
	v_add_f64 v[0:1], v[0:1], v[4:5]
	v_mul_f64 v[4:5], v[134:135], v[66:67]
	v_accvgpr_read_b32 v6, a156
	v_fma_f64 v[4:5], v[132:133], v[64:65], -v[4:5]
	v_accvgpr_read_b32 v8, a158
	v_accvgpr_read_b32 v9, a159
	v_add_f64 v[0:1], v[0:1], v[4:5]
	v_accvgpr_read_b32 v7, a157
	v_mul_f64 v[4:5], v[138:139], v[8:9]
	v_fma_f64 v[4:5], v[136:137], v[6:7], -v[4:5]
	v_add_f64 v[0:1], v[0:1], v[4:5]
	v_mul_f64 v[4:5], v[142:143], v[58:59]
	v_fma_f64 v[4:5], v[140:141], v[56:57], -v[4:5]
	v_add_f64 v[0:1], v[0:1], v[4:5]
	;; [unrolled: 3-line block ×19, first 2 shown]
	v_add_f64 v[4:5], v[236:237], -v[0:1]
	v_accvgpr_read_b32 v0, a118
	v_add_f64 v[6:7], v[238:239], -v[2:3]
	v_cmp_lt_u32_e32 vcc, 1, v0
	scratch_store_dwordx4 off, v[4:7], off offset:48
	s_and_saveexec_b64 s[0:1], vcc
	s_cbranch_execz .LBB58_365
; %bb.364:
	scratch_load_dwordx4 v[2:5], off, s74
	v_mov_b32_e32 v6, 0
	v_mov_b32_e32 v7, v6
	;; [unrolled: 1-line block ×4, first 2 shown]
	v_accvgpr_read_b32 v0, a119
	scratch_store_dwordx4 off, v[6:9], off offset:32
	s_waitcnt vmcnt(1)
	ds_write_b128 v0, v[2:5]
.LBB58_365:
	s_or_b64 exec, exec, s[0:1]
	s_waitcnt lgkmcnt(0)
	; wave barrier
	scratch_load_dwordx4 v[24:27], off, off offset:48
	scratch_load_dwordx4 v[28:31], off, off offset:64
	scratch_load_dwordx4 v[32:35], off, off offset:80
	scratch_load_dwordx4 v[36:39], off, off offset:96
	scratch_load_dwordx4 v[40:43], off, off offset:112
	scratch_load_dwordx4 v[44:47], off, off offset:128
	scratch_load_dwordx4 v[48:51], off, off offset:144
	scratch_load_dwordx4 v[52:55], off, off offset:160
	scratch_load_dwordx4 v[56:59], off, off offset:176
	scratch_load_dwordx4 v[60:63], off, off offset:192
	scratch_load_dwordx4 v[64:67], off, off offset:208
	scratch_load_dwordx4 v[68:71], off, off offset:224
	scratch_load_dwordx4 v[72:75], off, off offset:240
	scratch_load_dwordx4 v[76:79], off, off offset:256
	scratch_load_dwordx4 v[84:87], off, off offset:272
	scratch_load_dwordx4 v[88:91], off, off offset:288
	scratch_load_dwordx4 v[92:95], off, off offset:304
	scratch_load_dwordx4 v[120:123], off, off offset:320
	scratch_load_dwordx4 v[124:127], off, off offset:336
	scratch_load_dwordx4 v[128:131], off, off offset:352
	scratch_load_dwordx4 v[132:135], off, off offset:368
	scratch_load_dwordx4 v[136:139], off, off offset:384
	scratch_load_dwordx4 v[140:143], off, off offset:400
	scratch_load_dwordx4 v[144:147], off, off offset:416
	scratch_load_dwordx4 v[152:155], off, off offset:432
	scratch_load_dwordx4 v[156:159], off, off offset:448
	scratch_load_dwordx4 v[164:167], off, off offset:464
	scratch_load_dwordx4 v[168:171], off, off offset:480
	scratch_load_dwordx4 v[176:179], off, off offset:496
	scratch_load_dwordx4 a[120:123], off, off offset:512
	v_mov_b32_e32 v2, 0
	ds_read_b128 v[80:83], v2 offset:976
	ds_read_b128 v[96:99], v2 offset:992
	;; [unrolled: 1-line block ×17, first 2 shown]
	scratch_load_dwordx4 a[124:127], off, off offset:528
	scratch_load_dwordx4 a[128:131], off, off offset:544
	scratch_load_dwordx4 a[132:135], off, off offset:560
	scratch_load_dwordx4 a[136:139], off, off offset:576
	scratch_load_dwordx4 a[140:143], off, off offset:592
	scratch_load_dwordx4 a[144:147], off, off offset:608
	ds_read_b128 v[224:227], v2 offset:1312
	ds_read_b128 v[228:231], v2 offset:1328
	;; [unrolled: 1-line block ×6, first 2 shown]
	scratch_load_dwordx4 a[148:151], off, off offset:624
	ds_read_b128 v[240:243], v2 offset:1408
	ds_read_b128 v[220:223], v2 offset:1296
	s_waitcnt vmcnt(36) lgkmcnt(14)
	v_mul_f64 v[0:1], v[80:81], v[26:27]
	s_waitcnt vmcnt(35)
	v_mul_f64 v[4:5], v[96:97], v[30:31]
	v_fmac_f64_e32 v[0:1], v[82:83], v[24:25]
	s_waitcnt vmcnt(34)
	v_mul_f64 v[6:7], v[100:101], v[34:35]
	v_fmac_f64_e32 v[4:5], v[98:99], v[28:29]
	v_add_f64 v[0:1], v[0:1], 0
	s_waitcnt vmcnt(33)
	v_mul_f64 v[8:9], v[104:105], v[38:39]
	v_fmac_f64_e32 v[6:7], v[102:103], v[32:33]
	v_add_f64 v[0:1], v[0:1], v[4:5]
	;; [unrolled: 4-line block ×9, first 2 shown]
	s_waitcnt vmcnt(25) lgkmcnt(13)
	v_mul_f64 v[208:209], v[184:185], v[70:71]
	v_fmac_f64_e32 v[22:23], v[182:183], v[64:65]
	v_add_f64 v[0:1], v[0:1], v[20:21]
	s_waitcnt vmcnt(24) lgkmcnt(12)
	v_mul_f64 v[210:211], v[188:189], v[74:75]
	v_fmac_f64_e32 v[208:209], v[186:187], v[68:69]
	v_add_f64 v[0:1], v[0:1], v[22:23]
	;; [unrolled: 4-line block ×4, first 2 shown]
	ds_read_b128 v[208:211], v2 offset:1248
	v_fmac_f64_e32 v[214:215], v[198:199], v[84:85]
	v_add_f64 v[0:1], v[0:1], v[212:213]
	s_waitcnt vmcnt(21) lgkmcnt(10)
	v_mul_f64 v[216:217], v[200:201], v[90:91]
	v_add_f64 v[0:1], v[0:1], v[214:215]
	ds_read_b128 v[212:215], v2 offset:1264
	v_fmac_f64_e32 v[216:217], v[202:203], v[88:89]
	s_waitcnt vmcnt(20) lgkmcnt(10)
	v_mul_f64 v[4:5], v[204:205], v[94:95]
	v_add_f64 v[0:1], v[0:1], v[216:217]
	v_fmac_f64_e32 v[4:5], v[206:207], v[92:93]
	ds_read_b128 v[216:219], v2 offset:1280
	v_add_f64 v[0:1], v[0:1], v[4:5]
	s_waitcnt vmcnt(19) lgkmcnt(2)
	v_mul_f64 v[4:5], v[208:209], v[122:123]
	v_fmac_f64_e32 v[4:5], v[210:211], v[120:121]
	v_add_f64 v[0:1], v[0:1], v[4:5]
	s_waitcnt vmcnt(18) lgkmcnt(1)
	v_mul_f64 v[4:5], v[212:213], v[126:127]
	v_fmac_f64_e32 v[4:5], v[214:215], v[124:125]
	;; [unrolled: 4-line block ×3, first 2 shown]
	v_add_f64 v[0:1], v[0:1], v[4:5]
	s_waitcnt vmcnt(16)
	v_mul_f64 v[4:5], v[220:221], v[134:135]
	v_fmac_f64_e32 v[4:5], v[222:223], v[132:133]
	v_add_f64 v[0:1], v[0:1], v[4:5]
	s_waitcnt vmcnt(15)
	v_mul_f64 v[4:5], v[224:225], v[138:139]
	v_fmac_f64_e32 v[4:5], v[226:227], v[136:137]
	;; [unrolled: 4-line block ×3, first 2 shown]
	v_add_f64 v[0:1], v[0:1], v[4:5]
	v_mul_f64 v[4:5], v[82:83], v[26:27]
	v_fma_f64 v[244:245], v[80:81], v[24:25], -v[4:5]
	s_waitcnt vmcnt(13)
	v_mul_f64 v[4:5], v[232:233], v[146:147]
	v_fmac_f64_e32 v[4:5], v[234:235], v[144:145]
	v_add_f64 v[0:1], v[0:1], v[4:5]
	s_waitcnt vmcnt(12)
	v_mul_f64 v[4:5], v[236:237], v[154:155]
	v_fmac_f64_e32 v[4:5], v[238:239], v[152:153]
	v_add_f64 v[0:1], v[0:1], v[4:5]
	;; [unrolled: 4-line block ×3, first 2 shown]
	v_mul_f64 v[4:5], v[98:99], v[30:31]
	v_fma_f64 v[254:255], v[96:97], v[28:29], -v[4:5]
	v_mul_f64 v[4:5], v[102:103], v[34:35]
	v_fma_f64 v[32:33], v[100:101], v[32:33], -v[4:5]
	;; [unrolled: 2-line block ×3, first 2 shown]
	s_waitcnt vmcnt(10)
	v_mul_f64 v[4:5], v[250:251], v[166:167]
	v_fmac_f64_e32 v[4:5], v[252:253], v[164:165]
	v_add_f64 v[0:1], v[0:1], v[4:5]
	ds_read_b128 v[80:83], v2 offset:1440
	s_waitcnt vmcnt(9)
	v_mul_f64 v[4:5], v[240:241], v[170:171]
	v_fmac_f64_e32 v[4:5], v[242:243], v[168:169]
	scratch_load_dwordx4 v[36:39], off, off offset:640
	v_add_f64 v[0:1], v[0:1], v[4:5]
	v_mul_f64 v[4:5], v[110:111], v[42:43]
	v_fma_f64 v[24:25], v[108:109], v[40:41], -v[4:5]
	v_mul_f64 v[40:41], v[118:119], v[50:51]
	ds_read_b128 v[4:7], v2 offset:1424
	ds_read_b128 v[96:99], v2 offset:1456
	v_fma_f64 v[16:17], v[116:117], v[48:49], -v[40:41]
	scratch_load_dwordx4 v[40:43], off, off offset:656
	v_mul_f64 v[14:15], v[114:115], v[46:47]
	v_fma_f64 v[20:21], v[112:113], v[44:45], -v[14:15]
	v_mul_f64 v[44:45], v[150:151], v[54:55]
	s_waitcnt vmcnt(10) lgkmcnt(1)
	v_mul_f64 v[18:19], v[4:5], v[178:179]
	s_waitcnt vmcnt(9)
	v_accvgpr_read_b32 v8, a120
	v_fma_f64 v[14:15], v[148:149], v[52:53], -v[44:45]
	scratch_load_dwordx4 v[44:47], off, off offset:672
	v_fmac_f64_e32 v[18:19], v[6:7], v[176:177]
	v_accvgpr_read_b32 v10, a122
	v_accvgpr_read_b32 v11, a123
	v_add_f64 v[0:1], v[0:1], v[18:19]
	v_accvgpr_read_b32 v9, a121
	v_mul_f64 v[18:19], v[80:81], v[10:11]
	scratch_load_dwordx4 v[48:51], off, off offset:688
	scratch_load_dwordx4 v[52:55], off, off offset:704
	v_fmac_f64_e32 v[18:19], v[82:83], v[8:9]
	ds_read_b128 v[100:103], v2 offset:1472
	ds_read_b128 v[104:107], v2 offset:1488
	s_waitcnt vmcnt(11)
	v_accvgpr_read_b32 v8, a124
	v_add_f64 v[0:1], v[0:1], v[18:19]
	v_mul_f64 v[18:19], v[162:163], v[58:59]
	v_accvgpr_read_b32 v10, a126
	v_accvgpr_read_b32 v11, a127
	v_fma_f64 v[18:19], v[160:161], v[56:57], -v[18:19]
	v_accvgpr_read_b32 v9, a125
	s_waitcnt lgkmcnt(2)
	v_mul_f64 v[56:57], v[96:97], v[10:11]
	v_fmac_f64_e32 v[56:57], v[98:99], v[8:9]
	s_waitcnt vmcnt(10)
	v_accvgpr_read_b32 v8, a128
	v_mul_f64 v[22:23], v[174:175], v[62:63]
	v_accvgpr_read_b32 v10, a130
	v_accvgpr_read_b32 v11, a131
	v_fma_f64 v[22:23], v[172:173], v[60:61], -v[22:23]
	v_add_f64 v[0:1], v[0:1], v[56:57]
	v_mul_f64 v[56:57], v[182:183], v[66:67]
	v_accvgpr_read_b32 v9, a129
	s_waitcnt lgkmcnt(1)
	v_mul_f64 v[60:61], v[100:101], v[10:11]
	v_fma_f64 v[172:173], v[180:181], v[64:65], -v[56:57]
	scratch_load_dwordx4 v[56:59], off, off offset:720
	v_fmac_f64_e32 v[60:61], v[102:103], v[8:9]
	v_add_f64 v[0:1], v[0:1], v[60:61]
	v_mul_f64 v[60:61], v[186:187], v[70:71]
	v_fma_f64 v[174:175], v[184:185], v[68:69], -v[60:61]
	scratch_load_dwordx4 v[60:63], off, off offset:736
	v_mul_f64 v[64:65], v[190:191], v[74:75]
	ds_read_b128 v[108:111], v2 offset:1504
	s_waitcnt vmcnt(11)
	v_accvgpr_read_b32 v8, a132
	v_fma_f64 v[180:181], v[188:189], v[72:73], -v[64:65]
	scratch_load_dwordx4 v[64:67], off, off offset:752
	v_accvgpr_read_b32 v10, a134
	v_accvgpr_read_b32 v11, a135
	v_accvgpr_read_b32 v9, a133
	s_waitcnt lgkmcnt(1)
	v_mul_f64 v[72:73], v[104:105], v[10:11]
	v_fmac_f64_e32 v[72:73], v[106:107], v[8:9]
	s_waitcnt vmcnt(11)
	v_accvgpr_read_b32 v8, a136
	v_mul_f64 v[68:69], v[194:195], v[78:79]
	v_accvgpr_read_b32 v10, a138
	v_accvgpr_read_b32 v11, a139
	v_fma_f64 v[182:183], v[192:193], v[76:77], -v[68:69]
	v_accvgpr_read_b32 v9, a137
	s_waitcnt lgkmcnt(0)
	v_mul_f64 v[76:77], v[108:109], v[10:11]
	scratch_load_dwordx4 v[68:71], off, off offset:768
	v_add_f64 v[0:1], v[0:1], v[72:73]
	v_fmac_f64_e32 v[76:77], v[110:111], v[8:9]
	v_mul_f64 v[72:73], v[198:199], v[86:87]
	v_add_f64 v[0:1], v[0:1], v[76:77]
	v_mul_f64 v[76:77], v[202:203], v[90:91]
	v_fma_f64 v[184:185], v[196:197], v[84:85], -v[72:73]
	scratch_load_dwordx4 v[72:75], off, off offset:784
	v_fma_f64 v[186:187], v[200:201], v[88:89], -v[76:77]
	scratch_load_dwordx4 v[76:79], off, off offset:800
	ds_read_b128 v[116:119], v2 offset:1520
	ds_read_b128 v[112:115], v2 offset:1536
	s_waitcnt vmcnt(13)
	v_accvgpr_read_b32 v8, a140
	v_mul_f64 v[84:85], v[206:207], v[94:95]
	scratch_load_dwordx4 v[88:91], off, off offset:816
	v_accvgpr_read_b32 v10, a142
	v_accvgpr_read_b32 v11, a143
	v_fma_f64 v[12:13], v[204:205], v[92:93], -v[84:85]
	v_accvgpr_read_b32 v9, a141
	s_waitcnt lgkmcnt(1)
	v_mul_f64 v[92:93], v[116:117], v[10:11]
	scratch_load_dwordx4 v[84:87], off, off offset:832
	v_fmac_f64_e32 v[92:93], v[118:119], v[8:9]
	v_add_f64 v[0:1], v[0:1], v[92:93]
	v_mul_f64 v[92:93], v[214:215], v[126:127]
	v_fma_f64 v[10:11], v[212:213], v[124:125], -v[92:93]
	scratch_load_dwordx4 v[92:95], off, off offset:848
	v_mul_f64 v[26:27], v[210:211], v[122:123]
	v_fma_f64 v[26:27], v[208:209], v[120:121], -v[26:27]
	v_mul_f64 v[30:31], v[218:219], v[130:131]
	ds_read_b128 v[120:123], v2 offset:1552
	v_fma_f64 v[30:31], v[216:217], v[128:129], -v[30:31]
	s_waitcnt vmcnt(15)
	v_accvgpr_read_b32 v126, a144
	v_accvgpr_read_b32 v128, a146
	;; [unrolled: 1-line block ×4, first 2 shown]
	s_waitcnt lgkmcnt(1)
	v_mul_f64 v[124:125], v[112:113], v[128:129]
	s_waitcnt vmcnt(14)
	v_accvgpr_read_b32 v148, a148
	v_fmac_f64_e32 v[124:125], v[114:115], v[126:127]
	v_accvgpr_read_b32 v150, a150
	v_accvgpr_read_b32 v151, a151
	v_add_f64 v[0:1], v[0:1], v[124:125]
	ds_read_b128 v[124:127], v2 offset:1568
	v_accvgpr_read_b32 v149, a149
	s_waitcnt lgkmcnt(1)
	v_mul_f64 v[128:129], v[120:121], v[150:151]
	v_fmac_f64_e32 v[128:129], v[122:123], v[148:149]
	v_add_f64 v[0:1], v[0:1], v[128:129]
	v_mul_f64 v[128:129], v[222:223], v[134:135]
	v_fma_f64 v[8:9], v[220:221], v[132:133], -v[128:129]
	ds_read_b128 v[128:131], v2 offset:1584
	ds_read_b128 v[132:135], v2 offset:1600
	s_waitcnt vmcnt(13) lgkmcnt(2)
	v_mul_f64 v[34:35], v[124:125], v[38:39]
	v_fmac_f64_e32 v[34:35], v[126:127], v[36:37]
	v_add_f64 v[0:1], v[0:1], v[34:35]
	v_mul_f64 v[34:35], v[226:227], v[138:139]
	v_fma_f64 v[34:35], v[224:225], v[136:137], -v[34:35]
	s_waitcnt vmcnt(12) lgkmcnt(1)
	v_mul_f64 v[136:137], v[128:129], v[42:43]
	v_fmac_f64_e32 v[136:137], v[130:131], v[40:41]
	v_add_f64 v[0:1], v[0:1], v[136:137]
	ds_read_b128 v[136:139], v2 offset:1616
	v_mul_f64 v[142:143], v[230:231], v[142:143]
	v_fma_f64 v[228:229], v[228:229], v[140:141], -v[142:143]
	ds_read_b128 v[140:143], v2 offset:1632
	s_waitcnt vmcnt(11) lgkmcnt(2)
	v_mul_f64 v[148:149], v[132:133], v[46:47]
	v_add_f64 v[244:245], v[244:245], 0
	v_fmac_f64_e32 v[148:149], v[134:135], v[44:45]
	v_add_f64 v[244:245], v[244:245], v[254:255]
	v_add_f64 v[0:1], v[0:1], v[148:149]
	s_waitcnt vmcnt(10) lgkmcnt(1)
	v_mul_f64 v[148:149], v[136:137], v[50:51]
	v_add_f64 v[32:33], v[244:245], v[32:33]
	v_fmac_f64_e32 v[148:149], v[138:139], v[48:49]
	v_mul_f64 v[146:147], v[234:235], v[146:147]
	v_add_f64 v[28:29], v[32:33], v[28:29]
	v_add_f64 v[0:1], v[0:1], v[148:149]
	v_fma_f64 v[230:231], v[232:233], v[144:145], -v[146:147]
	ds_read_b128 v[144:147], v2 offset:1648
	s_waitcnt vmcnt(9) lgkmcnt(1)
	v_mul_f64 v[148:149], v[140:141], v[54:55]
	v_add_f64 v[24:25], v[28:29], v[24:25]
	v_fmac_f64_e32 v[148:149], v[142:143], v[52:53]
	v_add_f64 v[20:21], v[24:25], v[20:21]
	v_add_f64 v[0:1], v[0:1], v[148:149]
	ds_read_b128 v[148:151], v2 offset:1664
	v_add_f64 v[16:17], v[20:21], v[16:17]
	v_mul_f64 v[154:155], v[238:239], v[154:155]
	v_add_f64 v[14:15], v[16:17], v[14:15]
	v_fma_f64 v[232:233], v[236:237], v[152:153], -v[154:155]
	ds_read_b128 v[152:155], v2 offset:1680
	v_add_f64 v[14:15], v[14:15], v[18:19]
	s_waitcnt vmcnt(8) lgkmcnt(2)
	v_mul_f64 v[160:161], v[144:145], v[58:59]
	v_add_f64 v[14:15], v[14:15], v[22:23]
	v_fmac_f64_e32 v[160:161], v[146:147], v[56:57]
	v_add_f64 v[14:15], v[14:15], v[172:173]
	v_add_f64 v[0:1], v[0:1], v[160:161]
	s_waitcnt vmcnt(7) lgkmcnt(1)
	v_mul_f64 v[160:161], v[148:149], v[62:63]
	v_add_f64 v[14:15], v[14:15], v[174:175]
	v_fmac_f64_e32 v[160:161], v[150:151], v[60:61]
	v_mul_f64 v[158:159], v[248:249], v[158:159]
	v_add_f64 v[14:15], v[14:15], v[180:181]
	v_fma_f64 v[234:235], v[246:247], v[156:157], -v[158:159]
	ds_read_b128 v[156:159], v2 offset:1696
	v_add_f64 v[0:1], v[0:1], v[160:161]
	s_waitcnt vmcnt(6) lgkmcnt(1)
	v_mul_f64 v[160:161], v[152:153], v[66:67]
	v_add_f64 v[14:15], v[14:15], v[182:183]
	v_fmac_f64_e32 v[160:161], v[154:155], v[64:65]
	v_add_f64 v[14:15], v[14:15], v[184:185]
	v_add_f64 v[0:1], v[0:1], v[160:161]
	ds_read_b128 v[160:163], v2 offset:1712
	v_add_f64 v[14:15], v[14:15], v[186:187]
	v_mul_f64 v[166:167], v[252:253], v[166:167]
	v_add_f64 v[12:13], v[14:15], v[12:13]
	v_fma_f64 v[236:237], v[250:251], v[164:165], -v[166:167]
	ds_read_b128 v[164:167], v2 offset:1728
	v_mul_f64 v[170:171], v[242:243], v[170:171]
	v_add_f64 v[12:13], v[12:13], v[26:27]
	s_waitcnt vmcnt(5) lgkmcnt(2)
	v_mul_f64 v[188:189], v[156:157], v[70:71]
	v_fma_f64 v[238:239], v[240:241], v[168:169], -v[170:171]
	ds_read_b128 v[168:171], v2 offset:1744
	ds_read_b128 v[240:243], v2 offset:1760
	v_add_f64 v[10:11], v[12:13], v[10:11]
	v_fmac_f64_e32 v[188:189], v[158:159], v[68:69]
	v_add_f64 v[10:11], v[10:11], v[30:31]
	v_add_f64 v[0:1], v[0:1], v[188:189]
	s_waitcnt vmcnt(4) lgkmcnt(3)
	v_mul_f64 v[188:189], v[160:161], v[74:75]
	v_add_f64 v[8:9], v[10:11], v[8:9]
	v_fmac_f64_e32 v[188:189], v[162:163], v[72:73]
	v_mul_f64 v[6:7], v[6:7], v[178:179]
	v_add_f64 v[8:9], v[8:9], v[34:35]
	v_add_f64 v[0:1], v[0:1], v[188:189]
	s_waitcnt vmcnt(3) lgkmcnt(2)
	v_mul_f64 v[188:189], v[164:165], v[78:79]
	v_fma_f64 v[246:247], v[4:5], v[176:177], -v[6:7]
	ds_read_b128 v[176:179], v2 offset:1776
	ds_read_b128 v[250:253], v2 offset:1792
	v_add_f64 v[8:9], v[8:9], v[228:229]
	v_fmac_f64_e32 v[188:189], v[166:167], v[76:77]
	v_add_f64 v[8:9], v[8:9], v[230:231]
	scratch_load_dwordx4 v[228:231], off, off offset:32
	s_waitcnt vmcnt(3) lgkmcnt(3)
	v_mul_f64 v[4:5], v[168:169], v[90:91]
	v_add_f64 v[0:1], v[0:1], v[188:189]
	v_fmac_f64_e32 v[4:5], v[170:171], v[88:89]
	v_add_f64 v[0:1], v[0:1], v[4:5]
	s_waitcnt vmcnt(2) lgkmcnt(2)
	v_mul_f64 v[4:5], v[240:241], v[86:87]
	v_fmac_f64_e32 v[4:5], v[242:243], v[84:85]
	v_add_f64 v[0:1], v[0:1], v[4:5]
	s_waitcnt vmcnt(1) lgkmcnt(1)
	v_mul_f64 v[4:5], v[176:177], v[94:95]
	v_fmac_f64_e32 v[4:5], v[178:179], v[92:93]
	v_add_f64 v[0:1], v[0:1], v[4:5]
	scratch_load_dwordx4 v[4:7], off, off offset:864
	ds_read_b128 v[192:195], v2 offset:1808
	ds_read_b128 v[200:203], v2 offset:1824
	;; [unrolled: 1-line block ×5, first 2 shown]
	v_accvgpr_read_b32 v12, a120
	v_accvgpr_read_b32 v14, a122
	;; [unrolled: 1-line block ×4, first 2 shown]
	v_mul_f64 v[10:11], v[82:83], v[14:15]
	v_fma_f64 v[10:11], v[80:81], v[12:13], -v[10:11]
	v_accvgpr_read_b32 v12, a124
	v_accvgpr_read_b32 v14, a126
	;; [unrolled: 1-line block ×4, first 2 shown]
	s_waitcnt vmcnt(0) lgkmcnt(5)
	v_mul_f64 v[188:189], v[250:251], v[6:7]
	v_fmac_f64_e32 v[188:189], v[252:253], v[4:5]
	v_add_f64 v[0:1], v[0:1], v[188:189]
	scratch_load_dwordx4 v[188:191], off, off offset:880
	v_mul_f64 v[6:7], v[252:253], v[6:7]
	v_fma_f64 v[4:5], v[250:251], v[4:5], -v[6:7]
	s_waitcnt vmcnt(0) lgkmcnt(4)
	v_mul_f64 v[196:197], v[192:193], v[190:191]
	v_fmac_f64_e32 v[196:197], v[194:195], v[188:189]
	v_add_f64 v[0:1], v[0:1], v[196:197]
	scratch_load_dwordx4 v[196:199], off, off offset:896
	v_mul_f64 v[6:7], v[194:195], v[190:191]
	v_fma_f64 v[6:7], v[192:193], v[188:189], -v[6:7]
	s_waitcnt vmcnt(0) lgkmcnt(3)
	v_mul_f64 v[204:205], v[200:201], v[198:199]
	v_fmac_f64_e32 v[204:205], v[202:203], v[196:197]
	v_add_f64 v[0:1], v[0:1], v[204:205]
	scratch_load_dwordx4 v[204:207], off, off offset:912
	s_waitcnt vmcnt(0) lgkmcnt(2)
	v_mul_f64 v[212:213], v[208:209], v[206:207]
	v_fmac_f64_e32 v[212:213], v[210:211], v[204:205]
	v_add_f64 v[0:1], v[0:1], v[212:213]
	scratch_load_dwordx4 v[212:215], off, off offset:928
	;; [unrolled: 5-line block ×3, first 2 shown]
	s_waitcnt vmcnt(0) lgkmcnt(0)
	v_mul_f64 v[248:249], v[224:225], v[222:223]
	v_fmac_f64_e32 v[248:249], v[226:227], v[220:221]
	v_add_f64 v[0:1], v[0:1], v[248:249]
	v_add_f64 v[248:249], v[8:9], v[232:233]
	;; [unrolled: 1-line block ×7, first 2 shown]
	v_mul_f64 v[10:11], v[98:99], v[14:15]
	v_fma_f64 v[10:11], v[96:97], v[12:13], -v[10:11]
	v_accvgpr_read_b32 v12, a128
	v_accvgpr_read_b32 v14, a130
	v_accvgpr_read_b32 v15, a131
	v_add_f64 v[8:9], v[8:9], v[10:11]
	v_accvgpr_read_b32 v13, a129
	v_mul_f64 v[10:11], v[102:103], v[14:15]
	v_fma_f64 v[10:11], v[100:101], v[12:13], -v[10:11]
	v_accvgpr_read_b32 v12, a132
	v_accvgpr_read_b32 v14, a134
	v_accvgpr_read_b32 v15, a135
	v_add_f64 v[8:9], v[8:9], v[10:11]
	v_accvgpr_read_b32 v13, a133
	;; [unrolled: 7-line block ×6, first 2 shown]
	v_mul_f64 v[10:11], v[122:123], v[14:15]
	v_fma_f64 v[10:11], v[120:121], v[12:13], -v[10:11]
	v_add_f64 v[8:9], v[8:9], v[10:11]
	v_mul_f64 v[10:11], v[126:127], v[38:39]
	v_fma_f64 v[10:11], v[124:125], v[36:37], -v[10:11]
	v_add_f64 v[8:9], v[8:9], v[10:11]
	;; [unrolled: 3-line block ×15, first 2 shown]
	v_add_f64 v[4:5], v[8:9], v[4:5]
	v_add_f64 v[4:5], v[4:5], v[6:7]
	v_mul_f64 v[6:7], v[202:203], v[198:199]
	v_fma_f64 v[6:7], v[200:201], v[196:197], -v[6:7]
	v_add_f64 v[4:5], v[4:5], v[6:7]
	v_mul_f64 v[6:7], v[210:211], v[206:207]
	v_fma_f64 v[6:7], v[208:209], v[204:205], -v[6:7]
	;; [unrolled: 3-line block ×4, first 2 shown]
	v_add_f64 v[4:5], v[4:5], v[6:7]
	v_add_f64 v[6:7], v[230:231], -v[0:1]
	v_accvgpr_read_b32 v0, a118
	v_add_f64 v[4:5], v[228:229], -v[4:5]
	v_cmp_ne_u32_e32 vcc, 0, v0
	scratch_store_dwordx4 off, v[4:7], off offset:32
	s_and_saveexec_b64 s[0:1], vcc
	s_cbranch_execz .LBB58_367
; %bb.366:
	scratch_load_dwordx4 v[6:9], off, off offset:16
	v_mov_b32_e32 v3, v2
	v_mov_b32_e32 v4, v2
	;; [unrolled: 1-line block ×3, first 2 shown]
	v_accvgpr_read_b32 v0, a119
	scratch_store_dwordx4 off, v[2:5], off offset:16
	s_waitcnt vmcnt(1)
	ds_write_b128 v0, v[6:9]
.LBB58_367:
	s_or_b64 exec, exec, s[0:1]
	s_waitcnt lgkmcnt(0)
	; wave barrier
	scratch_load_dwordx4 v[8:11], off, off offset:32
	scratch_load_dwordx4 v[12:15], off, off offset:48
	;; [unrolled: 1-line block ×17, first 2 shown]
	ds_read_b128 v[168:171], v2 offset:960
	ds_read_b128 v[124:127], v2 offset:976
	scratch_load_dwordx4 v[104:107], off, off offset:304
	ds_read_b128 v[180:183], v2 offset:992
	ds_read_b128 v[156:159], v2 offset:1008
	;; [unrolled: 1-line block ×5, first 2 shown]
	scratch_load_dwordx4 v[120:123], off, off offset:320
	ds_read_b128 v[160:163], v2 offset:1072
	ds_read_b128 v[108:111], v2 offset:1088
	scratch_load_dwordx4 v[128:131], off, off offset:336
	ds_read_b128 v[192:195], v2 offset:1104
	ds_read_b128 v[176:179], v2 offset:1120
	;; [unrolled: 1-line block ×5, first 2 shown]
	scratch_load_dwordx4 v[132:135], off, off offset:352
	ds_read_b128 v[172:175], v2 offset:1184
	ds_read_b128 v[148:151], v2 offset:1200
	scratch_load_dwordx4 v[136:139], off, off offset:368
	ds_read_b128 v[188:191], v2 offset:1216
	scratch_load_dwordx4 v[140:143], off, off offset:384
	scratch_load_dwordx4 v[144:147], off, off offset:400
	;; [unrolled: 1-line block ×12, first 2 shown]
	ds_read_b128 v[208:211], v2 offset:1232
	ds_read_b128 v[232:235], v2 offset:1328
	;; [unrolled: 1-line block ×3, first 2 shown]
	scratch_load_dwordx4 a[142:145], off, off offset:576
	scratch_load_dwordx4 a[146:149], off, off offset:608
	;; [unrolled: 1-line block ×4, first 2 shown]
	s_and_b64 vcc, exec, s[18:19]
	ds_read_b128 v[240:243], v2 offset:1376
	ds_read_b128 v[228:231], v2 offset:1312
	;; [unrolled: 1-line block ×3, first 2 shown]
	s_waitcnt vmcnt(37) lgkmcnt(14)
	v_mul_f64 v[0:1], v[168:169], v[10:11]
	s_waitcnt vmcnt(36)
	v_mul_f64 v[40:41], v[124:125], v[14:15]
	v_fmac_f64_e32 v[0:1], v[170:171], v[8:9]
	s_waitcnt vmcnt(35)
	v_mul_f64 v[42:43], v[180:181], v[18:19]
	v_fmac_f64_e32 v[40:41], v[126:127], v[12:13]
	v_add_f64 v[0:1], v[0:1], 0
	s_waitcnt vmcnt(34)
	v_mul_f64 v[48:49], v[156:157], v[22:23]
	v_fmac_f64_e32 v[42:43], v[182:183], v[16:17]
	v_add_f64 v[0:1], v[0:1], v[40:41]
	;; [unrolled: 4-line block ×7, first 2 shown]
	s_waitcnt vmcnt(28) lgkmcnt(13)
	v_mul_f64 v[212:213], v[192:193], v[58:59]
	v_fmac_f64_e32 v[62:63], v[110:111], v[44:45]
	v_add_f64 v[0:1], v[0:1], v[60:61]
	s_waitcnt vmcnt(27) lgkmcnt(12)
	v_mul_f64 v[214:215], v[176:177], v[66:67]
	v_fmac_f64_e32 v[212:213], v[194:195], v[56:57]
	v_add_f64 v[0:1], v[0:1], v[62:63]
	;; [unrolled: 4-line block ×6, first 2 shown]
	ds_read_b128 v[212:215], v2 offset:1248
	s_waitcnt vmcnt(22) lgkmcnt(8)
	v_mul_f64 v[224:225], v[148:149], v[90:91]
	v_fmac_f64_e32 v[222:223], v[174:175], v[80:81]
	v_add_f64 v[0:1], v[0:1], v[220:221]
	ds_read_b128 v[216:219], v2 offset:1264
	v_fmac_f64_e32 v[224:225], v[150:151], v[88:89]
	v_add_f64 v[0:1], v[0:1], v[222:223]
	s_waitcnt vmcnt(21) lgkmcnt(8)
	v_mul_f64 v[40:41], v[188:189], v[94:95]
	v_add_f64 v[0:1], v[0:1], v[224:225]
	v_fmac_f64_e32 v[40:41], v[190:191], v[92:93]
	ds_read_b128 v[220:223], v2 offset:1280
	v_add_f64 v[0:1], v[0:1], v[40:41]
	s_waitcnt vmcnt(20) lgkmcnt(8)
	v_mul_f64 v[40:41], v[208:209], v[106:107]
	ds_read_b128 v[224:227], v2 offset:1296
	v_fmac_f64_e32 v[40:41], v[210:211], v[104:105]
	s_waitcnt vmcnt(19) lgkmcnt(3)
	v_mul_f64 v[48:49], v[212:213], v[122:123]
	v_add_f64 v[0:1], v[0:1], v[40:41]
	v_fmac_f64_e32 v[48:49], v[214:215], v[120:121]
	s_waitcnt vmcnt(18) lgkmcnt(2)
	v_mul_f64 v[52:53], v[216:217], v[130:131]
	v_add_f64 v[0:1], v[0:1], v[48:49]
	v_fmac_f64_e32 v[52:53], v[218:219], v[128:129]
	v_add_f64 v[0:1], v[0:1], v[52:53]
	s_waitcnt vmcnt(17) lgkmcnt(1)
	v_mul_f64 v[52:53], v[220:221], v[134:135]
	v_fmac_f64_e32 v[52:53], v[222:223], v[132:133]
	s_waitcnt vmcnt(16) lgkmcnt(0)
	v_mul_f64 v[60:61], v[224:225], v[138:139]
	v_add_f64 v[0:1], v[0:1], v[52:53]
	v_fmac_f64_e32 v[60:61], v[226:227], v[136:137]
	v_add_f64 v[0:1], v[0:1], v[60:61]
	s_waitcnt vmcnt(15)
	v_mul_f64 v[60:61], v[228:229], v[142:143]
	v_mul_f64 v[10:11], v[170:171], v[10:11]
	v_fmac_f64_e32 v[60:61], v[230:231], v[140:141]
	v_fma_f64 v[244:245], v[168:169], v[8:9], -v[10:11]
	ds_read_b128 v[168:171], v2 offset:1360
	v_add_f64 v[0:1], v[0:1], v[60:61]
	s_waitcnt vmcnt(14)
	v_mul_f64 v[60:61], v[232:233], v[146:147]
	v_fmac_f64_e32 v[60:61], v[234:235], v[144:145]
	s_waitcnt vmcnt(13)
	v_mul_f64 v[8:9], v[236:237], v[154:155]
	v_add_f64 v[0:1], v[0:1], v[60:61]
	v_fmac_f64_e32 v[8:9], v[238:239], v[152:153]
	v_add_f64 v[0:1], v[0:1], v[8:9]
	v_mul_f64 v[8:9], v[126:127], v[14:15]
	v_fma_f64 v[250:251], v[124:125], v[12:13], -v[8:9]
	s_waitcnt vmcnt(12) lgkmcnt(0)
	v_mul_f64 v[12:13], v[168:169], v[186:187]
	v_fmac_f64_e32 v[12:13], v[170:171], v[184:185]
	v_add_f64 v[0:1], v[0:1], v[12:13]
	v_mul_f64 v[12:13], v[182:183], v[18:19]
	v_fma_f64 v[252:253], v[180:181], v[16:17], -v[12:13]
	s_waitcnt vmcnt(11)
	v_mul_f64 v[12:13], v[240:241], v[198:199]
	v_fmac_f64_e32 v[12:13], v[242:243], v[196:197]
	v_add_f64 v[0:1], v[0:1], v[12:13]
	v_mul_f64 v[12:13], v[158:159], v[22:23]
	v_fma_f64 v[254:255], v[156:157], v[20:21], -v[12:13]
	scratch_load_dwordx4 v[156:159], off, off offset:592
	ds_read_b128 v[180:183], v2 offset:1392
	v_accvgpr_write_b32 a125, v37
	v_mul_f64 v[6:7], v[86:87], v[6:7]
	v_accvgpr_write_b32 a124, v36
	v_accvgpr_write_b32 a123, v35
	s_waitcnt vmcnt(11) lgkmcnt(0)
	v_mul_f64 v[16:17], v[180:181], v[202:203]
	v_accvgpr_write_b32 a122, v34
	v_fmac_f64_e32 v[16:17], v[182:183], v[200:201]
	v_fma_f64 v[36:37], v[84:85], v[4:5], -v[6:7]
	ds_read_b128 v[84:87], v2 offset:1424
	s_waitcnt vmcnt(10)
	v_mul_f64 v[24:25], v[246:247], v[206:207]
	v_add_f64 v[0:1], v[0:1], v[16:17]
	v_fmac_f64_e32 v[24:25], v[248:249], v[204:205]
	v_add_f64 v[0:1], v[0:1], v[24:25]
	v_mul_f64 v[24:25], v[98:99], v[28:29]
	scratch_load_dwordx4 v[60:63], off, off offset:656
	v_mul_f64 v[20:21], v[102:103], v[32:33]
	v_fma_f64 v[32:33], v[96:97], v[26:27], -v[24:25]
	s_waitcnt vmcnt(10)
	v_accvgpr_read_b32 v4, a118
	ds_read_b128 v[96:99], v2 offset:1440
	scratch_load_dwordx4 v[52:55], off, off offset:672
	scratch_load_dwordx4 v[48:51], off, off offset:688
	v_accvgpr_read_b32 v6, a120
	v_accvgpr_read_b32 v7, a121
	;; [unrolled: 1-line block ×3, first 2 shown]
	s_waitcnt lgkmcnt(1)
	v_mul_f64 v[10:11], v[84:85], v[6:7]
	v_fmac_f64_e32 v[10:11], v[86:87], v[4:5]
	s_waitcnt vmcnt(11)
	v_accvgpr_read_b32 v4, a126
	v_add_f64 v[0:1], v[0:1], v[10:11]
	v_mul_f64 v[10:11], v[110:111], v[46:47]
	v_accvgpr_read_b32 v6, a128
	v_accvgpr_read_b32 v7, a129
	v_fma_f64 v[40:41], v[100:101], v[30:31], -v[20:21]
	v_fma_f64 v[26:27], v[108:109], v[44:45], -v[10:11]
	ds_read_b128 v[100:103], v2 offset:1456
	ds_read_b128 v[108:111], v2 offset:1472
	v_accvgpr_read_b32 v5, a127
	s_waitcnt lgkmcnt(2)
	v_mul_f64 v[44:45], v[96:97], v[6:7]
	v_accvgpr_read_b32 v12, a122
	v_fmac_f64_e32 v[44:45], v[98:99], v[4:5]
	v_accvgpr_read_b32 v14, a124
	v_accvgpr_read_b32 v15, a125
	v_add_f64 v[0:1], v[0:1], v[44:45]
	v_mul_f64 v[44:45], v[178:179], v[66:67]
	v_mul_f64 v[28:29], v[162:163], v[14:15]
	v_mul_f64 v[14:15], v[194:195], v[58:59]
	v_fma_f64 v[176:177], v[176:177], v[64:65], -v[44:45]
	scratch_load_dwordx4 v[44:47], off, off offset:704
	s_waitcnt vmcnt(11)
	v_accvgpr_read_b32 v4, a130
	v_fma_f64 v[20:21], v[192:193], v[56:57], -v[14:15]
	v_accvgpr_read_b32 v6, a132
	v_accvgpr_read_b32 v7, a133
	v_mul_f64 v[56:57], v[166:167], v[70:71]
	v_accvgpr_read_b32 v5, a131
	s_waitcnt lgkmcnt(1)
	v_mul_f64 v[64:65], v[100:101], v[6:7]
	v_fma_f64 v[178:179], v[164:165], v[68:69], -v[56:57]
	scratch_load_dwordx4 v[56:59], off, off offset:720
	v_fmac_f64_e32 v[64:65], v[102:103], v[4:5]
	v_add_f64 v[0:1], v[0:1], v[64:65]
	v_mul_f64 v[64:65], v[118:119], v[74:75]
	v_fma_f64 v[16:17], v[116:117], v[72:73], -v[64:65]
	scratch_load_dwordx4 v[64:67], off, off offset:736
	scratch_load_dwordx4 v[68:71], off, off offset:752
	s_waitcnt vmcnt(13)
	v_accvgpr_read_b32 v4, a134
	v_accvgpr_read_b32 v6, a136
	;; [unrolled: 1-line block ×4, first 2 shown]
	s_waitcnt lgkmcnt(0)
	v_mul_f64 v[72:73], v[108:109], v[6:7]
	v_fmac_f64_e32 v[72:73], v[110:111], v[4:5]
	v_add_f64 v[0:1], v[0:1], v[72:73]
	v_mul_f64 v[72:73], v[174:175], v[82:83]
	v_mul_f64 v[18:19], v[114:115], v[78:79]
	v_fma_f64 v[14:15], v[172:173], v[80:81], -v[72:73]
	scratch_load_dwordx4 v[72:75], off, off offset:768
	v_accvgpr_read_b32 v13, a123
	v_fma_f64 v[18:19], v[112:113], v[76:77], -v[18:19]
	v_mul_f64 v[76:77], v[150:151], v[90:91]
	v_fma_f64 v[30:31], v[160:161], v[12:13], -v[28:29]
	v_fma_f64 v[12:13], v[148:149], v[88:89], -v[76:77]
	scratch_load_dwordx4 v[76:79], off, off offset:784
	ds_read_b128 v[112:115], v2 offset:1488
	ds_read_b128 v[116:119], v2 offset:1504
	s_waitcnt vmcnt(14)
	v_accvgpr_read_b32 v4, a138
	v_accvgpr_read_b32 v6, a140
	;; [unrolled: 1-line block ×4, first 2 shown]
	s_waitcnt lgkmcnt(1)
	v_mul_f64 v[22:23], v[112:113], v[6:7]
	v_fmac_f64_e32 v[22:23], v[114:115], v[4:5]
	ds_read_b128 v[124:127], v2 offset:1520
	s_waitcnt vmcnt(13)
	v_accvgpr_read_b32 v4, a142
	v_accvgpr_read_b32 v6, a144
	;; [unrolled: 1-line block ×4, first 2 shown]
	s_waitcnt lgkmcnt(1)
	v_mul_f64 v[24:25], v[116:117], v[6:7]
	v_mul_f64 v[80:81], v[210:211], v[106:107]
	v_fma_f64 v[10:11], v[208:209], v[104:105], -v[80:81]
	v_fmac_f64_e32 v[24:25], v[118:119], v[4:5]
	ds_read_b128 v[104:107], v2 offset:1536
	s_waitcnt vmcnt(9)
	v_mov_b64_e32 v[4:5], v[156:157]
	v_mul_f64 v[28:29], v[218:219], v[130:131]
	v_mov_b64_e32 v[6:7], v[158:159]
	v_fma_f64 v[28:29], v[216:217], v[128:129], -v[28:29]
	s_waitcnt lgkmcnt(1)
	v_mul_f64 v[128:129], v[124:125], v[6:7]
	v_add_f64 v[0:1], v[0:1], v[22:23]
	v_fmac_f64_e32 v[128:129], v[126:127], v[4:5]
	v_accvgpr_read_b32 v4, a146
	v_add_f64 v[0:1], v[0:1], v[24:25]
	v_mul_f64 v[24:25], v[214:215], v[122:123]
	v_accvgpr_read_b32 v6, a148
	v_accvgpr_read_b32 v7, a149
	v_fma_f64 v[24:25], v[212:213], v[120:121], -v[24:25]
	ds_read_b128 v[120:123], v2 offset:1552
	v_add_f64 v[0:1], v[0:1], v[128:129]
	v_accvgpr_read_b32 v5, a147
	s_waitcnt lgkmcnt(1)
	v_mul_f64 v[128:129], v[104:105], v[6:7]
	v_fmac_f64_e32 v[128:129], v[106:107], v[4:5]
	v_add_f64 v[0:1], v[0:1], v[128:129]
	v_mul_f64 v[128:129], v[222:223], v[134:135]
	v_fma_f64 v[8:9], v[220:221], v[132:133], -v[128:129]
	v_accvgpr_read_b32 v4, a150
	ds_read_b128 v[128:131], v2 offset:1568
	v_accvgpr_read_b32 v6, a152
	v_accvgpr_read_b32 v7, a153
	;; [unrolled: 1-line block ×3, first 2 shown]
	s_waitcnt lgkmcnt(1)
	v_mul_f64 v[34:35], v[120:121], v[6:7]
	v_fmac_f64_e32 v[34:35], v[122:123], v[4:5]
	v_accvgpr_read_b32 v4, a154
	v_add_f64 v[0:1], v[0:1], v[34:35]
	v_mul_f64 v[34:35], v[226:227], v[138:139]
	v_accvgpr_read_b32 v6, a156
	v_accvgpr_read_b32 v7, a157
	v_fma_f64 v[34:35], v[224:225], v[136:137], -v[34:35]
	v_accvgpr_read_b32 v5, a155
	s_waitcnt lgkmcnt(0)
	v_mul_f64 v[136:137], v[128:129], v[6:7]
	ds_read_b128 v[132:135], v2 offset:1584
	v_fmac_f64_e32 v[136:137], v[130:131], v[4:5]
	v_add_f64 v[0:1], v[0:1], v[136:137]
	ds_read_b128 v[136:139], v2 offset:1600
	v_accvgpr_mov_b32 a122, a126
	s_waitcnt vmcnt(8) lgkmcnt(1)
	v_mul_f64 v[148:149], v[132:133], v[62:63]
	v_fmac_f64_e32 v[148:149], v[134:135], v[60:61]
	v_mul_f64 v[142:143], v[230:231], v[142:143]
	s_waitcnt vmcnt(7) lgkmcnt(0)
	v_mul_f64 v[38:39], v[136:137], v[54:55]
	v_accvgpr_mov_b32 a123, a127
	v_accvgpr_mov_b32 a124, a128
	;; [unrolled: 1-line block ×4, first 2 shown]
	v_add_f64 v[0:1], v[0:1], v[148:149]
	v_fma_f64 v[6:7], v[228:229], v[140:141], -v[142:143]
	ds_read_b128 v[140:143], v2 offset:1616
	v_fmac_f64_e32 v[38:39], v[138:139], v[52:53]
	v_accvgpr_mov_b32 a127, a131
	v_accvgpr_mov_b32 a128, a132
	;; [unrolled: 1-line block ×4, first 2 shown]
	v_add_f64 v[0:1], v[0:1], v[38:39]
	v_mul_f64 v[38:39], v[234:235], v[146:147]
	v_accvgpr_mov_b32 a131, a135
	v_accvgpr_mov_b32 a132, a136
	;; [unrolled: 1-line block ×4, first 2 shown]
	v_fma_f64 v[38:39], v[232:233], v[144:145], -v[38:39]
	ds_read_b128 v[144:147], v2 offset:1632
	v_accvgpr_mov_b32 a135, a139
	v_accvgpr_mov_b32 a136, a140
	;; [unrolled: 1-line block ×7, first 2 shown]
	v_accvgpr_write_b32 a142, v156
	ds_read_b128 v[148:151], v2 offset:1648
	v_accvgpr_write_b32 a143, v157
	v_accvgpr_write_b32 a144, v158
	;; [unrolled: 1-line block ×3, first 2 shown]
	s_waitcnt vmcnt(6) lgkmcnt(2)
	v_mul_f64 v[156:157], v[140:141], v[50:51]
	v_fmac_f64_e32 v[156:157], v[142:143], v[48:49]
	v_mul_f64 v[154:155], v[238:239], v[154:155]
	v_add_f64 v[0:1], v[0:1], v[156:157]
	s_waitcnt vmcnt(5) lgkmcnt(1)
	v_mul_f64 v[156:157], v[144:145], v[46:47]
	v_fma_f64 v[232:233], v[236:237], v[152:153], -v[154:155]
	ds_read_b128 v[152:155], v2 offset:1664
	v_fmac_f64_e32 v[156:157], v[146:147], v[44:45]
	v_add_f64 v[0:1], v[0:1], v[156:157]
	s_waitcnt vmcnt(4) lgkmcnt(1)
	v_mul_f64 v[156:157], v[148:149], v[58:59]
	v_fmac_f64_e32 v[156:157], v[150:151], v[56:57]
	v_add_f64 v[0:1], v[0:1], v[156:157]
	v_mul_f64 v[156:157], v[170:171], v[186:187]
	scratch_load_dwordx4 v[88:91], off, off offset:800
	scratch_load_dwordx4 v[80:83], off, off offset:816
	v_fma_f64 v[234:235], v[168:169], v[184:185], -v[156:157]
	ds_read_b128 v[156:159], v2 offset:1680
	s_waitcnt vmcnt(5) lgkmcnt(1)
	v_mul_f64 v[160:161], v[152:153], v[66:67]
	v_fmac_f64_e32 v[160:161], v[154:155], v[64:65]
	v_add_f64 v[0:1], v[0:1], v[160:161]
	ds_read_b128 v[160:163], v2 offset:1696
	v_mul_f64 v[22:23], v[190:191], v[94:95]
	v_mul_f64 v[164:165], v[242:243], v[198:199]
	v_fma_f64 v[22:23], v[188:189], v[92:93], -v[22:23]
	scratch_load_dwordx4 v[92:95], off, off offset:832
	v_fma_f64 v[4:5], v[240:241], v[196:197], -v[164:165]
	ds_read_b128 v[164:167], v2 offset:1712
	ds_read_b128 v[172:175], v2 offset:1728
	s_waitcnt vmcnt(5) lgkmcnt(3)
	v_mul_f64 v[42:43], v[156:157], v[70:71]
	v_mul_f64 v[168:169], v[182:183], v[202:203]
	v_fmac_f64_e32 v[42:43], v[158:159], v[68:69]
	v_fma_f64 v[238:239], v[180:181], v[200:201], -v[168:169]
	scratch_load_dwordx4 v[180:183], off, off offset:848
	v_add_f64 v[0:1], v[0:1], v[42:43]
	s_waitcnt vmcnt(5) lgkmcnt(2)
	v_mul_f64 v[42:43], v[160:161], v[74:75]
	v_fmac_f64_e32 v[42:43], v[162:163], v[72:73]
	scratch_load_dwordx4 v[188:191], off, off offset:864
	scratch_load_dwordx4 v[196:199], off, off offset:880
	v_add_f64 v[0:1], v[0:1], v[42:43]
	s_waitcnt vmcnt(6) lgkmcnt(1)
	v_mul_f64 v[42:43], v[164:165], v[78:79]
	v_fmac_f64_e32 v[42:43], v[166:167], v[76:77]
	v_add_f64 v[0:1], v[0:1], v[42:43]
	v_mul_f64 v[42:43], v[248:249], v[206:207]
	v_fma_f64 v[246:247], v[246:247], v[204:205], -v[42:43]
	scratch_load_dwordx4 v[204:207], off, off offset:896
	scratch_load_dwordx4 v[212:215], off, off offset:912
	;; [unrolled: 1-line block ×4, first 2 shown]
	ds_read_b128 v[168:171], v2 offset:1744
	ds_read_b128 v[240:243], v2 offset:1760
	;; [unrolled: 1-line block ×8, first 2 shown]
	s_waitcnt vmcnt(9) lgkmcnt(8)
	v_mul_f64 v[42:43], v[172:173], v[90:91]
	v_fmac_f64_e32 v[42:43], v[174:175], v[88:89]
	v_add_f64 v[0:1], v[0:1], v[42:43]
	s_waitcnt vmcnt(8) lgkmcnt(7)
	v_mul_f64 v[42:43], v[168:169], v[82:83]
	v_fmac_f64_e32 v[42:43], v[170:171], v[80:81]
	v_add_f64 v[0:1], v[0:1], v[42:43]
	;; [unrolled: 4-line block ×9, first 2 shown]
	ds_read_b128 v[0:3], v2 offset:1872
	s_waitcnt vmcnt(0) lgkmcnt(0)
	v_mul_f64 v[236:237], v[0:1], v[230:231]
	v_fmac_f64_e32 v[236:237], v[2:3], v[228:229]
	v_add_f64 v[236:237], v[42:43], v[236:237]
	v_add_f64 v[42:43], v[244:245], 0
	v_add_f64 v[42:43], v[42:43], v[250:251]
	v_add_f64 v[42:43], v[42:43], v[252:253]
	v_add_f64 v[42:43], v[42:43], v[254:255]
	v_add_f64 v[40:41], v[42:43], v[40:41]
	v_add_f64 v[36:37], v[40:41], v[36:37]
	v_add_f64 v[32:33], v[36:37], v[32:33]
	v_add_f64 v[30:31], v[32:33], v[30:31]
	v_add_f64 v[26:27], v[30:31], v[26:27]
	v_add_f64 v[20:21], v[26:27], v[20:21]
	v_add_f64 v[20:21], v[20:21], v[176:177]
	v_add_f64 v[20:21], v[20:21], v[178:179]
	v_add_f64 v[16:17], v[20:21], v[16:17]
	v_add_f64 v[16:17], v[16:17], v[18:19]
	v_add_f64 v[14:15], v[16:17], v[14:15]
	v_add_f64 v[12:13], v[14:15], v[12:13]
	v_add_f64 v[12:13], v[12:13], v[22:23]
	v_add_f64 v[10:11], v[12:13], v[10:11]
	v_add_f64 v[10:11], v[10:11], v[24:25]
	v_add_f64 v[10:11], v[10:11], v[28:29]
	v_add_f64 v[8:9], v[10:11], v[8:9]
	v_add_f64 v[8:9], v[8:9], v[34:35]
	v_add_f64 v[6:7], v[8:9], v[6:7]
	v_add_f64 v[6:7], v[6:7], v[38:39]
	v_add_f64 v[6:7], v[6:7], v[232:233]
	v_add_f64 v[6:7], v[6:7], v[234:235]
	scratch_load_dwordx4 v[232:235], off, off offset:16
	v_accvgpr_read_b32 v8, a118
	v_accvgpr_read_b32 v10, a120
	;; [unrolled: 1-line block ×3, first 2 shown]
	v_add_f64 v[248:249], v[6:7], v[4:5]
	v_accvgpr_read_b32 v9, a119
	v_mul_f64 v[6:7], v[86:87], v[10:11]
	v_add_f64 v[4:5], v[248:249], v[238:239]
	v_fma_f64 v[6:7], v[84:85], v[8:9], -v[6:7]
	v_accvgpr_read_b32 v8, a122
	v_add_f64 v[4:5], v[4:5], v[246:247]
	v_accvgpr_read_b32 v10, a124
	v_accvgpr_read_b32 v11, a125
	v_add_f64 v[4:5], v[4:5], v[6:7]
	v_accvgpr_read_b32 v9, a123
	v_mul_f64 v[6:7], v[98:99], v[10:11]
	v_fma_f64 v[6:7], v[96:97], v[8:9], -v[6:7]
	v_accvgpr_read_b32 v8, a126
	v_accvgpr_read_b32 v10, a128
	v_accvgpr_read_b32 v11, a129
	v_add_f64 v[4:5], v[4:5], v[6:7]
	v_accvgpr_read_b32 v9, a127
	v_mul_f64 v[6:7], v[102:103], v[10:11]
	v_fma_f64 v[6:7], v[100:101], v[8:9], -v[6:7]
	v_accvgpr_read_b32 v8, a130
	v_accvgpr_read_b32 v10, a132
	v_accvgpr_read_b32 v11, a133
	v_add_f64 v[4:5], v[4:5], v[6:7]
	v_accvgpr_read_b32 v9, a131
	v_mul_f64 v[6:7], v[110:111], v[10:11]
	v_fma_f64 v[6:7], v[108:109], v[8:9], -v[6:7]
	v_accvgpr_read_b32 v8, a134
	v_accvgpr_read_b32 v10, a136
	v_accvgpr_read_b32 v11, a137
	v_add_f64 v[4:5], v[4:5], v[6:7]
	v_accvgpr_read_b32 v9, a135
	v_mul_f64 v[6:7], v[114:115], v[10:11]
	v_fma_f64 v[6:7], v[112:113], v[8:9], -v[6:7]
	v_accvgpr_read_b32 v8, a138
	v_accvgpr_read_b32 v10, a140
	v_accvgpr_read_b32 v11, a141
	v_add_f64 v[4:5], v[4:5], v[6:7]
	v_accvgpr_read_b32 v9, a139
	v_mul_f64 v[6:7], v[118:119], v[10:11]
	v_fma_f64 v[6:7], v[116:117], v[8:9], -v[6:7]
	v_accvgpr_read_b32 v8, a142
	v_accvgpr_read_b32 v10, a144
	v_accvgpr_read_b32 v11, a145
	v_add_f64 v[4:5], v[4:5], v[6:7]
	v_accvgpr_read_b32 v9, a143
	v_mul_f64 v[6:7], v[126:127], v[10:11]
	v_fma_f64 v[6:7], v[124:125], v[8:9], -v[6:7]
	v_accvgpr_read_b32 v8, a146
	v_accvgpr_read_b32 v10, a148
	v_accvgpr_read_b32 v11, a149
	v_add_f64 v[4:5], v[4:5], v[6:7]
	v_accvgpr_read_b32 v9, a147
	v_mul_f64 v[6:7], v[106:107], v[10:11]
	v_fma_f64 v[6:7], v[104:105], v[8:9], -v[6:7]
	v_accvgpr_read_b32 v8, a150
	v_accvgpr_read_b32 v10, a152
	v_accvgpr_read_b32 v11, a153
	v_add_f64 v[4:5], v[4:5], v[6:7]
	v_accvgpr_read_b32 v9, a151
	v_mul_f64 v[6:7], v[122:123], v[10:11]
	v_fma_f64 v[6:7], v[120:121], v[8:9], -v[6:7]
	v_accvgpr_read_b32 v8, a154
	v_accvgpr_read_b32 v10, a156
	v_accvgpr_read_b32 v11, a157
	v_add_f64 v[4:5], v[4:5], v[6:7]
	v_accvgpr_read_b32 v9, a155
	v_mul_f64 v[6:7], v[130:131], v[10:11]
	v_fma_f64 v[6:7], v[128:129], v[8:9], -v[6:7]
	v_add_f64 v[4:5], v[4:5], v[6:7]
	v_mul_f64 v[6:7], v[134:135], v[62:63]
	v_fma_f64 v[6:7], v[132:133], v[60:61], -v[6:7]
	v_add_f64 v[4:5], v[4:5], v[6:7]
	;; [unrolled: 3-line block ×18, first 2 shown]
	v_mul_f64 v[6:7], v[226:227], v[222:223]
	v_fma_f64 v[6:7], v[224:225], v[220:221], -v[6:7]
	v_mul_f64 v[2:3], v[2:3], v[230:231]
	v_add_f64 v[4:5], v[4:5], v[6:7]
	v_fma_f64 v[0:1], v[0:1], v[228:229], -v[2:3]
	v_add_f64 v[0:1], v[4:5], v[0:1]
	s_waitcnt vmcnt(0)
	v_add_f64 v[0:1], v[232:233], -v[0:1]
	v_add_f64 v[2:3], v[234:235], -v[236:237]
	scratch_store_dwordx4 off, v[0:3], off offset:16
	s_cbranch_vccz .LBB58_484
; %bb.368:
	s_nop 0
	v_mov_b32_e32 v0, 0
	global_load_dword v1, v0, s[16:17] offset:228
	s_waitcnt vmcnt(0)
	v_readfirstlane_b32 s0, v1
	s_add_i32 s0, s0, -1
	s_cmp_lg_u32 s0, 57
	s_cbranch_scc0 .LBB58_370
; %bb.369:
	s_lshl_b32 s0, s0, 4
	s_add_i32 s0, s0, 16
	scratch_load_dwordx4 v[2:5], off, s0
	scratch_load_dwordx4 v[6:9], off, s12
	s_waitcnt vmcnt(1)
	scratch_store_dwordx4 off, v[2:5], s12
	s_waitcnt vmcnt(1)
	scratch_store_dwordx4 off, v[6:9], s0
.LBB58_370:
	global_load_dword v0, v0, s[16:17] offset:224
	s_waitcnt vmcnt(0)
	v_readfirstlane_b32 s0, v0
	s_add_i32 s0, s0, -1
	s_cmp_eq_u32 s0, 56
	s_cbranch_scc1 .LBB58_372
; %bb.371:
	s_lshl_b32 s0, s0, 4
	s_add_i32 s0, s0, 16
	scratch_load_dwordx4 v[0:3], off, s0
	scratch_load_dwordx4 v[4:7], off, s15
	s_waitcnt vmcnt(1)
	scratch_store_dwordx4 off, v[0:3], s15
	s_waitcnt vmcnt(1)
	scratch_store_dwordx4 off, v[4:7], s0
.LBB58_372:
	v_mov_b32_e32 v0, 0
	global_load_dword v1, v0, s[16:17] offset:220
	s_waitcnt vmcnt(0)
	v_readfirstlane_b32 s0, v1
	s_add_i32 s0, s0, -1
	s_cmp_eq_u32 s0, 55
	s_cbranch_scc1 .LBB58_374
; %bb.373:
	s_lshl_b32 s0, s0, 4
	s_add_i32 s0, s0, 16
	scratch_load_dwordx4 v[2:5], off, s0
	scratch_load_dwordx4 v[6:9], off, s14
	s_waitcnt vmcnt(1)
	scratch_store_dwordx4 off, v[2:5], s14
	s_waitcnt vmcnt(1)
	scratch_store_dwordx4 off, v[6:9], s0
.LBB58_374:
	global_load_dword v0, v0, s[16:17] offset:216
	s_waitcnt vmcnt(0)
	v_readfirstlane_b32 s0, v0
	s_add_i32 s0, s0, -1
	s_cmp_eq_u32 s0, 54
	s_cbranch_scc1 .LBB58_376
; %bb.375:
	s_lshl_b32 s0, s0, 4
	s_add_i32 s0, s0, 16
	scratch_load_dwordx4 v[0:3], off, s0
	scratch_load_dwordx4 v[4:7], off, s21
	s_waitcnt vmcnt(1)
	scratch_store_dwordx4 off, v[0:3], s21
	s_waitcnt vmcnt(1)
	scratch_store_dwordx4 off, v[4:7], s0
.LBB58_376:
	v_mov_b32_e32 v0, 0
	global_load_dword v1, v0, s[16:17] offset:212
	s_waitcnt vmcnt(0)
	v_readfirstlane_b32 s0, v1
	s_add_i32 s0, s0, -1
	s_cmp_eq_u32 s0, 53
	s_cbranch_scc1 .LBB58_378
; %bb.377:
	s_lshl_b32 s0, s0, 4
	s_add_i32 s0, s0, 16
	scratch_load_dwordx4 v[2:5], off, s0
	scratch_load_dwordx4 v[6:9], off, s20
	s_waitcnt vmcnt(1)
	scratch_store_dwordx4 off, v[2:5], s20
	s_waitcnt vmcnt(1)
	scratch_store_dwordx4 off, v[6:9], s0
.LBB58_378:
	;; [unrolled: 33-line block ×28, first 2 shown]
	global_load_dword v0, v0, s[16:17]
	s_waitcnt vmcnt(0)
	v_readfirstlane_b32 s0, v0
	s_add_i32 s0, s0, -1
	s_cmp_eq_u32 s0, 0
	s_cbranch_scc1 .LBB58_484
; %bb.483:
	s_lshl_b32 s0, s0, 4
	s_add_i32 s0, s0, 16
	scratch_load_dwordx4 v[0:3], off, s0
	scratch_load_dwordx4 v[4:7], off, off offset:16
	s_waitcnt vmcnt(1)
	scratch_store_dwordx4 off, v[0:3], off offset:16
	s_waitcnt vmcnt(1)
	scratch_store_dwordx4 off, v[4:7], s0
.LBB58_484:
	scratch_load_dwordx4 v[0:3], off, off offset:16
	s_nop 0
	scratch_load_dwordx4 v[4:7], off, s74
	scratch_load_dwordx4 v[8:11], off, s73
	;; [unrolled: 1-line block ×32, first 2 shown]
	v_accvgpr_read_b32 v133, a1
	v_accvgpr_read_b32 v132, a0
	;; [unrolled: 1-line block ×20, first 2 shown]
	s_waitcnt vmcnt(32)
	global_store_dwordx4 v[132:133], v[0:3], off
	scratch_load_dwordx4 v[0:3], off, s41
	s_nop 0
	scratch_load_dwordx4 v[132:135], off, s42
	s_waitcnt vmcnt(34)
	global_store_dwordx4 v[136:137], v[4:7], off
	v_accvgpr_read_b32 v137, a7
	v_accvgpr_read_b32 v136, a6
	v_accvgpr_read_b32 v4, a4
	v_accvgpr_read_b32 v5, a5
	s_waitcnt vmcnt(34)
	global_store_dwordx4 v[4:5], v[8:11], off
	scratch_load_dwordx4 v[4:7], off, s39
	s_nop 0
	scratch_load_dwordx4 v[8:11], off, s40
	s_waitcnt vmcnt(36)
	global_store_dwordx4 v[136:137], v[12:15], off
	scratch_load_dwordx4 v[12:15], off, s37
	s_nop 0
	scratch_load_dwordx4 v[136:139], off, s38
	s_waitcnt vmcnt(38)
	global_store_dwordx4 v[140:141], v[16:19], off
	scratch_load_dwordx4 v[16:19], off, s35
	s_nop 0
	scratch_load_dwordx4 v[140:143], off, s36
	s_waitcnt vmcnt(40)
	global_store_dwordx4 v[144:145], v[20:23], off
	v_accvgpr_read_b32 v145, a15
	v_accvgpr_read_b32 v144, a14
	v_accvgpr_read_b32 v21, a13
	v_accvgpr_read_b32 v20, a12
	s_waitcnt vmcnt(40)
	global_store_dwordx4 v[20:21], v[24:27], off
	scratch_load_dwordx4 v[20:23], off, s33
	s_nop 0
	scratch_load_dwordx4 v[24:27], off, s34
	s_waitcnt vmcnt(42)
	global_store_dwordx4 v[144:145], v[28:31], off
	scratch_load_dwordx4 v[28:31], off, s30
	s_nop 0
	scratch_load_dwordx4 v[144:147], off, s31
	;; [unrolled: 21-line block ×4, first 2 shown]
	s_waitcnt vmcnt(56)
	global_store_dwordx4 v[164:165], v[64:67], off
	scratch_load_dwordx4 v[64:67], off, s12
	s_nop 0
	scratch_load_dwordx4 v[164:167], off, s13
	s_waitcnt vmcnt(58)
	global_store_dwordx4 v[168:169], v[68:71], off
	s_nop 1
	v_accvgpr_read_b32 v69, a37
	v_accvgpr_read_b32 v68, a36
	s_waitcnt vmcnt(58)
	global_store_dwordx4 v[68:69], v[72:75], off
	v_accvgpr_read_b32 v69, a39
	v_accvgpr_read_b32 v68, a38
	s_waitcnt vmcnt(58)
	global_store_dwordx4 v[68:69], v[76:79], off
	;; [unrolled: 4-line block ×16, first 2 shown]
	s_nop 1
	v_accvgpr_read_b32 v0, a68
	v_accvgpr_read_b32 v1, a69
	s_waitcnt vmcnt(57)
	global_store_dwordx4 v[0:1], v[132:135], off
	v_accvgpr_read_b32 v0, a70
	v_accvgpr_read_b32 v1, a71
	s_waitcnt vmcnt(55)
	global_store_dwordx4 v[0:1], v[4:7], off
	;; [unrolled: 4-line block ×25, first 2 shown]
	s_endpgm
	.section	.rodata,"a",@progbits
	.p2align	6, 0x0
	.amdhsa_kernel _ZN9rocsolver6v33100L18getri_kernel_smallILi59E19rocblas_complex_numIdEPS3_EEvT1_iilPiilS6_bb
		.amdhsa_group_segment_fixed_size 1896
		.amdhsa_private_segment_fixed_size 976
		.amdhsa_kernarg_size 60
		.amdhsa_user_sgpr_count 2
		.amdhsa_user_sgpr_dispatch_ptr 0
		.amdhsa_user_sgpr_queue_ptr 0
		.amdhsa_user_sgpr_kernarg_segment_ptr 1
		.amdhsa_user_sgpr_dispatch_id 0
		.amdhsa_user_sgpr_kernarg_preload_length 0
		.amdhsa_user_sgpr_kernarg_preload_offset 0
		.amdhsa_user_sgpr_private_segment_size 0
		.amdhsa_uses_dynamic_stack 0
		.amdhsa_enable_private_segment 1
		.amdhsa_system_sgpr_workgroup_id_x 1
		.amdhsa_system_sgpr_workgroup_id_y 0
		.amdhsa_system_sgpr_workgroup_id_z 0
		.amdhsa_system_sgpr_workgroup_info 0
		.amdhsa_system_vgpr_workitem_id 0
		.amdhsa_next_free_vgpr 416
		.amdhsa_next_free_sgpr 75
		.amdhsa_accum_offset 256
		.amdhsa_reserve_vcc 1
		.amdhsa_float_round_mode_32 0
		.amdhsa_float_round_mode_16_64 0
		.amdhsa_float_denorm_mode_32 3
		.amdhsa_float_denorm_mode_16_64 3
		.amdhsa_dx10_clamp 1
		.amdhsa_ieee_mode 1
		.amdhsa_fp16_overflow 0
		.amdhsa_tg_split 0
		.amdhsa_exception_fp_ieee_invalid_op 0
		.amdhsa_exception_fp_denorm_src 0
		.amdhsa_exception_fp_ieee_div_zero 0
		.amdhsa_exception_fp_ieee_overflow 0
		.amdhsa_exception_fp_ieee_underflow 0
		.amdhsa_exception_fp_ieee_inexact 0
		.amdhsa_exception_int_div_zero 0
	.end_amdhsa_kernel
	.section	.text._ZN9rocsolver6v33100L18getri_kernel_smallILi59E19rocblas_complex_numIdEPS3_EEvT1_iilPiilS6_bb,"axG",@progbits,_ZN9rocsolver6v33100L18getri_kernel_smallILi59E19rocblas_complex_numIdEPS3_EEvT1_iilPiilS6_bb,comdat
.Lfunc_end58:
	.size	_ZN9rocsolver6v33100L18getri_kernel_smallILi59E19rocblas_complex_numIdEPS3_EEvT1_iilPiilS6_bb, .Lfunc_end58-_ZN9rocsolver6v33100L18getri_kernel_smallILi59E19rocblas_complex_numIdEPS3_EEvT1_iilPiilS6_bb
                                        ; -- End function
	.set _ZN9rocsolver6v33100L18getri_kernel_smallILi59E19rocblas_complex_numIdEPS3_EEvT1_iilPiilS6_bb.num_vgpr, 256
	.set _ZN9rocsolver6v33100L18getri_kernel_smallILi59E19rocblas_complex_numIdEPS3_EEvT1_iilPiilS6_bb.num_agpr, 160
	.set _ZN9rocsolver6v33100L18getri_kernel_smallILi59E19rocblas_complex_numIdEPS3_EEvT1_iilPiilS6_bb.numbered_sgpr, 75
	.set _ZN9rocsolver6v33100L18getri_kernel_smallILi59E19rocblas_complex_numIdEPS3_EEvT1_iilPiilS6_bb.num_named_barrier, 0
	.set _ZN9rocsolver6v33100L18getri_kernel_smallILi59E19rocblas_complex_numIdEPS3_EEvT1_iilPiilS6_bb.private_seg_size, 976
	.set _ZN9rocsolver6v33100L18getri_kernel_smallILi59E19rocblas_complex_numIdEPS3_EEvT1_iilPiilS6_bb.uses_vcc, 1
	.set _ZN9rocsolver6v33100L18getri_kernel_smallILi59E19rocblas_complex_numIdEPS3_EEvT1_iilPiilS6_bb.uses_flat_scratch, 0
	.set _ZN9rocsolver6v33100L18getri_kernel_smallILi59E19rocblas_complex_numIdEPS3_EEvT1_iilPiilS6_bb.has_dyn_sized_stack, 0
	.set _ZN9rocsolver6v33100L18getri_kernel_smallILi59E19rocblas_complex_numIdEPS3_EEvT1_iilPiilS6_bb.has_recursion, 0
	.set _ZN9rocsolver6v33100L18getri_kernel_smallILi59E19rocblas_complex_numIdEPS3_EEvT1_iilPiilS6_bb.has_indirect_call, 0
	.section	.AMDGPU.csdata,"",@progbits
; Kernel info:
; codeLenInByte = 147128
; TotalNumSgprs: 81
; NumVgprs: 256
; NumAgprs: 160
; TotalNumVgprs: 416
; ScratchSize: 976
; MemoryBound: 0
; FloatMode: 240
; IeeeMode: 1
; LDSByteSize: 1896 bytes/workgroup (compile time only)
; SGPRBlocks: 10
; VGPRBlocks: 51
; NumSGPRsForWavesPerEU: 81
; NumVGPRsForWavesPerEU: 416
; AccumOffset: 256
; Occupancy: 1
; WaveLimiterHint : 1
; COMPUTE_PGM_RSRC2:SCRATCH_EN: 1
; COMPUTE_PGM_RSRC2:USER_SGPR: 2
; COMPUTE_PGM_RSRC2:TRAP_HANDLER: 0
; COMPUTE_PGM_RSRC2:TGID_X_EN: 1
; COMPUTE_PGM_RSRC2:TGID_Y_EN: 0
; COMPUTE_PGM_RSRC2:TGID_Z_EN: 0
; COMPUTE_PGM_RSRC2:TIDIG_COMP_CNT: 0
; COMPUTE_PGM_RSRC3_GFX90A:ACCUM_OFFSET: 63
; COMPUTE_PGM_RSRC3_GFX90A:TG_SPLIT: 0
	.section	.text._ZN9rocsolver6v33100L18getri_kernel_smallILi60E19rocblas_complex_numIdEPS3_EEvT1_iilPiilS6_bb,"axG",@progbits,_ZN9rocsolver6v33100L18getri_kernel_smallILi60E19rocblas_complex_numIdEPS3_EEvT1_iilPiilS6_bb,comdat
	.globl	_ZN9rocsolver6v33100L18getri_kernel_smallILi60E19rocblas_complex_numIdEPS3_EEvT1_iilPiilS6_bb ; -- Begin function _ZN9rocsolver6v33100L18getri_kernel_smallILi60E19rocblas_complex_numIdEPS3_EEvT1_iilPiilS6_bb
	.p2align	8
	.type	_ZN9rocsolver6v33100L18getri_kernel_smallILi60E19rocblas_complex_numIdEPS3_EEvT1_iilPiilS6_bb,@function
_ZN9rocsolver6v33100L18getri_kernel_smallILi60E19rocblas_complex_numIdEPS3_EEvT1_iilPiilS6_bb: ; @_ZN9rocsolver6v33100L18getri_kernel_smallILi60E19rocblas_complex_numIdEPS3_EEvT1_iilPiilS6_bb
; %bb.0:
	v_mov_b32_e32 v244, v0
	v_cmp_gt_u32_e32 vcc, 60, v244
	s_and_saveexec_b64 s[4:5], vcc
	s_cbranch_execz .LBB59_254
; %bb.1:
	s_load_dword s8, s[0:1], 0x38
	s_load_dwordx4 s[12:15], s[0:1], 0x10
	s_load_dwordx4 s[4:7], s[0:1], 0x28
                                        ; implicit-def: $sgpr16_sgpr17
	s_waitcnt lgkmcnt(0)
	s_bitcmp1_b32 s8, 8
	s_cselect_b64 s[18:19], -1, 0
	s_ashr_i32 s3, s2, 31
	s_bfe_u32 s8, s8, 0x10008
	s_cmp_eq_u32 s8, 0
	s_cbranch_scc1 .LBB59_3
; %bb.2:
	s_load_dword s8, s[0:1], 0x20
	s_mul_i32 s9, s4, s3
	s_mul_hi_u32 s10, s4, s2
	s_mul_i32 s5, s5, s2
	s_add_i32 s10, s10, s9
	s_add_i32 s5, s10, s5
	s_mul_i32 s4, s4, s2
	s_waitcnt lgkmcnt(0)
	s_ashr_i32 s9, s8, 31
	s_lshl_b64 s[4:5], s[4:5], 2
	s_add_u32 s10, s14, s4
	s_addc_u32 s11, s15, s5
	s_lshl_b64 s[4:5], s[8:9], 2
	s_add_u32 s16, s10, s4
	s_addc_u32 s17, s11, s5
.LBB59_3:
	s_load_dwordx4 s[8:11], s[0:1], 0x0
	s_load_dword s4, s[0:1], 0x38
	s_mul_i32 s5, s12, s3
	s_mul_hi_u32 s14, s12, s2
	s_add_i32 s5, s14, s5
	s_waitcnt lgkmcnt(0)
	s_ashr_i32 s1, s10, 31
	s_mov_b32 s0, s10
	s_mul_i32 s10, s13, s2
	s_add_i32 s13, s5, s10
	s_mul_i32 s12, s12, s2
	s_lshl_b64 s[12:13], s[12:13], 4
	s_add_u32 s5, s8, s12
	s_addc_u32 s8, s9, s13
	s_lshl_b64 s[0:1], s[0:1], 4
	s_add_u32 s0, s5, s0
	s_addc_u32 s1, s8, s1
	v_lshlrev_b32_e32 v46, 4, v244
	v_mov_b32_e32 v47, 0
	s_add_i32 s5, s11, s11
	v_lshl_add_u64 v[0:1], s[0:1], 0, v[46:47]
	v_add_u32_e32 v2, s5, v244
	s_ashr_i32 s9, s11, 31
	s_mov_b32 s8, s11
	v_accvgpr_write_b32 a0, v0
	v_ashrrev_i32_e32 v3, 31, v2
	v_accvgpr_write_b32 a1, v1
	v_lshl_add_u64 v[0:1], s[8:9], 4, v[0:1]
	v_lshl_add_u64 v[4:5], v[2:3], 4, s[0:1]
	v_add_u32_e32 v2, s11, v2
	v_accvgpr_write_b32 a3, v1
	v_ashrrev_i32_e32 v3, 31, v2
	global_load_dwordx4 v[38:41], v46, s[0:1]
	global_load_dwordx4 v[42:45], v[0:1], off
	v_accvgpr_write_b32 a2, v0
	v_lshl_add_u64 v[0:1], v[2:3], 4, s[0:1]
	v_add_u32_e32 v2, s11, v2
	v_accvgpr_write_b32 a4, v4
	v_ashrrev_i32_e32 v3, 31, v2
	v_accvgpr_write_b32 a5, v5
	global_load_dwordx4 v[48:51], v[4:5], off
	global_load_dwordx4 v[52:55], v[0:1], off
	v_lshl_add_u64 v[4:5], v[2:3], 4, s[0:1]
	v_add_u32_e32 v2, s11, v2
	v_accvgpr_write_b32 a7, v1
	v_ashrrev_i32_e32 v3, 31, v2
	v_accvgpr_write_b32 a6, v0
	global_load_dwordx4 v[56:59], v[4:5], off
	v_lshl_add_u64 v[0:1], v[2:3], 4, s[0:1]
	global_load_dwordx4 v[60:63], v[0:1], off
	v_add_u32_e32 v2, s11, v2
	v_accvgpr_write_b32 a11, v1
	v_ashrrev_i32_e32 v3, 31, v2
	v_accvgpr_write_b32 a10, v0
	v_add_u32_e32 v6, s11, v2
	v_lshl_add_u64 v[0:1], v[2:3], 4, s[0:1]
	v_accvgpr_write_b32 a9, v5
	v_ashrrev_i32_e32 v7, 31, v6
	v_add_u32_e32 v8, s11, v6
	v_accvgpr_write_b32 a13, v1
	v_accvgpr_write_b32 a8, v4
	;; [unrolled: 1-line block ×3, first 2 shown]
	global_load_dwordx4 v[2:5], v[0:1], off
	v_lshl_add_u64 v[0:1], v[6:7], 4, s[0:1]
	v_ashrrev_i32_e32 v9, 31, v8
	v_add_u32_e32 v14, s11, v8
	v_lshl_add_u64 v[6:7], v[8:9], 4, s[0:1]
	global_load_dwordx4 v[10:13], v[0:1], off
	v_ashrrev_i32_e32 v15, 31, v14
	v_add_u32_e32 v16, s11, v14
	v_accvgpr_write_b32 a15, v1
	v_accvgpr_write_b32 a17, v7
	;; [unrolled: 1-line block ×4, first 2 shown]
	global_load_dwordx4 v[6:9], v[6:7], off
	v_lshl_add_u64 v[0:1], v[14:15], 4, s[0:1]
	v_ashrrev_i32_e32 v17, 31, v16
	v_lshl_add_u64 v[14:15], v[16:17], 4, s[0:1]
	global_load_dwordx4 v[18:21], v[0:1], off
	v_accvgpr_write_b32 a21, v15
	v_add_u32_e32 v22, s11, v16
	v_accvgpr_write_b32 a20, v14
	global_load_dwordx4 v[14:17], v[14:15], off
	v_ashrrev_i32_e32 v23, 31, v22
	v_add_u32_e32 v24, s11, v22
	v_accvgpr_write_b32 a19, v1
	v_accvgpr_write_b32 a18, v0
	v_lshl_add_u64 v[0:1], v[22:23], 4, s[0:1]
	v_ashrrev_i32_e32 v25, 31, v24
	v_add_u32_e32 v30, s11, v24
	v_lshl_add_u64 v[22:23], v[24:25], 4, s[0:1]
	global_load_dwordx4 v[26:29], v[0:1], off
	v_ashrrev_i32_e32 v31, 31, v30
	v_add_u32_e32 v32, s11, v30
	v_accvgpr_write_b32 a23, v1
	v_accvgpr_write_b32 a25, v23
	;; [unrolled: 1-line block ×4, first 2 shown]
	global_load_dwordx4 v[22:25], v[22:23], off
	v_lshl_add_u64 v[0:1], v[30:31], 4, s[0:1]
	v_ashrrev_i32_e32 v33, 31, v32
	v_lshl_add_u64 v[30:31], v[32:33], 4, s[0:1]
	global_load_dwordx4 v[34:37], v[0:1], off
	v_accvgpr_write_b32 a28, v30
	v_add_u32_e32 v64, s11, v32
	v_accvgpr_write_b32 a29, v31
	global_load_dwordx4 v[30:33], v[30:31], off
	v_add_u32_e32 v66, s11, v64
	s_waitcnt vmcnt(14)
	scratch_store_dwordx4 off, v[38:41], off offset:16
	s_waitcnt vmcnt(14)
	scratch_store_dwordx4 off, v[42:45], off offset:32
	;; [unrolled: 2-line block ×6, first 2 shown]
	v_add_u32_e32 v48, s11, v66
	v_ashrrev_i32_e32 v65, 31, v64
	v_accvgpr_write_b32 a27, v1
	v_ashrrev_i32_e32 v67, 31, v66
	v_add_u32_e32 v56, s11, v48
	v_accvgpr_write_b32 a26, v0
	v_lshl_add_u64 v[0:1], v[64:65], 4, s[0:1]
	v_lshl_add_u64 v[64:65], v[66:67], 4, s[0:1]
	v_ashrrev_i32_e32 v57, 31, v56
	v_accvgpr_write_b32 a32, v64
	v_lshl_add_u64 v[52:53], v[56:57], 4, s[0:1]
	v_add_u32_e32 v56, s11, v56
	v_accvgpr_write_b32 a33, v65
	global_load_dwordx4 v[42:45], v[64:65], off
	v_add_u32_e32 v64, s11, v56
	v_ashrrev_i32_e32 v65, 31, v64
	v_lshl_add_u64 v[60:61], v[64:65], 4, s[0:1]
	v_add_u32_e32 v64, s11, v64
	v_add_u32_e32 v72, s11, v64
	v_ashrrev_i32_e32 v73, 31, v72
	v_lshl_add_u64 v[68:69], v[72:73], 4, s[0:1]
	v_add_u32_e32 v72, s11, v72
	;; [unrolled: 4-line block ×5, first 2 shown]
	v_add_u32_e32 v104, s11, v96
	v_add_u32_e32 v108, s11, v104
	;; [unrolled: 1-line block ×3, first 2 shown]
	s_waitcnt vmcnt(15)
	scratch_store_dwordx4 off, v[2:5], off offset:112
	s_waitcnt vmcnt(15)
	scratch_store_dwordx4 off, v[10:13], off offset:128
	global_load_dwordx4 v[38:41], v[0:1], off
	v_add_u32_e32 v2, s11, v112
	v_add_u32_e32 v10, s11, v2
	v_ashrrev_i32_e32 v11, 31, v10
	v_accvgpr_write_b32 a36, v52
	s_waitcnt vmcnt(16)
	scratch_store_dwordx4 off, v[6:9], off offset:144
	v_accvgpr_write_b32 a31, v1
	v_ashrrev_i32_e32 v49, 31, v48
	v_lshl_add_u64 v[6:7], v[10:11], 4, s[0:1]
	v_add_u32_e32 v10, s11, v10
	v_accvgpr_write_b32 a37, v53
	global_load_dwordx4 v[52:55], v[52:53], off
	v_accvgpr_write_b32 a69, v7
	s_waitcnt vmcnt(17)
	scratch_store_dwordx4 off, v[18:21], off offset:160
	v_accvgpr_write_b32 a30, v0
	v_accvgpr_write_b32 a68, v6
	v_add_u32_e32 v18, s11, v10
	global_load_dwordx4 v[6:9], v[6:7], off
	v_lshl_add_u64 v[0:1], v[48:49], 4, s[0:1]
	v_ashrrev_i32_e32 v19, 31, v18
	global_load_dwordx4 v[48:51], v[0:1], off
	v_accvgpr_write_b32 a40, v60
	s_waitcnt vmcnt(19)
	scratch_store_dwordx4 off, v[14:17], off offset:176
	v_accvgpr_write_b32 a35, v1
	v_ashrrev_i32_e32 v57, 31, v56
	v_lshl_add_u64 v[14:15], v[18:19], 4, s[0:1]
	v_accvgpr_write_b32 a41, v61
	global_load_dwordx4 v[60:63], v[60:61], off
	v_accvgpr_write_b32 a73, v15
	v_accvgpr_write_b32 a34, v0
	v_accvgpr_write_b32 a72, v14
	global_load_dwordx4 v[14:17], v[14:15], off
	v_lshl_add_u64 v[0:1], v[56:57], 4, s[0:1]
	global_load_dwordx4 v[56:59], v[0:1], off
	v_add_u32_e32 v18, s11, v18
	s_waitcnt vmcnt(22)
	scratch_store_dwordx4 off, v[26:29], off offset:192
	v_accvgpr_write_b32 a44, v68
	s_waitcnt vmcnt(22)
	scratch_store_dwordx4 off, v[22:25], off offset:208
	v_add_u32_e32 v26, s11, v18
	v_ashrrev_i32_e32 v27, 31, v26
	v_lshl_add_u64 v[22:23], v[26:27], 4, s[0:1]
	v_add_u32_e32 v26, s11, v26
	v_accvgpr_write_b32 a39, v1
	v_ashrrev_i32_e32 v65, 31, v64
	v_accvgpr_write_b32 a45, v69
	global_load_dwordx4 v[68:71], v[68:69], off
	v_accvgpr_write_b32 a77, v23
	s_waitcnt vmcnt(23)
	scratch_store_dwordx4 off, v[34:37], off offset:224
	v_accvgpr_write_b32 a38, v0
	v_accvgpr_write_b32 a76, v22
	v_add_u32_e32 v34, s11, v26
	global_load_dwordx4 v[22:25], v[22:23], off
	v_lshl_add_u64 v[0:1], v[64:65], 4, s[0:1]
	v_ashrrev_i32_e32 v35, 31, v34
	global_load_dwordx4 v[64:67], v[0:1], off
	v_accvgpr_write_b32 a48, v76
	s_waitcnt vmcnt(25)
	scratch_store_dwordx4 off, v[30:33], off offset:240
	v_accvgpr_write_b32 a43, v1
	v_ashrrev_i32_e32 v73, 31, v72
	v_lshl_add_u64 v[30:31], v[34:35], 4, s[0:1]
	v_accvgpr_write_b32 a49, v77
	global_load_dwordx4 v[76:79], v[76:77], off
	v_accvgpr_write_b32 a81, v31
	v_accvgpr_write_b32 a42, v0
	;; [unrolled: 1-line block ×3, first 2 shown]
	global_load_dwordx4 v[30:33], v[30:31], off
	v_lshl_add_u64 v[0:1], v[72:73], 4, s[0:1]
	global_load_dwordx4 v[72:75], v[0:1], off
	v_add_u32_e32 v34, s11, v34
	s_waitcnt vmcnt(22)
	scratch_store_dwordx4 off, v[42:45], off offset:272
	v_accvgpr_write_b32 a52, v84
	v_accvgpr_write_b32 a47, v1
	v_add_u32_e32 v42, s11, v34
	v_ashrrev_i32_e32 v43, 31, v42
	v_ashrrev_i32_e32 v81, 31, v80
	v_accvgpr_write_b32 a53, v85
	global_load_dwordx4 v[84:87], v[84:85], off
	v_accvgpr_write_b32 a46, v0
	v_accvgpr_write_b32 a56, v92
	v_ashrrev_i32_e32 v89, 31, v88
	s_waitcnt vmcnt(21)
	scratch_store_dwordx4 off, v[38:41], off offset:256
	v_accvgpr_write_b32 a57, v93
	global_load_dwordx4 v[92:95], v[92:93], off
	v_lshl_add_u64 v[38:39], v[42:43], 4, s[0:1]
	v_add_u32_e32 v42, s11, v42
	v_accvgpr_write_b32 a85, v39
	v_accvgpr_write_b32 a84, v38
	global_load_dwordx4 v[38:41], v[38:39], off
	v_lshl_add_u64 v[0:1], v[80:81], 4, s[0:1]
	global_load_dwordx4 v[80:83], v[0:1], off
	v_accvgpr_write_b32 a51, v1
	s_waitcnt vmcnt(23)
	scratch_store_dwordx4 off, v[52:55], off offset:304
	v_ashrrev_i32_e32 v105, 31, v104
	v_accvgpr_write_b32 a50, v0
	v_add_u32_e32 v52, s11, v42
	v_ashrrev_i32_e32 v53, 31, v52
	v_lshl_add_u64 v[100:101], v[104:105], 4, s[0:1]
	v_accvgpr_write_b32 a60, v100
	v_ashrrev_i32_e32 v97, 31, v96
	v_accvgpr_write_b32 a61, v101
	s_waitcnt vmcnt(21)
	scratch_store_dwordx4 off, v[48:51], off offset:288
	global_load_dwordx4 v[100:103], v[100:101], off
	v_ashrrev_i32_e32 v109, 31, v108
	v_lshl_add_u64 v[48:49], v[52:53], 4, s[0:1]
	v_add_u32_e32 v52, s11, v52
	v_accvgpr_write_b32 a89, v49
	v_accvgpr_write_b32 a88, v48
	s_waitcnt vmcnt(21)
	scratch_store_dwordx4 off, v[60:63], off offset:336
	global_load_dwordx4 v[48:51], v[48:49], off
	v_lshl_add_u64 v[0:1], v[88:89], 4, s[0:1]
	v_add_u32_e32 v60, s11, v52
	v_ashrrev_i32_e32 v61, 31, v60
	global_load_dwordx4 v[88:91], v[0:1], off
	v_accvgpr_write_b32 a55, v1
	s_waitcnt vmcnt(22)
	scratch_store_dwordx4 off, v[56:59], off offset:320
	v_accvgpr_write_b32 a54, v0
	v_ashrrev_i32_e32 v113, 31, v112
	v_lshl_add_u64 v[56:57], v[60:61], 4, s[0:1]
	v_accvgpr_write_b32 a93, v57
	v_accvgpr_write_b32 a92, v56
	global_load_dwordx4 v[56:59], v[56:57], off
	v_lshl_add_u64 v[0:1], v[96:97], 4, s[0:1]
	global_load_dwordx4 v[96:99], v[0:1], off
	v_add_u32_e32 v60, s11, v60
	v_accvgpr_write_b32 a59, v1
	s_waitcnt vmcnt(22)
	scratch_store_dwordx4 off, v[68:71], off offset:368
	v_accvgpr_write_b32 a58, v0
	v_ashrrev_i32_e32 v3, 31, v2
	v_add_u32_e32 v68, s11, v60
	v_ashrrev_i32_e32 v69, 31, v68
	v_ashrrev_i32_e32 v11, 31, v10
	;; [unrolled: 1-line block ×5, first 2 shown]
	s_waitcnt vmcnt(20)
	scratch_store_dwordx4 off, v[64:67], off offset:352
	v_ashrrev_i32_e32 v43, 31, v42
	v_ashrrev_i32_e32 v53, 31, v52
	v_lshl_add_u64 v[64:65], v[68:69], 4, s[0:1]
	v_add_u32_e32 v68, s11, v68
	v_accvgpr_write_b32 a97, v65
	v_accvgpr_write_b32 a96, v64
	s_waitcnt vmcnt(19)
	scratch_store_dwordx4 off, v[76:79], off offset:400
	global_load_dwordx4 v[64:67], v[64:65], off
	v_lshl_add_u64 v[0:1], v[108:109], 4, s[0:1]
	v_add_u32_e32 v76, s11, v68
	v_ashrrev_i32_e32 v77, 31, v76
	v_accvgpr_write_b32 a63, v1
	s_waitcnt vmcnt(19)
	scratch_store_dwordx4 off, v[72:75], off offset:384
	global_load_dwordx4 v[104:107], v[0:1], off
	v_accvgpr_write_b32 a62, v0
	v_lshl_add_u64 v[72:73], v[76:77], 4, s[0:1]
	v_accvgpr_write_b32 a101, v73
	v_accvgpr_write_b32 a100, v72
	global_load_dwordx4 v[72:75], v[72:73], off
	v_lshl_add_u64 v[0:1], v[112:113], 4, s[0:1]
	global_load_dwordx4 v[108:111], v[0:1], off
	v_add_u32_e32 v76, s11, v76
	s_waitcnt vmcnt(21)
	scratch_store_dwordx4 off, v[84:87], off offset:432
	v_accvgpr_write_b32 a65, v1
	v_accvgpr_write_b32 a64, v0
	v_add_u32_e32 v84, s11, v76
	v_ashrrev_i32_e32 v85, 31, v84
	s_waitcnt vmcnt(20)
	scratch_store_dwordx4 off, v[92:95], off offset:464
	v_ashrrev_i32_e32 v61, 31, v60
	v_ashrrev_i32_e32 v69, 31, v68
	;; [unrolled: 1-line block ×3, first 2 shown]
	s_movk_i32 s5, 0x60
	s_add_i32 s23, s5, 16
	s_movk_i32 s5, 0x70
	s_waitcnt vmcnt(19)
	scratch_store_dwordx4 off, v[80:83], off offset:416
	s_add_i32 s24, s5, 16
	s_movk_i32 s5, 0x80
	v_lshl_add_u64 v[80:81], v[84:85], 4, s[0:1]
	v_add_u32_e32 v84, s11, v84
	v_add_u32_e32 v92, s11, v84
	v_ashrrev_i32_e32 v93, 31, v92
	v_accvgpr_write_b32 a105, v81
	v_accvgpr_write_b32 a104, v80
	global_load_dwordx4 v[80:83], v[80:81], off
	v_lshl_add_u64 v[0:1], v[2:3], 4, s[0:1]
	v_accvgpr_write_b32 a67, v1
	s_waitcnt vmcnt(18)
	scratch_store_dwordx4 off, v[100:103], off offset:496
	v_accvgpr_write_b32 a66, v0
	global_load_dwordx4 v[2:5], v[0:1], off
	v_ashrrev_i32_e32 v85, 31, v84
	s_add_i32 s25, s5, 16
	s_movk_i32 s5, 0x90
	s_add_i32 s26, s5, 16
	s_movk_i32 s5, 0xa0
	;; [unrolled: 2-line block ×3, first 2 shown]
	s_add_i32 s28, s5, 16
	s_waitcnt vmcnt(17)
	scratch_store_dwordx4 off, v[88:91], off offset:448
	s_movk_i32 s5, 0xc0
	s_add_i32 s29, s5, 16
	v_lshl_add_u64 v[88:89], v[92:93], 4, s[0:1]
	v_add_u32_e32 v92, s11, v92
	v_add_u32_e32 v100, s11, v92
	v_accvgpr_write_b32 a109, v89
	v_ashrrev_i32_e32 v101, 31, v100
	v_accvgpr_write_b32 a108, v88
	global_load_dwordx4 v[88:91], v[88:89], off
	v_lshl_add_u64 v[0:1], v[10:11], 4, s[0:1]
	s_waitcnt vmcnt(16)
	scratch_store_dwordx4 off, v[96:99], off offset:480
	v_accvgpr_write_b32 a71, v1
	v_accvgpr_write_b32 a70, v0
	v_lshl_add_u64 v[96:97], v[100:101], 4, s[0:1]
	v_accvgpr_write_b32 a113, v97
	global_load_dwordx4 v[10:13], v[0:1], off
	v_accvgpr_write_b32 a112, v96
	global_load_dwordx4 v[96:99], v[96:97], off
	v_lshl_add_u64 v[0:1], v[18:19], 4, s[0:1]
	v_accvgpr_write_b32 a75, v1
	v_accvgpr_write_b32 a74, v0
	global_load_dwordx4 v[18:21], v[0:1], off
	v_lshl_add_u64 v[0:1], v[26:27], 4, s[0:1]
	v_accvgpr_write_b32 a79, v1
	;; [unrolled: 4-line block ×9, first 2 shown]
	v_ashrrev_i32_e32 v93, 31, v92
	s_waitcnt vmcnt(21)
	scratch_store_dwordx4 off, v[104:107], off offset:512
	v_accvgpr_write_b32 a106, v0
	global_load_dwordx4 v[84:87], v[0:1], off
	v_lshl_add_u64 v[0:1], v[92:93], 4, s[0:1]
	v_add_u32_e32 v104, s11, v100
	v_accvgpr_write_b32 a111, v1
	v_ashrrev_i32_e32 v105, 31, v104
	s_waitcnt vmcnt(21)
	scratch_store_dwordx4 off, v[108:111], off offset:528
	v_accvgpr_write_b32 a110, v0
	global_load_dwordx4 v[92:95], v[0:1], off
	v_lshl_add_u64 v[0:1], v[104:105], 4, s[0:1]
	v_add_u32_e32 v108, s11, v104
	v_accvgpr_write_b32 a115, v1
	v_ashrrev_i32_e32 v109, 31, v108
	v_accvgpr_write_b32 a114, v0
	global_load_dwordx4 v[100:103], v[0:1], off
	v_lshl_add_u64 v[0:1], v[108:109], 4, s[0:1]
	v_add_u32_e32 v108, s11, v108
	v_accvgpr_write_b32 a117, v1
	v_ashrrev_i32_e32 v109, 31, v108
	v_accvgpr_write_b32 a116, v0
	global_load_dwordx4 v[104:107], v[0:1], off
	v_lshl_add_u64 v[0:1], v[108:109], 4, s[0:1]
	global_load_dwordx4 v[108:111], v[0:1], off
	s_movk_i32 s0, 0x220
	s_add_i32 s50, s0, 16
	s_movk_i32 s0, 0x230
	s_add_i32 s51, s0, 16
	;; [unrolled: 2-line block ×4, first 2 shown]
	s_movk_i32 s0, 0x260
	s_movk_i32 s5, 0xd0
	s_add_i32 s54, s0, 16
	s_movk_i32 s0, 0x270
	s_add_i32 s30, s5, 16
	;; [unrolled: 2-line block ×39, first 2 shown]
	s_movk_i32 s0, 0x3a0
	s_movk_i32 s8, 0x50
	s_add_i32 s22, s5, 16
	s_movk_i32 s5, 0x210
	s_add_i32 s74, s0, 16
	;; [unrolled: 2-line block ×3, first 2 shown]
	v_accvgpr_write_b32 a119, v1
	s_add_i32 s49, s5, 16
	s_add_i32 s75, s0, 16
	s_mov_b32 s20, 32
	s_mov_b32 s15, 48
	;; [unrolled: 1-line block ×3, first 2 shown]
	s_movk_i32 s13, 0x50
	v_accvgpr_write_b32 a118, v0
	s_bitcmp0_b32 s4, 0
	s_mov_b64 s[4:5], -1
	s_waitcnt vmcnt(20)
	scratch_store_dwordx4 off, v[2:5], off offset:544
	scratch_store_dwordx4 off, v[6:9], off offset:560
	s_waitcnt vmcnt(18)
	scratch_store_dwordx4 off, v[10:13], off offset:576
	scratch_store_dwordx4 off, v[14:17], off offset:592
	;; [unrolled: 3-line block ×12, first 2 shown]
	s_waitcnt vmcnt(26)
	scratch_store_dwordx4 off, v[100:103], off offset:928
	s_waitcnt vmcnt(26)
	scratch_store_dwordx4 off, v[104:107], off offset:944
	;; [unrolled: 2-line block ×3, first 2 shown]
	s_cbranch_scc1 .LBB59_252
; %bb.4:
	v_cmp_eq_u32_e64 s[0:1], 0, v244
	s_and_saveexec_b64 s[4:5], s[0:1]
; %bb.5:
	v_mov_b32_e32 v0, 0
	ds_write_b32 v0, v0 offset:1920
; %bb.6:
	s_or_b64 exec, exec, s[4:5]
	s_waitcnt lgkmcnt(0)
	; wave barrier
	scratch_load_dwordx4 v[2:5], v46, off offset:16
	s_waitcnt vmcnt(0)
	v_cmp_eq_f64_e32 vcc, 0, v[2:3]
	v_cmp_eq_f64_e64 s[4:5], 0, v[4:5]
	s_and_b64 s[4:5], vcc, s[4:5]
	s_and_saveexec_b64 s[8:9], s[4:5]
	s_cbranch_execz .LBB59_10
; %bb.7:
	v_mov_b32_e32 v1, 0
	ds_read_b32 v0, v1 offset:1920
	v_add_u32_e32 v2, 1, v244
	s_waitcnt lgkmcnt(0)
	v_readfirstlane_b32 s4, v0
	s_cmp_eq_u32 s4, 0
	s_cselect_b64 s[10:11], -1, 0
	v_cmp_gt_i32_e32 vcc, s4, v2
	s_or_b64 s[10:11], s[10:11], vcc
	s_and_b64 exec, exec, s[10:11]
	s_cbranch_execz .LBB59_10
; %bb.8:
	s_mov_b64 s[10:11], 0
	v_mov_b32_e32 v3, s4
.LBB59_9:                               ; =>This Inner Loop Header: Depth=1
	ds_cmpst_rtn_b32 v3, v1, v3, v2 offset:1920
	s_waitcnt lgkmcnt(0)
	v_cmp_ne_u32_e32 vcc, 0, v3
	v_cmp_le_i32_e64 s[4:5], v3, v2
	s_and_b64 s[4:5], vcc, s[4:5]
	s_and_b64 s[4:5], exec, s[4:5]
	s_or_b64 s[10:11], s[4:5], s[10:11]
	s_andn2_b64 exec, exec, s[10:11]
	s_cbranch_execnz .LBB59_9
.LBB59_10:
	s_or_b64 exec, exec, s[8:9]
	v_mov_b32_e32 v2, 0
	; wave barrier
	ds_read_b32 v1, v2 offset:1920
	s_and_saveexec_b64 s[4:5], s[0:1]
	s_cbranch_execz .LBB59_12
; %bb.11:
	s_lshl_b64 s[8:9], s[2:3], 2
	s_add_u32 s8, s6, s8
	s_addc_u32 s9, s7, s9
	s_waitcnt lgkmcnt(0)
	global_store_dword v2, v1, s[8:9]
.LBB59_12:
	s_or_b64 exec, exec, s[4:5]
	s_waitcnt lgkmcnt(0)
	v_cmp_ne_u32_e32 vcc, 0, v1
	s_mov_b64 s[4:5], 0
	s_cbranch_vccnz .LBB59_252
; %bb.13:
	v_add_u32_e32 v14, 16, v46
	scratch_load_dwordx4 v[2:5], v14, off
                                        ; implicit-def: $vgpr6_vgpr7
                                        ; implicit-def: $vgpr10_vgpr11
	s_waitcnt vmcnt(0)
	v_cmp_ngt_f64_e64 s[4:5], |v[2:3]|, |v[4:5]|
	s_and_saveexec_b64 s[8:9], s[4:5]
	s_xor_b64 s[4:5], exec, s[8:9]
	s_cbranch_execz .LBB59_15
; %bb.14:
	v_div_scale_f64 v[6:7], s[8:9], v[4:5], v[4:5], v[2:3]
	v_rcp_f64_e32 v[8:9], v[6:7]
	v_div_scale_f64 v[10:11], vcc, v[2:3], v[4:5], v[2:3]
	v_fma_f64 v[12:13], -v[6:7], v[8:9], 1.0
	v_fmac_f64_e32 v[8:9], v[8:9], v[12:13]
	v_fma_f64 v[12:13], -v[6:7], v[8:9], 1.0
	v_fmac_f64_e32 v[8:9], v[8:9], v[12:13]
	v_mul_f64 v[12:13], v[10:11], v[8:9]
	v_fma_f64 v[6:7], -v[6:7], v[12:13], v[10:11]
	v_div_fmas_f64 v[6:7], v[6:7], v[8:9], v[12:13]
	v_div_fixup_f64 v[6:7], v[6:7], v[4:5], v[2:3]
	v_fmac_f64_e32 v[4:5], v[2:3], v[6:7]
	v_div_scale_f64 v[2:3], s[8:9], v[4:5], v[4:5], 1.0
	v_rcp_f64_e32 v[8:9], v[2:3]
	s_nop 0
	v_fma_f64 v[10:11], -v[2:3], v[8:9], 1.0
	v_fmac_f64_e32 v[8:9], v[8:9], v[10:11]
	v_fma_f64 v[10:11], -v[2:3], v[8:9], 1.0
	v_fmac_f64_e32 v[8:9], v[8:9], v[10:11]
	v_div_scale_f64 v[10:11], vcc, 1.0, v[4:5], 1.0
	v_mul_f64 v[12:13], v[10:11], v[8:9]
	v_fma_f64 v[2:3], -v[2:3], v[12:13], v[10:11]
	s_nop 1
	v_div_fmas_f64 v[2:3], v[2:3], v[8:9], v[12:13]
	v_div_fixup_f64 v[8:9], v[2:3], v[4:5], 1.0
	v_mul_f64 v[6:7], v[6:7], v[8:9]
	v_xor_b32_e32 v9, 0x80000000, v9
	v_xor_b32_e32 v11, 0x80000000, v7
	v_mov_b32_e32 v10, v6
                                        ; implicit-def: $vgpr2_vgpr3
.LBB59_15:
	s_andn2_saveexec_b64 s[4:5], s[4:5]
	s_cbranch_execz .LBB59_17
; %bb.16:
	v_div_scale_f64 v[6:7], s[8:9], v[2:3], v[2:3], v[4:5]
	v_rcp_f64_e32 v[8:9], v[6:7]
	v_div_scale_f64 v[10:11], vcc, v[4:5], v[2:3], v[4:5]
	v_fma_f64 v[12:13], -v[6:7], v[8:9], 1.0
	v_fmac_f64_e32 v[8:9], v[8:9], v[12:13]
	v_fma_f64 v[12:13], -v[6:7], v[8:9], 1.0
	v_fmac_f64_e32 v[8:9], v[8:9], v[12:13]
	v_mul_f64 v[12:13], v[10:11], v[8:9]
	v_fma_f64 v[6:7], -v[6:7], v[12:13], v[10:11]
	v_div_fmas_f64 v[6:7], v[6:7], v[8:9], v[12:13]
	v_div_fixup_f64 v[8:9], v[6:7], v[2:3], v[4:5]
	v_fmac_f64_e32 v[2:3], v[4:5], v[8:9]
	v_div_scale_f64 v[4:5], s[8:9], v[2:3], v[2:3], 1.0
	v_rcp_f64_e32 v[6:7], v[4:5]
	s_nop 0
	v_fma_f64 v[10:11], -v[4:5], v[6:7], 1.0
	v_fmac_f64_e32 v[6:7], v[6:7], v[10:11]
	v_fma_f64 v[10:11], -v[4:5], v[6:7], 1.0
	v_fmac_f64_e32 v[6:7], v[6:7], v[10:11]
	v_div_scale_f64 v[10:11], vcc, 1.0, v[2:3], 1.0
	v_mul_f64 v[12:13], v[10:11], v[6:7]
	v_fma_f64 v[4:5], -v[4:5], v[12:13], v[10:11]
	s_nop 1
	v_div_fmas_f64 v[4:5], v[4:5], v[6:7], v[12:13]
	v_div_fixup_f64 v[6:7], v[4:5], v[2:3], 1.0
	v_xor_b32_e32 v11, 0x80000000, v7
	v_mov_b32_e32 v10, v6
	v_mul_f64 v[8:9], v[8:9], -v[6:7]
.LBB59_17:
	s_or_b64 exec, exec, s[4:5]
	scratch_store_dwordx4 v14, v[6:9], off
	scratch_load_dwordx4 v[2:5], off, s20
	v_xor_b32_e32 v13, 0x80000000, v9
	v_mov_b32_e32 v12, v8
	v_add_u32_e32 v1, 0x3c0, v46
	ds_write_b128 v46, v[10:13]
	s_waitcnt vmcnt(0)
	ds_write_b128 v46, v[2:5] offset:960
	s_waitcnt lgkmcnt(0)
	; wave barrier
	s_and_saveexec_b64 s[4:5], s[0:1]
	s_cbranch_execz .LBB59_19
; %bb.18:
	scratch_load_dwordx4 v[2:5], v14, off
	ds_read_b128 v[6:9], v1
	v_mov_b32_e32 v0, 0
	ds_read_b128 v[10:13], v0 offset:16
	s_waitcnt vmcnt(0) lgkmcnt(1)
	v_mul_f64 v[16:17], v[8:9], v[4:5]
	v_mul_f64 v[4:5], v[6:7], v[4:5]
	v_fma_f64 v[6:7], v[6:7], v[2:3], -v[16:17]
	v_fmac_f64_e32 v[4:5], v[8:9], v[2:3]
	v_add_f64 v[2:3], v[6:7], 0
	v_add_f64 v[6:7], v[4:5], 0
	s_waitcnt lgkmcnt(0)
	v_mul_f64 v[8:9], v[6:7], v[12:13]
	v_mul_f64 v[4:5], v[2:3], v[12:13]
	v_fma_f64 v[2:3], v[2:3], v[10:11], -v[8:9]
	v_fmac_f64_e32 v[4:5], v[6:7], v[10:11]
	scratch_store_dwordx4 off, v[2:5], off offset:32
.LBB59_19:
	s_or_b64 exec, exec, s[4:5]
	; wave barrier
	scratch_load_dwordx4 v[2:5], off, s15
	v_cmp_gt_u32_e32 vcc, 2, v244
	s_waitcnt vmcnt(0)
	ds_write_b128 v1, v[2:5]
	s_waitcnt lgkmcnt(0)
	; wave barrier
	s_and_saveexec_b64 s[4:5], vcc
	s_cbranch_execz .LBB59_23
; %bb.20:
	scratch_load_dwordx4 v[2:5], v14, off
	ds_read_b128 v[6:9], v1
	s_waitcnt vmcnt(0) lgkmcnt(0)
	v_mul_f64 v[10:11], v[8:9], v[4:5]
	v_mul_f64 v[12:13], v[6:7], v[4:5]
	v_fma_f64 v[4:5], v[6:7], v[2:3], -v[10:11]
	v_fmac_f64_e32 v[12:13], v[8:9], v[2:3]
	v_add_f64 v[4:5], v[4:5], 0
	v_add_f64 v[2:3], v[12:13], 0
	s_and_saveexec_b64 s[8:9], s[0:1]
	s_cbranch_execz .LBB59_22
; %bb.21:
	scratch_load_dwordx4 v[6:9], off, off offset:32
	v_mov_b32_e32 v0, 0
	ds_read_b128 v[10:13], v0 offset:976
	s_waitcnt vmcnt(0) lgkmcnt(0)
	v_mul_f64 v[14:15], v[10:11], v[8:9]
	v_mul_f64 v[8:9], v[12:13], v[8:9]
	v_fmac_f64_e32 v[14:15], v[12:13], v[6:7]
	v_fma_f64 v[6:7], v[10:11], v[6:7], -v[8:9]
	v_add_f64 v[2:3], v[2:3], v[14:15]
	v_add_f64 v[4:5], v[4:5], v[6:7]
.LBB59_22:
	s_or_b64 exec, exec, s[8:9]
	v_mov_b32_e32 v0, 0
	ds_read_b128 v[6:9], v0 offset:32
	s_waitcnt lgkmcnt(0)
	v_mul_f64 v[12:13], v[2:3], v[8:9]
	v_mul_f64 v[10:11], v[4:5], v[8:9]
	v_fma_f64 v[8:9], v[4:5], v[6:7], -v[12:13]
	v_fmac_f64_e32 v[10:11], v[2:3], v[6:7]
	scratch_store_dwordx4 off, v[8:11], off offset:48
.LBB59_23:
	s_or_b64 exec, exec, s[4:5]
	; wave barrier
	scratch_load_dwordx4 v[2:5], off, s14
	v_cmp_gt_u32_e32 vcc, 3, v244
	v_add_u32_e32 v6, -1, v244
	s_waitcnt vmcnt(0)
	ds_write_b128 v1, v[2:5]
	s_waitcnt lgkmcnt(0)
	; wave barrier
	s_and_saveexec_b64 s[0:1], vcc
	s_cbranch_execz .LBB59_27
; %bb.24:
	v_add_u32_e32 v7, -1, v244
	v_add_u32_e32 v8, 0x3c0, v46
	v_add_u32_e32 v9, 16, v46
	v_mov_b64_e32 v[2:3], 0
	s_mov_b64 s[4:5], 0
	v_mov_b64_e32 v[4:5], 0
.LBB59_25:                              ; =>This Inner Loop Header: Depth=1
	scratch_load_dwordx4 v[10:13], v9, off
	ds_read_b128 v[14:17], v8
	v_add_u32_e32 v7, 1, v7
	v_cmp_lt_u32_e32 vcc, 1, v7
	v_add_u32_e32 v8, 16, v8
	v_add_u32_e32 v9, 16, v9
	s_or_b64 s[4:5], vcc, s[4:5]
	s_waitcnt vmcnt(0) lgkmcnt(0)
	v_mul_f64 v[18:19], v[16:17], v[12:13]
	v_mul_f64 v[12:13], v[14:15], v[12:13]
	v_fma_f64 v[14:15], v[14:15], v[10:11], -v[18:19]
	v_fmac_f64_e32 v[12:13], v[16:17], v[10:11]
	v_add_f64 v[4:5], v[4:5], v[14:15]
	v_add_f64 v[2:3], v[2:3], v[12:13]
	s_andn2_b64 exec, exec, s[4:5]
	s_cbranch_execnz .LBB59_25
; %bb.26:
	s_or_b64 exec, exec, s[4:5]
	v_mov_b32_e32 v0, 0
	ds_read_b128 v[8:11], v0 offset:48
	s_waitcnt lgkmcnt(0)
	v_mul_f64 v[14:15], v[2:3], v[10:11]
	v_mul_f64 v[12:13], v[4:5], v[10:11]
	v_fma_f64 v[10:11], v[4:5], v[8:9], -v[14:15]
	v_fmac_f64_e32 v[12:13], v[2:3], v[8:9]
	scratch_store_dwordx4 off, v[10:13], off offset:64
.LBB59_27:
	s_or_b64 exec, exec, s[0:1]
	; wave barrier
	scratch_load_dwordx4 v[2:5], off, s13
	v_cmp_gt_u32_e32 vcc, 4, v244
	s_waitcnt vmcnt(0)
	ds_write_b128 v1, v[2:5]
	s_waitcnt lgkmcnt(0)
	; wave barrier
	s_and_saveexec_b64 s[0:1], vcc
	s_cbranch_execz .LBB59_31
; %bb.28:
	v_add_u32_e32 v7, -1, v244
	v_add_u32_e32 v8, 0x3c0, v46
	v_add_u32_e32 v9, 16, v46
	v_mov_b64_e32 v[2:3], 0
	s_mov_b64 s[4:5], 0
	v_mov_b64_e32 v[4:5], 0
.LBB59_29:                              ; =>This Inner Loop Header: Depth=1
	scratch_load_dwordx4 v[10:13], v9, off
	ds_read_b128 v[14:17], v8
	v_add_u32_e32 v7, 1, v7
	v_cmp_lt_u32_e32 vcc, 2, v7
	v_add_u32_e32 v8, 16, v8
	v_add_u32_e32 v9, 16, v9
	s_or_b64 s[4:5], vcc, s[4:5]
	s_waitcnt vmcnt(0) lgkmcnt(0)
	v_mul_f64 v[18:19], v[16:17], v[12:13]
	v_mul_f64 v[12:13], v[14:15], v[12:13]
	v_fma_f64 v[14:15], v[14:15], v[10:11], -v[18:19]
	v_fmac_f64_e32 v[12:13], v[16:17], v[10:11]
	v_add_f64 v[4:5], v[4:5], v[14:15]
	v_add_f64 v[2:3], v[2:3], v[12:13]
	s_andn2_b64 exec, exec, s[4:5]
	s_cbranch_execnz .LBB59_29
; %bb.30:
	s_or_b64 exec, exec, s[4:5]
	v_mov_b32_e32 v0, 0
	ds_read_b128 v[8:11], v0 offset:64
	s_waitcnt lgkmcnt(0)
	v_mul_f64 v[14:15], v[2:3], v[10:11]
	v_mul_f64 v[12:13], v[4:5], v[10:11]
	v_fma_f64 v[10:11], v[4:5], v[8:9], -v[14:15]
	v_fmac_f64_e32 v[12:13], v[2:3], v[8:9]
	scratch_store_dwordx4 off, v[10:13], off offset:80
.LBB59_31:
	s_or_b64 exec, exec, s[0:1]
	; wave barrier
	scratch_load_dwordx4 v[2:5], off, s12
	v_cmp_gt_u32_e32 vcc, 5, v244
	;; [unrolled: 45-line block ×19, first 2 shown]
	s_waitcnt vmcnt(0)
	ds_write_b128 v1, v[2:5]
	s_waitcnt lgkmcnt(0)
	; wave barrier
	s_and_saveexec_b64 s[0:1], vcc
	s_cbranch_execz .LBB59_103
; %bb.100:
	v_add_u32_e32 v7, -1, v244
	v_add_u32_e32 v8, 0x3c0, v46
	v_add_u32_e32 v9, 16, v46
	v_mov_b64_e32 v[2:3], 0
	s_mov_b64 s[4:5], 0
	v_mov_b64_e32 v[4:5], 0
.LBB59_101:                             ; =>This Inner Loop Header: Depth=1
	scratch_load_dwordx4 v[10:13], v9, off
	ds_read_b128 v[14:17], v8
	v_add_u32_e32 v7, 1, v7
	v_cmp_lt_u32_e32 vcc, 20, v7
	v_add_u32_e32 v8, 16, v8
	v_add_u32_e32 v9, 16, v9
	s_or_b64 s[4:5], vcc, s[4:5]
	s_waitcnt vmcnt(0) lgkmcnt(0)
	v_mul_f64 v[18:19], v[16:17], v[12:13]
	v_mul_f64 v[12:13], v[14:15], v[12:13]
	v_fma_f64 v[14:15], v[14:15], v[10:11], -v[18:19]
	v_fmac_f64_e32 v[12:13], v[16:17], v[10:11]
	v_add_f64 v[4:5], v[4:5], v[14:15]
	v_add_f64 v[2:3], v[2:3], v[12:13]
	s_andn2_b64 exec, exec, s[4:5]
	s_cbranch_execnz .LBB59_101
; %bb.102:
	s_or_b64 exec, exec, s[4:5]
	v_mov_b32_e32 v0, 0
	ds_read_b128 v[8:11], v0 offset:352
	s_waitcnt lgkmcnt(0)
	v_mul_f64 v[14:15], v[2:3], v[10:11]
	v_mul_f64 v[12:13], v[4:5], v[10:11]
	v_fma_f64 v[10:11], v[4:5], v[8:9], -v[14:15]
	v_fmac_f64_e32 v[12:13], v[2:3], v[8:9]
	scratch_store_dwordx4 off, v[10:13], off offset:368
.LBB59_103:
	s_or_b64 exec, exec, s[0:1]
	; wave barrier
	scratch_load_dwordx4 v[2:5], off, s41
	v_cmp_gt_u32_e32 vcc, 23, v244
	s_waitcnt vmcnt(0)
	ds_write_b128 v1, v[2:5]
	s_waitcnt lgkmcnt(0)
	; wave barrier
	s_and_saveexec_b64 s[0:1], vcc
	s_cbranch_execz .LBB59_107
; %bb.104:
	v_add_u32_e32 v7, -1, v244
	v_add_u32_e32 v8, 0x3c0, v46
	v_add_u32_e32 v9, 16, v46
	v_mov_b64_e32 v[2:3], 0
	s_mov_b64 s[4:5], 0
	v_mov_b64_e32 v[4:5], 0
.LBB59_105:                             ; =>This Inner Loop Header: Depth=1
	scratch_load_dwordx4 v[10:13], v9, off
	ds_read_b128 v[14:17], v8
	v_add_u32_e32 v7, 1, v7
	v_cmp_lt_u32_e32 vcc, 21, v7
	v_add_u32_e32 v8, 16, v8
	v_add_u32_e32 v9, 16, v9
	s_or_b64 s[4:5], vcc, s[4:5]
	s_waitcnt vmcnt(0) lgkmcnt(0)
	v_mul_f64 v[18:19], v[16:17], v[12:13]
	v_mul_f64 v[12:13], v[14:15], v[12:13]
	v_fma_f64 v[14:15], v[14:15], v[10:11], -v[18:19]
	v_fmac_f64_e32 v[12:13], v[16:17], v[10:11]
	v_add_f64 v[4:5], v[4:5], v[14:15]
	v_add_f64 v[2:3], v[2:3], v[12:13]
	s_andn2_b64 exec, exec, s[4:5]
	s_cbranch_execnz .LBB59_105
; %bb.106:
	s_or_b64 exec, exec, s[4:5]
	v_mov_b32_e32 v0, 0
	ds_read_b128 v[8:11], v0 offset:368
	s_waitcnt lgkmcnt(0)
	v_mul_f64 v[14:15], v[2:3], v[10:11]
	v_mul_f64 v[12:13], v[4:5], v[10:11]
	v_fma_f64 v[10:11], v[4:5], v[8:9], -v[14:15]
	v_fmac_f64_e32 v[12:13], v[2:3], v[8:9]
	scratch_store_dwordx4 off, v[10:13], off offset:384
.LBB59_107:
	s_or_b64 exec, exec, s[0:1]
	; wave barrier
	scratch_load_dwordx4 v[2:5], off, s42
	v_cmp_gt_u32_e32 vcc, 24, v244
	;; [unrolled: 45-line block ×36, first 2 shown]
	s_waitcnt vmcnt(0)
	ds_write_b128 v1, v[2:5]
	s_waitcnt lgkmcnt(0)
	; wave barrier
	s_and_saveexec_b64 s[0:1], vcc
	s_cbranch_execz .LBB59_247
; %bb.244:
	v_add_u32_e32 v7, -1, v244
	v_add_u32_e32 v8, 0x3c0, v46
	v_add_u32_e32 v9, 16, v46
	v_mov_b64_e32 v[2:3], 0
	s_mov_b64 s[4:5], 0
	v_mov_b64_e32 v[4:5], 0
.LBB59_245:                             ; =>This Inner Loop Header: Depth=1
	scratch_load_dwordx4 v[10:13], v9, off
	ds_read_b128 v[14:17], v8
	v_add_u32_e32 v7, 1, v7
	v_cmp_lt_u32_e32 vcc, 56, v7
	v_add_u32_e32 v8, 16, v8
	v_add_u32_e32 v9, 16, v9
	s_or_b64 s[4:5], vcc, s[4:5]
	s_waitcnt vmcnt(0) lgkmcnt(0)
	v_mul_f64 v[18:19], v[16:17], v[12:13]
	v_mul_f64 v[12:13], v[14:15], v[12:13]
	v_fma_f64 v[14:15], v[14:15], v[10:11], -v[18:19]
	v_fmac_f64_e32 v[12:13], v[16:17], v[10:11]
	v_add_f64 v[4:5], v[4:5], v[14:15]
	v_add_f64 v[2:3], v[2:3], v[12:13]
	s_andn2_b64 exec, exec, s[4:5]
	s_cbranch_execnz .LBB59_245
; %bb.246:
	s_or_b64 exec, exec, s[4:5]
	v_mov_b32_e32 v0, 0
	ds_read_b128 v[8:11], v0 offset:928
	s_waitcnt lgkmcnt(0)
	v_mul_f64 v[14:15], v[2:3], v[10:11]
	v_mul_f64 v[12:13], v[4:5], v[10:11]
	v_fma_f64 v[10:11], v[4:5], v[8:9], -v[14:15]
	v_fmac_f64_e32 v[12:13], v[2:3], v[8:9]
	scratch_store_dwordx4 off, v[10:13], off offset:944
.LBB59_247:
	s_or_b64 exec, exec, s[0:1]
	; wave barrier
	scratch_load_dwordx4 v[2:5], off, s75
	v_cmp_ne_u32_e32 vcc, 59, v244
	s_waitcnt vmcnt(0)
	ds_write_b128 v1, v[2:5]
	s_waitcnt lgkmcnt(0)
	; wave barrier
	s_and_saveexec_b64 s[0:1], vcc
	s_cbranch_execz .LBB59_251
; %bb.248:
	v_add_u32_e32 v1, 0x3c0, v46
	v_add_u32_e32 v7, 16, v46
	v_mov_b64_e32 v[2:3], 0
	s_mov_b64 s[4:5], 0
	v_mov_b64_e32 v[4:5], 0
.LBB59_249:                             ; =>This Inner Loop Header: Depth=1
	scratch_load_dwordx4 v[8:11], v7, off
	ds_read_b128 v[12:15], v1
	v_add_u32_e32 v6, 1, v6
	v_cmp_lt_u32_e32 vcc, 57, v6
	v_add_u32_e32 v1, 16, v1
	v_add_u32_e32 v7, 16, v7
	s_or_b64 s[4:5], vcc, s[4:5]
	s_waitcnt vmcnt(0) lgkmcnt(0)
	v_mul_f64 v[16:17], v[14:15], v[10:11]
	v_mul_f64 v[10:11], v[12:13], v[10:11]
	v_fma_f64 v[12:13], v[12:13], v[8:9], -v[16:17]
	v_fmac_f64_e32 v[10:11], v[14:15], v[8:9]
	v_add_f64 v[4:5], v[4:5], v[12:13]
	v_add_f64 v[2:3], v[2:3], v[10:11]
	s_andn2_b64 exec, exec, s[4:5]
	s_cbranch_execnz .LBB59_249
; %bb.250:
	s_or_b64 exec, exec, s[4:5]
	v_mov_b32_e32 v0, 0
	ds_read_b128 v[6:9], v0 offset:944
	s_waitcnt lgkmcnt(0)
	v_mul_f64 v[12:13], v[2:3], v[8:9]
	v_mul_f64 v[10:11], v[4:5], v[8:9]
	v_fma_f64 v[8:9], v[4:5], v[6:7], -v[12:13]
	v_fmac_f64_e32 v[10:11], v[2:3], v[6:7]
	scratch_store_dwordx4 off, v[8:11], off offset:960
.LBB59_251:
	s_or_b64 exec, exec, s[0:1]
	s_mov_b64 s[4:5], -1
	; wave barrier
.LBB59_252:
	s_and_b64 vcc, exec, s[4:5]
	s_cbranch_vccz .LBB59_254
; %bb.253:
	s_lshl_b64 s[0:1], s[2:3], 2
	s_add_u32 s0, s6, s0
	s_addc_u32 s1, s7, s1
	v_mov_b32_e32 v0, 0
	global_load_dword v0, v0, s[0:1]
	s_waitcnt vmcnt(0)
	v_cmp_ne_u32_e32 vcc, 0, v0
	s_cbranch_vccz .LBB59_255
.LBB59_254:
	s_endpgm
.LBB59_255:
	v_mov_b32_e32 v0, 0x3c0
	v_lshl_add_u32 v0, v244, 4, v0
	v_accvgpr_write_b32 a121, v0
	v_cmp_eq_u32_e32 vcc, 59, v244
	s_and_saveexec_b64 s[0:1], vcc
	s_cbranch_execz .LBB59_257
; %bb.256:
	scratch_load_dwordx4 v[2:5], off, s74
	v_mov_b32_e32 v6, 0
	v_mov_b32_e32 v7, v6
	;; [unrolled: 1-line block ×4, first 2 shown]
	v_accvgpr_read_b32 v0, a121
	scratch_store_dwordx4 off, v[6:9], off offset:944
	s_waitcnt vmcnt(1)
	ds_write_b128 v0, v[2:5]
.LBB59_257:
	s_or_b64 exec, exec, s[0:1]
	s_waitcnt lgkmcnt(0)
	; wave barrier
	scratch_load_dwordx4 v[4:7], off, off offset:960
	scratch_load_dwordx4 v[8:11], off, off offset:944
	v_mov_b32_e32 v2, 0
	ds_read_b128 v[12:15], v2 offset:1904
	v_cmp_lt_u32_e32 vcc, 57, v244
	s_waitcnt vmcnt(1) lgkmcnt(0)
	v_mul_f64 v[16:17], v[12:13], v[6:7]
	v_mul_f64 v[6:7], v[14:15], v[6:7]
	v_fmac_f64_e32 v[16:17], v[14:15], v[4:5]
	v_fma_f64 v[4:5], v[12:13], v[4:5], -v[6:7]
	v_add_f64 v[6:7], v[16:17], 0
	v_add_f64 v[4:5], v[4:5], 0
	s_waitcnt vmcnt(0)
	v_add_f64 v[4:5], v[8:9], -v[4:5]
	v_add_f64 v[6:7], v[10:11], -v[6:7]
	scratch_store_dwordx4 off, v[4:7], off offset:944
	s_and_saveexec_b64 s[0:1], vcc
	s_cbranch_execz .LBB59_259
; %bb.258:
	scratch_load_dwordx4 v[6:9], off, s73
	v_mov_b32_e32 v3, v2
	v_mov_b32_e32 v4, v2
	v_mov_b32_e32 v5, v2
	v_accvgpr_read_b32 v0, a121
	scratch_store_dwordx4 off, v[2:5], off offset:928
	s_waitcnt vmcnt(1)
	ds_write_b128 v0, v[6:9]
.LBB59_259:
	s_or_b64 exec, exec, s[0:1]
	s_waitcnt lgkmcnt(0)
	; wave barrier
	scratch_load_dwordx4 v[4:7], off, off offset:944
	scratch_load_dwordx4 v[8:11], off, off offset:960
	;; [unrolled: 1-line block ×3, first 2 shown]
	ds_read_b128 v[16:19], v2 offset:1888
	ds_read_b128 v[20:23], v2 offset:1904
	v_cmp_lt_u32_e32 vcc, 56, v244
	s_waitcnt vmcnt(2) lgkmcnt(1)
	v_mul_f64 v[2:3], v[16:17], v[6:7]
	v_mul_f64 v[6:7], v[18:19], v[6:7]
	s_waitcnt vmcnt(1) lgkmcnt(0)
	v_mul_f64 v[24:25], v[20:21], v[10:11]
	v_mul_f64 v[10:11], v[22:23], v[10:11]
	v_fmac_f64_e32 v[2:3], v[18:19], v[4:5]
	v_fma_f64 v[4:5], v[16:17], v[4:5], -v[6:7]
	v_fmac_f64_e32 v[24:25], v[22:23], v[8:9]
	v_fma_f64 v[6:7], v[20:21], v[8:9], -v[10:11]
	v_add_f64 v[2:3], v[2:3], 0
	v_add_f64 v[4:5], v[4:5], 0
	v_add_f64 v[8:9], v[2:3], v[24:25]
	v_add_f64 v[2:3], v[4:5], v[6:7]
	s_waitcnt vmcnt(0)
	v_add_f64 v[2:3], v[12:13], -v[2:3]
	v_add_f64 v[4:5], v[14:15], -v[8:9]
	scratch_store_dwordx4 off, v[2:5], off offset:928
	s_and_saveexec_b64 s[0:1], vcc
	s_cbranch_execz .LBB59_261
; %bb.260:
	scratch_load_dwordx4 v[2:5], off, s72
	v_mov_b32_e32 v6, 0
	v_mov_b32_e32 v7, v6
	;; [unrolled: 1-line block ×4, first 2 shown]
	v_accvgpr_read_b32 v0, a121
	scratch_store_dwordx4 off, v[6:9], off offset:912
	s_waitcnt vmcnt(1)
	ds_write_b128 v0, v[2:5]
.LBB59_261:
	s_or_b64 exec, exec, s[0:1]
	s_waitcnt lgkmcnt(0)
	; wave barrier
	scratch_load_dwordx4 v[4:7], off, off offset:928
	scratch_load_dwordx4 v[8:11], off, off offset:944
	;; [unrolled: 1-line block ×4, first 2 shown]
	v_mov_b32_e32 v2, 0
	ds_read_b128 v[20:23], v2 offset:1872
	ds_read_b128 v[24:27], v2 offset:1888
	;; [unrolled: 1-line block ×3, first 2 shown]
	v_cmp_lt_u32_e32 vcc, 55, v244
	s_waitcnt vmcnt(3) lgkmcnt(2)
	v_mul_f64 v[32:33], v[20:21], v[6:7]
	v_mul_f64 v[6:7], v[22:23], v[6:7]
	s_waitcnt vmcnt(2) lgkmcnt(1)
	v_mul_f64 v[34:35], v[24:25], v[10:11]
	v_mul_f64 v[10:11], v[26:27], v[10:11]
	v_fmac_f64_e32 v[32:33], v[22:23], v[4:5]
	v_fma_f64 v[4:5], v[20:21], v[4:5], -v[6:7]
	s_waitcnt vmcnt(1) lgkmcnt(0)
	v_mul_f64 v[36:37], v[28:29], v[14:15]
	v_mul_f64 v[14:15], v[30:31], v[14:15]
	v_fmac_f64_e32 v[34:35], v[26:27], v[8:9]
	v_fma_f64 v[6:7], v[24:25], v[8:9], -v[10:11]
	v_add_f64 v[10:11], v[32:33], 0
	v_add_f64 v[4:5], v[4:5], 0
	v_fmac_f64_e32 v[36:37], v[30:31], v[12:13]
	v_fma_f64 v[8:9], v[28:29], v[12:13], -v[14:15]
	v_add_f64 v[10:11], v[10:11], v[34:35]
	v_add_f64 v[4:5], v[4:5], v[6:7]
	;; [unrolled: 1-line block ×4, first 2 shown]
	s_waitcnt vmcnt(0)
	v_add_f64 v[4:5], v[16:17], -v[4:5]
	v_add_f64 v[6:7], v[18:19], -v[6:7]
	scratch_store_dwordx4 off, v[4:7], off offset:912
	s_and_saveexec_b64 s[0:1], vcc
	s_cbranch_execz .LBB59_263
; %bb.262:
	scratch_load_dwordx4 v[6:9], off, s71
	v_mov_b32_e32 v3, v2
	v_mov_b32_e32 v4, v2
	;; [unrolled: 1-line block ×3, first 2 shown]
	v_accvgpr_read_b32 v0, a121
	scratch_store_dwordx4 off, v[2:5], off offset:896
	s_waitcnt vmcnt(1)
	ds_write_b128 v0, v[6:9]
.LBB59_263:
	s_or_b64 exec, exec, s[0:1]
	s_waitcnt lgkmcnt(0)
	; wave barrier
	scratch_load_dwordx4 v[4:7], off, off offset:912
	scratch_load_dwordx4 v[8:11], off, off offset:928
	;; [unrolled: 1-line block ×5, first 2 shown]
	ds_read_b128 v[24:27], v2 offset:1856
	ds_read_b128 v[28:31], v2 offset:1872
	ds_read_b128 v[32:35], v2 offset:1888
	ds_read_b128 v[36:39], v2 offset:1904
	v_cmp_lt_u32_e32 vcc, 54, v244
	s_waitcnt vmcnt(4) lgkmcnt(3)
	v_mul_f64 v[2:3], v[24:25], v[6:7]
	v_mul_f64 v[6:7], v[26:27], v[6:7]
	s_waitcnt vmcnt(3) lgkmcnt(2)
	v_mul_f64 v[40:41], v[28:29], v[10:11]
	v_mul_f64 v[10:11], v[30:31], v[10:11]
	v_fmac_f64_e32 v[2:3], v[26:27], v[4:5]
	v_fma_f64 v[4:5], v[24:25], v[4:5], -v[6:7]
	s_waitcnt vmcnt(2) lgkmcnt(1)
	v_mul_f64 v[42:43], v[32:33], v[14:15]
	v_mul_f64 v[14:15], v[34:35], v[14:15]
	v_fmac_f64_e32 v[40:41], v[30:31], v[8:9]
	v_fma_f64 v[6:7], v[28:29], v[8:9], -v[10:11]
	v_add_f64 v[2:3], v[2:3], 0
	v_add_f64 v[4:5], v[4:5], 0
	s_waitcnt vmcnt(1) lgkmcnt(0)
	v_mul_f64 v[44:45], v[36:37], v[18:19]
	v_mul_f64 v[18:19], v[38:39], v[18:19]
	v_fmac_f64_e32 v[42:43], v[34:35], v[12:13]
	v_fma_f64 v[8:9], v[32:33], v[12:13], -v[14:15]
	v_add_f64 v[2:3], v[2:3], v[40:41]
	v_add_f64 v[4:5], v[4:5], v[6:7]
	v_fmac_f64_e32 v[44:45], v[38:39], v[16:17]
	v_fma_f64 v[10:11], v[36:37], v[16:17], -v[18:19]
	v_add_f64 v[2:3], v[2:3], v[42:43]
	v_add_f64 v[4:5], v[4:5], v[8:9]
	;; [unrolled: 1-line block ×4, first 2 shown]
	s_waitcnt vmcnt(0)
	v_add_f64 v[2:3], v[20:21], -v[2:3]
	v_add_f64 v[4:5], v[22:23], -v[6:7]
	scratch_store_dwordx4 off, v[2:5], off offset:896
	s_and_saveexec_b64 s[0:1], vcc
	s_cbranch_execz .LBB59_265
; %bb.264:
	scratch_load_dwordx4 v[2:5], off, s70
	v_mov_b32_e32 v6, 0
	v_mov_b32_e32 v7, v6
	;; [unrolled: 1-line block ×4, first 2 shown]
	v_accvgpr_read_b32 v0, a121
	scratch_store_dwordx4 off, v[6:9], off offset:880
	s_waitcnt vmcnt(1)
	ds_write_b128 v0, v[2:5]
.LBB59_265:
	s_or_b64 exec, exec, s[0:1]
	s_waitcnt lgkmcnt(0)
	; wave barrier
	scratch_load_dwordx4 v[4:7], off, off offset:896
	scratch_load_dwordx4 v[8:11], off, off offset:912
	;; [unrolled: 1-line block ×6, first 2 shown]
	v_mov_b32_e32 v2, 0
	ds_read_b128 v[28:31], v2 offset:1840
	ds_read_b128 v[32:35], v2 offset:1856
	;; [unrolled: 1-line block ×5, first 2 shown]
	v_cmp_lt_u32_e32 vcc, 53, v244
	s_waitcnt vmcnt(5) lgkmcnt(4)
	v_mul_f64 v[48:49], v[28:29], v[6:7]
	v_mul_f64 v[6:7], v[30:31], v[6:7]
	s_waitcnt vmcnt(4) lgkmcnt(3)
	v_mul_f64 v[50:51], v[32:33], v[10:11]
	s_waitcnt vmcnt(3) lgkmcnt(2)
	v_mul_f64 v[52:53], v[36:37], v[14:15]
	v_mul_f64 v[10:11], v[34:35], v[10:11]
	;; [unrolled: 1-line block ×3, first 2 shown]
	v_fmac_f64_e32 v[48:49], v[30:31], v[4:5]
	v_fma_f64 v[4:5], v[28:29], v[4:5], -v[6:7]
	v_fmac_f64_e32 v[50:51], v[34:35], v[8:9]
	v_fma_f64 v[6:7], v[32:33], v[8:9], -v[10:11]
	v_fma_f64 v[8:9], v[36:37], v[12:13], -v[14:15]
	v_add_f64 v[14:15], v[48:49], 0
	v_add_f64 v[4:5], v[4:5], 0
	s_waitcnt vmcnt(2) lgkmcnt(1)
	v_mul_f64 v[54:55], v[40:41], v[18:19]
	v_mul_f64 v[18:19], v[42:43], v[18:19]
	v_fmac_f64_e32 v[52:53], v[38:39], v[12:13]
	v_add_f64 v[14:15], v[14:15], v[50:51]
	v_add_f64 v[4:5], v[4:5], v[6:7]
	s_waitcnt vmcnt(1) lgkmcnt(0)
	v_mul_f64 v[56:57], v[44:45], v[22:23]
	v_mul_f64 v[22:23], v[46:47], v[22:23]
	v_fmac_f64_e32 v[54:55], v[42:43], v[16:17]
	v_fma_f64 v[10:11], v[40:41], v[16:17], -v[18:19]
	v_add_f64 v[6:7], v[14:15], v[52:53]
	v_add_f64 v[4:5], v[4:5], v[8:9]
	v_fmac_f64_e32 v[56:57], v[46:47], v[20:21]
	v_fma_f64 v[12:13], v[44:45], v[20:21], -v[22:23]
	v_add_f64 v[6:7], v[6:7], v[54:55]
	v_add_f64 v[4:5], v[4:5], v[10:11]
	;; [unrolled: 1-line block ×4, first 2 shown]
	s_waitcnt vmcnt(0)
	v_add_f64 v[4:5], v[24:25], -v[4:5]
	v_add_f64 v[6:7], v[26:27], -v[6:7]
	scratch_store_dwordx4 off, v[4:7], off offset:880
	s_and_saveexec_b64 s[0:1], vcc
	s_cbranch_execz .LBB59_267
; %bb.266:
	scratch_load_dwordx4 v[6:9], off, s69
	v_mov_b32_e32 v3, v2
	v_mov_b32_e32 v4, v2
	;; [unrolled: 1-line block ×3, first 2 shown]
	v_accvgpr_read_b32 v0, a121
	scratch_store_dwordx4 off, v[2:5], off offset:864
	s_waitcnt vmcnt(1)
	ds_write_b128 v0, v[6:9]
.LBB59_267:
	s_or_b64 exec, exec, s[0:1]
	s_waitcnt lgkmcnt(0)
	; wave barrier
	scratch_load_dwordx4 v[4:7], off, off offset:880
	scratch_load_dwordx4 v[8:11], off, off offset:896
	scratch_load_dwordx4 v[12:15], off, off offset:912
	scratch_load_dwordx4 v[16:19], off, off offset:928
	scratch_load_dwordx4 v[20:23], off, off offset:944
	scratch_load_dwordx4 v[24:27], off, off offset:960
	scratch_load_dwordx4 v[28:31], off, off offset:864
	ds_read_b128 v[32:35], v2 offset:1824
	ds_read_b128 v[36:39], v2 offset:1840
	;; [unrolled: 1-line block ×6, first 2 shown]
	v_cmp_lt_u32_e32 vcc, 52, v244
	s_waitcnt vmcnt(6) lgkmcnt(5)
	v_mul_f64 v[2:3], v[32:33], v[6:7]
	v_mul_f64 v[6:7], v[34:35], v[6:7]
	s_waitcnt vmcnt(5) lgkmcnt(4)
	v_mul_f64 v[56:57], v[36:37], v[10:11]
	v_mul_f64 v[10:11], v[38:39], v[10:11]
	v_fmac_f64_e32 v[2:3], v[34:35], v[4:5]
	v_fma_f64 v[4:5], v[32:33], v[4:5], -v[6:7]
	s_waitcnt vmcnt(4) lgkmcnt(3)
	v_mul_f64 v[58:59], v[40:41], v[14:15]
	v_mul_f64 v[14:15], v[42:43], v[14:15]
	v_fmac_f64_e32 v[56:57], v[38:39], v[8:9]
	v_fma_f64 v[6:7], v[36:37], v[8:9], -v[10:11]
	v_add_f64 v[2:3], v[2:3], 0
	v_add_f64 v[4:5], v[4:5], 0
	s_waitcnt vmcnt(3) lgkmcnt(2)
	v_mul_f64 v[60:61], v[44:45], v[18:19]
	v_mul_f64 v[18:19], v[46:47], v[18:19]
	v_fmac_f64_e32 v[58:59], v[42:43], v[12:13]
	v_fma_f64 v[8:9], v[40:41], v[12:13], -v[14:15]
	v_add_f64 v[2:3], v[2:3], v[56:57]
	v_add_f64 v[4:5], v[4:5], v[6:7]
	;; [unrolled: 7-line block ×4, first 2 shown]
	v_fmac_f64_e32 v[64:65], v[54:55], v[24:25]
	v_fma_f64 v[14:15], v[52:53], v[24:25], -v[26:27]
	v_add_f64 v[2:3], v[2:3], v[62:63]
	v_add_f64 v[4:5], v[4:5], v[12:13]
	;; [unrolled: 1-line block ×4, first 2 shown]
	s_waitcnt vmcnt(0)
	v_add_f64 v[2:3], v[28:29], -v[2:3]
	v_add_f64 v[4:5], v[30:31], -v[6:7]
	scratch_store_dwordx4 off, v[2:5], off offset:864
	s_and_saveexec_b64 s[0:1], vcc
	s_cbranch_execz .LBB59_269
; %bb.268:
	scratch_load_dwordx4 v[2:5], off, s68
	v_mov_b32_e32 v6, 0
	v_mov_b32_e32 v7, v6
	;; [unrolled: 1-line block ×4, first 2 shown]
	v_accvgpr_read_b32 v0, a121
	scratch_store_dwordx4 off, v[6:9], off offset:848
	s_waitcnt vmcnt(1)
	ds_write_b128 v0, v[2:5]
.LBB59_269:
	s_or_b64 exec, exec, s[0:1]
	s_waitcnt lgkmcnt(0)
	; wave barrier
	scratch_load_dwordx4 v[4:7], off, off offset:864
	scratch_load_dwordx4 v[8:11], off, off offset:880
	scratch_load_dwordx4 v[12:15], off, off offset:896
	scratch_load_dwordx4 v[16:19], off, off offset:912
	scratch_load_dwordx4 v[20:23], off, off offset:928
	scratch_load_dwordx4 v[24:27], off, off offset:944
	scratch_load_dwordx4 v[28:31], off, off offset:960
	scratch_load_dwordx4 v[32:35], off, off offset:848
	v_mov_b32_e32 v2, 0
	ds_read_b128 v[36:39], v2 offset:1808
	ds_read_b128 v[40:43], v2 offset:1824
	;; [unrolled: 1-line block ×7, first 2 shown]
	v_cmp_lt_u32_e32 vcc, 51, v244
	s_waitcnt vmcnt(7) lgkmcnt(6)
	v_mul_f64 v[64:65], v[36:37], v[6:7]
	v_mul_f64 v[6:7], v[38:39], v[6:7]
	s_waitcnt vmcnt(6) lgkmcnt(5)
	v_mul_f64 v[66:67], v[40:41], v[10:11]
	s_waitcnt vmcnt(4) lgkmcnt(3)
	v_mul_f64 v[70:71], v[48:49], v[18:19]
	v_mul_f64 v[10:11], v[42:43], v[10:11]
	v_mul_f64 v[18:19], v[50:51], v[18:19]
	v_fmac_f64_e32 v[64:65], v[38:39], v[4:5]
	v_fma_f64 v[4:5], v[36:37], v[4:5], -v[6:7]
	v_mul_f64 v[68:69], v[44:45], v[14:15]
	v_mul_f64 v[14:15], v[46:47], v[14:15]
	v_fmac_f64_e32 v[66:67], v[42:43], v[8:9]
	v_fma_f64 v[6:7], v[40:41], v[8:9], -v[10:11]
	v_fma_f64 v[10:11], v[48:49], v[16:17], -v[18:19]
	v_add_f64 v[18:19], v[64:65], 0
	v_add_f64 v[4:5], v[4:5], 0
	v_fmac_f64_e32 v[68:69], v[46:47], v[12:13]
	v_fma_f64 v[8:9], v[44:45], v[12:13], -v[14:15]
	v_add_f64 v[18:19], v[18:19], v[66:67]
	v_add_f64 v[4:5], v[4:5], v[6:7]
	s_waitcnt vmcnt(3) lgkmcnt(2)
	v_mul_f64 v[72:73], v[52:53], v[22:23]
	v_mul_f64 v[22:23], v[54:55], v[22:23]
	v_fmac_f64_e32 v[70:71], v[50:51], v[16:17]
	v_add_f64 v[6:7], v[18:19], v[68:69]
	v_add_f64 v[4:5], v[4:5], v[8:9]
	s_waitcnt vmcnt(2) lgkmcnt(1)
	v_mul_f64 v[74:75], v[56:57], v[26:27]
	v_mul_f64 v[26:27], v[58:59], v[26:27]
	v_fmac_f64_e32 v[72:73], v[54:55], v[20:21]
	v_fma_f64 v[12:13], v[52:53], v[20:21], -v[22:23]
	v_add_f64 v[6:7], v[6:7], v[70:71]
	v_add_f64 v[4:5], v[4:5], v[10:11]
	s_waitcnt vmcnt(1) lgkmcnt(0)
	v_mul_f64 v[76:77], v[60:61], v[30:31]
	v_mul_f64 v[30:31], v[62:63], v[30:31]
	v_fmac_f64_e32 v[74:75], v[58:59], v[24:25]
	v_fma_f64 v[14:15], v[56:57], v[24:25], -v[26:27]
	v_add_f64 v[6:7], v[6:7], v[72:73]
	v_add_f64 v[4:5], v[4:5], v[12:13]
	v_fmac_f64_e32 v[76:77], v[62:63], v[28:29]
	v_fma_f64 v[16:17], v[60:61], v[28:29], -v[30:31]
	v_add_f64 v[6:7], v[6:7], v[74:75]
	v_add_f64 v[4:5], v[4:5], v[14:15]
	;; [unrolled: 1-line block ×4, first 2 shown]
	s_waitcnt vmcnt(0)
	v_add_f64 v[4:5], v[32:33], -v[4:5]
	v_add_f64 v[6:7], v[34:35], -v[6:7]
	scratch_store_dwordx4 off, v[4:7], off offset:848
	s_and_saveexec_b64 s[0:1], vcc
	s_cbranch_execz .LBB59_271
; %bb.270:
	scratch_load_dwordx4 v[6:9], off, s67
	v_mov_b32_e32 v3, v2
	v_mov_b32_e32 v4, v2
	;; [unrolled: 1-line block ×3, first 2 shown]
	v_accvgpr_read_b32 v0, a121
	scratch_store_dwordx4 off, v[2:5], off offset:832
	s_waitcnt vmcnt(1)
	ds_write_b128 v0, v[6:9]
.LBB59_271:
	s_or_b64 exec, exec, s[0:1]
	s_waitcnt lgkmcnt(0)
	; wave barrier
	scratch_load_dwordx4 v[4:7], off, off offset:848
	scratch_load_dwordx4 v[8:11], off, off offset:864
	;; [unrolled: 1-line block ×9, first 2 shown]
	ds_read_b128 v[40:43], v2 offset:1792
	ds_read_b128 v[44:47], v2 offset:1808
	;; [unrolled: 1-line block ×8, first 2 shown]
	v_cmp_lt_u32_e32 vcc, 50, v244
	s_waitcnt vmcnt(8) lgkmcnt(7)
	v_mul_f64 v[2:3], v[40:41], v[6:7]
	v_mul_f64 v[6:7], v[42:43], v[6:7]
	s_waitcnt vmcnt(7) lgkmcnt(6)
	v_mul_f64 v[72:73], v[44:45], v[10:11]
	v_mul_f64 v[10:11], v[46:47], v[10:11]
	v_fmac_f64_e32 v[2:3], v[42:43], v[4:5]
	v_fma_f64 v[4:5], v[40:41], v[4:5], -v[6:7]
	s_waitcnt vmcnt(6) lgkmcnt(5)
	v_mul_f64 v[74:75], v[48:49], v[14:15]
	v_mul_f64 v[14:15], v[50:51], v[14:15]
	v_fmac_f64_e32 v[72:73], v[46:47], v[8:9]
	v_fma_f64 v[6:7], v[44:45], v[8:9], -v[10:11]
	v_add_f64 v[2:3], v[2:3], 0
	v_add_f64 v[4:5], v[4:5], 0
	s_waitcnt vmcnt(5) lgkmcnt(4)
	v_mul_f64 v[76:77], v[52:53], v[18:19]
	v_mul_f64 v[18:19], v[54:55], v[18:19]
	v_fmac_f64_e32 v[74:75], v[50:51], v[12:13]
	v_fma_f64 v[8:9], v[48:49], v[12:13], -v[14:15]
	v_add_f64 v[2:3], v[2:3], v[72:73]
	v_add_f64 v[4:5], v[4:5], v[6:7]
	;; [unrolled: 7-line block ×6, first 2 shown]
	v_fmac_f64_e32 v[84:85], v[70:71], v[32:33]
	v_fma_f64 v[18:19], v[68:69], v[32:33], -v[34:35]
	v_add_f64 v[2:3], v[2:3], v[82:83]
	v_add_f64 v[4:5], v[4:5], v[16:17]
	;; [unrolled: 1-line block ×4, first 2 shown]
	s_waitcnt vmcnt(0)
	v_add_f64 v[2:3], v[36:37], -v[2:3]
	v_add_f64 v[4:5], v[38:39], -v[6:7]
	scratch_store_dwordx4 off, v[2:5], off offset:832
	s_and_saveexec_b64 s[0:1], vcc
	s_cbranch_execz .LBB59_273
; %bb.272:
	scratch_load_dwordx4 v[2:5], off, s66
	v_mov_b32_e32 v6, 0
	v_mov_b32_e32 v7, v6
	v_mov_b32_e32 v8, v6
	v_mov_b32_e32 v9, v6
	v_accvgpr_read_b32 v0, a121
	scratch_store_dwordx4 off, v[6:9], off offset:816
	s_waitcnt vmcnt(1)
	ds_write_b128 v0, v[2:5]
.LBB59_273:
	s_or_b64 exec, exec, s[0:1]
	s_waitcnt lgkmcnt(0)
	; wave barrier
	scratch_load_dwordx4 v[4:7], off, off offset:832
	scratch_load_dwordx4 v[8:11], off, off offset:848
	;; [unrolled: 1-line block ×10, first 2 shown]
	v_mov_b32_e32 v2, 0
	ds_read_b128 v[44:47], v2 offset:1776
	ds_read_b128 v[48:51], v2 offset:1792
	;; [unrolled: 1-line block ×9, first 2 shown]
	v_cmp_lt_u32_e32 vcc, 49, v244
	s_waitcnt vmcnt(9) lgkmcnt(8)
	v_mul_f64 v[80:81], v[44:45], v[6:7]
	v_mul_f64 v[6:7], v[46:47], v[6:7]
	s_waitcnt vmcnt(8) lgkmcnt(7)
	v_mul_f64 v[82:83], v[48:49], v[10:11]
	s_waitcnt vmcnt(7) lgkmcnt(6)
	;; [unrolled: 2-line block ×3, first 2 shown]
	v_mul_f64 v[88:89], v[60:61], v[22:23]
	v_mul_f64 v[10:11], v[50:51], v[10:11]
	;; [unrolled: 1-line block ×4, first 2 shown]
	v_fmac_f64_e32 v[80:81], v[46:47], v[4:5]
	v_fma_f64 v[4:5], v[44:45], v[4:5], -v[6:7]
	v_fmac_f64_e32 v[82:83], v[50:51], v[8:9]
	v_fmac_f64_e32 v[84:85], v[54:55], v[12:13]
	v_fma_f64 v[6:7], v[48:49], v[8:9], -v[10:11]
	v_fma_f64 v[8:9], v[52:53], v[12:13], -v[14:15]
	;; [unrolled: 1-line block ×3, first 2 shown]
	v_add_f64 v[22:23], v[80:81], 0
	v_add_f64 v[4:5], v[4:5], 0
	v_mul_f64 v[86:87], v[56:57], v[18:19]
	v_mul_f64 v[18:19], v[58:59], v[18:19]
	v_add_f64 v[22:23], v[22:23], v[82:83]
	v_add_f64 v[4:5], v[4:5], v[6:7]
	v_fmac_f64_e32 v[86:87], v[58:59], v[16:17]
	v_fma_f64 v[10:11], v[56:57], v[16:17], -v[18:19]
	v_add_f64 v[6:7], v[22:23], v[84:85]
	v_add_f64 v[4:5], v[4:5], v[8:9]
	s_waitcnt vmcnt(4) lgkmcnt(3)
	v_mul_f64 v[90:91], v[64:65], v[26:27]
	v_mul_f64 v[26:27], v[66:67], v[26:27]
	v_fmac_f64_e32 v[88:89], v[62:63], v[20:21]
	v_add_f64 v[6:7], v[6:7], v[86:87]
	v_add_f64 v[4:5], v[4:5], v[10:11]
	s_waitcnt vmcnt(3) lgkmcnt(2)
	v_mul_f64 v[92:93], v[68:69], v[30:31]
	v_mul_f64 v[30:31], v[70:71], v[30:31]
	v_fmac_f64_e32 v[90:91], v[66:67], v[24:25]
	v_fma_f64 v[14:15], v[64:65], v[24:25], -v[26:27]
	v_add_f64 v[6:7], v[6:7], v[88:89]
	v_add_f64 v[4:5], v[4:5], v[12:13]
	s_waitcnt vmcnt(2) lgkmcnt(1)
	v_mul_f64 v[94:95], v[72:73], v[34:35]
	v_mul_f64 v[34:35], v[74:75], v[34:35]
	v_fmac_f64_e32 v[92:93], v[70:71], v[28:29]
	v_fma_f64 v[16:17], v[68:69], v[28:29], -v[30:31]
	;; [unrolled: 7-line block ×3, first 2 shown]
	v_add_f64 v[6:7], v[6:7], v[92:93]
	v_add_f64 v[4:5], v[4:5], v[16:17]
	v_fmac_f64_e32 v[96:97], v[78:79], v[36:37]
	v_fma_f64 v[20:21], v[76:77], v[36:37], -v[38:39]
	v_add_f64 v[6:7], v[6:7], v[94:95]
	v_add_f64 v[4:5], v[4:5], v[18:19]
	;; [unrolled: 1-line block ×4, first 2 shown]
	s_waitcnt vmcnt(0)
	v_add_f64 v[4:5], v[40:41], -v[4:5]
	v_add_f64 v[6:7], v[42:43], -v[6:7]
	scratch_store_dwordx4 off, v[4:7], off offset:816
	s_and_saveexec_b64 s[0:1], vcc
	s_cbranch_execz .LBB59_275
; %bb.274:
	scratch_load_dwordx4 v[6:9], off, s65
	v_mov_b32_e32 v3, v2
	v_mov_b32_e32 v4, v2
	v_mov_b32_e32 v5, v2
	v_accvgpr_read_b32 v0, a121
	scratch_store_dwordx4 off, v[2:5], off offset:800
	s_waitcnt vmcnt(1)
	ds_write_b128 v0, v[6:9]
.LBB59_275:
	s_or_b64 exec, exec, s[0:1]
	s_waitcnt lgkmcnt(0)
	; wave barrier
	scratch_load_dwordx4 v[4:7], off, off offset:816
	scratch_load_dwordx4 v[8:11], off, off offset:832
	;; [unrolled: 1-line block ×11, first 2 shown]
	ds_read_b128 v[48:51], v2 offset:1760
	ds_read_b128 v[52:55], v2 offset:1776
	;; [unrolled: 1-line block ×10, first 2 shown]
	v_cmp_lt_u32_e32 vcc, 48, v244
	s_waitcnt vmcnt(10) lgkmcnt(9)
	v_mul_f64 v[2:3], v[48:49], v[6:7]
	v_mul_f64 v[6:7], v[50:51], v[6:7]
	s_waitcnt vmcnt(9) lgkmcnt(8)
	v_mul_f64 v[88:89], v[52:53], v[10:11]
	v_mul_f64 v[10:11], v[54:55], v[10:11]
	v_fmac_f64_e32 v[2:3], v[50:51], v[4:5]
	v_fma_f64 v[4:5], v[48:49], v[4:5], -v[6:7]
	s_waitcnt vmcnt(8) lgkmcnt(7)
	v_mul_f64 v[90:91], v[56:57], v[14:15]
	v_mul_f64 v[14:15], v[58:59], v[14:15]
	v_fmac_f64_e32 v[88:89], v[54:55], v[8:9]
	v_fma_f64 v[6:7], v[52:53], v[8:9], -v[10:11]
	v_add_f64 v[2:3], v[2:3], 0
	v_add_f64 v[4:5], v[4:5], 0
	s_waitcnt vmcnt(7) lgkmcnt(6)
	v_mul_f64 v[92:93], v[60:61], v[18:19]
	v_mul_f64 v[18:19], v[62:63], v[18:19]
	v_fmac_f64_e32 v[90:91], v[58:59], v[12:13]
	v_fma_f64 v[8:9], v[56:57], v[12:13], -v[14:15]
	v_add_f64 v[2:3], v[2:3], v[88:89]
	v_add_f64 v[4:5], v[4:5], v[6:7]
	;; [unrolled: 7-line block ×8, first 2 shown]
	v_fmac_f64_e32 v[104:105], v[86:87], v[40:41]
	v_fma_f64 v[22:23], v[84:85], v[40:41], -v[42:43]
	v_add_f64 v[2:3], v[2:3], v[102:103]
	v_add_f64 v[4:5], v[4:5], v[20:21]
	;; [unrolled: 1-line block ×4, first 2 shown]
	s_waitcnt vmcnt(0)
	v_add_f64 v[2:3], v[44:45], -v[2:3]
	v_add_f64 v[4:5], v[46:47], -v[6:7]
	scratch_store_dwordx4 off, v[2:5], off offset:800
	s_and_saveexec_b64 s[0:1], vcc
	s_cbranch_execz .LBB59_277
; %bb.276:
	scratch_load_dwordx4 v[2:5], off, s64
	v_mov_b32_e32 v6, 0
	v_mov_b32_e32 v7, v6
	;; [unrolled: 1-line block ×4, first 2 shown]
	v_accvgpr_read_b32 v0, a121
	scratch_store_dwordx4 off, v[6:9], off offset:784
	s_waitcnt vmcnt(1)
	ds_write_b128 v0, v[2:5]
.LBB59_277:
	s_or_b64 exec, exec, s[0:1]
	s_waitcnt lgkmcnt(0)
	; wave barrier
	scratch_load_dwordx4 v[4:7], off, off offset:800
	scratch_load_dwordx4 v[8:11], off, off offset:816
	scratch_load_dwordx4 v[12:15], off, off offset:832
	scratch_load_dwordx4 v[16:19], off, off offset:848
	scratch_load_dwordx4 v[20:23], off, off offset:864
	scratch_load_dwordx4 v[24:27], off, off offset:880
	scratch_load_dwordx4 v[28:31], off, off offset:896
	scratch_load_dwordx4 v[32:35], off, off offset:912
	scratch_load_dwordx4 v[36:39], off, off offset:928
	scratch_load_dwordx4 v[40:43], off, off offset:944
	scratch_load_dwordx4 v[44:47], off, off offset:960
	scratch_load_dwordx4 v[48:51], off, off offset:784
	v_mov_b32_e32 v2, 0
	ds_read_b128 v[52:55], v2 offset:1744
	ds_read_b128 v[56:59], v2 offset:1760
	;; [unrolled: 1-line block ×11, first 2 shown]
	v_cmp_lt_u32_e32 vcc, 47, v244
	s_waitcnt vmcnt(11) lgkmcnt(10)
	v_mul_f64 v[96:97], v[52:53], v[6:7]
	v_mul_f64 v[6:7], v[54:55], v[6:7]
	s_waitcnt vmcnt(10) lgkmcnt(9)
	v_mul_f64 v[98:99], v[56:57], v[10:11]
	s_waitcnt vmcnt(9) lgkmcnt(8)
	v_mul_f64 v[100:101], v[60:61], v[14:15]
	v_mul_f64 v[10:11], v[58:59], v[10:11]
	s_waitcnt vmcnt(6) lgkmcnt(5)
	v_mul_f64 v[106:107], v[72:73], v[26:27]
	v_mul_f64 v[14:15], v[62:63], v[14:15]
	;; [unrolled: 1-line block ×3, first 2 shown]
	v_fmac_f64_e32 v[96:97], v[54:55], v[4:5]
	v_fma_f64 v[4:5], v[52:53], v[4:5], -v[6:7]
	v_fmac_f64_e32 v[98:99], v[58:59], v[8:9]
	v_fma_f64 v[6:7], v[56:57], v[8:9], -v[10:11]
	v_fma_f64 v[8:9], v[60:61], v[12:13], -v[14:15]
	;; [unrolled: 1-line block ×3, first 2 shown]
	v_add_f64 v[26:27], v[96:97], 0
	v_add_f64 v[4:5], v[4:5], 0
	v_mul_f64 v[102:103], v[64:65], v[18:19]
	v_mul_f64 v[18:19], v[66:67], v[18:19]
	v_fmac_f64_e32 v[100:101], v[62:63], v[12:13]
	v_add_f64 v[26:27], v[26:27], v[98:99]
	v_add_f64 v[4:5], v[4:5], v[6:7]
	v_mul_f64 v[104:105], v[68:69], v[22:23]
	v_mul_f64 v[22:23], v[70:71], v[22:23]
	v_fmac_f64_e32 v[102:103], v[66:67], v[16:17]
	v_fma_f64 v[10:11], v[64:65], v[16:17], -v[18:19]
	v_add_f64 v[6:7], v[26:27], v[100:101]
	v_add_f64 v[4:5], v[4:5], v[8:9]
	v_fmac_f64_e32 v[104:105], v[70:71], v[20:21]
	v_fma_f64 v[12:13], v[68:69], v[20:21], -v[22:23]
	v_add_f64 v[6:7], v[6:7], v[102:103]
	v_add_f64 v[4:5], v[4:5], v[10:11]
	s_waitcnt vmcnt(5) lgkmcnt(4)
	v_mul_f64 v[108:109], v[76:77], v[30:31]
	v_mul_f64 v[30:31], v[78:79], v[30:31]
	v_fmac_f64_e32 v[106:107], v[74:75], v[24:25]
	v_add_f64 v[6:7], v[6:7], v[104:105]
	v_add_f64 v[4:5], v[4:5], v[12:13]
	s_waitcnt vmcnt(4) lgkmcnt(3)
	v_mul_f64 v[110:111], v[80:81], v[34:35]
	v_mul_f64 v[34:35], v[82:83], v[34:35]
	v_fmac_f64_e32 v[108:109], v[78:79], v[28:29]
	v_fma_f64 v[16:17], v[76:77], v[28:29], -v[30:31]
	v_add_f64 v[6:7], v[6:7], v[106:107]
	v_add_f64 v[4:5], v[4:5], v[14:15]
	s_waitcnt vmcnt(3) lgkmcnt(2)
	v_mul_f64 v[112:113], v[84:85], v[38:39]
	v_mul_f64 v[38:39], v[86:87], v[38:39]
	v_fmac_f64_e32 v[110:111], v[82:83], v[32:33]
	v_fma_f64 v[18:19], v[80:81], v[32:33], -v[34:35]
	;; [unrolled: 7-line block ×4, first 2 shown]
	v_add_f64 v[6:7], v[6:7], v[112:113]
	v_add_f64 v[4:5], v[4:5], v[20:21]
	v_fmac_f64_e32 v[116:117], v[94:95], v[44:45]
	v_fma_f64 v[24:25], v[92:93], v[44:45], -v[46:47]
	v_add_f64 v[6:7], v[6:7], v[114:115]
	v_add_f64 v[4:5], v[4:5], v[22:23]
	;; [unrolled: 1-line block ×4, first 2 shown]
	s_waitcnt vmcnt(0)
	v_add_f64 v[4:5], v[48:49], -v[4:5]
	v_add_f64 v[6:7], v[50:51], -v[6:7]
	scratch_store_dwordx4 off, v[4:7], off offset:784
	s_and_saveexec_b64 s[0:1], vcc
	s_cbranch_execz .LBB59_279
; %bb.278:
	scratch_load_dwordx4 v[6:9], off, s63
	v_mov_b32_e32 v3, v2
	v_mov_b32_e32 v4, v2
	;; [unrolled: 1-line block ×3, first 2 shown]
	v_accvgpr_read_b32 v0, a121
	scratch_store_dwordx4 off, v[2:5], off offset:768
	s_waitcnt vmcnt(1)
	ds_write_b128 v0, v[6:9]
.LBB59_279:
	s_or_b64 exec, exec, s[0:1]
	s_waitcnt lgkmcnt(0)
	; wave barrier
	scratch_load_dwordx4 v[4:7], off, off offset:784
	scratch_load_dwordx4 v[8:11], off, off offset:800
	;; [unrolled: 1-line block ×12, first 2 shown]
	ds_read_b128 v[52:55], v2 offset:1728
	ds_read_b128 v[56:59], v2 offset:1744
	;; [unrolled: 1-line block ×4, first 2 shown]
	scratch_load_dwordx4 v[68:71], off, off offset:768
	ds_read_b128 v[72:75], v2 offset:1792
	ds_read_b128 v[76:79], v2 offset:1808
	;; [unrolled: 1-line block ×8, first 2 shown]
	v_cmp_lt_u32_e32 vcc, 46, v244
	s_waitcnt vmcnt(12) lgkmcnt(11)
	v_mul_f64 v[2:3], v[52:53], v[6:7]
	s_waitcnt vmcnt(11) lgkmcnt(10)
	v_mul_f64 v[104:105], v[56:57], v[10:11]
	v_fmac_f64_e32 v[2:3], v[54:55], v[4:5]
	s_waitcnt vmcnt(10) lgkmcnt(9)
	v_mul_f64 v[106:107], v[60:61], v[14:15]
	v_mul_f64 v[6:7], v[54:55], v[6:7]
	v_fmac_f64_e32 v[104:105], v[58:59], v[8:9]
	v_add_f64 v[2:3], v[2:3], 0
	s_waitcnt vmcnt(9) lgkmcnt(8)
	v_mul_f64 v[108:109], v[64:65], v[18:19]
	v_mul_f64 v[10:11], v[58:59], v[10:11]
	v_fmac_f64_e32 v[106:107], v[62:63], v[12:13]
	v_fma_f64 v[4:5], v[52:53], v[4:5], -v[6:7]
	v_add_f64 v[2:3], v[2:3], v[104:105]
	s_waitcnt vmcnt(8) lgkmcnt(7)
	v_mul_f64 v[110:111], v[72:73], v[22:23]
	v_mul_f64 v[14:15], v[62:63], v[14:15]
	v_fmac_f64_e32 v[108:109], v[66:67], v[16:17]
	v_fma_f64 v[6:7], v[56:57], v[8:9], -v[10:11]
	v_add_f64 v[4:5], v[4:5], 0
	v_add_f64 v[2:3], v[2:3], v[106:107]
	s_waitcnt vmcnt(7) lgkmcnt(6)
	v_mul_f64 v[112:113], v[76:77], v[26:27]
	v_mul_f64 v[18:19], v[66:67], v[18:19]
	v_fmac_f64_e32 v[110:111], v[74:75], v[20:21]
	v_fma_f64 v[8:9], v[60:61], v[12:13], -v[14:15]
	v_add_f64 v[4:5], v[4:5], v[6:7]
	;; [unrolled: 7-line block ×8, first 2 shown]
	v_add_f64 v[2:3], v[2:3], v[120:121]
	v_mul_f64 v[46:47], v[98:99], v[46:47]
	v_fmac_f64_e32 v[124:125], v[102:103], v[48:49]
	v_fma_f64 v[22:23], v[92:93], v[40:41], -v[42:43]
	v_add_f64 v[4:5], v[4:5], v[20:21]
	v_add_f64 v[2:3], v[2:3], v[122:123]
	;; [unrolled: 1-line block ×4, first 2 shown]
	v_fma_f64 v[2:3], v[96:97], v[44:45], -v[46:47]
	v_add_f64 v[2:3], v[4:5], v[2:3]
	v_mul_f64 v[4:5], v[102:103], v[50:51]
	v_fma_f64 v[4:5], v[100:101], v[48:49], -v[4:5]
	v_add_f64 v[2:3], v[2:3], v[4:5]
	s_waitcnt vmcnt(0)
	v_add_f64 v[2:3], v[68:69], -v[2:3]
	v_add_f64 v[4:5], v[70:71], -v[6:7]
	scratch_store_dwordx4 off, v[2:5], off offset:768
	s_and_saveexec_b64 s[0:1], vcc
	s_cbranch_execz .LBB59_281
; %bb.280:
	scratch_load_dwordx4 v[2:5], off, s62
	v_mov_b32_e32 v6, 0
	v_mov_b32_e32 v7, v6
	;; [unrolled: 1-line block ×4, first 2 shown]
	v_accvgpr_read_b32 v0, a121
	scratch_store_dwordx4 off, v[6:9], off offset:752
	s_waitcnt vmcnt(1)
	ds_write_b128 v0, v[2:5]
.LBB59_281:
	s_or_b64 exec, exec, s[0:1]
	v_mov_b32_e32 v2, 0
	s_waitcnt lgkmcnt(0)
	; wave barrier
	ds_read_b128 v[16:19], v2 offset:1712
	ds_read_b128 v[12:15], v2 offset:1728
	;; [unrolled: 1-line block ×4, first 2 shown]
	scratch_load_dwordx4 v[20:23], off, off offset:768
	scratch_load_dwordx4 v[42:45], off, off offset:832
	;; [unrolled: 1-line block ×7, first 2 shown]
	v_cmp_lt_u32_e32 vcc, 45, v244
	scratch_load_dwordx4 v[50:53], off, off offset:848
	scratch_load_dwordx4 v[58:61], off, off offset:864
	;; [unrolled: 1-line block ×3, first 2 shown]
	s_waitcnt vmcnt(9) lgkmcnt(3)
	v_mul_f64 v[24:25], v[16:17], v[22:23]
	v_fmac_f64_e32 v[24:25], v[18:19], v[20:21]
	v_add_f64 v[28:29], v[24:25], 0
	scratch_load_dwordx4 v[24:27], off, off offset:784
	v_mul_f64 v[18:19], v[18:19], v[22:23]
	v_fma_f64 v[16:17], v[16:17], v[20:21], -v[18:19]
	v_add_f64 v[16:17], v[16:17], 0
	s_waitcnt vmcnt(0) lgkmcnt(2)
	v_mul_f64 v[30:31], v[12:13], v[26:27]
	v_fmac_f64_e32 v[30:31], v[14:15], v[24:25]
	v_add_f64 v[32:33], v[28:29], v[30:31]
	scratch_load_dwordx4 v[28:31], off, off offset:800
	v_mul_f64 v[14:15], v[14:15], v[26:27]
	v_fma_f64 v[12:13], v[12:13], v[24:25], -v[14:15]
	v_add_f64 v[12:13], v[16:17], v[12:13]
	;; [unrolled: 8-line block ×3, first 2 shown]
	s_waitcnt vmcnt(0) lgkmcnt(0)
	v_mul_f64 v[38:39], v[4:5], v[36:37]
	v_fmac_f64_e32 v[38:39], v[6:7], v[34:35]
	v_add_f64 v[32:33], v[32:33], v[38:39]
	ds_read_b128 v[38:41], v2 offset:1776
	v_mul_f64 v[6:7], v[6:7], v[36:37]
	v_fma_f64 v[4:5], v[4:5], v[34:35], -v[6:7]
	v_add_f64 v[4:5], v[8:9], v[4:5]
	s_waitcnt lgkmcnt(0)
	v_mul_f64 v[46:47], v[38:39], v[44:45]
	v_fmac_f64_e32 v[46:47], v[40:41], v[42:43]
	v_add_f64 v[32:33], v[32:33], v[46:47]
	ds_read_b128 v[46:49], v2 offset:1792
	v_mul_f64 v[6:7], v[40:41], v[44:45]
	v_fma_f64 v[6:7], v[38:39], v[42:43], -v[6:7]
	v_add_f64 v[4:5], v[4:5], v[6:7]
	s_waitcnt lgkmcnt(0)
	;; [unrolled: 8-line block ×9, first 2 shown]
	v_mul_f64 v[6:7], v[104:105], v[108:109]
	v_fma_f64 v[6:7], v[102:103], v[106:107], -v[6:7]
	v_add_f64 v[8:9], v[4:5], v[6:7]
	scratch_load_dwordx4 v[4:7], off, off offset:752
	v_mul_f64 v[110:111], v[102:103], v[108:109]
	v_fmac_f64_e32 v[110:111], v[104:105], v[106:107]
	v_add_f64 v[32:33], v[32:33], v[110:111]
	s_waitcnt vmcnt(0)
	v_add_f64 v[4:5], v[4:5], -v[8:9]
	v_add_f64 v[6:7], v[6:7], -v[32:33]
	scratch_store_dwordx4 off, v[4:7], off offset:752
	s_and_saveexec_b64 s[0:1], vcc
	s_cbranch_execz .LBB59_283
; %bb.282:
	scratch_load_dwordx4 v[6:9], off, s61
	v_mov_b32_e32 v3, v2
	v_mov_b32_e32 v4, v2
	;; [unrolled: 1-line block ×3, first 2 shown]
	v_accvgpr_read_b32 v0, a121
	scratch_store_dwordx4 off, v[2:5], off offset:736
	s_waitcnt vmcnt(1)
	ds_write_b128 v0, v[6:9]
.LBB59_283:
	s_or_b64 exec, exec, s[0:1]
	s_waitcnt lgkmcnt(0)
	; wave barrier
	ds_read_b128 v[16:19], v2 offset:1696
	ds_read_b128 v[12:15], v2 offset:1712
	;; [unrolled: 1-line block ×4, first 2 shown]
	scratch_load_dwordx4 v[20:23], off, off offset:752
	scratch_load_dwordx4 v[42:45], off, off offset:816
	;; [unrolled: 1-line block ×8, first 2 shown]
	v_cmp_lt_u32_e32 vcc, 44, v244
	scratch_load_dwordx4 v[50:53], off, off offset:832
	scratch_load_dwordx4 v[58:61], off, off offset:848
	;; [unrolled: 1-line block ×3, first 2 shown]
	s_waitcnt vmcnt(10) lgkmcnt(3)
	v_mul_f64 v[24:25], v[16:17], v[22:23]
	v_fmac_f64_e32 v[24:25], v[18:19], v[20:21]
	v_add_f64 v[28:29], v[24:25], 0
	scratch_load_dwordx4 v[24:27], off, off offset:768
	s_waitcnt vmcnt(0) lgkmcnt(2)
	v_mul_f64 v[30:31], v[12:13], v[26:27]
	v_fmac_f64_e32 v[30:31], v[14:15], v[24:25]
	v_add_f64 v[32:33], v[28:29], v[30:31]
	scratch_load_dwordx4 v[28:31], off, off offset:784
	v_mul_f64 v[14:15], v[14:15], v[26:27]
	v_fma_f64 v[12:13], v[12:13], v[24:25], -v[14:15]
	s_waitcnt vmcnt(0) lgkmcnt(1)
	v_mul_f64 v[34:35], v[8:9], v[30:31]
	v_fmac_f64_e32 v[34:35], v[10:11], v[28:29]
	v_add_f64 v[36:37], v[32:33], v[34:35]
	scratch_load_dwordx4 v[32:35], off, off offset:800
	v_mul_f64 v[10:11], v[10:11], v[30:31]
	v_fma_f64 v[8:9], v[8:9], v[28:29], -v[10:11]
	s_waitcnt vmcnt(0) lgkmcnt(0)
	v_mul_f64 v[38:39], v[4:5], v[34:35]
	v_fmac_f64_e32 v[38:39], v[6:7], v[32:33]
	v_add_f64 v[40:41], v[36:37], v[38:39]
	ds_read_b128 v[36:39], v2 offset:1760
	v_mul_f64 v[6:7], v[6:7], v[34:35]
	v_fma_f64 v[4:5], v[4:5], v[32:33], -v[6:7]
	s_waitcnt lgkmcnt(0)
	v_mul_f64 v[46:47], v[36:37], v[44:45]
	v_fmac_f64_e32 v[46:47], v[38:39], v[42:43]
	v_add_f64 v[40:41], v[40:41], v[46:47]
	ds_read_b128 v[46:49], v2 offset:1776
	s_waitcnt lgkmcnt(0)
	v_mul_f64 v[54:55], v[46:47], v[52:53]
	v_fmac_f64_e32 v[54:55], v[48:49], v[50:51]
	v_add_f64 v[40:41], v[40:41], v[54:55]
	ds_read_b128 v[54:57], v2 offset:1792
	;; [unrolled: 5-line block ×9, first 2 shown]
	s_waitcnt lgkmcnt(0)
	v_mul_f64 v[2:3], v[110:111], v[116:117]
	v_fmac_f64_e32 v[2:3], v[112:113], v[114:115]
	v_add_f64 v[40:41], v[40:41], v[2:3]
	v_mul_f64 v[2:3], v[18:19], v[22:23]
	v_fma_f64 v[2:3], v[16:17], v[20:21], -v[2:3]
	v_add_f64 v[2:3], v[2:3], 0
	v_add_f64 v[2:3], v[2:3], v[12:13]
	;; [unrolled: 1-line block ×4, first 2 shown]
	v_mul_f64 v[4:5], v[38:39], v[44:45]
	v_fma_f64 v[4:5], v[36:37], v[42:43], -v[4:5]
	v_add_f64 v[2:3], v[2:3], v[4:5]
	v_mul_f64 v[4:5], v[48:49], v[52:53]
	v_fma_f64 v[4:5], v[46:47], v[50:51], -v[4:5]
	v_add_f64 v[2:3], v[2:3], v[4:5]
	;; [unrolled: 3-line block ×10, first 2 shown]
	scratch_load_dwordx4 v[2:5], off, off offset:736
	s_waitcnt vmcnt(0)
	v_add_f64 v[2:3], v[2:3], -v[6:7]
	v_add_f64 v[4:5], v[4:5], -v[40:41]
	scratch_store_dwordx4 off, v[2:5], off offset:736
	s_and_saveexec_b64 s[0:1], vcc
	s_cbranch_execz .LBB59_285
; %bb.284:
	scratch_load_dwordx4 v[2:5], off, s60
	v_mov_b32_e32 v6, 0
	v_mov_b32_e32 v7, v6
	;; [unrolled: 1-line block ×4, first 2 shown]
	v_accvgpr_read_b32 v0, a121
	scratch_store_dwordx4 off, v[6:9], off offset:720
	s_waitcnt vmcnt(1)
	ds_write_b128 v0, v[2:5]
.LBB59_285:
	s_or_b64 exec, exec, s[0:1]
	v_mov_b32_e32 v2, 0
	s_waitcnt lgkmcnt(0)
	; wave barrier
	ds_read_b128 v[16:19], v2 offset:1680
	ds_read_b128 v[12:15], v2 offset:1696
	;; [unrolled: 1-line block ×4, first 2 shown]
	scratch_load_dwordx4 v[20:23], off, off offset:736
	scratch_load_dwordx4 v[40:43], off, off offset:800
	;; [unrolled: 1-line block ×9, first 2 shown]
	v_cmp_lt_u32_e32 vcc, 43, v244
	scratch_load_dwordx4 v[50:53], off, off offset:816
	scratch_load_dwordx4 v[58:61], off, off offset:832
	;; [unrolled: 1-line block ×3, first 2 shown]
	s_waitcnt vmcnt(11) lgkmcnt(3)
	v_mul_f64 v[24:25], v[16:17], v[22:23]
	v_fmac_f64_e32 v[24:25], v[18:19], v[20:21]
	v_add_f64 v[28:29], v[24:25], 0
	scratch_load_dwordx4 v[24:27], off, off offset:752
	v_mul_f64 v[18:19], v[18:19], v[22:23]
	v_fma_f64 v[16:17], v[16:17], v[20:21], -v[18:19]
	v_add_f64 v[16:17], v[16:17], 0
	s_waitcnt vmcnt(0) lgkmcnt(2)
	v_mul_f64 v[30:31], v[12:13], v[26:27]
	v_fmac_f64_e32 v[30:31], v[14:15], v[24:25]
	v_add_f64 v[32:33], v[28:29], v[30:31]
	scratch_load_dwordx4 v[28:31], off, off offset:768
	v_mul_f64 v[14:15], v[14:15], v[26:27]
	v_fma_f64 v[12:13], v[12:13], v[24:25], -v[14:15]
	v_add_f64 v[12:13], v[16:17], v[12:13]
	;; [unrolled: 8-line block ×3, first 2 shown]
	s_waitcnt vmcnt(0) lgkmcnt(0)
	v_mul_f64 v[38:39], v[4:5], v[34:35]
	v_fmac_f64_e32 v[38:39], v[6:7], v[32:33]
	v_add_f64 v[44:45], v[36:37], v[38:39]
	ds_read_b128 v[36:39], v2 offset:1744
	v_mul_f64 v[6:7], v[6:7], v[34:35]
	v_fma_f64 v[4:5], v[4:5], v[32:33], -v[6:7]
	v_add_f64 v[4:5], v[8:9], v[4:5]
	s_waitcnt lgkmcnt(0)
	v_mul_f64 v[46:47], v[36:37], v[42:43]
	v_fmac_f64_e32 v[46:47], v[38:39], v[40:41]
	v_add_f64 v[48:49], v[44:45], v[46:47]
	ds_read_b128 v[44:47], v2 offset:1760
	v_mul_f64 v[6:7], v[38:39], v[42:43]
	v_fma_f64 v[6:7], v[36:37], v[40:41], -v[6:7]
	v_add_f64 v[4:5], v[4:5], v[6:7]
	s_waitcnt lgkmcnt(0)
	;; [unrolled: 8-line block ×11, first 2 shown]
	v_mul_f64 v[6:7], v[120:121], v[124:125]
	v_fma_f64 v[6:7], v[118:119], v[122:123], -v[6:7]
	v_add_f64 v[8:9], v[4:5], v[6:7]
	scratch_load_dwordx4 v[4:7], off, off offset:720
	v_mul_f64 v[126:127], v[118:119], v[124:125]
	v_fmac_f64_e32 v[126:127], v[120:121], v[122:123]
	v_add_f64 v[48:49], v[48:49], v[126:127]
	s_waitcnt vmcnt(0)
	v_add_f64 v[4:5], v[4:5], -v[8:9]
	v_add_f64 v[6:7], v[6:7], -v[48:49]
	scratch_store_dwordx4 off, v[4:7], off offset:720
	s_and_saveexec_b64 s[0:1], vcc
	s_cbranch_execz .LBB59_287
; %bb.286:
	scratch_load_dwordx4 v[6:9], off, s59
	v_mov_b32_e32 v3, v2
	v_mov_b32_e32 v4, v2
	;; [unrolled: 1-line block ×3, first 2 shown]
	v_accvgpr_read_b32 v0, a121
	scratch_store_dwordx4 off, v[2:5], off offset:704
	s_waitcnt vmcnt(1)
	ds_write_b128 v0, v[6:9]
.LBB59_287:
	s_or_b64 exec, exec, s[0:1]
	s_waitcnt lgkmcnt(0)
	; wave barrier
	ds_read_b128 v[16:19], v2 offset:1664
	ds_read_b128 v[12:15], v2 offset:1680
	ds_read_b128 v[8:11], v2 offset:1696
	ds_read_b128 v[4:7], v2 offset:1712
	scratch_load_dwordx4 v[20:23], off, off offset:720
	scratch_load_dwordx4 v[40:43], off, off offset:784
	;; [unrolled: 1-line block ×10, first 2 shown]
	v_cmp_lt_u32_e32 vcc, 42, v244
	scratch_load_dwordx4 v[48:51], off, off offset:800
	scratch_load_dwordx4 v[56:59], off, off offset:816
	;; [unrolled: 1-line block ×3, first 2 shown]
	s_waitcnt vmcnt(12) lgkmcnt(3)
	v_mul_f64 v[24:25], v[16:17], v[22:23]
	v_fmac_f64_e32 v[24:25], v[18:19], v[20:21]
	v_add_f64 v[28:29], v[24:25], 0
	scratch_load_dwordx4 v[24:27], off, off offset:736
	s_waitcnt vmcnt(0) lgkmcnt(2)
	v_mul_f64 v[30:31], v[12:13], v[26:27]
	v_fmac_f64_e32 v[30:31], v[14:15], v[24:25]
	v_add_f64 v[32:33], v[28:29], v[30:31]
	scratch_load_dwordx4 v[28:31], off, off offset:752
	v_mul_f64 v[14:15], v[14:15], v[26:27]
	v_fma_f64 v[12:13], v[12:13], v[24:25], -v[14:15]
	s_waitcnt vmcnt(0) lgkmcnt(1)
	v_mul_f64 v[34:35], v[8:9], v[30:31]
	v_fmac_f64_e32 v[34:35], v[10:11], v[28:29]
	v_add_f64 v[36:37], v[32:33], v[34:35]
	scratch_load_dwordx4 v[32:35], off, off offset:768
	v_mul_f64 v[10:11], v[10:11], v[30:31]
	v_fma_f64 v[8:9], v[8:9], v[28:29], -v[10:11]
	s_waitcnt vmcnt(0) lgkmcnt(0)
	v_mul_f64 v[38:39], v[4:5], v[34:35]
	v_fmac_f64_e32 v[38:39], v[6:7], v[32:33]
	v_add_f64 v[44:45], v[36:37], v[38:39]
	ds_read_b128 v[36:39], v2 offset:1728
	v_mul_f64 v[6:7], v[6:7], v[34:35]
	v_fma_f64 v[4:5], v[4:5], v[32:33], -v[6:7]
	s_waitcnt lgkmcnt(0)
	v_mul_f64 v[46:47], v[36:37], v[42:43]
	v_fmac_f64_e32 v[46:47], v[38:39], v[40:41]
	v_add_f64 v[52:53], v[44:45], v[46:47]
	ds_read_b128 v[44:47], v2 offset:1744
	s_waitcnt lgkmcnt(0)
	v_mul_f64 v[54:55], v[44:45], v[50:51]
	v_fmac_f64_e32 v[54:55], v[46:47], v[48:49]
	v_add_f64 v[60:61], v[52:53], v[54:55]
	ds_read_b128 v[52:55], v2 offset:1760
	s_waitcnt lgkmcnt(0)
	v_mul_f64 v[62:63], v[52:53], v[58:59]
	v_fmac_f64_e32 v[62:63], v[54:55], v[56:57]
	v_add_f64 v[64:65], v[60:61], v[62:63]
	ds_read_b128 v[60:63], v2 offset:1776
	s_waitcnt lgkmcnt(0)
	v_mul_f64 v[70:71], v[60:61], v[68:69]
	v_fmac_f64_e32 v[70:71], v[62:63], v[66:67]
	v_add_f64 v[64:65], v[64:65], v[70:71]
	ds_read_b128 v[70:73], v2 offset:1792
	s_waitcnt lgkmcnt(0)
	v_mul_f64 v[78:79], v[70:71], v[76:77]
	v_fmac_f64_e32 v[78:79], v[72:73], v[74:75]
	v_add_f64 v[64:65], v[64:65], v[78:79]
	ds_read_b128 v[78:81], v2 offset:1808
	s_waitcnt lgkmcnt(0)
	v_mul_f64 v[86:87], v[78:79], v[84:85]
	v_fmac_f64_e32 v[86:87], v[80:81], v[82:83]
	v_add_f64 v[64:65], v[64:65], v[86:87]
	ds_read_b128 v[86:89], v2 offset:1824
	s_waitcnt lgkmcnt(0)
	v_mul_f64 v[94:95], v[86:87], v[92:93]
	v_fmac_f64_e32 v[94:95], v[88:89], v[90:91]
	v_add_f64 v[64:65], v[64:65], v[94:95]
	ds_read_b128 v[94:97], v2 offset:1840
	s_waitcnt lgkmcnt(0)
	v_mul_f64 v[102:103], v[94:95], v[100:101]
	v_fmac_f64_e32 v[102:103], v[96:97], v[98:99]
	v_add_f64 v[64:65], v[64:65], v[102:103]
	ds_read_b128 v[102:105], v2 offset:1856
	s_waitcnt lgkmcnt(0)
	v_mul_f64 v[110:111], v[102:103], v[108:109]
	v_fmac_f64_e32 v[110:111], v[104:105], v[106:107]
	v_add_f64 v[64:65], v[64:65], v[110:111]
	ds_read_b128 v[110:113], v2 offset:1872
	s_waitcnt lgkmcnt(0)
	v_mul_f64 v[118:119], v[110:111], v[116:117]
	v_fmac_f64_e32 v[118:119], v[112:113], v[114:115]
	v_add_f64 v[64:65], v[64:65], v[118:119]
	ds_read_b128 v[118:121], v2 offset:1888
	s_waitcnt lgkmcnt(0)
	v_mul_f64 v[126:127], v[118:119], v[124:125]
	v_fmac_f64_e32 v[126:127], v[120:121], v[122:123]
	v_add_f64 v[64:65], v[64:65], v[126:127]
	ds_read_b128 v[126:129], v2 offset:1904
	s_waitcnt lgkmcnt(0)
	v_mul_f64 v[2:3], v[126:127], v[132:133]
	v_fmac_f64_e32 v[2:3], v[128:129], v[130:131]
	v_add_f64 v[64:65], v[64:65], v[2:3]
	v_mul_f64 v[2:3], v[18:19], v[22:23]
	v_fma_f64 v[2:3], v[16:17], v[20:21], -v[2:3]
	v_add_f64 v[2:3], v[2:3], 0
	v_add_f64 v[2:3], v[2:3], v[12:13]
	;; [unrolled: 1-line block ×4, first 2 shown]
	v_mul_f64 v[4:5], v[38:39], v[42:43]
	v_fma_f64 v[4:5], v[36:37], v[40:41], -v[4:5]
	v_add_f64 v[2:3], v[2:3], v[4:5]
	v_mul_f64 v[4:5], v[46:47], v[50:51]
	v_fma_f64 v[4:5], v[44:45], v[48:49], -v[4:5]
	v_add_f64 v[2:3], v[2:3], v[4:5]
	;; [unrolled: 3-line block ×12, first 2 shown]
	scratch_load_dwordx4 v[2:5], off, off offset:704
	s_waitcnt vmcnt(0)
	v_add_f64 v[2:3], v[2:3], -v[6:7]
	v_add_f64 v[4:5], v[4:5], -v[64:65]
	scratch_store_dwordx4 off, v[2:5], off offset:704
	s_and_saveexec_b64 s[0:1], vcc
	s_cbranch_execz .LBB59_289
; %bb.288:
	scratch_load_dwordx4 v[2:5], off, s58
	v_mov_b32_e32 v6, 0
	v_mov_b32_e32 v7, v6
	;; [unrolled: 1-line block ×4, first 2 shown]
	v_accvgpr_read_b32 v0, a121
	scratch_store_dwordx4 off, v[6:9], off offset:688
	s_waitcnt vmcnt(1)
	ds_write_b128 v0, v[2:5]
.LBB59_289:
	s_or_b64 exec, exec, s[0:1]
	v_mov_b32_e32 v2, 0
	s_waitcnt lgkmcnt(0)
	; wave barrier
	ds_read_b128 v[16:19], v2 offset:1648
	ds_read_b128 v[12:15], v2 offset:1664
	;; [unrolled: 1-line block ×4, first 2 shown]
	scratch_load_dwordx4 v[20:23], off, off offset:704
	scratch_load_dwordx4 v[40:43], off, off offset:768
	;; [unrolled: 1-line block ×11, first 2 shown]
	v_cmp_lt_u32_e32 vcc, 41, v244
	scratch_load_dwordx4 v[48:51], off, off offset:784
	scratch_load_dwordx4 v[56:59], off, off offset:800
	;; [unrolled: 1-line block ×3, first 2 shown]
	s_waitcnt vmcnt(13) lgkmcnt(3)
	v_mul_f64 v[24:25], v[16:17], v[22:23]
	v_fmac_f64_e32 v[24:25], v[18:19], v[20:21]
	v_add_f64 v[28:29], v[24:25], 0
	scratch_load_dwordx4 v[24:27], off, off offset:720
	v_mul_f64 v[18:19], v[18:19], v[22:23]
	v_fma_f64 v[16:17], v[16:17], v[20:21], -v[18:19]
	v_add_f64 v[16:17], v[16:17], 0
	s_waitcnt vmcnt(0) lgkmcnt(2)
	v_mul_f64 v[30:31], v[12:13], v[26:27]
	v_fmac_f64_e32 v[30:31], v[14:15], v[24:25]
	v_add_f64 v[32:33], v[28:29], v[30:31]
	scratch_load_dwordx4 v[28:31], off, off offset:736
	v_mul_f64 v[14:15], v[14:15], v[26:27]
	v_fma_f64 v[12:13], v[12:13], v[24:25], -v[14:15]
	v_add_f64 v[12:13], v[16:17], v[12:13]
	;; [unrolled: 8-line block ×3, first 2 shown]
	s_waitcnt vmcnt(0) lgkmcnt(0)
	v_mul_f64 v[38:39], v[4:5], v[34:35]
	v_fmac_f64_e32 v[38:39], v[6:7], v[32:33]
	v_add_f64 v[44:45], v[36:37], v[38:39]
	ds_read_b128 v[36:39], v2 offset:1712
	v_mul_f64 v[6:7], v[6:7], v[34:35]
	v_fma_f64 v[4:5], v[4:5], v[32:33], -v[6:7]
	v_add_f64 v[4:5], v[8:9], v[4:5]
	s_waitcnt lgkmcnt(0)
	v_mul_f64 v[46:47], v[36:37], v[42:43]
	v_fmac_f64_e32 v[46:47], v[38:39], v[40:41]
	v_add_f64 v[52:53], v[44:45], v[46:47]
	ds_read_b128 v[44:47], v2 offset:1728
	v_mul_f64 v[6:7], v[38:39], v[42:43]
	v_fma_f64 v[6:7], v[36:37], v[40:41], -v[6:7]
	v_add_f64 v[4:5], v[4:5], v[6:7]
	s_waitcnt lgkmcnt(0)
	;; [unrolled: 8-line block ×13, first 2 shown]
	v_mul_f64 v[6:7], v[136:137], v[140:141]
	v_fma_f64 v[6:7], v[134:135], v[138:139], -v[6:7]
	v_add_f64 v[8:9], v[4:5], v[6:7]
	scratch_load_dwordx4 v[4:7], off, off offset:688
	v_mul_f64 v[142:143], v[134:135], v[140:141]
	v_fmac_f64_e32 v[142:143], v[136:137], v[138:139]
	v_add_f64 v[72:73], v[72:73], v[142:143]
	s_waitcnt vmcnt(0)
	v_add_f64 v[4:5], v[4:5], -v[8:9]
	v_add_f64 v[6:7], v[6:7], -v[72:73]
	scratch_store_dwordx4 off, v[4:7], off offset:688
	s_and_saveexec_b64 s[0:1], vcc
	s_cbranch_execz .LBB59_291
; %bb.290:
	scratch_load_dwordx4 v[6:9], off, s57
	v_mov_b32_e32 v3, v2
	v_mov_b32_e32 v4, v2
	;; [unrolled: 1-line block ×3, first 2 shown]
	v_accvgpr_read_b32 v0, a121
	scratch_store_dwordx4 off, v[2:5], off offset:672
	s_waitcnt vmcnt(1)
	ds_write_b128 v0, v[6:9]
.LBB59_291:
	s_or_b64 exec, exec, s[0:1]
	s_waitcnt lgkmcnt(0)
	; wave barrier
	ds_read_b128 v[16:19], v2 offset:1632
	ds_read_b128 v[12:15], v2 offset:1648
	;; [unrolled: 1-line block ×4, first 2 shown]
	scratch_load_dwordx4 v[20:23], off, off offset:688
	scratch_load_dwordx4 v[40:43], off, off offset:752
	;; [unrolled: 1-line block ×12, first 2 shown]
	v_cmp_lt_u32_e32 vcc, 40, v244
	scratch_load_dwordx4 v[48:51], off, off offset:768
	scratch_load_dwordx4 v[56:59], off, off offset:784
	;; [unrolled: 1-line block ×3, first 2 shown]
	s_waitcnt vmcnt(14) lgkmcnt(3)
	v_mul_f64 v[24:25], v[16:17], v[22:23]
	v_fmac_f64_e32 v[24:25], v[18:19], v[20:21]
	v_add_f64 v[28:29], v[24:25], 0
	scratch_load_dwordx4 v[24:27], off, off offset:704
	s_waitcnt vmcnt(0) lgkmcnt(2)
	v_mul_f64 v[30:31], v[12:13], v[26:27]
	v_fmac_f64_e32 v[30:31], v[14:15], v[24:25]
	v_add_f64 v[32:33], v[28:29], v[30:31]
	scratch_load_dwordx4 v[28:31], off, off offset:720
	v_mul_f64 v[14:15], v[14:15], v[26:27]
	v_fma_f64 v[12:13], v[12:13], v[24:25], -v[14:15]
	s_waitcnt vmcnt(0) lgkmcnt(1)
	v_mul_f64 v[34:35], v[8:9], v[30:31]
	v_fmac_f64_e32 v[34:35], v[10:11], v[28:29]
	v_add_f64 v[36:37], v[32:33], v[34:35]
	scratch_load_dwordx4 v[32:35], off, off offset:736
	v_mul_f64 v[10:11], v[10:11], v[30:31]
	v_fma_f64 v[8:9], v[8:9], v[28:29], -v[10:11]
	s_waitcnt vmcnt(0) lgkmcnt(0)
	v_mul_f64 v[38:39], v[4:5], v[34:35]
	v_fmac_f64_e32 v[38:39], v[6:7], v[32:33]
	v_add_f64 v[44:45], v[36:37], v[38:39]
	ds_read_b128 v[36:39], v2 offset:1696
	v_mul_f64 v[6:7], v[6:7], v[34:35]
	v_fma_f64 v[4:5], v[4:5], v[32:33], -v[6:7]
	s_waitcnt lgkmcnt(0)
	v_mul_f64 v[46:47], v[36:37], v[42:43]
	v_fmac_f64_e32 v[46:47], v[38:39], v[40:41]
	v_add_f64 v[52:53], v[44:45], v[46:47]
	ds_read_b128 v[44:47], v2 offset:1712
	s_waitcnt lgkmcnt(0)
	v_mul_f64 v[54:55], v[44:45], v[50:51]
	v_fmac_f64_e32 v[54:55], v[46:47], v[48:49]
	v_add_f64 v[60:61], v[52:53], v[54:55]
	ds_read_b128 v[52:55], v2 offset:1728
	;; [unrolled: 5-line block ×13, first 2 shown]
	s_waitcnt lgkmcnt(0)
	v_mul_f64 v[2:3], v[142:143], v[148:149]
	v_fmac_f64_e32 v[2:3], v[144:145], v[146:147]
	v_add_f64 v[80:81], v[80:81], v[2:3]
	v_mul_f64 v[2:3], v[18:19], v[22:23]
	v_fma_f64 v[2:3], v[16:17], v[20:21], -v[2:3]
	v_add_f64 v[2:3], v[2:3], 0
	v_add_f64 v[2:3], v[2:3], v[12:13]
	v_add_f64 v[2:3], v[2:3], v[8:9]
	v_add_f64 v[2:3], v[2:3], v[4:5]
	v_mul_f64 v[4:5], v[38:39], v[42:43]
	v_fma_f64 v[4:5], v[36:37], v[40:41], -v[4:5]
	v_add_f64 v[2:3], v[2:3], v[4:5]
	v_mul_f64 v[4:5], v[46:47], v[50:51]
	v_fma_f64 v[4:5], v[44:45], v[48:49], -v[4:5]
	v_add_f64 v[2:3], v[2:3], v[4:5]
	;; [unrolled: 3-line block ×14, first 2 shown]
	scratch_load_dwordx4 v[2:5], off, off offset:672
	s_waitcnt vmcnt(0)
	v_add_f64 v[2:3], v[2:3], -v[6:7]
	v_add_f64 v[4:5], v[4:5], -v[80:81]
	scratch_store_dwordx4 off, v[2:5], off offset:672
	s_and_saveexec_b64 s[0:1], vcc
	s_cbranch_execz .LBB59_293
; %bb.292:
	scratch_load_dwordx4 v[2:5], off, s56
	v_mov_b32_e32 v6, 0
	v_mov_b32_e32 v7, v6
	;; [unrolled: 1-line block ×4, first 2 shown]
	v_accvgpr_read_b32 v0, a121
	scratch_store_dwordx4 off, v[6:9], off offset:656
	s_waitcnt vmcnt(1)
	ds_write_b128 v0, v[2:5]
.LBB59_293:
	s_or_b64 exec, exec, s[0:1]
	v_mov_b32_e32 v2, 0
	s_waitcnt lgkmcnt(0)
	; wave barrier
	ds_read_b128 v[16:19], v2 offset:1616
	ds_read_b128 v[12:15], v2 offset:1632
	;; [unrolled: 1-line block ×4, first 2 shown]
	scratch_load_dwordx4 v[20:23], off, off offset:672
	scratch_load_dwordx4 v[40:43], off, off offset:736
	scratch_load_dwordx4 v[72:75], off, off offset:800
	scratch_load_dwordx4 v[80:83], off, off offset:816
	scratch_load_dwordx4 v[90:93], off, off offset:832
	scratch_load_dwordx4 v[98:101], off, off offset:848
	scratch_load_dwordx4 v[106:109], off, off offset:864
	scratch_load_dwordx4 v[114:117], off, off offset:880
	scratch_load_dwordx4 v[122:125], off, off offset:896
	scratch_load_dwordx4 v[130:133], off, off offset:912
	scratch_load_dwordx4 v[138:141], off, off offset:928
	scratch_load_dwordx4 v[146:149], off, off offset:944
	scratch_load_dwordx4 v[154:157], off, off offset:960
	v_cmp_lt_u32_e32 vcc, 39, v244
	scratch_load_dwordx4 v[48:51], off, off offset:752
	scratch_load_dwordx4 v[56:59], off, off offset:768
	;; [unrolled: 1-line block ×3, first 2 shown]
	s_waitcnt vmcnt(15) lgkmcnt(3)
	v_mul_f64 v[24:25], v[16:17], v[22:23]
	v_fmac_f64_e32 v[24:25], v[18:19], v[20:21]
	v_add_f64 v[28:29], v[24:25], 0
	scratch_load_dwordx4 v[24:27], off, off offset:688
	v_mul_f64 v[18:19], v[18:19], v[22:23]
	v_fma_f64 v[16:17], v[16:17], v[20:21], -v[18:19]
	v_add_f64 v[16:17], v[16:17], 0
	s_waitcnt vmcnt(0) lgkmcnt(2)
	v_mul_f64 v[30:31], v[12:13], v[26:27]
	v_fmac_f64_e32 v[30:31], v[14:15], v[24:25]
	v_add_f64 v[32:33], v[28:29], v[30:31]
	scratch_load_dwordx4 v[28:31], off, off offset:704
	v_mul_f64 v[14:15], v[14:15], v[26:27]
	v_fma_f64 v[12:13], v[12:13], v[24:25], -v[14:15]
	v_add_f64 v[12:13], v[16:17], v[12:13]
	;; [unrolled: 8-line block ×3, first 2 shown]
	s_waitcnt vmcnt(0) lgkmcnt(0)
	v_mul_f64 v[38:39], v[4:5], v[34:35]
	v_fmac_f64_e32 v[38:39], v[6:7], v[32:33]
	v_add_f64 v[44:45], v[36:37], v[38:39]
	ds_read_b128 v[36:39], v2 offset:1680
	v_mul_f64 v[6:7], v[6:7], v[34:35]
	v_fma_f64 v[4:5], v[4:5], v[32:33], -v[6:7]
	v_add_f64 v[4:5], v[8:9], v[4:5]
	s_waitcnt lgkmcnt(0)
	v_mul_f64 v[46:47], v[36:37], v[42:43]
	v_fmac_f64_e32 v[46:47], v[38:39], v[40:41]
	v_add_f64 v[52:53], v[44:45], v[46:47]
	ds_read_b128 v[44:47], v2 offset:1696
	v_mul_f64 v[6:7], v[38:39], v[42:43]
	v_fma_f64 v[6:7], v[36:37], v[40:41], -v[6:7]
	v_add_f64 v[4:5], v[4:5], v[6:7]
	s_waitcnt lgkmcnt(0)
	;; [unrolled: 8-line block ×15, first 2 shown]
	v_mul_f64 v[6:7], v[152:153], v[156:157]
	v_fma_f64 v[6:7], v[150:151], v[154:155], -v[6:7]
	v_add_f64 v[8:9], v[4:5], v[6:7]
	scratch_load_dwordx4 v[4:7], off, off offset:656
	v_mul_f64 v[158:159], v[150:151], v[156:157]
	v_fmac_f64_e32 v[158:159], v[152:153], v[154:155]
	v_add_f64 v[88:89], v[88:89], v[158:159]
	s_waitcnt vmcnt(0)
	v_add_f64 v[4:5], v[4:5], -v[8:9]
	v_add_f64 v[6:7], v[6:7], -v[88:89]
	scratch_store_dwordx4 off, v[4:7], off offset:656
	s_and_saveexec_b64 s[0:1], vcc
	s_cbranch_execz .LBB59_295
; %bb.294:
	scratch_load_dwordx4 v[6:9], off, s55
	v_mov_b32_e32 v3, v2
	v_mov_b32_e32 v4, v2
	;; [unrolled: 1-line block ×3, first 2 shown]
	v_accvgpr_read_b32 v0, a121
	scratch_store_dwordx4 off, v[2:5], off offset:640
	s_waitcnt vmcnt(1)
	ds_write_b128 v0, v[6:9]
.LBB59_295:
	s_or_b64 exec, exec, s[0:1]
	s_waitcnt lgkmcnt(0)
	; wave barrier
	ds_read_b128 v[16:19], v2 offset:1600
	ds_read_b128 v[12:15], v2 offset:1616
	;; [unrolled: 1-line block ×4, first 2 shown]
	scratch_load_dwordx4 v[20:23], off, off offset:656
	scratch_load_dwordx4 v[40:43], off, off offset:720
	;; [unrolled: 1-line block ×14, first 2 shown]
	v_cmp_lt_u32_e32 vcc, 38, v244
	scratch_load_dwordx4 v[48:51], off, off offset:736
	scratch_load_dwordx4 v[56:59], off, off offset:752
	;; [unrolled: 1-line block ×3, first 2 shown]
	s_waitcnt vmcnt(16) lgkmcnt(3)
	v_mul_f64 v[24:25], v[16:17], v[22:23]
	v_fmac_f64_e32 v[24:25], v[18:19], v[20:21]
	v_add_f64 v[28:29], v[24:25], 0
	scratch_load_dwordx4 v[24:27], off, off offset:672
	s_waitcnt vmcnt(0) lgkmcnt(2)
	v_mul_f64 v[30:31], v[12:13], v[26:27]
	v_fmac_f64_e32 v[30:31], v[14:15], v[24:25]
	v_add_f64 v[32:33], v[28:29], v[30:31]
	scratch_load_dwordx4 v[28:31], off, off offset:688
	v_mul_f64 v[14:15], v[14:15], v[26:27]
	v_fma_f64 v[12:13], v[12:13], v[24:25], -v[14:15]
	s_waitcnt vmcnt(0) lgkmcnt(1)
	v_mul_f64 v[34:35], v[8:9], v[30:31]
	v_fmac_f64_e32 v[34:35], v[10:11], v[28:29]
	v_add_f64 v[36:37], v[32:33], v[34:35]
	scratch_load_dwordx4 v[32:35], off, off offset:704
	v_mul_f64 v[10:11], v[10:11], v[30:31]
	v_fma_f64 v[8:9], v[8:9], v[28:29], -v[10:11]
	s_waitcnt vmcnt(0) lgkmcnt(0)
	v_mul_f64 v[38:39], v[4:5], v[34:35]
	v_fmac_f64_e32 v[38:39], v[6:7], v[32:33]
	v_add_f64 v[44:45], v[36:37], v[38:39]
	ds_read_b128 v[36:39], v2 offset:1664
	v_mul_f64 v[6:7], v[6:7], v[34:35]
	v_fma_f64 v[4:5], v[4:5], v[32:33], -v[6:7]
	s_waitcnt lgkmcnt(0)
	v_mul_f64 v[46:47], v[36:37], v[42:43]
	v_fmac_f64_e32 v[46:47], v[38:39], v[40:41]
	v_add_f64 v[52:53], v[44:45], v[46:47]
	ds_read_b128 v[44:47], v2 offset:1680
	s_waitcnt lgkmcnt(0)
	v_mul_f64 v[54:55], v[44:45], v[50:51]
	v_fmac_f64_e32 v[54:55], v[46:47], v[48:49]
	v_add_f64 v[60:61], v[52:53], v[54:55]
	ds_read_b128 v[52:55], v2 offset:1696
	;; [unrolled: 5-line block ×15, first 2 shown]
	s_waitcnt lgkmcnt(0)
	v_mul_f64 v[2:3], v[158:159], v[164:165]
	v_fmac_f64_e32 v[2:3], v[160:161], v[162:163]
	v_add_f64 v[96:97], v[96:97], v[2:3]
	v_mul_f64 v[2:3], v[18:19], v[22:23]
	v_fma_f64 v[2:3], v[16:17], v[20:21], -v[2:3]
	v_add_f64 v[2:3], v[2:3], 0
	v_add_f64 v[2:3], v[2:3], v[12:13]
	;; [unrolled: 1-line block ×4, first 2 shown]
	v_mul_f64 v[4:5], v[38:39], v[42:43]
	v_fma_f64 v[4:5], v[36:37], v[40:41], -v[4:5]
	v_add_f64 v[2:3], v[2:3], v[4:5]
	v_mul_f64 v[4:5], v[46:47], v[50:51]
	v_fma_f64 v[4:5], v[44:45], v[48:49], -v[4:5]
	v_add_f64 v[2:3], v[2:3], v[4:5]
	;; [unrolled: 3-line block ×16, first 2 shown]
	scratch_load_dwordx4 v[2:5], off, off offset:640
	s_waitcnt vmcnt(0)
	v_add_f64 v[2:3], v[2:3], -v[6:7]
	v_add_f64 v[4:5], v[4:5], -v[96:97]
	scratch_store_dwordx4 off, v[2:5], off offset:640
	s_and_saveexec_b64 s[0:1], vcc
	s_cbranch_execz .LBB59_297
; %bb.296:
	scratch_load_dwordx4 v[2:5], off, s54
	v_mov_b32_e32 v6, 0
	v_mov_b32_e32 v7, v6
	;; [unrolled: 1-line block ×4, first 2 shown]
	v_accvgpr_read_b32 v0, a121
	scratch_store_dwordx4 off, v[6:9], off offset:624
	s_waitcnt vmcnt(1)
	ds_write_b128 v0, v[2:5]
.LBB59_297:
	s_or_b64 exec, exec, s[0:1]
	v_mov_b32_e32 v2, 0
	s_waitcnt lgkmcnt(0)
	; wave barrier
	ds_read_b128 v[16:19], v2 offset:1584
	ds_read_b128 v[12:15], v2 offset:1600
	;; [unrolled: 1-line block ×4, first 2 shown]
	scratch_load_dwordx4 v[20:23], off, off offset:640
	scratch_load_dwordx4 v[40:43], off, off offset:704
	;; [unrolled: 1-line block ×15, first 2 shown]
	v_cmp_lt_u32_e32 vcc, 37, v244
	scratch_load_dwordx4 v[48:51], off, off offset:720
	scratch_load_dwordx4 v[56:59], off, off offset:736
	;; [unrolled: 1-line block ×3, first 2 shown]
	s_waitcnt vmcnt(17) lgkmcnt(3)
	v_mul_f64 v[24:25], v[16:17], v[22:23]
	v_fmac_f64_e32 v[24:25], v[18:19], v[20:21]
	v_add_f64 v[28:29], v[24:25], 0
	scratch_load_dwordx4 v[24:27], off, off offset:656
	v_mul_f64 v[18:19], v[18:19], v[22:23]
	v_fma_f64 v[16:17], v[16:17], v[20:21], -v[18:19]
	v_add_f64 v[16:17], v[16:17], 0
	s_waitcnt vmcnt(0) lgkmcnt(2)
	v_mul_f64 v[30:31], v[12:13], v[26:27]
	v_fmac_f64_e32 v[30:31], v[14:15], v[24:25]
	v_add_f64 v[32:33], v[28:29], v[30:31]
	scratch_load_dwordx4 v[28:31], off, off offset:672
	v_mul_f64 v[14:15], v[14:15], v[26:27]
	v_fma_f64 v[12:13], v[12:13], v[24:25], -v[14:15]
	v_add_f64 v[12:13], v[16:17], v[12:13]
	s_waitcnt vmcnt(0) lgkmcnt(1)
	v_mul_f64 v[34:35], v[8:9], v[30:31]
	v_fmac_f64_e32 v[34:35], v[10:11], v[28:29]
	v_add_f64 v[36:37], v[32:33], v[34:35]
	scratch_load_dwordx4 v[32:35], off, off offset:688
	v_mul_f64 v[10:11], v[10:11], v[30:31]
	v_fma_f64 v[8:9], v[8:9], v[28:29], -v[10:11]
	v_add_f64 v[8:9], v[12:13], v[8:9]
	s_waitcnt vmcnt(0) lgkmcnt(0)
	v_mul_f64 v[38:39], v[4:5], v[34:35]
	v_fmac_f64_e32 v[38:39], v[6:7], v[32:33]
	v_add_f64 v[44:45], v[36:37], v[38:39]
	ds_read_b128 v[36:39], v2 offset:1648
	v_mul_f64 v[6:7], v[6:7], v[34:35]
	v_fma_f64 v[4:5], v[4:5], v[32:33], -v[6:7]
	v_add_f64 v[4:5], v[8:9], v[4:5]
	s_waitcnt lgkmcnt(0)
	v_mul_f64 v[46:47], v[36:37], v[42:43]
	v_fmac_f64_e32 v[46:47], v[38:39], v[40:41]
	v_add_f64 v[52:53], v[44:45], v[46:47]
	ds_read_b128 v[44:47], v2 offset:1664
	v_mul_f64 v[6:7], v[38:39], v[42:43]
	v_fma_f64 v[6:7], v[36:37], v[40:41], -v[6:7]
	v_add_f64 v[4:5], v[4:5], v[6:7]
	s_waitcnt lgkmcnt(0)
	;; [unrolled: 8-line block ×17, first 2 shown]
	v_mul_f64 v[6:7], v[168:169], v[172:173]
	v_fma_f64 v[6:7], v[166:167], v[170:171], -v[6:7]
	v_add_f64 v[8:9], v[4:5], v[6:7]
	scratch_load_dwordx4 v[4:7], off, off offset:624
	v_mul_f64 v[174:175], v[166:167], v[172:173]
	v_fmac_f64_e32 v[174:175], v[168:169], v[170:171]
	v_add_f64 v[104:105], v[104:105], v[174:175]
	s_waitcnt vmcnt(0)
	v_add_f64 v[4:5], v[4:5], -v[8:9]
	v_add_f64 v[6:7], v[6:7], -v[104:105]
	scratch_store_dwordx4 off, v[4:7], off offset:624
	s_and_saveexec_b64 s[0:1], vcc
	s_cbranch_execz .LBB59_299
; %bb.298:
	scratch_load_dwordx4 v[6:9], off, s53
	v_mov_b32_e32 v3, v2
	v_mov_b32_e32 v4, v2
	;; [unrolled: 1-line block ×3, first 2 shown]
	v_accvgpr_read_b32 v0, a121
	scratch_store_dwordx4 off, v[2:5], off offset:608
	s_waitcnt vmcnt(1)
	ds_write_b128 v0, v[6:9]
.LBB59_299:
	s_or_b64 exec, exec, s[0:1]
	s_waitcnt lgkmcnt(0)
	; wave barrier
	ds_read_b128 v[16:19], v2 offset:1568
	ds_read_b128 v[12:15], v2 offset:1584
	;; [unrolled: 1-line block ×4, first 2 shown]
	scratch_load_dwordx4 v[20:23], off, off offset:624
	scratch_load_dwordx4 v[40:43], off, off offset:688
	;; [unrolled: 1-line block ×16, first 2 shown]
	v_cmp_lt_u32_e32 vcc, 36, v244
	scratch_load_dwordx4 v[48:51], off, off offset:704
	scratch_load_dwordx4 v[56:59], off, off offset:720
	;; [unrolled: 1-line block ×3, first 2 shown]
	s_waitcnt vmcnt(18) lgkmcnt(3)
	v_mul_f64 v[24:25], v[16:17], v[22:23]
	v_fmac_f64_e32 v[24:25], v[18:19], v[20:21]
	v_add_f64 v[28:29], v[24:25], 0
	scratch_load_dwordx4 v[24:27], off, off offset:640
	s_waitcnt vmcnt(0) lgkmcnt(2)
	v_mul_f64 v[30:31], v[12:13], v[26:27]
	v_fmac_f64_e32 v[30:31], v[14:15], v[24:25]
	v_add_f64 v[32:33], v[28:29], v[30:31]
	scratch_load_dwordx4 v[28:31], off, off offset:656
	v_mul_f64 v[14:15], v[14:15], v[26:27]
	v_fma_f64 v[12:13], v[12:13], v[24:25], -v[14:15]
	s_waitcnt vmcnt(0) lgkmcnt(1)
	v_mul_f64 v[34:35], v[8:9], v[30:31]
	v_fmac_f64_e32 v[34:35], v[10:11], v[28:29]
	v_add_f64 v[36:37], v[32:33], v[34:35]
	scratch_load_dwordx4 v[32:35], off, off offset:672
	v_mul_f64 v[10:11], v[10:11], v[30:31]
	v_fma_f64 v[8:9], v[8:9], v[28:29], -v[10:11]
	s_waitcnt vmcnt(0) lgkmcnt(0)
	v_mul_f64 v[38:39], v[4:5], v[34:35]
	v_fmac_f64_e32 v[38:39], v[6:7], v[32:33]
	v_add_f64 v[44:45], v[36:37], v[38:39]
	ds_read_b128 v[36:39], v2 offset:1632
	v_mul_f64 v[6:7], v[6:7], v[34:35]
	v_fma_f64 v[4:5], v[4:5], v[32:33], -v[6:7]
	s_waitcnt lgkmcnt(0)
	v_mul_f64 v[46:47], v[36:37], v[42:43]
	v_fmac_f64_e32 v[46:47], v[38:39], v[40:41]
	v_add_f64 v[52:53], v[44:45], v[46:47]
	ds_read_b128 v[44:47], v2 offset:1648
	s_waitcnt lgkmcnt(0)
	v_mul_f64 v[54:55], v[44:45], v[50:51]
	v_fmac_f64_e32 v[54:55], v[46:47], v[48:49]
	v_add_f64 v[60:61], v[52:53], v[54:55]
	ds_read_b128 v[52:55], v2 offset:1664
	;; [unrolled: 5-line block ×17, first 2 shown]
	s_waitcnt lgkmcnt(0)
	v_mul_f64 v[2:3], v[174:175], v[180:181]
	v_fmac_f64_e32 v[2:3], v[176:177], v[178:179]
	v_add_f64 v[120:121], v[120:121], v[2:3]
	v_mul_f64 v[2:3], v[18:19], v[22:23]
	v_fma_f64 v[2:3], v[16:17], v[20:21], -v[2:3]
	v_add_f64 v[2:3], v[2:3], 0
	v_add_f64 v[2:3], v[2:3], v[12:13]
	;; [unrolled: 1-line block ×4, first 2 shown]
	v_mul_f64 v[4:5], v[38:39], v[42:43]
	v_fma_f64 v[4:5], v[36:37], v[40:41], -v[4:5]
	v_add_f64 v[2:3], v[2:3], v[4:5]
	v_mul_f64 v[4:5], v[46:47], v[50:51]
	v_fma_f64 v[4:5], v[44:45], v[48:49], -v[4:5]
	v_add_f64 v[2:3], v[2:3], v[4:5]
	;; [unrolled: 3-line block ×18, first 2 shown]
	scratch_load_dwordx4 v[2:5], off, off offset:608
	s_waitcnt vmcnt(0)
	v_add_f64 v[2:3], v[2:3], -v[6:7]
	v_add_f64 v[4:5], v[4:5], -v[120:121]
	scratch_store_dwordx4 off, v[2:5], off offset:608
	s_and_saveexec_b64 s[0:1], vcc
	s_cbranch_execz .LBB59_301
; %bb.300:
	scratch_load_dwordx4 v[2:5], off, s52
	v_mov_b32_e32 v6, 0
	v_mov_b32_e32 v7, v6
	;; [unrolled: 1-line block ×4, first 2 shown]
	v_accvgpr_read_b32 v0, a121
	scratch_store_dwordx4 off, v[6:9], off offset:592
	s_waitcnt vmcnt(1)
	ds_write_b128 v0, v[2:5]
.LBB59_301:
	s_or_b64 exec, exec, s[0:1]
	v_mov_b32_e32 v2, 0
	s_waitcnt lgkmcnt(0)
	; wave barrier
	ds_read_b128 v[16:19], v2 offset:1552
	ds_read_b128 v[12:15], v2 offset:1568
	ds_read_b128 v[8:11], v2 offset:1584
	ds_read_b128 v[4:7], v2 offset:1600
	scratch_load_dwordx4 v[20:23], off, off offset:608
	scratch_load_dwordx4 v[40:43], off, off offset:672
	;; [unrolled: 1-line block ×17, first 2 shown]
	v_cmp_lt_u32_e32 vcc, 35, v244
	scratch_load_dwordx4 v[48:51], off, off offset:688
	scratch_load_dwordx4 v[56:59], off, off offset:704
	;; [unrolled: 1-line block ×3, first 2 shown]
	s_waitcnt vmcnt(19) lgkmcnt(3)
	v_mul_f64 v[24:25], v[16:17], v[22:23]
	v_fmac_f64_e32 v[24:25], v[18:19], v[20:21]
	v_add_f64 v[28:29], v[24:25], 0
	scratch_load_dwordx4 v[24:27], off, off offset:624
	v_mul_f64 v[18:19], v[18:19], v[22:23]
	v_fma_f64 v[16:17], v[16:17], v[20:21], -v[18:19]
	v_add_f64 v[16:17], v[16:17], 0
	s_waitcnt vmcnt(0) lgkmcnt(2)
	v_mul_f64 v[30:31], v[12:13], v[26:27]
	v_fmac_f64_e32 v[30:31], v[14:15], v[24:25]
	v_add_f64 v[32:33], v[28:29], v[30:31]
	scratch_load_dwordx4 v[28:31], off, off offset:640
	v_mul_f64 v[14:15], v[14:15], v[26:27]
	v_fma_f64 v[12:13], v[12:13], v[24:25], -v[14:15]
	v_add_f64 v[12:13], v[16:17], v[12:13]
	;; [unrolled: 8-line block ×3, first 2 shown]
	s_waitcnt vmcnt(0) lgkmcnt(0)
	v_mul_f64 v[38:39], v[4:5], v[34:35]
	v_fmac_f64_e32 v[38:39], v[6:7], v[32:33]
	v_add_f64 v[44:45], v[36:37], v[38:39]
	ds_read_b128 v[36:39], v2 offset:1616
	v_mul_f64 v[6:7], v[6:7], v[34:35]
	v_fma_f64 v[4:5], v[4:5], v[32:33], -v[6:7]
	v_add_f64 v[4:5], v[8:9], v[4:5]
	s_waitcnt lgkmcnt(0)
	v_mul_f64 v[46:47], v[36:37], v[42:43]
	v_fmac_f64_e32 v[46:47], v[38:39], v[40:41]
	v_add_f64 v[52:53], v[44:45], v[46:47]
	ds_read_b128 v[44:47], v2 offset:1632
	v_mul_f64 v[6:7], v[38:39], v[42:43]
	v_fma_f64 v[6:7], v[36:37], v[40:41], -v[6:7]
	v_add_f64 v[4:5], v[4:5], v[6:7]
	s_waitcnt lgkmcnt(0)
	;; [unrolled: 8-line block ×19, first 2 shown]
	v_mul_f64 v[6:7], v[184:185], v[188:189]
	v_fma_f64 v[6:7], v[182:183], v[186:187], -v[6:7]
	v_add_f64 v[8:9], v[4:5], v[6:7]
	scratch_load_dwordx4 v[4:7], off, off offset:592
	v_mul_f64 v[190:191], v[182:183], v[188:189]
	v_fmac_f64_e32 v[190:191], v[184:185], v[186:187]
	v_add_f64 v[128:129], v[128:129], v[190:191]
	s_waitcnt vmcnt(0)
	v_add_f64 v[4:5], v[4:5], -v[8:9]
	v_add_f64 v[6:7], v[6:7], -v[128:129]
	scratch_store_dwordx4 off, v[4:7], off offset:592
	s_and_saveexec_b64 s[0:1], vcc
	s_cbranch_execz .LBB59_303
; %bb.302:
	scratch_load_dwordx4 v[6:9], off, s51
	v_mov_b32_e32 v3, v2
	v_mov_b32_e32 v4, v2
	;; [unrolled: 1-line block ×3, first 2 shown]
	v_accvgpr_read_b32 v0, a121
	scratch_store_dwordx4 off, v[2:5], off offset:576
	s_waitcnt vmcnt(1)
	ds_write_b128 v0, v[6:9]
.LBB59_303:
	s_or_b64 exec, exec, s[0:1]
	s_waitcnt lgkmcnt(0)
	; wave barrier
	ds_read_b128 v[16:19], v2 offset:1536
	ds_read_b128 v[12:15], v2 offset:1552
	;; [unrolled: 1-line block ×4, first 2 shown]
	scratch_load_dwordx4 v[20:23], off, off offset:592
	scratch_load_dwordx4 v[40:43], off, off offset:656
	;; [unrolled: 1-line block ×18, first 2 shown]
	v_cmp_lt_u32_e32 vcc, 34, v244
	scratch_load_dwordx4 v[48:51], off, off offset:672
	scratch_load_dwordx4 v[56:59], off, off offset:688
	;; [unrolled: 1-line block ×3, first 2 shown]
	s_waitcnt vmcnt(20) lgkmcnt(3)
	v_mul_f64 v[24:25], v[16:17], v[22:23]
	v_fmac_f64_e32 v[24:25], v[18:19], v[20:21]
	v_add_f64 v[28:29], v[24:25], 0
	scratch_load_dwordx4 v[24:27], off, off offset:608
	s_waitcnt vmcnt(0) lgkmcnt(2)
	v_mul_f64 v[30:31], v[12:13], v[26:27]
	v_fmac_f64_e32 v[30:31], v[14:15], v[24:25]
	v_add_f64 v[32:33], v[28:29], v[30:31]
	scratch_load_dwordx4 v[28:31], off, off offset:624
	v_mul_f64 v[14:15], v[14:15], v[26:27]
	v_fma_f64 v[12:13], v[12:13], v[24:25], -v[14:15]
	s_waitcnt vmcnt(0) lgkmcnt(1)
	v_mul_f64 v[34:35], v[8:9], v[30:31]
	v_fmac_f64_e32 v[34:35], v[10:11], v[28:29]
	v_add_f64 v[36:37], v[32:33], v[34:35]
	scratch_load_dwordx4 v[32:35], off, off offset:640
	v_mul_f64 v[10:11], v[10:11], v[30:31]
	v_fma_f64 v[8:9], v[8:9], v[28:29], -v[10:11]
	s_waitcnt vmcnt(0) lgkmcnt(0)
	v_mul_f64 v[38:39], v[4:5], v[34:35]
	v_fmac_f64_e32 v[38:39], v[6:7], v[32:33]
	v_add_f64 v[44:45], v[36:37], v[38:39]
	ds_read_b128 v[36:39], v2 offset:1600
	v_mul_f64 v[6:7], v[6:7], v[34:35]
	v_fma_f64 v[4:5], v[4:5], v[32:33], -v[6:7]
	s_waitcnt lgkmcnt(0)
	v_mul_f64 v[46:47], v[36:37], v[42:43]
	v_fmac_f64_e32 v[46:47], v[38:39], v[40:41]
	v_add_f64 v[52:53], v[44:45], v[46:47]
	ds_read_b128 v[44:47], v2 offset:1616
	s_waitcnt lgkmcnt(0)
	v_mul_f64 v[54:55], v[44:45], v[50:51]
	v_fmac_f64_e32 v[54:55], v[46:47], v[48:49]
	v_add_f64 v[60:61], v[52:53], v[54:55]
	ds_read_b128 v[52:55], v2 offset:1632
	;; [unrolled: 5-line block ×19, first 2 shown]
	s_waitcnt lgkmcnt(0)
	v_mul_f64 v[2:3], v[190:191], v[196:197]
	v_fmac_f64_e32 v[2:3], v[192:193], v[194:195]
	v_add_f64 v[148:149], v[148:149], v[2:3]
	v_mul_f64 v[2:3], v[18:19], v[22:23]
	v_fma_f64 v[2:3], v[16:17], v[20:21], -v[2:3]
	v_add_f64 v[2:3], v[2:3], 0
	v_add_f64 v[2:3], v[2:3], v[12:13]
	;; [unrolled: 1-line block ×4, first 2 shown]
	v_mul_f64 v[4:5], v[38:39], v[42:43]
	v_fma_f64 v[4:5], v[36:37], v[40:41], -v[4:5]
	v_add_f64 v[2:3], v[2:3], v[4:5]
	v_mul_f64 v[4:5], v[46:47], v[50:51]
	v_fma_f64 v[4:5], v[44:45], v[48:49], -v[4:5]
	v_add_f64 v[2:3], v[2:3], v[4:5]
	;; [unrolled: 3-line block ×20, first 2 shown]
	scratch_load_dwordx4 v[2:5], off, off offset:576
	s_waitcnt vmcnt(0)
	v_add_f64 v[2:3], v[2:3], -v[6:7]
	v_add_f64 v[4:5], v[4:5], -v[148:149]
	scratch_store_dwordx4 off, v[2:5], off offset:576
	s_and_saveexec_b64 s[0:1], vcc
	s_cbranch_execz .LBB59_305
; %bb.304:
	scratch_load_dwordx4 v[2:5], off, s50
	v_mov_b32_e32 v6, 0
	v_mov_b32_e32 v7, v6
	;; [unrolled: 1-line block ×4, first 2 shown]
	v_accvgpr_read_b32 v0, a121
	scratch_store_dwordx4 off, v[6:9], off offset:560
	s_waitcnt vmcnt(1)
	ds_write_b128 v0, v[2:5]
.LBB59_305:
	s_or_b64 exec, exec, s[0:1]
	v_mov_b32_e32 v2, 0
	s_waitcnt lgkmcnt(0)
	; wave barrier
	ds_read_b128 v[16:19], v2 offset:1520
	ds_read_b128 v[12:15], v2 offset:1536
	;; [unrolled: 1-line block ×4, first 2 shown]
	scratch_load_dwordx4 v[20:23], off, off offset:576
	scratch_load_dwordx4 v[40:43], off, off offset:640
	scratch_load_dwordx4 v[72:75], off, off offset:704
	scratch_load_dwordx4 v[80:83], off, off offset:720
	scratch_load_dwordx4 v[88:91], off, off offset:736
	scratch_load_dwordx4 v[96:99], off, off offset:752
	scratch_load_dwordx4 v[104:107], off, off offset:768
	scratch_load_dwordx4 v[112:115], off, off offset:784
	scratch_load_dwordx4 v[120:123], off, off offset:800
	scratch_load_dwordx4 v[128:131], off, off offset:816
	scratch_load_dwordx4 v[136:139], off, off offset:832
	scratch_load_dwordx4 v[146:149], off, off offset:848
	scratch_load_dwordx4 v[154:157], off, off offset:864
	scratch_load_dwordx4 v[162:165], off, off offset:880
	scratch_load_dwordx4 v[170:173], off, off offset:896
	scratch_load_dwordx4 v[178:181], off, off offset:912
	scratch_load_dwordx4 v[186:189], off, off offset:928
	scratch_load_dwordx4 v[194:197], off, off offset:944
	scratch_load_dwordx4 v[202:205], off, off offset:960
	v_cmp_lt_u32_e32 vcc, 33, v244
	scratch_load_dwordx4 v[48:51], off, off offset:656
	scratch_load_dwordx4 v[56:59], off, off offset:672
	;; [unrolled: 1-line block ×3, first 2 shown]
	s_waitcnt vmcnt(21) lgkmcnt(3)
	v_mul_f64 v[24:25], v[16:17], v[22:23]
	v_fmac_f64_e32 v[24:25], v[18:19], v[20:21]
	v_add_f64 v[28:29], v[24:25], 0
	scratch_load_dwordx4 v[24:27], off, off offset:592
	v_mul_f64 v[18:19], v[18:19], v[22:23]
	v_fma_f64 v[16:17], v[16:17], v[20:21], -v[18:19]
	v_add_f64 v[16:17], v[16:17], 0
	s_waitcnt vmcnt(0) lgkmcnt(2)
	v_mul_f64 v[30:31], v[12:13], v[26:27]
	v_fmac_f64_e32 v[30:31], v[14:15], v[24:25]
	v_add_f64 v[32:33], v[28:29], v[30:31]
	scratch_load_dwordx4 v[28:31], off, off offset:608
	v_mul_f64 v[14:15], v[14:15], v[26:27]
	v_fma_f64 v[12:13], v[12:13], v[24:25], -v[14:15]
	v_add_f64 v[12:13], v[16:17], v[12:13]
	;; [unrolled: 8-line block ×3, first 2 shown]
	s_waitcnt vmcnt(0) lgkmcnt(0)
	v_mul_f64 v[38:39], v[4:5], v[34:35]
	v_fmac_f64_e32 v[38:39], v[6:7], v[32:33]
	v_add_f64 v[44:45], v[36:37], v[38:39]
	ds_read_b128 v[36:39], v2 offset:1584
	v_mul_f64 v[6:7], v[6:7], v[34:35]
	v_fma_f64 v[4:5], v[4:5], v[32:33], -v[6:7]
	v_add_f64 v[4:5], v[8:9], v[4:5]
	s_waitcnt lgkmcnt(0)
	v_mul_f64 v[46:47], v[36:37], v[42:43]
	v_fmac_f64_e32 v[46:47], v[38:39], v[40:41]
	v_add_f64 v[52:53], v[44:45], v[46:47]
	ds_read_b128 v[44:47], v2 offset:1600
	v_mul_f64 v[6:7], v[38:39], v[42:43]
	v_fma_f64 v[6:7], v[36:37], v[40:41], -v[6:7]
	v_add_f64 v[4:5], v[4:5], v[6:7]
	s_waitcnt lgkmcnt(0)
	;; [unrolled: 8-line block ×21, first 2 shown]
	v_mul_f64 v[6:7], v[200:201], v[204:205]
	v_fma_f64 v[6:7], v[198:199], v[202:203], -v[6:7]
	v_add_f64 v[8:9], v[4:5], v[6:7]
	scratch_load_dwordx4 v[4:7], off, off offset:560
	v_mul_f64 v[206:207], v[198:199], v[204:205]
	v_fmac_f64_e32 v[206:207], v[200:201], v[202:203]
	v_add_f64 v[144:145], v[144:145], v[206:207]
	s_waitcnt vmcnt(0)
	v_add_f64 v[4:5], v[4:5], -v[8:9]
	v_add_f64 v[6:7], v[6:7], -v[144:145]
	scratch_store_dwordx4 off, v[4:7], off offset:560
	s_and_saveexec_b64 s[0:1], vcc
	s_cbranch_execz .LBB59_307
; %bb.306:
	scratch_load_dwordx4 v[6:9], off, s49
	v_mov_b32_e32 v3, v2
	v_mov_b32_e32 v4, v2
	;; [unrolled: 1-line block ×3, first 2 shown]
	v_accvgpr_read_b32 v0, a121
	scratch_store_dwordx4 off, v[2:5], off offset:544
	s_waitcnt vmcnt(1)
	ds_write_b128 v0, v[6:9]
.LBB59_307:
	s_or_b64 exec, exec, s[0:1]
	s_waitcnt lgkmcnt(0)
	; wave barrier
	ds_read_b128 v[16:19], v2 offset:1504
	ds_read_b128 v[12:15], v2 offset:1520
	;; [unrolled: 1-line block ×4, first 2 shown]
	scratch_load_dwordx4 v[20:23], off, off offset:560
	scratch_load_dwordx4 v[40:43], off, off offset:624
	;; [unrolled: 1-line block ×20, first 2 shown]
	v_cmp_lt_u32_e32 vcc, 32, v244
	scratch_load_dwordx4 v[48:51], off, off offset:640
	scratch_load_dwordx4 v[56:59], off, off offset:656
	;; [unrolled: 1-line block ×3, first 2 shown]
	s_waitcnt vmcnt(22) lgkmcnt(3)
	v_mul_f64 v[24:25], v[16:17], v[22:23]
	v_fmac_f64_e32 v[24:25], v[18:19], v[20:21]
	v_add_f64 v[28:29], v[24:25], 0
	scratch_load_dwordx4 v[24:27], off, off offset:576
	s_waitcnt vmcnt(0) lgkmcnt(2)
	v_mul_f64 v[30:31], v[12:13], v[26:27]
	v_fmac_f64_e32 v[30:31], v[14:15], v[24:25]
	v_add_f64 v[32:33], v[28:29], v[30:31]
	scratch_load_dwordx4 v[28:31], off, off offset:592
	v_mul_f64 v[14:15], v[14:15], v[26:27]
	v_fma_f64 v[12:13], v[12:13], v[24:25], -v[14:15]
	s_waitcnt vmcnt(0) lgkmcnt(1)
	v_mul_f64 v[34:35], v[8:9], v[30:31]
	v_fmac_f64_e32 v[34:35], v[10:11], v[28:29]
	v_add_f64 v[36:37], v[32:33], v[34:35]
	scratch_load_dwordx4 v[32:35], off, off offset:608
	v_mul_f64 v[10:11], v[10:11], v[30:31]
	v_fma_f64 v[8:9], v[8:9], v[28:29], -v[10:11]
	s_waitcnt vmcnt(0) lgkmcnt(0)
	v_mul_f64 v[38:39], v[4:5], v[34:35]
	v_fmac_f64_e32 v[38:39], v[6:7], v[32:33]
	v_add_f64 v[44:45], v[36:37], v[38:39]
	ds_read_b128 v[36:39], v2 offset:1568
	v_mul_f64 v[6:7], v[6:7], v[34:35]
	v_fma_f64 v[4:5], v[4:5], v[32:33], -v[6:7]
	s_waitcnt lgkmcnt(0)
	v_mul_f64 v[46:47], v[36:37], v[42:43]
	v_fmac_f64_e32 v[46:47], v[38:39], v[40:41]
	v_add_f64 v[52:53], v[44:45], v[46:47]
	ds_read_b128 v[44:47], v2 offset:1584
	s_waitcnt lgkmcnt(0)
	v_mul_f64 v[54:55], v[44:45], v[50:51]
	v_fmac_f64_e32 v[54:55], v[46:47], v[48:49]
	v_add_f64 v[60:61], v[52:53], v[54:55]
	ds_read_b128 v[52:55], v2 offset:1600
	;; [unrolled: 5-line block ×21, first 2 shown]
	s_waitcnt lgkmcnt(0)
	v_mul_f64 v[2:3], v[206:207], v[212:213]
	v_fmac_f64_e32 v[2:3], v[208:209], v[210:211]
	v_add_f64 v[168:169], v[168:169], v[2:3]
	v_mul_f64 v[2:3], v[18:19], v[22:23]
	v_fma_f64 v[2:3], v[16:17], v[20:21], -v[2:3]
	v_add_f64 v[2:3], v[2:3], 0
	v_add_f64 v[2:3], v[2:3], v[12:13]
	;; [unrolled: 1-line block ×4, first 2 shown]
	v_mul_f64 v[4:5], v[38:39], v[42:43]
	v_fma_f64 v[4:5], v[36:37], v[40:41], -v[4:5]
	v_add_f64 v[2:3], v[2:3], v[4:5]
	v_mul_f64 v[4:5], v[46:47], v[50:51]
	v_fma_f64 v[4:5], v[44:45], v[48:49], -v[4:5]
	v_add_f64 v[2:3], v[2:3], v[4:5]
	;; [unrolled: 3-line block ×22, first 2 shown]
	scratch_load_dwordx4 v[2:5], off, off offset:544
	s_waitcnt vmcnt(0)
	v_add_f64 v[2:3], v[2:3], -v[6:7]
	v_add_f64 v[4:5], v[4:5], -v[168:169]
	scratch_store_dwordx4 off, v[2:5], off offset:544
	s_and_saveexec_b64 s[0:1], vcc
	s_cbranch_execz .LBB59_309
; %bb.308:
	scratch_load_dwordx4 v[2:5], off, s22
	v_mov_b32_e32 v6, 0
	v_mov_b32_e32 v7, v6
	;; [unrolled: 1-line block ×4, first 2 shown]
	v_accvgpr_read_b32 v0, a121
	scratch_store_dwordx4 off, v[6:9], off offset:528
	s_waitcnt vmcnt(1)
	ds_write_b128 v0, v[2:5]
.LBB59_309:
	s_or_b64 exec, exec, s[0:1]
	v_mov_b32_e32 v2, 0
	s_waitcnt lgkmcnt(0)
	; wave barrier
	ds_read_b128 v[16:19], v2 offset:1488
	ds_read_b128 v[12:15], v2 offset:1504
	;; [unrolled: 1-line block ×4, first 2 shown]
	scratch_load_dwordx4 v[20:23], off, off offset:544
	scratch_load_dwordx4 v[40:43], off, off offset:608
	;; [unrolled: 1-line block ×21, first 2 shown]
	v_cmp_lt_u32_e32 vcc, 31, v244
	scratch_load_dwordx4 v[48:51], off, off offset:624
	scratch_load_dwordx4 v[56:59], off, off offset:640
	scratch_load_dwordx4 v[64:67], off, off offset:656
	s_waitcnt vmcnt(23) lgkmcnt(3)
	v_mul_f64 v[24:25], v[16:17], v[22:23]
	v_fmac_f64_e32 v[24:25], v[18:19], v[20:21]
	v_add_f64 v[28:29], v[24:25], 0
	scratch_load_dwordx4 v[24:27], off, off offset:560
	v_mul_f64 v[18:19], v[18:19], v[22:23]
	v_fma_f64 v[16:17], v[16:17], v[20:21], -v[18:19]
	v_add_f64 v[16:17], v[16:17], 0
	s_waitcnt vmcnt(0) lgkmcnt(2)
	v_mul_f64 v[30:31], v[12:13], v[26:27]
	v_fmac_f64_e32 v[30:31], v[14:15], v[24:25]
	v_add_f64 v[32:33], v[28:29], v[30:31]
	scratch_load_dwordx4 v[28:31], off, off offset:576
	v_mul_f64 v[14:15], v[14:15], v[26:27]
	v_fma_f64 v[12:13], v[12:13], v[24:25], -v[14:15]
	v_add_f64 v[12:13], v[16:17], v[12:13]
	;; [unrolled: 8-line block ×3, first 2 shown]
	s_waitcnt vmcnt(0) lgkmcnt(0)
	v_mul_f64 v[38:39], v[4:5], v[34:35]
	v_fmac_f64_e32 v[38:39], v[6:7], v[32:33]
	v_add_f64 v[44:45], v[36:37], v[38:39]
	ds_read_b128 v[36:39], v2 offset:1552
	v_mul_f64 v[6:7], v[6:7], v[34:35]
	v_fma_f64 v[4:5], v[4:5], v[32:33], -v[6:7]
	v_add_f64 v[4:5], v[8:9], v[4:5]
	s_waitcnt lgkmcnt(0)
	v_mul_f64 v[46:47], v[36:37], v[42:43]
	v_fmac_f64_e32 v[46:47], v[38:39], v[40:41]
	v_add_f64 v[52:53], v[44:45], v[46:47]
	ds_read_b128 v[44:47], v2 offset:1568
	v_mul_f64 v[6:7], v[38:39], v[42:43]
	v_fma_f64 v[6:7], v[36:37], v[40:41], -v[6:7]
	v_add_f64 v[4:5], v[4:5], v[6:7]
	s_waitcnt lgkmcnt(0)
	;; [unrolled: 8-line block ×23, first 2 shown]
	v_mul_f64 v[6:7], v[216:217], v[220:221]
	v_fma_f64 v[6:7], v[214:215], v[218:219], -v[6:7]
	v_add_f64 v[8:9], v[4:5], v[6:7]
	scratch_load_dwordx4 v[4:7], off, off offset:528
	v_mul_f64 v[222:223], v[214:215], v[220:221]
	v_fmac_f64_e32 v[222:223], v[216:217], v[218:219]
	v_add_f64 v[160:161], v[160:161], v[222:223]
	s_waitcnt vmcnt(0)
	v_add_f64 v[4:5], v[4:5], -v[8:9]
	v_add_f64 v[6:7], v[6:7], -v[160:161]
	scratch_store_dwordx4 off, v[4:7], off offset:528
	s_and_saveexec_b64 s[0:1], vcc
	s_cbranch_execz .LBB59_311
; %bb.310:
	scratch_load_dwordx4 v[6:9], off, s21
	v_mov_b32_e32 v3, v2
	v_mov_b32_e32 v4, v2
	;; [unrolled: 1-line block ×3, first 2 shown]
	v_accvgpr_read_b32 v0, a121
	scratch_store_dwordx4 off, v[2:5], off offset:512
	s_waitcnt vmcnt(1)
	ds_write_b128 v0, v[6:9]
.LBB59_311:
	s_or_b64 exec, exec, s[0:1]
	s_waitcnt lgkmcnt(0)
	; wave barrier
	ds_read_b128 v[16:19], v2 offset:1472
	ds_read_b128 v[12:15], v2 offset:1488
	;; [unrolled: 1-line block ×4, first 2 shown]
	scratch_load_dwordx4 v[20:23], off, off offset:528
	scratch_load_dwordx4 v[40:43], off, off offset:592
	;; [unrolled: 1-line block ×22, first 2 shown]
	v_cmp_lt_u32_e32 vcc, 30, v244
	scratch_load_dwordx4 v[48:51], off, off offset:608
	scratch_load_dwordx4 v[56:59], off, off offset:624
	scratch_load_dwordx4 v[64:67], off, off offset:640
	s_waitcnt vmcnt(24) lgkmcnt(3)
	v_mul_f64 v[24:25], v[16:17], v[22:23]
	v_fmac_f64_e32 v[24:25], v[18:19], v[20:21]
	v_add_f64 v[28:29], v[24:25], 0
	scratch_load_dwordx4 v[24:27], off, off offset:544
	s_waitcnt vmcnt(0) lgkmcnt(2)
	v_mul_f64 v[30:31], v[12:13], v[26:27]
	v_fmac_f64_e32 v[30:31], v[14:15], v[24:25]
	v_add_f64 v[32:33], v[28:29], v[30:31]
	scratch_load_dwordx4 v[28:31], off, off offset:560
	v_mul_f64 v[14:15], v[14:15], v[26:27]
	v_fma_f64 v[12:13], v[12:13], v[24:25], -v[14:15]
	s_waitcnt vmcnt(0) lgkmcnt(1)
	v_mul_f64 v[34:35], v[8:9], v[30:31]
	v_fmac_f64_e32 v[34:35], v[10:11], v[28:29]
	v_add_f64 v[36:37], v[32:33], v[34:35]
	scratch_load_dwordx4 v[32:35], off, off offset:576
	v_mul_f64 v[10:11], v[10:11], v[30:31]
	v_fma_f64 v[8:9], v[8:9], v[28:29], -v[10:11]
	s_waitcnt vmcnt(0) lgkmcnt(0)
	v_mul_f64 v[38:39], v[4:5], v[34:35]
	v_fmac_f64_e32 v[38:39], v[6:7], v[32:33]
	v_add_f64 v[44:45], v[36:37], v[38:39]
	ds_read_b128 v[36:39], v2 offset:1536
	v_mul_f64 v[6:7], v[6:7], v[34:35]
	v_fma_f64 v[4:5], v[4:5], v[32:33], -v[6:7]
	s_waitcnt lgkmcnt(0)
	v_mul_f64 v[46:47], v[36:37], v[42:43]
	v_fmac_f64_e32 v[46:47], v[38:39], v[40:41]
	v_add_f64 v[52:53], v[44:45], v[46:47]
	ds_read_b128 v[44:47], v2 offset:1552
	s_waitcnt lgkmcnt(0)
	v_mul_f64 v[54:55], v[44:45], v[50:51]
	v_fmac_f64_e32 v[54:55], v[46:47], v[48:49]
	v_add_f64 v[60:61], v[52:53], v[54:55]
	ds_read_b128 v[52:55], v2 offset:1568
	;; [unrolled: 5-line block ×23, first 2 shown]
	s_waitcnt lgkmcnt(0)
	v_mul_f64 v[2:3], v[222:223], v[228:229]
	v_fmac_f64_e32 v[2:3], v[224:225], v[226:227]
	v_add_f64 v[176:177], v[176:177], v[2:3]
	v_mul_f64 v[2:3], v[18:19], v[22:23]
	v_fma_f64 v[2:3], v[16:17], v[20:21], -v[2:3]
	v_add_f64 v[2:3], v[2:3], 0
	v_add_f64 v[2:3], v[2:3], v[12:13]
	;; [unrolled: 1-line block ×4, first 2 shown]
	v_mul_f64 v[4:5], v[38:39], v[42:43]
	v_fma_f64 v[4:5], v[36:37], v[40:41], -v[4:5]
	v_add_f64 v[2:3], v[2:3], v[4:5]
	v_mul_f64 v[4:5], v[46:47], v[50:51]
	v_fma_f64 v[4:5], v[44:45], v[48:49], -v[4:5]
	v_add_f64 v[2:3], v[2:3], v[4:5]
	;; [unrolled: 3-line block ×24, first 2 shown]
	scratch_load_dwordx4 v[2:5], off, off offset:512
	s_waitcnt vmcnt(0)
	v_add_f64 v[2:3], v[2:3], -v[6:7]
	v_add_f64 v[4:5], v[4:5], -v[176:177]
	scratch_store_dwordx4 off, v[2:5], off offset:512
	s_and_saveexec_b64 s[0:1], vcc
	s_cbranch_execz .LBB59_313
; %bb.312:
	scratch_load_dwordx4 v[2:5], off, s48
	v_mov_b32_e32 v6, 0
	v_mov_b32_e32 v7, v6
	;; [unrolled: 1-line block ×4, first 2 shown]
	v_accvgpr_read_b32 v0, a121
	scratch_store_dwordx4 off, v[6:9], off offset:496
	s_waitcnt vmcnt(1)
	ds_write_b128 v0, v[2:5]
.LBB59_313:
	s_or_b64 exec, exec, s[0:1]
	v_mov_b32_e32 v2, 0
	s_waitcnt lgkmcnt(0)
	; wave barrier
	ds_read_b128 v[16:19], v2 offset:1456
	ds_read_b128 v[12:15], v2 offset:1472
	;; [unrolled: 1-line block ×4, first 2 shown]
	scratch_load_dwordx4 v[20:23], off, off offset:512
	scratch_load_dwordx4 v[40:43], off, off offset:576
	;; [unrolled: 1-line block ×23, first 2 shown]
	v_cmp_lt_u32_e32 vcc, 29, v244
	scratch_load_dwordx4 v[48:51], off, off offset:592
	scratch_load_dwordx4 v[56:59], off, off offset:608
	;; [unrolled: 1-line block ×3, first 2 shown]
	s_waitcnt vmcnt(25) lgkmcnt(3)
	v_mul_f64 v[24:25], v[16:17], v[22:23]
	v_fmac_f64_e32 v[24:25], v[18:19], v[20:21]
	v_add_f64 v[28:29], v[24:25], 0
	scratch_load_dwordx4 v[24:27], off, off offset:528
	v_mul_f64 v[18:19], v[18:19], v[22:23]
	v_fma_f64 v[16:17], v[16:17], v[20:21], -v[18:19]
	v_add_f64 v[16:17], v[16:17], 0
	s_waitcnt vmcnt(0) lgkmcnt(2)
	v_mul_f64 v[30:31], v[12:13], v[26:27]
	v_fmac_f64_e32 v[30:31], v[14:15], v[24:25]
	v_add_f64 v[32:33], v[28:29], v[30:31]
	scratch_load_dwordx4 v[28:31], off, off offset:544
	v_mul_f64 v[14:15], v[14:15], v[26:27]
	v_fma_f64 v[12:13], v[12:13], v[24:25], -v[14:15]
	v_add_f64 v[12:13], v[16:17], v[12:13]
	;; [unrolled: 8-line block ×3, first 2 shown]
	s_waitcnt vmcnt(0) lgkmcnt(0)
	v_mul_f64 v[38:39], v[4:5], v[34:35]
	v_fmac_f64_e32 v[38:39], v[6:7], v[32:33]
	v_add_f64 v[44:45], v[36:37], v[38:39]
	ds_read_b128 v[36:39], v2 offset:1520
	v_mul_f64 v[6:7], v[6:7], v[34:35]
	v_fma_f64 v[4:5], v[4:5], v[32:33], -v[6:7]
	v_add_f64 v[4:5], v[8:9], v[4:5]
	s_waitcnt lgkmcnt(0)
	v_mul_f64 v[46:47], v[36:37], v[42:43]
	v_fmac_f64_e32 v[46:47], v[38:39], v[40:41]
	v_add_f64 v[52:53], v[44:45], v[46:47]
	ds_read_b128 v[44:47], v2 offset:1536
	v_mul_f64 v[6:7], v[38:39], v[42:43]
	v_fma_f64 v[6:7], v[36:37], v[40:41], -v[6:7]
	v_add_f64 v[4:5], v[4:5], v[6:7]
	s_waitcnt lgkmcnt(0)
	;; [unrolled: 8-line block ×25, first 2 shown]
	v_mul_f64 v[6:7], v[232:233], v[236:237]
	v_fma_f64 v[6:7], v[230:231], v[234:235], -v[6:7]
	v_add_f64 v[8:9], v[4:5], v[6:7]
	scratch_load_dwordx4 v[4:7], off, off offset:496
	v_mul_f64 v[238:239], v[230:231], v[236:237]
	v_fmac_f64_e32 v[238:239], v[232:233], v[234:235]
	v_add_f64 v[176:177], v[176:177], v[238:239]
	s_waitcnt vmcnt(0)
	v_add_f64 v[4:5], v[4:5], -v[8:9]
	v_add_f64 v[6:7], v[6:7], -v[176:177]
	scratch_store_dwordx4 off, v[4:7], off offset:496
	s_and_saveexec_b64 s[0:1], vcc
	s_cbranch_execz .LBB59_315
; %bb.314:
	scratch_load_dwordx4 v[6:9], off, s47
	v_mov_b32_e32 v3, v2
	v_mov_b32_e32 v4, v2
	;; [unrolled: 1-line block ×3, first 2 shown]
	v_accvgpr_read_b32 v0, a121
	scratch_store_dwordx4 off, v[2:5], off offset:480
	s_waitcnt vmcnt(1)
	ds_write_b128 v0, v[6:9]
.LBB59_315:
	s_or_b64 exec, exec, s[0:1]
	s_waitcnt lgkmcnt(0)
	; wave barrier
	ds_read_b128 v[16:19], v2 offset:1440
	ds_read_b128 v[12:15], v2 offset:1456
	ds_read_b128 v[8:11], v2 offset:1472
	ds_read_b128 v[4:7], v2 offset:1488
	scratch_load_dwordx4 v[20:23], off, off offset:496
	scratch_load_dwordx4 v[40:43], off, off offset:560
	;; [unrolled: 1-line block ×24, first 2 shown]
	v_cmp_lt_u32_e32 vcc, 28, v244
	scratch_load_dwordx4 v[48:51], off, off offset:576
	scratch_load_dwordx4 v[56:59], off, off offset:592
	;; [unrolled: 1-line block ×3, first 2 shown]
	ds_read_b128 v[248:251], v2 offset:1904
	s_waitcnt vmcnt(26) lgkmcnt(4)
	v_mul_f64 v[24:25], v[16:17], v[22:23]
	v_fmac_f64_e32 v[24:25], v[18:19], v[20:21]
	v_add_f64 v[28:29], v[24:25], 0
	scratch_load_dwordx4 v[24:27], off, off offset:512
	s_waitcnt vmcnt(0) lgkmcnt(3)
	v_mul_f64 v[30:31], v[12:13], v[26:27]
	v_fmac_f64_e32 v[30:31], v[14:15], v[24:25]
	v_add_f64 v[32:33], v[28:29], v[30:31]
	scratch_load_dwordx4 v[28:31], off, off offset:528
	v_mul_f64 v[14:15], v[14:15], v[26:27]
	v_fma_f64 v[12:13], v[12:13], v[24:25], -v[14:15]
	s_waitcnt vmcnt(0) lgkmcnt(2)
	v_mul_f64 v[34:35], v[8:9], v[30:31]
	v_fmac_f64_e32 v[34:35], v[10:11], v[28:29]
	v_add_f64 v[36:37], v[32:33], v[34:35]
	scratch_load_dwordx4 v[32:35], off, off offset:544
	v_mul_f64 v[10:11], v[10:11], v[30:31]
	v_fma_f64 v[8:9], v[8:9], v[28:29], -v[10:11]
	s_waitcnt vmcnt(0) lgkmcnt(1)
	v_mul_f64 v[38:39], v[4:5], v[34:35]
	v_fmac_f64_e32 v[38:39], v[6:7], v[32:33]
	v_add_f64 v[44:45], v[36:37], v[38:39]
	ds_read_b128 v[36:39], v2 offset:1504
	v_mul_f64 v[6:7], v[6:7], v[34:35]
	v_fma_f64 v[4:5], v[4:5], v[32:33], -v[6:7]
	s_waitcnt lgkmcnt(0)
	v_mul_f64 v[46:47], v[36:37], v[42:43]
	v_fmac_f64_e32 v[46:47], v[38:39], v[40:41]
	v_add_f64 v[52:53], v[44:45], v[46:47]
	ds_read_b128 v[44:47], v2 offset:1520
	s_waitcnt lgkmcnt(0)
	v_mul_f64 v[54:55], v[44:45], v[50:51]
	v_fmac_f64_e32 v[54:55], v[46:47], v[48:49]
	v_add_f64 v[60:61], v[52:53], v[54:55]
	ds_read_b128 v[52:55], v2 offset:1536
	;; [unrolled: 5-line block ×24, first 2 shown]
	v_mul_f64 v[2:3], v[248:249], v[254:255]
	v_fmac_f64_e32 v[2:3], v[250:251], v[252:253]
	s_waitcnt lgkmcnt(0)
	v_mul_f64 v[238:239], v[230:231], v[236:237]
	v_fmac_f64_e32 v[238:239], v[232:233], v[234:235]
	v_add_f64 v[184:185], v[184:185], v[238:239]
	v_add_f64 v[184:185], v[184:185], v[2:3]
	v_mul_f64 v[2:3], v[18:19], v[22:23]
	v_fma_f64 v[2:3], v[16:17], v[20:21], -v[2:3]
	v_add_f64 v[2:3], v[2:3], 0
	v_add_f64 v[2:3], v[2:3], v[12:13]
	;; [unrolled: 1-line block ×4, first 2 shown]
	v_mul_f64 v[4:5], v[38:39], v[42:43]
	v_fma_f64 v[4:5], v[36:37], v[40:41], -v[4:5]
	v_add_f64 v[2:3], v[2:3], v[4:5]
	v_mul_f64 v[4:5], v[46:47], v[50:51]
	v_fma_f64 v[4:5], v[44:45], v[48:49], -v[4:5]
	v_add_f64 v[2:3], v[2:3], v[4:5]
	;; [unrolled: 3-line block ×26, first 2 shown]
	scratch_load_dwordx4 v[2:5], off, off offset:480
	s_waitcnt vmcnt(0)
	v_add_f64 v[2:3], v[2:3], -v[6:7]
	v_add_f64 v[4:5], v[4:5], -v[184:185]
	scratch_store_dwordx4 off, v[2:5], off offset:480
	s_and_saveexec_b64 s[0:1], vcc
	s_cbranch_execz .LBB59_317
; %bb.316:
	scratch_load_dwordx4 v[2:5], off, s46
	v_mov_b32_e32 v6, 0
	v_mov_b32_e32 v7, v6
	;; [unrolled: 1-line block ×4, first 2 shown]
	v_accvgpr_read_b32 v0, a121
	scratch_store_dwordx4 off, v[6:9], off offset:464
	s_waitcnt vmcnt(1)
	ds_write_b128 v0, v[2:5]
.LBB59_317:
	s_or_b64 exec, exec, s[0:1]
	s_waitcnt lgkmcnt(0)
	; wave barrier
	scratch_load_dwordx4 v[16:19], off, off offset:480
	scratch_load_dwordx4 v[12:15], off, off offset:496
	;; [unrolled: 1-line block ×32, first 2 shown]
	v_mov_b32_e32 v2, 0
	ds_read_b128 v[132:135], v2 offset:1424
	ds_read_b128 v[136:139], v2 offset:1440
	;; [unrolled: 1-line block ×17, first 2 shown]
	v_cmp_lt_u32_e32 vcc, 27, v244
	s_waitcnt vmcnt(31) lgkmcnt(14)
	v_mul_f64 v[200:201], v[132:133], v[18:19]
	s_waitcnt vmcnt(30)
	v_mul_f64 v[202:203], v[136:137], v[14:15]
	v_fmac_f64_e32 v[200:201], v[134:135], v[16:17]
	s_waitcnt vmcnt(29)
	v_mul_f64 v[204:205], v[140:141], v[10:11]
	v_fmac_f64_e32 v[202:203], v[138:139], v[12:13]
	v_add_f64 v[200:201], v[200:201], 0
	s_waitcnt vmcnt(28) lgkmcnt(13)
	v_mul_f64 v[206:207], v[144:145], v[6:7]
	v_fmac_f64_e32 v[204:205], v[142:143], v[8:9]
	v_add_f64 v[200:201], v[200:201], v[202:203]
	s_waitcnt vmcnt(27) lgkmcnt(12)
	;; [unrolled: 4-line block ×12, first 2 shown]
	v_mul_f64 v[228:229], v[188:189], v[62:63]
	v_fmac_f64_e32 v[226:227], v[186:187], v[56:57]
	v_add_f64 v[200:201], v[200:201], v[224:225]
	v_fmac_f64_e32 v[228:229], v[190:191], v[60:61]
	v_add_f64 v[200:201], v[200:201], v[226:227]
	s_waitcnt vmcnt(16) lgkmcnt(1)
	v_mul_f64 v[202:203], v[192:193], v[66:67]
	v_add_f64 v[200:201], v[200:201], v[228:229]
	v_fmac_f64_e32 v[202:203], v[194:195], v[64:65]
	s_waitcnt vmcnt(15) lgkmcnt(0)
	v_mul_f64 v[206:207], v[196:197], v[70:71]
	v_add_f64 v[204:205], v[200:201], v[202:203]
	ds_read_b128 v[200:203], v2 offset:1696
	v_fmac_f64_e32 v[206:207], v[198:199], v[68:69]
	v_add_f64 v[208:209], v[204:205], v[206:207]
	ds_read_b128 v[204:207], v2 offset:1712
	v_mul_f64 v[18:19], v[134:135], v[18:19]
	s_waitcnt vmcnt(14) lgkmcnt(1)
	v_mul_f64 v[210:211], v[200:201], v[74:75]
	v_fmac_f64_e32 v[210:211], v[202:203], v[72:73]
	v_add_f64 v[212:213], v[208:209], v[210:211]
	s_waitcnt vmcnt(13) lgkmcnt(0)
	v_mul_f64 v[214:215], v[204:205], v[78:79]
	ds_read_b128 v[208:211], v2 offset:1728
	v_fmac_f64_e32 v[214:215], v[206:207], v[76:77]
	v_add_f64 v[216:217], v[212:213], v[214:215]
	ds_read_b128 v[212:215], v2 offset:1744
	v_fma_f64 v[242:243], v[132:133], v[16:17], -v[18:19]
	s_waitcnt vmcnt(12) lgkmcnt(1)
	v_mul_f64 v[218:219], v[208:209], v[82:83]
	v_fmac_f64_e32 v[218:219], v[210:211], v[80:81]
	v_add_f64 v[220:221], v[216:217], v[218:219]
	s_waitcnt vmcnt(11) lgkmcnt(0)
	v_mul_f64 v[222:223], v[212:213], v[86:87]
	ds_read_b128 v[216:219], v2 offset:1760
	v_fmac_f64_e32 v[222:223], v[214:215], v[84:85]
	v_add_f64 v[224:225], v[220:221], v[222:223]
	ds_read_b128 v[220:223], v2 offset:1776
	ds_read_b128 v[16:19], v2 offset:1856
	s_waitcnt vmcnt(10) lgkmcnt(2)
	v_mul_f64 v[226:227], v[216:217], v[90:91]
	v_fmac_f64_e32 v[226:227], v[218:219], v[88:89]
	v_add_f64 v[228:229], v[224:225], v[226:227]
	s_waitcnt vmcnt(9) lgkmcnt(1)
	v_mul_f64 v[230:231], v[220:221], v[94:95]
	ds_read_b128 v[224:227], v2 offset:1792
	v_fmac_f64_e32 v[230:231], v[222:223], v[92:93]
	v_add_f64 v[232:233], v[228:229], v[230:231]
	ds_read_b128 v[228:231], v2 offset:1808
	v_mul_f64 v[14:15], v[138:139], v[14:15]
	s_waitcnt vmcnt(8) lgkmcnt(1)
	v_mul_f64 v[234:235], v[224:225], v[98:99]
	v_fmac_f64_e32 v[234:235], v[226:227], v[96:97]
	v_add_f64 v[236:237], v[232:233], v[234:235]
	s_waitcnt vmcnt(7) lgkmcnt(0)
	v_mul_f64 v[238:239], v[228:229], v[102:103]
	ds_read_b128 v[232:235], v2 offset:1824
	v_fmac_f64_e32 v[238:239], v[230:231], v[100:101]
	v_add_f64 v[240:241], v[236:237], v[238:239]
	ds_read_b128 v[236:239], v2 offset:1840
	v_fma_f64 v[136:137], v[136:137], v[12:13], -v[14:15]
	s_waitcnt vmcnt(6) lgkmcnt(1)
	v_mul_f64 v[132:133], v[232:233], v[106:107]
	v_fmac_f64_e32 v[132:133], v[234:235], v[104:105]
	v_add_f64 v[132:133], v[240:241], v[132:133]
	s_waitcnt vmcnt(5) lgkmcnt(0)
	v_mul_f64 v[134:135], v[236:237], v[110:111]
	v_fmac_f64_e32 v[134:135], v[238:239], v[108:109]
	v_add_f64 v[132:133], v[132:133], v[134:135]
	ds_read_b128 v[12:15], v2 offset:1872
	s_waitcnt vmcnt(4)
	v_mul_f64 v[134:135], v[16:17], v[114:115]
	v_fmac_f64_e32 v[134:135], v[18:19], v[112:113]
	v_add_f64 v[138:139], v[132:133], v[134:135]
	ds_read_b128 v[132:135], v2 offset:1888
	v_mul_f64 v[10:11], v[142:143], v[10:11]
	v_fma_f64 v[140:141], v[140:141], v[8:9], -v[10:11]
	ds_read_b128 v[8:11], v2 offset:1904
	s_waitcnt vmcnt(3) lgkmcnt(2)
	v_mul_f64 v[142:143], v[12:13], v[118:119]
	v_fmac_f64_e32 v[142:143], v[14:15], v[116:117]
	v_add_f64 v[138:139], v[138:139], v[142:143]
	s_waitcnt vmcnt(2) lgkmcnt(1)
	v_mul_f64 v[142:143], v[132:133], v[122:123]
	v_fmac_f64_e32 v[142:143], v[134:135], v[120:121]
	v_add_f64 v[138:139], v[138:139], v[142:143]
	s_waitcnt vmcnt(1) lgkmcnt(0)
	v_mul_f64 v[142:143], v[8:9], v[126:127]
	v_fmac_f64_e32 v[142:143], v[10:11], v[124:125]
	v_add_f64 v[138:139], v[138:139], v[142:143]
	v_add_f64 v[142:143], v[242:243], 0
	v_add_f64 v[136:137], v[142:143], v[136:137]
	v_mul_f64 v[6:7], v[146:147], v[6:7]
	v_add_f64 v[136:137], v[136:137], v[140:141]
	v_fma_f64 v[4:5], v[144:145], v[4:5], -v[6:7]
	v_mul_f64 v[6:7], v[150:151], v[22:23]
	v_add_f64 v[4:5], v[136:137], v[4:5]
	v_fma_f64 v[6:7], v[148:149], v[20:21], -v[6:7]
	v_add_f64 v[4:5], v[4:5], v[6:7]
	v_mul_f64 v[6:7], v[154:155], v[26:27]
	v_fma_f64 v[6:7], v[152:153], v[24:25], -v[6:7]
	v_add_f64 v[4:5], v[4:5], v[6:7]
	v_mul_f64 v[6:7], v[158:159], v[30:31]
	;; [unrolled: 3-line block ×26, first 2 shown]
	v_fma_f64 v[6:7], v[8:9], v[124:125], -v[6:7]
	v_add_f64 v[4:5], v[4:5], v[6:7]
	s_waitcnt vmcnt(0)
	v_add_f64 v[4:5], v[128:129], -v[4:5]
	v_add_f64 v[6:7], v[130:131], -v[138:139]
	scratch_store_dwordx4 off, v[4:7], off offset:464
	s_and_saveexec_b64 s[0:1], vcc
	s_cbranch_execz .LBB59_319
; %bb.318:
	scratch_load_dwordx4 v[6:9], off, s45
	v_mov_b32_e32 v3, v2
	v_mov_b32_e32 v4, v2
	;; [unrolled: 1-line block ×3, first 2 shown]
	v_accvgpr_read_b32 v0, a121
	scratch_store_dwordx4 off, v[2:5], off offset:448
	s_waitcnt vmcnt(1)
	ds_write_b128 v0, v[6:9]
.LBB59_319:
	s_or_b64 exec, exec, s[0:1]
	s_waitcnt lgkmcnt(0)
	; wave barrier
	scratch_load_dwordx4 v[140:143], off, off offset:464
	scratch_load_dwordx4 v[148:151], off, off offset:480
	;; [unrolled: 1-line block ×16, first 2 shown]
	ds_read_b128 v[188:191], v2 offset:1408
	ds_read_b128 v[184:187], v2 offset:1424
	scratch_load_dwordx4 v[56:59], off, off offset:720
	ds_read_b128 v[192:195], v2 offset:1440
	ds_read_b128 v[68:71], v2 offset:1456
	scratch_load_dwordx4 v[60:63], off, off offset:736
	ds_read_b128 v[88:91], v2 offset:1472
	ds_read_b128 v[84:87], v2 offset:1488
	;; [unrolled: 1-line block ×4, first 2 shown]
	scratch_load_dwordx4 v[64:67], off, off offset:752
	ds_read_b128 v[100:103], v2 offset:1536
	ds_read_b128 v[96:99], v2 offset:1552
	scratch_load_dwordx4 v[72:75], off, off offset:768
	ds_read_b128 v[116:119], v2 offset:1568
	ds_read_b128 v[112:115], v2 offset:1584
	;; [unrolled: 1-line block ×4, first 2 shown]
	scratch_load_dwordx4 v[92:95], off, off offset:784
	ds_read_b128 v[132:135], v2 offset:1632
	ds_read_b128 v[128:131], v2 offset:1648
	;; [unrolled: 1-line block ×3, first 2 shown]
	scratch_load_dwordx4 v[120:123], off, off offset:800
	scratch_load_dwordx4 v[136:139], off, off offset:816
	scratch_load_dwordx4 v[144:147], off, off offset:832
	scratch_load_dwordx4 v[156:159], off, off offset:848
	scratch_load_dwordx4 v[160:163], off, off offset:864
	scratch_load_dwordx4 v[164:167], off, off offset:880
	scratch_load_dwordx4 v[168:171], off, off offset:896
	scratch_load_dwordx4 v[172:175], off, off offset:912
	scratch_load_dwordx4 v[176:179], off, off offset:928
	scratch_load_dwordx4 v[180:183], off, off offset:944
	scratch_load_dwordx4 v[196:199], off, off offset:960
	v_cmp_lt_u32_e32 vcc, 26, v244
	s_waitcnt vmcnt(31) lgkmcnt(14)
	v_mul_f64 v[200:201], v[188:189], v[142:143]
	s_waitcnt vmcnt(30)
	v_mul_f64 v[202:203], v[184:185], v[150:151]
	v_fmac_f64_e32 v[200:201], v[190:191], v[140:141]
	s_waitcnt vmcnt(29)
	v_mul_f64 v[204:205], v[192:193], v[154:155]
	v_fmac_f64_e32 v[202:203], v[186:187], v[148:149]
	v_add_f64 v[200:201], v[200:201], 0
	s_waitcnt vmcnt(28) lgkmcnt(13)
	v_mul_f64 v[206:207], v[68:69], v[6:7]
	v_fmac_f64_e32 v[204:205], v[194:195], v[152:153]
	v_add_f64 v[200:201], v[200:201], v[202:203]
	s_waitcnt vmcnt(27) lgkmcnt(12)
	;; [unrolled: 4-line block ×13, first 2 shown]
	v_mul_f64 v[230:231], v[128:129], v[54:55]
	v_fmac_f64_e32 v[228:229], v[134:135], v[48:49]
	v_add_f64 v[200:201], v[200:201], v[226:227]
	v_add_f64 v[200:201], v[200:201], v[228:229]
	v_fmac_f64_e32 v[230:231], v[130:131], v[52:53]
	s_waitcnt vmcnt(15) lgkmcnt(0)
	v_mul_f64 v[206:207], v[124:125], v[58:59]
	v_add_f64 v[204:205], v[200:201], v[230:231]
	ds_read_b128 v[200:203], v2 offset:1680
	v_fmac_f64_e32 v[206:207], v[126:127], v[56:57]
	v_add_f64 v[208:209], v[204:205], v[206:207]
	ds_read_b128 v[204:207], v2 offset:1696
	v_mul_f64 v[142:143], v[190:191], v[142:143]
	s_waitcnt vmcnt(14) lgkmcnt(1)
	v_mul_f64 v[210:211], v[200:201], v[62:63]
	v_fmac_f64_e32 v[210:211], v[202:203], v[60:61]
	v_add_f64 v[212:213], v[208:209], v[210:211]
	s_waitcnt vmcnt(13) lgkmcnt(0)
	v_mul_f64 v[214:215], v[204:205], v[66:67]
	ds_read_b128 v[208:211], v2 offset:1712
	v_fmac_f64_e32 v[214:215], v[206:207], v[64:65]
	v_add_f64 v[216:217], v[212:213], v[214:215]
	ds_read_b128 v[212:215], v2 offset:1728
	v_fma_f64 v[248:249], v[188:189], v[140:141], -v[142:143]
	s_waitcnt vmcnt(12) lgkmcnt(1)
	v_mul_f64 v[218:219], v[208:209], v[74:75]
	v_fmac_f64_e32 v[218:219], v[210:211], v[72:73]
	v_add_f64 v[220:221], v[216:217], v[218:219]
	s_waitcnt vmcnt(11) lgkmcnt(0)
	v_mul_f64 v[222:223], v[212:213], v[94:95]
	ds_read_b128 v[216:219], v2 offset:1744
	v_fmac_f64_e32 v[222:223], v[214:215], v[92:93]
	v_add_f64 v[224:225], v[220:221], v[222:223]
	ds_read_b128 v[220:223], v2 offset:1760
	ds_read_b128 v[140:143], v2 offset:1840
	s_waitcnt vmcnt(10) lgkmcnt(2)
	v_mul_f64 v[226:227], v[216:217], v[122:123]
	v_fmac_f64_e32 v[226:227], v[218:219], v[120:121]
	v_add_f64 v[228:229], v[224:225], v[226:227]
	s_waitcnt vmcnt(9) lgkmcnt(1)
	v_mul_f64 v[230:231], v[220:221], v[138:139]
	ds_read_b128 v[224:227], v2 offset:1776
	v_fmac_f64_e32 v[230:231], v[222:223], v[136:137]
	v_add_f64 v[232:233], v[228:229], v[230:231]
	ds_read_b128 v[228:231], v2 offset:1792
	v_mul_f64 v[150:151], v[186:187], v[150:151]
	s_waitcnt vmcnt(8) lgkmcnt(1)
	v_mul_f64 v[234:235], v[224:225], v[146:147]
	v_fmac_f64_e32 v[234:235], v[226:227], v[144:145]
	v_add_f64 v[236:237], v[232:233], v[234:235]
	s_waitcnt vmcnt(7) lgkmcnt(0)
	v_mul_f64 v[238:239], v[228:229], v[158:159]
	ds_read_b128 v[232:235], v2 offset:1808
	v_fmac_f64_e32 v[238:239], v[230:231], v[156:157]
	v_add_f64 v[240:241], v[236:237], v[238:239]
	ds_read_b128 v[236:239], v2 offset:1824
	v_fma_f64 v[250:251], v[184:185], v[148:149], -v[150:151]
	s_waitcnt vmcnt(6) lgkmcnt(1)
	v_mul_f64 v[242:243], v[232:233], v[162:163]
	v_fmac_f64_e32 v[242:243], v[234:235], v[160:161]
	ds_read_b128 v[148:151], v2 offset:1856
	s_waitcnt vmcnt(5) lgkmcnt(1)
	v_mul_f64 v[188:189], v[236:237], v[166:167]
	v_add_f64 v[240:241], v[240:241], v[242:243]
	v_fmac_f64_e32 v[188:189], v[238:239], v[164:165]
	s_waitcnt vmcnt(4)
	v_mul_f64 v[184:185], v[140:141], v[170:171]
	v_add_f64 v[188:189], v[240:241], v[188:189]
	v_fmac_f64_e32 v[184:185], v[142:143], v[168:169]
	v_add_f64 v[188:189], v[188:189], v[184:185]
	ds_read_b128 v[184:187], v2 offset:1872
	v_mul_f64 v[154:155], v[194:195], v[154:155]
	s_waitcnt vmcnt(3) lgkmcnt(1)
	v_mul_f64 v[190:191], v[148:149], v[174:175]
	v_fma_f64 v[242:243], v[192:193], v[152:153], -v[154:155]
	ds_read_b128 v[152:155], v2 offset:1888
	v_fmac_f64_e32 v[190:191], v[150:151], v[172:173]
	v_add_f64 v[240:241], v[188:189], v[190:191]
	ds_read_b128 v[188:191], v2 offset:1904
	s_waitcnt vmcnt(2) lgkmcnt(2)
	v_mul_f64 v[192:193], v[184:185], v[178:179]
	v_fmac_f64_e32 v[192:193], v[186:187], v[176:177]
	v_add_f64 v[2:3], v[240:241], v[192:193]
	s_waitcnt vmcnt(1) lgkmcnt(1)
	v_mul_f64 v[192:193], v[152:153], v[182:183]
	v_fmac_f64_e32 v[192:193], v[154:155], v[180:181]
	v_add_f64 v[2:3], v[2:3], v[192:193]
	;; [unrolled: 4-line block ×3, first 2 shown]
	scratch_load_dwordx4 v[192:195], off, off offset:448
	v_add_f64 v[240:241], v[248:249], 0
	v_add_f64 v[240:241], v[240:241], v[250:251]
	v_mul_f64 v[6:7], v[70:71], v[6:7]
	v_add_f64 v[240:241], v[240:241], v[242:243]
	v_fma_f64 v[4:5], v[68:69], v[4:5], -v[6:7]
	v_mul_f64 v[6:7], v[90:91], v[10:11]
	v_add_f64 v[4:5], v[240:241], v[4:5]
	v_fma_f64 v[6:7], v[88:89], v[8:9], -v[6:7]
	v_add_f64 v[4:5], v[4:5], v[6:7]
	v_mul_f64 v[6:7], v[86:87], v[14:15]
	v_fma_f64 v[6:7], v[84:85], v[12:13], -v[6:7]
	v_add_f64 v[4:5], v[4:5], v[6:7]
	v_mul_f64 v[6:7], v[82:83], v[18:19]
	;; [unrolled: 3-line block ×27, first 2 shown]
	v_fma_f64 v[6:7], v[188:189], v[196:197], -v[6:7]
	v_add_f64 v[4:5], v[4:5], v[6:7]
	s_waitcnt vmcnt(0)
	v_add_f64 v[4:5], v[192:193], -v[4:5]
	v_add_f64 v[6:7], v[194:195], -v[2:3]
	scratch_store_dwordx4 off, v[4:7], off offset:448
	s_and_saveexec_b64 s[0:1], vcc
	s_cbranch_execz .LBB59_321
; %bb.320:
	scratch_load_dwordx4 v[2:5], off, s44
	v_mov_b32_e32 v6, 0
	v_mov_b32_e32 v7, v6
	v_mov_b32_e32 v8, v6
	v_mov_b32_e32 v9, v6
	v_accvgpr_read_b32 v0, a121
	scratch_store_dwordx4 off, v[6:9], off offset:432
	s_waitcnt vmcnt(1)
	ds_write_b128 v0, v[2:5]
.LBB59_321:
	s_or_b64 exec, exec, s[0:1]
	s_waitcnt lgkmcnt(0)
	; wave barrier
	scratch_load_dwordx4 v[108:111], off, off offset:448
	scratch_load_dwordx4 v[116:119], off, off offset:464
	scratch_load_dwordx4 v[120:123], off, off offset:480
	scratch_load_dwordx4 v[124:127], off, off offset:496
	scratch_load_dwordx4 v[128:131], off, off offset:512
	scratch_load_dwordx4 v[4:7], off, off offset:528
	scratch_load_dwordx4 v[8:11], off, off offset:544
	scratch_load_dwordx4 v[12:15], off, off offset:560
	scratch_load_dwordx4 v[16:19], off, off offset:576
	scratch_load_dwordx4 v[20:23], off, off offset:592
	scratch_load_dwordx4 v[24:27], off, off offset:608
	scratch_load_dwordx4 v[28:31], off, off offset:624
	scratch_load_dwordx4 v[32:35], off, off offset:640
	scratch_load_dwordx4 v[36:39], off, off offset:656
	scratch_load_dwordx4 v[40:43], off, off offset:672
	scratch_load_dwordx4 v[44:47], off, off offset:688
	scratch_load_dwordx4 v[48:51], off, off offset:704
	scratch_load_dwordx4 v[52:55], off, off offset:720
	scratch_load_dwordx4 v[56:59], off, off offset:736
	scratch_load_dwordx4 v[60:63], off, off offset:752
	scratch_load_dwordx4 v[64:67], off, off offset:768
	scratch_load_dwordx4 v[68:71], off, off offset:784
	scratch_load_dwordx4 v[72:75], off, off offset:800
	scratch_load_dwordx4 v[76:79], off, off offset:816
	scratch_load_dwordx4 v[80:83], off, off offset:832
	scratch_load_dwordx4 v[84:87], off, off offset:848
	scratch_load_dwordx4 v[88:91], off, off offset:864
	scratch_load_dwordx4 v[92:95], off, off offset:880
	scratch_load_dwordx4 v[96:99], off, off offset:896
	scratch_load_dwordx4 v[100:103], off, off offset:912
	scratch_load_dwordx4 v[104:107], off, off offset:928
	scratch_load_dwordx4 v[112:115], off, off offset:944
	scratch_load_dwordx4 v[132:135], off, off offset:960
	v_mov_b32_e32 v2, 0
	ds_read_b128 v[220:223], v2 offset:1392
	ds_read_b128 v[224:227], v2 offset:1408
	;; [unrolled: 1-line block ×16, first 2 shown]
	v_accvgpr_write_b32 a120, v244
	v_cmp_lt_u32_e32 vcc, 25, v244
	s_waitcnt vmcnt(32) lgkmcnt(14)
	v_mul_f64 v[180:181], v[220:221], v[110:111]
	s_waitcnt vmcnt(31)
	v_mul_f64 v[182:183], v[224:225], v[118:119]
	v_fmac_f64_e32 v[180:181], v[222:223], v[108:109]
	s_waitcnt vmcnt(30) lgkmcnt(13)
	v_mul_f64 v[184:185], v[234:235], v[122:123]
	v_fmac_f64_e32 v[182:183], v[226:227], v[116:117]
	v_add_f64 v[180:181], v[180:181], 0
	s_waitcnt vmcnt(29) lgkmcnt(12)
	v_mul_f64 v[186:187], v[248:249], v[126:127]
	v_fmac_f64_e32 v[184:185], v[236:237], v[120:121]
	v_add_f64 v[180:181], v[180:181], v[182:183]
	;; [unrolled: 4-line block ×13, first 2 shown]
	v_fmac_f64_e32 v[208:209], v[142:143], v[40:41]
	v_add_f64 v[180:181], v[180:181], v[206:207]
	v_add_f64 v[184:185], v[180:181], v[208:209]
	ds_read_b128 v[180:183], v2 offset:1648
	s_waitcnt vmcnt(17) lgkmcnt(1)
	v_mul_f64 v[186:187], v[136:137], v[46:47]
	v_fmac_f64_e32 v[186:187], v[138:139], v[44:45]
	v_add_f64 v[188:189], v[184:185], v[186:187]
	ds_read_b128 v[184:187], v2 offset:1664
	s_waitcnt vmcnt(16) lgkmcnt(1)
	v_mul_f64 v[190:191], v[180:181], v[50:51]
	v_fmac_f64_e32 v[190:191], v[182:183], v[48:49]
	;; [unrolled: 5-line block ×7, first 2 shown]
	v_mul_f64 v[126:127], v[250:251], v[126:127]
	v_add_f64 v[212:213], v[208:209], v[210:211]
	ds_read_b128 v[208:211], v2 offset:1760
	s_waitcnt vmcnt(10) lgkmcnt(1)
	v_mul_f64 v[214:215], v[204:205], v[74:75]
	v_mul_f64 v[122:123], v[236:237], v[122:123]
	v_fma_f64 v[236:237], v[248:249], v[124:125], -v[126:127]
	scratch_load_dwordx4 v[248:251], off, off offset:432
	v_fmac_f64_e32 v[214:215], v[206:207], v[72:73]
	v_add_f64 v[216:217], v[212:213], v[214:215]
	ds_read_b128 v[212:215], v2 offset:1776
	s_waitcnt vmcnt(10) lgkmcnt(1)
	v_mul_f64 v[218:219], v[208:209], v[78:79]
	v_fmac_f64_e32 v[218:219], v[210:211], v[76:77]
	v_add_f64 v[228:229], v[216:217], v[218:219]
	ds_read_b128 v[216:219], v2 offset:1792
	s_waitcnt vmcnt(9) lgkmcnt(1)
	v_mul_f64 v[230:231], v[212:213], v[82:83]
	v_fmac_f64_e32 v[230:231], v[214:215], v[80:81]
	v_mul_f64 v[110:111], v[222:223], v[110:111]
	v_add_f64 v[228:229], v[228:229], v[230:231]
	v_fma_f64 v[230:231], v[220:221], v[108:109], -v[110:111]
	ds_read_b128 v[108:111], v2 offset:1808
	s_waitcnt vmcnt(8) lgkmcnt(1)
	v_mul_f64 v[220:221], v[216:217], v[86:87]
	v_mul_f64 v[118:119], v[226:227], v[118:119]
	v_fmac_f64_e32 v[220:221], v[218:219], v[84:85]
	v_fma_f64 v[232:233], v[224:225], v[116:117], -v[118:119]
	ds_read_b128 v[116:119], v2 offset:1824
	s_waitcnt vmcnt(7) lgkmcnt(1)
	v_mul_f64 v[222:223], v[108:109], v[90:91]
	v_add_f64 v[220:221], v[228:229], v[220:221]
	v_fmac_f64_e32 v[222:223], v[110:111], v[88:89]
	v_add_f64 v[224:225], v[220:221], v[222:223]
	ds_read_b128 v[220:223], v2 offset:1840
	v_fma_f64 v[234:235], v[234:235], v[120:121], -v[122:123]
	ds_read_b128 v[120:123], v2 offset:1856
	s_waitcnt vmcnt(6) lgkmcnt(2)
	v_mul_f64 v[226:227], v[116:117], v[94:95]
	v_fmac_f64_e32 v[226:227], v[118:119], v[92:93]
	v_add_f64 v[224:225], v[224:225], v[226:227]
	s_waitcnt vmcnt(5) lgkmcnt(1)
	v_mul_f64 v[226:227], v[220:221], v[98:99]
	v_add_f64 v[230:231], v[230:231], 0
	v_fmac_f64_e32 v[226:227], v[222:223], v[96:97]
	s_waitcnt vmcnt(4) lgkmcnt(0)
	v_mul_f64 v[238:239], v[120:121], v[102:103]
	v_add_f64 v[230:231], v[230:231], v[232:233]
	v_add_f64 v[228:229], v[224:225], v[226:227]
	v_fmac_f64_e32 v[238:239], v[122:123], v[100:101]
	v_mul_f64 v[130:131], v[254:255], v[130:131]
	v_add_f64 v[230:231], v[230:231], v[234:235]
	v_add_f64 v[228:229], v[228:229], v[238:239]
	v_fma_f64 v[238:239], v[252:253], v[128:129], -v[130:131]
	v_add_f64 v[230:231], v[230:231], v[236:237]
	v_mul_f64 v[6:7], v[178:179], v[6:7]
	v_add_f64 v[230:231], v[230:231], v[238:239]
	v_fma_f64 v[4:5], v[176:177], v[4:5], -v[6:7]
	v_mul_f64 v[6:7], v[174:175], v[10:11]
	v_add_f64 v[4:5], v[230:231], v[4:5]
	v_fma_f64 v[6:7], v[172:173], v[8:9], -v[6:7]
	v_add_f64 v[4:5], v[4:5], v[6:7]
	v_mul_f64 v[6:7], v[170:171], v[14:15]
	v_fma_f64 v[6:7], v[168:169], v[12:13], -v[6:7]
	v_add_f64 v[4:5], v[4:5], v[6:7]
	v_mul_f64 v[6:7], v[166:167], v[18:19]
	;; [unrolled: 3-line block ×21, first 2 shown]
	ds_read_b128 v[124:127], v2 offset:1872
	ds_read_b128 v[224:227], v2 offset:1888
	v_fma_f64 v[6:7], v[116:117], v[92:93], -v[6:7]
	v_add_f64 v[4:5], v[4:5], v[6:7]
	v_mul_f64 v[6:7], v[222:223], v[98:99]
	v_fma_f64 v[6:7], v[220:221], v[96:97], -v[6:7]
	v_add_f64 v[4:5], v[4:5], v[6:7]
	v_mul_f64 v[6:7], v[122:123], v[102:103]
	ds_read_b128 v[128:131], v2 offset:1904
	v_fma_f64 v[6:7], v[120:121], v[100:101], -v[6:7]
	s_waitcnt vmcnt(3) lgkmcnt(2)
	v_mul_f64 v[240:241], v[124:125], v[106:107]
	v_add_f64 v[4:5], v[4:5], v[6:7]
	v_mul_f64 v[6:7], v[126:127], v[106:107]
	v_fmac_f64_e32 v[240:241], v[126:127], v[104:105]
	v_fma_f64 v[6:7], v[124:125], v[104:105], -v[6:7]
	v_add_f64 v[228:229], v[228:229], v[240:241]
	s_waitcnt vmcnt(2) lgkmcnt(1)
	v_mul_f64 v[240:241], v[224:225], v[114:115]
	v_add_f64 v[4:5], v[4:5], v[6:7]
	v_mul_f64 v[6:7], v[226:227], v[114:115]
	v_fmac_f64_e32 v[240:241], v[226:227], v[112:113]
	v_fma_f64 v[6:7], v[224:225], v[112:113], -v[6:7]
	v_add_f64 v[228:229], v[228:229], v[240:241]
	;; [unrolled: 7-line block ×3, first 2 shown]
	v_add_f64 v[4:5], v[4:5], v[6:7]
	s_waitcnt vmcnt(0)
	v_add_f64 v[4:5], v[248:249], -v[4:5]
	v_add_f64 v[6:7], v[250:251], -v[228:229]
	scratch_store_dwordx4 off, v[4:7], off offset:432
	s_and_saveexec_b64 s[0:1], vcc
	s_cbranch_execz .LBB59_323
; %bb.322:
	scratch_load_dwordx4 v[6:9], off, s43
	v_mov_b32_e32 v3, v2
	v_mov_b32_e32 v4, v2
	;; [unrolled: 1-line block ×3, first 2 shown]
	v_accvgpr_read_b32 v0, a121
	scratch_store_dwordx4 off, v[2:5], off offset:416
	s_waitcnt vmcnt(1)
	ds_write_b128 v0, v[6:9]
.LBB59_323:
	s_or_b64 exec, exec, s[0:1]
	s_waitcnt lgkmcnt(0)
	; wave barrier
	scratch_load_dwordx4 v[144:147], off, off offset:432
	scratch_load_dwordx4 v[152:155], off, off offset:448
	;; [unrolled: 1-line block ×16, first 2 shown]
	ds_read_b128 v[196:199], v2 offset:1376
	ds_read_b128 v[188:191], v2 offset:1392
	ds_read_b128 v[180:183], v2 offset:1408
	scratch_load_dwordx4 v[48:51], off, off offset:688
	ds_read_b128 v[192:195], v2 offset:1424
	ds_read_b128 v[184:187], v2 offset:1440
	ds_read_b128 v[64:67], v2 offset:1456
	scratch_load_dwordx4 v[52:55], off, off offset:704
	;; [unrolled: 4-line block ×5, first 2 shown]
	ds_read_b128 v[116:119], v2 offset:1616
	ds_read_b128 v[112:115], v2 offset:1632
	scratch_load_dwordx4 v[108:111], off, off offset:768
	scratch_load_dwordx4 v[120:123], off, off offset:784
	;; [unrolled: 1-line block ×12, first 2 shown]
	v_accvgpr_read_b32 v0, a120
	v_cmp_lt_u32_e32 vcc, 24, v0
	scratch_load_dwordx4 v[250:253], off, off offset:416
	s_waitcnt vmcnt(33) lgkmcnt(14)
	v_mul_f64 v[204:205], v[196:197], v[146:147]
	s_waitcnt vmcnt(32)
	v_mul_f64 v[206:207], v[188:189], v[154:155]
	v_fmac_f64_e32 v[204:205], v[198:199], v[144:145]
	s_waitcnt vmcnt(31)
	v_mul_f64 v[208:209], v[180:181], v[158:159]
	v_fmac_f64_e32 v[206:207], v[190:191], v[152:153]
	v_add_f64 v[204:205], v[204:205], 0
	s_waitcnt vmcnt(30) lgkmcnt(13)
	v_mul_f64 v[210:211], v[192:193], v[162:163]
	v_fmac_f64_e32 v[208:209], v[182:183], v[156:157]
	v_add_f64 v[204:205], v[204:205], v[206:207]
	s_waitcnt vmcnt(29) lgkmcnt(12)
	;; [unrolled: 4-line block ×12, first 2 shown]
	v_mul_f64 v[232:233], v[96:97], v[42:43]
	v_fmac_f64_e32 v[230:231], v[102:103], v[36:37]
	v_add_f64 v[204:205], v[204:205], v[228:229]
	v_fmac_f64_e32 v[232:233], v[98:99], v[40:41]
	v_add_f64 v[204:205], v[204:205], v[230:231]
	s_waitcnt vmcnt(18) lgkmcnt(1)
	v_mul_f64 v[206:207], v[116:117], v[46:47]
	v_add_f64 v[204:205], v[204:205], v[232:233]
	v_fmac_f64_e32 v[206:207], v[118:119], v[44:45]
	s_waitcnt vmcnt(17) lgkmcnt(0)
	v_mul_f64 v[210:211], v[112:113], v[50:51]
	v_add_f64 v[208:209], v[204:205], v[206:207]
	ds_read_b128 v[204:207], v2 offset:1648
	v_fmac_f64_e32 v[210:211], v[114:115], v[48:49]
	v_add_f64 v[212:213], v[208:209], v[210:211]
	ds_read_b128 v[208:211], v2 offset:1664
	v_mul_f64 v[146:147], v[198:199], v[146:147]
	s_waitcnt vmcnt(16) lgkmcnt(1)
	v_mul_f64 v[214:215], v[204:205], v[54:55]
	v_fmac_f64_e32 v[214:215], v[206:207], v[52:53]
	v_add_f64 v[216:217], v[212:213], v[214:215]
	s_waitcnt vmcnt(15) lgkmcnt(0)
	v_mul_f64 v[218:219], v[208:209], v[58:59]
	ds_read_b128 v[212:215], v2 offset:1680
	v_fmac_f64_e32 v[218:219], v[210:211], v[56:57]
	v_add_f64 v[220:221], v[216:217], v[218:219]
	ds_read_b128 v[216:219], v2 offset:1696
	v_mul_f64 v[154:155], v[190:191], v[154:155]
	s_waitcnt vmcnt(14) lgkmcnt(1)
	v_mul_f64 v[222:223], v[212:213], v[62:63]
	v_fmac_f64_e32 v[222:223], v[214:215], v[60:61]
	v_add_f64 v[224:225], v[220:221], v[222:223]
	s_waitcnt vmcnt(13) lgkmcnt(0)
	v_mul_f64 v[226:227], v[216:217], v[94:95]
	ds_read_b128 v[220:223], v2 offset:1712
	v_fmac_f64_e32 v[226:227], v[218:219], v[92:93]
	v_add_f64 v[228:229], v[224:225], v[226:227]
	ds_read_b128 v[224:227], v2 offset:1728
	v_fma_f64 v[244:245], v[188:189], v[152:153], -v[154:155]
	s_waitcnt vmcnt(12) lgkmcnt(1)
	v_mul_f64 v[230:231], v[220:221], v[110:111]
	v_fmac_f64_e32 v[230:231], v[222:223], v[108:109]
	v_add_f64 v[232:233], v[228:229], v[230:231]
	s_waitcnt vmcnt(11) lgkmcnt(0)
	v_mul_f64 v[234:235], v[224:225], v[122:123]
	ds_read_b128 v[228:231], v2 offset:1744
	v_fmac_f64_e32 v[234:235], v[226:227], v[120:121]
	v_add_f64 v[236:237], v[232:233], v[234:235]
	ds_read_b128 v[232:235], v2 offset:1760
	ds_read_b128 v[152:155], v2 offset:1808
	s_waitcnt vmcnt(10) lgkmcnt(2)
	v_mul_f64 v[238:239], v[228:229], v[126:127]
	v_fmac_f64_e32 v[238:239], v[230:231], v[124:125]
	v_add_f64 v[240:241], v[236:237], v[238:239]
	s_waitcnt vmcnt(9) lgkmcnt(1)
	v_mul_f64 v[242:243], v[232:233], v[130:131]
	ds_read_b128 v[236:239], v2 offset:1776
	v_fmac_f64_e32 v[242:243], v[234:235], v[128:129]
	v_add_f64 v[240:241], v[240:241], v[242:243]
	v_fma_f64 v[242:243], v[196:197], v[144:145], -v[146:147]
	ds_read_b128 v[144:147], v2 offset:1792
	s_waitcnt vmcnt(8) lgkmcnt(1)
	v_mul_f64 v[196:197], v[236:237], v[134:135]
	v_fmac_f64_e32 v[196:197], v[238:239], v[132:133]
	v_add_f64 v[188:189], v[240:241], v[196:197]
	v_mul_f64 v[158:159], v[182:183], v[158:159]
	s_waitcnt vmcnt(7) lgkmcnt(0)
	v_mul_f64 v[190:191], v[144:145], v[138:139]
	v_fmac_f64_e32 v[190:191], v[146:147], v[136:137]
	v_add_f64 v[196:197], v[188:189], v[190:191]
	ds_read_b128 v[188:191], v2 offset:1824
	v_fma_f64 v[240:241], v[180:181], v[156:157], -v[158:159]
	ds_read_b128 v[156:159], v2 offset:1840
	s_waitcnt vmcnt(6)
	v_mul_f64 v[198:199], v[152:153], v[142:143]
	v_fmac_f64_e32 v[198:199], v[154:155], v[140:141]
	s_waitcnt vmcnt(5) lgkmcnt(1)
	v_mul_f64 v[180:181], v[188:189], v[150:151]
	v_add_f64 v[196:197], v[196:197], v[198:199]
	v_fmac_f64_e32 v[180:181], v[190:191], v[148:149]
	v_mul_f64 v[162:163], v[194:195], v[162:163]
	v_add_f64 v[198:199], v[196:197], v[180:181]
	v_fma_f64 v[196:197], v[192:193], v[160:161], -v[162:163]
	ds_read_b128 v[160:163], v2 offset:1856
	s_waitcnt vmcnt(4) lgkmcnt(1)
	v_mul_f64 v[192:193], v[156:157], v[166:167]
	ds_read_b128 v[180:183], v2 offset:1872
	v_fmac_f64_e32 v[192:193], v[158:159], v[164:165]
	v_mul_f64 v[170:171], v[186:187], v[170:171]
	v_add_f64 v[192:193], v[198:199], v[192:193]
	v_fma_f64 v[198:199], v[184:185], v[168:169], -v[170:171]
	ds_read_b128 v[168:171], v2 offset:1888
	s_waitcnt vmcnt(3) lgkmcnt(2)
	v_mul_f64 v[184:185], v[160:161], v[174:175]
	v_fmac_f64_e32 v[184:185], v[162:163], v[172:173]
	s_waitcnt vmcnt(2) lgkmcnt(1)
	v_mul_f64 v[186:187], v[180:181], v[178:179]
	v_add_f64 v[184:185], v[192:193], v[184:185]
	v_fmac_f64_e32 v[186:187], v[182:183], v[176:177]
	v_add_f64 v[184:185], v[184:185], v[186:187]
	s_waitcnt vmcnt(1) lgkmcnt(0)
	v_mul_f64 v[186:187], v[168:169], v[202:203]
	v_fmac_f64_e32 v[186:187], v[170:171], v[200:201]
	v_add_f64 v[246:247], v[184:185], v[186:187]
	scratch_load_dwordx4 v[184:187], off, off offset:960
	v_add_f64 v[242:243], v[242:243], 0
	v_add_f64 v[242:243], v[242:243], v[244:245]
	;; [unrolled: 1-line block ×4, first 2 shown]
	v_mul_f64 v[6:7], v[66:67], v[6:7]
	v_add_f64 v[196:197], v[196:197], v[198:199]
	v_fma_f64 v[4:5], v[64:65], v[4:5], -v[6:7]
	v_mul_f64 v[6:7], v[78:79], v[10:11]
	v_add_f64 v[4:5], v[196:197], v[4:5]
	v_fma_f64 v[6:7], v[76:77], v[8:9], -v[6:7]
	v_add_f64 v[4:5], v[4:5], v[6:7]
	v_mul_f64 v[6:7], v[74:75], v[14:15]
	v_fma_f64 v[6:7], v[72:73], v[12:13], -v[6:7]
	v_add_f64 v[4:5], v[4:5], v[6:7]
	v_mul_f64 v[6:7], v[70:71], v[18:19]
	;; [unrolled: 3-line block ×24, first 2 shown]
	ds_read_b128 v[192:195], v2 offset:1904
	v_fma_f64 v[6:7], v[160:161], v[172:173], -v[6:7]
	v_add_f64 v[4:5], v[4:5], v[6:7]
	v_mul_f64 v[6:7], v[182:183], v[178:179]
	v_fma_f64 v[6:7], v[180:181], v[176:177], -v[6:7]
	v_add_f64 v[4:5], v[4:5], v[6:7]
	v_mul_f64 v[6:7], v[170:171], v[202:203]
	v_fma_f64 v[6:7], v[168:169], v[200:201], -v[6:7]
	s_waitcnt vmcnt(0) lgkmcnt(0)
	v_mul_f64 v[2:3], v[192:193], v[186:187]
	v_add_f64 v[4:5], v[4:5], v[6:7]
	v_mul_f64 v[6:7], v[194:195], v[186:187]
	v_fmac_f64_e32 v[2:3], v[194:195], v[184:185]
	v_fma_f64 v[6:7], v[192:193], v[184:185], -v[6:7]
	v_add_f64 v[2:3], v[246:247], v[2:3]
	v_add_f64 v[4:5], v[4:5], v[6:7]
	v_add_f64 v[4:5], v[250:251], -v[4:5]
	v_add_f64 v[6:7], v[252:253], -v[2:3]
	scratch_store_dwordx4 off, v[4:7], off offset:416
	s_and_saveexec_b64 s[0:1], vcc
	s_cbranch_execz .LBB59_325
; %bb.324:
	scratch_load_dwordx4 v[2:5], off, s42
	v_mov_b32_e32 v6, 0
	v_mov_b32_e32 v7, v6
	;; [unrolled: 1-line block ×4, first 2 shown]
	v_accvgpr_read_b32 v1, a121
	scratch_store_dwordx4 off, v[6:9], off offset:400
	s_waitcnt vmcnt(1)
	ds_write_b128 v1, v[2:5]
.LBB59_325:
	s_or_b64 exec, exec, s[0:1]
	s_waitcnt lgkmcnt(0)
	; wave barrier
	scratch_load_dwordx4 v[184:187], off, off offset:416
	scratch_load_dwordx4 v[188:191], off, off offset:432
	;; [unrolled: 1-line block ×32, first 2 shown]
	v_mov_b32_e32 v2, 0
	ds_read_b128 v[192:195], v2 offset:1360
	ds_read_b128 v[204:207], v2 offset:1376
	;; [unrolled: 1-line block ×16, first 2 shown]
	v_cmp_lt_u32_e32 vcc, 23, v0
	s_waitcnt vmcnt(31) lgkmcnt(14)
	v_mul_f64 v[104:105], v[192:193], v[186:187]
	s_waitcnt vmcnt(30)
	v_mul_f64 v[106:107], v[204:205], v[190:191]
	v_fmac_f64_e32 v[104:105], v[194:195], v[184:185]
	s_waitcnt vmcnt(29) lgkmcnt(13)
	v_mul_f64 v[112:113], v[216:217], v[198:199]
	v_fmac_f64_e32 v[106:107], v[206:207], v[188:189]
	v_add_f64 v[104:105], v[104:105], 0
	s_waitcnt vmcnt(28) lgkmcnt(12)
	v_mul_f64 v[114:115], v[224:225], v[202:203]
	v_fmac_f64_e32 v[112:113], v[218:219], v[196:197]
	v_add_f64 v[104:105], v[104:105], v[106:107]
	;; [unrolled: 4-line block ×10, first 2 shown]
	ds_read_b128 v[152:155], v2 offset:1616
	ds_read_b128 v[156:159], v2 offset:1632
	s_waitcnt vmcnt(19) lgkmcnt(5)
	v_mul_f64 v[164:165], v[124:125], v[26:27]
	v_fmac_f64_e32 v[162:163], v[134:135], v[20:21]
	v_add_f64 v[104:105], v[104:105], v[160:161]
	s_waitcnt vmcnt(18) lgkmcnt(4)
	v_mul_f64 v[166:167], v[120:121], v[30:31]
	v_fmac_f64_e32 v[164:165], v[126:127], v[24:25]
	v_add_f64 v[104:105], v[104:105], v[162:163]
	;; [unrolled: 4-line block ×4, first 2 shown]
	v_add_f64 v[112:113], v[104:105], v[168:169]
	v_fmac_f64_e32 v[170:171], v[110:111], v[36:37]
	scratch_load_dwordx4 v[104:107], off, off offset:928
	s_waitcnt vmcnt(16) lgkmcnt(1)
	v_mul_f64 v[114:115], v[152:153], v[42:43]
	v_add_f64 v[112:113], v[112:113], v[170:171]
	v_fmac_f64_e32 v[114:115], v[154:155], v[40:41]
	v_add_f64 v[128:129], v[112:113], v[114:115]
	scratch_load_dwordx4 v[112:115], off, off offset:944
	s_waitcnt vmcnt(16) lgkmcnt(0)
	v_mul_f64 v[130:131], v[156:157], v[46:47]
	v_fmac_f64_e32 v[130:131], v[158:159], v[44:45]
	v_add_f64 v[168:169], v[128:129], v[130:131]
	scratch_load_dwordx4 v[128:131], off, off offset:960
	ds_read_b128 v[160:163], v2 offset:1648
	ds_read_b128 v[164:167], v2 offset:1664
	v_mul_f64 v[186:187], v[194:195], v[186:187]
	v_fma_f64 v[240:241], v[192:193], v[184:185], -v[186:187]
	ds_read_b128 v[184:187], v2 offset:1744
	s_waitcnt vmcnt(16) lgkmcnt(2)
	v_mul_f64 v[170:171], v[160:161], v[50:51]
	v_fmac_f64_e32 v[170:171], v[162:163], v[48:49]
	s_waitcnt vmcnt(15) lgkmcnt(1)
	v_mul_f64 v[174:175], v[164:165], v[54:55]
	v_add_f64 v[172:173], v[168:169], v[170:171]
	ds_read_b128 v[168:171], v2 offset:1680
	v_fmac_f64_e32 v[174:175], v[166:167], v[52:53]
	v_add_f64 v[176:177], v[172:173], v[174:175]
	ds_read_b128 v[172:175], v2 offset:1696
	v_mul_f64 v[190:191], v[206:207], v[190:191]
	s_waitcnt vmcnt(14) lgkmcnt(1)
	v_mul_f64 v[178:179], v[168:169], v[58:59]
	v_fmac_f64_e32 v[178:179], v[170:171], v[56:57]
	v_add_f64 v[180:181], v[176:177], v[178:179]
	s_waitcnt vmcnt(13) lgkmcnt(0)
	v_mul_f64 v[182:183], v[172:173], v[62:63]
	ds_read_b128 v[176:179], v2 offset:1712
	v_fmac_f64_e32 v[182:183], v[174:175], v[60:61]
	v_add_f64 v[232:233], v[180:181], v[182:183]
	ds_read_b128 v[180:183], v2 offset:1728
	v_fma_f64 v[242:243], v[204:205], v[188:189], -v[190:191]
	s_waitcnt vmcnt(12) lgkmcnt(1)
	v_mul_f64 v[234:235], v[176:177], v[66:67]
	v_fmac_f64_e32 v[234:235], v[178:179], v[64:65]
	v_add_f64 v[232:233], v[232:233], v[234:235]
	s_waitcnt vmcnt(11) lgkmcnt(0)
	v_mul_f64 v[192:193], v[180:181], v[70:71]
	v_fmac_f64_e32 v[192:193], v[182:183], v[68:69]
	ds_read_b128 v[188:191], v2 offset:1760
	s_waitcnt vmcnt(10)
	v_mul_f64 v[194:195], v[184:185], v[74:75]
	v_add_f64 v[192:193], v[232:233], v[192:193]
	v_fmac_f64_e32 v[194:195], v[186:187], v[72:73]
	v_add_f64 v[204:205], v[192:193], v[194:195]
	ds_read_b128 v[192:195], v2 offset:1776
	v_mul_f64 v[198:199], v[218:219], v[198:199]
	v_fma_f64 v[244:245], v[216:217], v[196:197], -v[198:199]
	ds_read_b128 v[196:199], v2 offset:1792
	s_waitcnt vmcnt(9) lgkmcnt(2)
	v_mul_f64 v[206:207], v[188:189], v[78:79]
	v_fmac_f64_e32 v[206:207], v[190:191], v[76:77]
	v_add_f64 v[204:205], v[204:205], v[206:207]
	s_waitcnt vmcnt(8) lgkmcnt(1)
	v_mul_f64 v[206:207], v[192:193], v[82:83]
	v_fmac_f64_e32 v[206:207], v[194:195], v[80:81]
	v_mul_f64 v[202:203], v[226:227], v[202:203]
	v_add_f64 v[204:205], v[204:205], v[206:207]
	v_fma_f64 v[234:235], v[224:225], v[200:201], -v[202:203]
	ds_read_b128 v[200:203], v2 offset:1808
	s_waitcnt vmcnt(7) lgkmcnt(1)
	v_mul_f64 v[206:207], v[196:197], v[86:87]
	v_fmac_f64_e32 v[206:207], v[198:199], v[84:85]
	v_add_f64 v[216:217], v[204:205], v[206:207]
	ds_read_b128 v[204:207], v2 offset:1824
	v_mul_f64 v[210:211], v[230:231], v[210:211]
	v_fma_f64 v[236:237], v[228:229], v[208:209], -v[210:211]
	ds_read_b128 v[208:211], v2 offset:1840
	s_waitcnt vmcnt(6) lgkmcnt(2)
	v_mul_f64 v[218:219], v[200:201], v[90:91]
	v_fmac_f64_e32 v[218:219], v[202:203], v[88:89]
	v_add_f64 v[216:217], v[216:217], v[218:219]
	s_waitcnt vmcnt(5) lgkmcnt(1)
	v_mul_f64 v[218:219], v[204:205], v[94:95]
	v_fmac_f64_e32 v[218:219], v[206:207], v[92:93]
	v_mul_f64 v[214:215], v[250:251], v[214:215]
	v_fma_f64 v[238:239], v[248:249], v[212:213], -v[214:215]
	ds_read_b128 v[212:215], v2 offset:1856
	v_add_f64 v[216:217], v[216:217], v[218:219]
	s_waitcnt vmcnt(4) lgkmcnt(1)
	v_mul_f64 v[218:219], v[208:209], v[102:103]
	v_fmac_f64_e32 v[218:219], v[210:211], v[100:101]
	v_add_f64 v[224:225], v[216:217], v[218:219]
	ds_read_b128 v[216:219], v2 offset:1872
	v_mul_f64 v[222:223], v[254:255], v[222:223]
	v_fma_f64 v[248:249], v[252:253], v[220:221], -v[222:223]
	ds_read_b128 v[220:223], v2 offset:1888
	s_waitcnt vmcnt(3) lgkmcnt(2)
	v_mul_f64 v[226:227], v[212:213], v[98:99]
	v_fmac_f64_e32 v[226:227], v[214:215], v[96:97]
	v_add_f64 v[224:225], v[224:225], v[226:227]
	s_waitcnt vmcnt(2) lgkmcnt(1)
	v_mul_f64 v[226:227], v[216:217], v[106:107]
	v_fmac_f64_e32 v[226:227], v[218:219], v[104:105]
	v_add_f64 v[224:225], v[224:225], v[226:227]
	;; [unrolled: 4-line block ×3, first 2 shown]
	ds_read_b128 v[224:227], v2 offset:1904
	v_mul_f64 v[6:7], v[150:151], v[6:7]
	v_fma_f64 v[4:5], v[148:149], v[4:5], -v[6:7]
	v_mul_f64 v[6:7], v[146:147], v[10:11]
	v_fma_f64 v[6:7], v[144:145], v[8:9], -v[6:7]
	s_waitcnt vmcnt(0) lgkmcnt(0)
	v_mul_f64 v[230:231], v[224:225], v[130:131]
	v_fmac_f64_e32 v[230:231], v[226:227], v[128:129]
	v_add_f64 v[232:233], v[228:229], v[230:231]
	v_add_f64 v[228:229], v[240:241], 0
	;; [unrolled: 1-line block ×4, first 2 shown]
	scratch_load_dwordx4 v[228:231], off, off offset:400
	v_add_f64 v[234:235], v[250:251], v[234:235]
	v_add_f64 v[234:235], v[234:235], v[236:237]
	;; [unrolled: 1-line block ×6, first 2 shown]
	v_mul_f64 v[6:7], v[142:143], v[14:15]
	v_fma_f64 v[6:7], v[140:141], v[12:13], -v[6:7]
	v_add_f64 v[4:5], v[4:5], v[6:7]
	v_mul_f64 v[6:7], v[138:139], v[18:19]
	v_fma_f64 v[6:7], v[136:137], v[16:17], -v[6:7]
	v_add_f64 v[4:5], v[4:5], v[6:7]
	;; [unrolled: 3-line block ×26, first 2 shown]
	s_waitcnt vmcnt(0)
	v_add_f64 v[4:5], v[228:229], -v[4:5]
	v_add_f64 v[6:7], v[230:231], -v[232:233]
	scratch_store_dwordx4 off, v[4:7], off offset:400
	s_and_saveexec_b64 s[0:1], vcc
	s_cbranch_execz .LBB59_327
; %bb.326:
	scratch_load_dwordx4 v[6:9], off, s41
	v_mov_b32_e32 v3, v2
	v_mov_b32_e32 v4, v2
	;; [unrolled: 1-line block ×3, first 2 shown]
	v_accvgpr_read_b32 v0, a121
	scratch_store_dwordx4 off, v[2:5], off offset:384
	s_waitcnt vmcnt(1)
	ds_write_b128 v0, v[6:9]
.LBB59_327:
	s_or_b64 exec, exec, s[0:1]
	s_waitcnt lgkmcnt(0)
	; wave barrier
	scratch_load_dwordx4 v[140:143], off, off offset:400
	scratch_load_dwordx4 v[144:147], off, off offset:416
	scratch_load_dwordx4 v[148:151], off, off offset:432
	scratch_load_dwordx4 v[152:155], off, off offset:448
	scratch_load_dwordx4 v[156:159], off, off offset:464
	scratch_load_dwordx4 v[160:163], off, off offset:480
	scratch_load_dwordx4 v[164:167], off, off offset:496
	scratch_load_dwordx4 v[4:7], off, off offset:512
	scratch_load_dwordx4 v[8:11], off, off offset:528
	scratch_load_dwordx4 v[12:15], off, off offset:544
	scratch_load_dwordx4 v[16:19], off, off offset:560
	scratch_load_dwordx4 v[20:23], off, off offset:576
	scratch_load_dwordx4 v[24:27], off, off offset:592
	scratch_load_dwordx4 v[28:31], off, off offset:608
	scratch_load_dwordx4 v[32:35], off, off offset:624
	scratch_load_dwordx4 v[36:39], off, off offset:640
	ds_read_b128 v[208:211], v2 offset:1344
	ds_read_b128 v[200:203], v2 offset:1360
	;; [unrolled: 1-line block ×3, first 2 shown]
	scratch_load_dwordx4 v[40:43], off, off offset:656
	ds_read_b128 v[204:207], v2 offset:1392
	ds_read_b128 v[192:195], v2 offset:1408
	ds_read_b128 v[184:187], v2 offset:1424
	scratch_load_dwordx4 v[44:47], off, off offset:672
	ds_read_b128 v[196:199], v2 offset:1440
	ds_read_b128 v[64:67], v2 offset:1456
	;; [unrolled: 1-line block ×4, first 2 shown]
	scratch_load_dwordx4 v[48:51], off, off offset:688
	ds_read_b128 v[72:75], v2 offset:1504
	ds_read_b128 v[68:71], v2 offset:1520
	scratch_load_dwordx4 v[56:59], off, off offset:704
	ds_read_b128 v[92:95], v2 offset:1536
	ds_read_b128 v[88:91], v2 offset:1552
	;; [unrolled: 1-line block ×4, first 2 shown]
	scratch_load_dwordx4 v[76:79], off, off offset:720
	scratch_load_dwordx4 v[96:99], off, off offset:736
	;; [unrolled: 1-line block ×12, first 2 shown]
	ds_read_b128 v[168:171], v2 offset:1600
	v_accvgpr_read_b32 v0, a120
	v_cmp_lt_u32_e32 vcc, 22, v0
	s_waitcnt vmcnt(31) lgkmcnt(14)
	v_mul_f64 v[172:173], v[208:209], v[142:143]
	s_waitcnt vmcnt(30)
	v_mul_f64 v[174:175], v[200:201], v[146:147]
	v_fmac_f64_e32 v[172:173], v[210:211], v[140:141]
	s_waitcnt vmcnt(29)
	v_mul_f64 v[176:177], v[188:189], v[150:151]
	v_fmac_f64_e32 v[174:175], v[202:203], v[144:145]
	v_add_f64 v[172:173], v[172:173], 0
	s_waitcnt vmcnt(28) lgkmcnt(13)
	v_mul_f64 v[178:179], v[204:205], v[154:155]
	v_fmac_f64_e32 v[176:177], v[190:191], v[148:149]
	v_add_f64 v[172:173], v[172:173], v[174:175]
	s_waitcnt vmcnt(27) lgkmcnt(12)
	;; [unrolled: 4-line block ×10, first 2 shown]
	v_mul_f64 v[224:225], v[92:93], v[26:27]
	v_fmac_f64_e32 v[222:223], v[70:71], v[20:21]
	v_add_f64 v[172:173], v[172:173], v[220:221]
	ds_read_b128 v[212:215], v2 offset:1616
	s_waitcnt vmcnt(18) lgkmcnt(4)
	v_mul_f64 v[226:227], v[88:89], v[30:31]
	v_fmac_f64_e32 v[224:225], v[94:95], v[24:25]
	v_add_f64 v[172:173], v[172:173], v[222:223]
	ds_read_b128 v[216:219], v2 offset:1632
	ds_read_b128 v[220:223], v2 offset:1648
	s_waitcnt vmcnt(17) lgkmcnt(5)
	v_mul_f64 v[228:229], v[84:85], v[34:35]
	v_fmac_f64_e32 v[226:227], v[90:91], v[28:29]
	v_add_f64 v[172:173], v[172:173], v[224:225]
	s_waitcnt vmcnt(16) lgkmcnt(4)
	v_mul_f64 v[230:231], v[80:81], v[38:39]
	v_fmac_f64_e32 v[228:229], v[86:87], v[32:33]
	v_add_f64 v[172:173], v[172:173], v[226:227]
	v_add_f64 v[176:177], v[172:173], v[228:229]
	v_fmac_f64_e32 v[230:231], v[82:83], v[36:37]
	s_waitcnt vmcnt(15) lgkmcnt(3)
	v_mul_f64 v[178:179], v[168:169], v[42:43]
	v_add_f64 v[176:177], v[176:177], v[230:231]
	v_fmac_f64_e32 v[178:179], v[170:171], v[40:41]
	s_waitcnt vmcnt(14) lgkmcnt(2)
	v_mul_f64 v[182:183], v[212:213], v[46:47]
	;; [unrolled: 4-line block ×3, first 2 shown]
	v_add_f64 v[224:225], v[180:181], v[182:183]
	v_fmac_f64_e32 v[226:227], v[218:219], v[48:49]
	v_add_f64 v[228:229], v[224:225], v[226:227]
	ds_read_b128 v[224:227], v2 offset:1664
	s_waitcnt vmcnt(12) lgkmcnt(1)
	v_mul_f64 v[230:231], v[220:221], v[58:59]
	v_fmac_f64_e32 v[230:231], v[222:223], v[56:57]
	v_add_f64 v[232:233], v[228:229], v[230:231]
	ds_read_b128 v[228:231], v2 offset:1680
	s_waitcnt vmcnt(11) lgkmcnt(1)
	v_mul_f64 v[234:235], v[224:225], v[78:79]
	;; [unrolled: 5-line block ×4, first 2 shown]
	v_fmac_f64_e32 v[242:243], v[234:235], v[100:101]
	v_mul_f64 v[142:143], v[210:211], v[142:143]
	v_add_f64 v[240:241], v[240:241], v[242:243]
	v_fma_f64 v[242:243], v[208:209], v[140:141], -v[142:143]
	ds_read_b128 v[140:143], v2 offset:1728
	s_waitcnt vmcnt(8) lgkmcnt(1)
	v_mul_f64 v[208:209], v[236:237], v[106:107]
	v_fmac_f64_e32 v[208:209], v[238:239], v[104:105]
	v_mul_f64 v[146:147], v[202:203], v[146:147]
	v_add_f64 v[208:209], v[240:241], v[208:209]
	v_fma_f64 v[240:241], v[200:201], v[144:145], -v[146:147]
	ds_read_b128 v[144:147], v2 offset:1744
	s_waitcnt vmcnt(7) lgkmcnt(1)
	v_mul_f64 v[200:201], v[140:141], v[110:111]
	scratch_load_dwordx4 v[172:175], off, off offset:912
	scratch_load_dwordx4 v[176:179], off, off offset:928
	v_fmac_f64_e32 v[200:201], v[142:143], v[108:109]
	v_add_f64 v[208:209], v[208:209], v[200:201]
	ds_read_b128 v[200:203], v2 offset:1760
	v_mul_f64 v[150:151], v[190:191], v[150:151]
	v_fma_f64 v[244:245], v[188:189], v[148:149], -v[150:151]
	ds_read_b128 v[148:151], v2 offset:1776
	s_waitcnt vmcnt(8) lgkmcnt(2)
	v_mul_f64 v[210:211], v[144:145], v[114:115]
	v_fmac_f64_e32 v[210:211], v[146:147], v[112:113]
	s_waitcnt vmcnt(7) lgkmcnt(1)
	v_mul_f64 v[188:189], v[200:201], v[118:119]
	v_add_f64 v[208:209], v[208:209], v[210:211]
	v_fmac_f64_e32 v[188:189], v[202:203], v[116:117]
	v_mul_f64 v[154:155], v[206:207], v[154:155]
	s_waitcnt vmcnt(6) lgkmcnt(0)
	v_mul_f64 v[190:191], v[148:149], v[122:123]
	v_add_f64 v[188:189], v[208:209], v[188:189]
	v_fma_f64 v[246:247], v[204:205], v[152:153], -v[154:155]
	ds_read_b128 v[152:155], v2 offset:1792
	v_fmac_f64_e32 v[190:191], v[150:151], v[120:121]
	scratch_load_dwordx4 v[180:183], off, off offset:944
	v_add_f64 v[204:205], v[188:189], v[190:191]
	ds_read_b128 v[188:191], v2 offset:1808
	s_waitcnt vmcnt(6) lgkmcnt(1)
	v_mul_f64 v[206:207], v[152:153], v[126:127]
	v_mul_f64 v[158:159], v[194:195], v[158:159]
	v_fmac_f64_e32 v[206:207], v[154:155], v[124:125]
	v_fma_f64 v[248:249], v[192:193], v[156:157], -v[158:159]
	s_waitcnt vmcnt(5) lgkmcnt(0)
	v_mul_f64 v[192:193], v[188:189], v[130:131]
	v_add_f64 v[204:205], v[204:205], v[206:207]
	v_fmac_f64_e32 v[192:193], v[190:191], v[128:129]
	v_mul_f64 v[162:163], v[186:187], v[162:163]
	v_fma_f64 v[208:209], v[184:185], v[160:161], -v[162:163]
	v_add_f64 v[184:185], v[204:205], v[192:193]
	scratch_load_dwordx4 v[204:207], off, off offset:960
	ds_read_b128 v[156:159], v2 offset:1824
	ds_read_b128 v[160:163], v2 offset:1840
	v_mul_f64 v[166:167], v[198:199], v[166:167]
	v_fma_f64 v[210:211], v[196:197], v[164:165], -v[166:167]
	ds_read_b128 v[164:167], v2 offset:1872
	s_waitcnt vmcnt(5) lgkmcnt(2)
	v_mul_f64 v[186:187], v[156:157], v[138:139]
	v_fmac_f64_e32 v[186:187], v[158:159], v[136:137]
	v_add_f64 v[192:193], v[184:185], v[186:187]
	ds_read_b128 v[184:187], v2 offset:1856
	s_waitcnt vmcnt(4) lgkmcnt(2)
	v_mul_f64 v[194:195], v[160:161], v[134:135]
	v_fmac_f64_e32 v[194:195], v[162:163], v[132:133]
	v_add_f64 v[192:193], v[192:193], v[194:195]
	v_add_f64 v[242:243], v[242:243], 0
	;; [unrolled: 1-line block ×7, first 2 shown]
	v_mul_f64 v[6:7], v[66:67], v[6:7]
	v_add_f64 v[208:209], v[208:209], v[210:211]
	v_fma_f64 v[4:5], v[64:65], v[4:5], -v[6:7]
	v_mul_f64 v[6:7], v[62:63], v[10:11]
	v_add_f64 v[4:5], v[208:209], v[4:5]
	v_fma_f64 v[6:7], v[60:61], v[8:9], -v[6:7]
	v_add_f64 v[4:5], v[4:5], v[6:7]
	v_mul_f64 v[6:7], v[54:55], v[14:15]
	v_fma_f64 v[6:7], v[52:53], v[12:13], -v[6:7]
	v_add_f64 v[4:5], v[4:5], v[6:7]
	v_mul_f64 v[6:7], v[74:75], v[18:19]
	;; [unrolled: 3-line block ×8, first 2 shown]
	s_waitcnt vmcnt(3) lgkmcnt(0)
	v_mul_f64 v[194:195], v[184:185], v[174:175]
	v_fmac_f64_e32 v[194:195], v[186:187], v[172:173]
	v_add_f64 v[192:193], v[192:193], v[194:195]
	s_waitcnt vmcnt(2)
	v_mul_f64 v[194:195], v[164:165], v[178:179]
	v_fmac_f64_e32 v[194:195], v[166:167], v[176:177]
	v_add_f64 v[196:197], v[192:193], v[194:195]
	ds_read_b128 v[192:195], v2 offset:1888
	v_fma_f64 v[6:7], v[168:169], v[40:41], -v[6:7]
	v_add_f64 v[4:5], v[4:5], v[6:7]
	v_mul_f64 v[6:7], v[214:215], v[46:47]
	v_fma_f64 v[6:7], v[212:213], v[44:45], -v[6:7]
	v_add_f64 v[4:5], v[4:5], v[6:7]
	v_mul_f64 v[6:7], v[218:219], v[50:51]
	;; [unrolled: 3-line block ×4, first 2 shown]
	s_waitcnt vmcnt(1) lgkmcnt(0)
	v_mul_f64 v[198:199], v[192:193], v[182:183]
	v_fmac_f64_e32 v[198:199], v[194:195], v[180:181]
	v_add_f64 v[250:251], v[196:197], v[198:199]
	ds_read_b128 v[196:199], v2 offset:1904
	v_fma_f64 v[6:7], v[224:225], v[76:77], -v[6:7]
	v_add_f64 v[4:5], v[4:5], v[6:7]
	v_mul_f64 v[6:7], v[230:231], v[98:99]
	v_fma_f64 v[6:7], v[228:229], v[96:97], -v[6:7]
	v_add_f64 v[4:5], v[4:5], v[6:7]
	v_mul_f64 v[6:7], v[234:235], v[102:103]
	;; [unrolled: 3-line block ×3, first 2 shown]
	s_waitcnt vmcnt(0) lgkmcnt(0)
	v_mul_f64 v[2:3], v[196:197], v[206:207]
	v_fmac_f64_e32 v[2:3], v[198:199], v[204:205]
	v_add_f64 v[2:3], v[250:251], v[2:3]
	scratch_load_dwordx4 v[250:253], off, off offset:384
	v_fma_f64 v[6:7], v[236:237], v[104:105], -v[6:7]
	v_add_f64 v[4:5], v[4:5], v[6:7]
	v_mul_f64 v[6:7], v[142:143], v[110:111]
	v_fma_f64 v[6:7], v[140:141], v[108:109], -v[6:7]
	v_add_f64 v[4:5], v[4:5], v[6:7]
	v_mul_f64 v[6:7], v[146:147], v[114:115]
	v_fma_f64 v[6:7], v[144:145], v[112:113], -v[6:7]
	v_add_f64 v[4:5], v[4:5], v[6:7]
	v_mul_f64 v[6:7], v[202:203], v[118:119]
	v_fma_f64 v[6:7], v[200:201], v[116:117], -v[6:7]
	v_add_f64 v[4:5], v[4:5], v[6:7]
	v_mul_f64 v[6:7], v[150:151], v[122:123]
	v_fma_f64 v[6:7], v[148:149], v[120:121], -v[6:7]
	v_add_f64 v[4:5], v[4:5], v[6:7]
	v_mul_f64 v[6:7], v[154:155], v[126:127]
	v_fma_f64 v[6:7], v[152:153], v[124:125], -v[6:7]
	v_add_f64 v[4:5], v[4:5], v[6:7]
	v_mul_f64 v[6:7], v[190:191], v[130:131]
	v_fma_f64 v[6:7], v[188:189], v[128:129], -v[6:7]
	v_add_f64 v[4:5], v[4:5], v[6:7]
	v_mul_f64 v[6:7], v[158:159], v[138:139]
	v_fma_f64 v[6:7], v[156:157], v[136:137], -v[6:7]
	v_add_f64 v[4:5], v[4:5], v[6:7]
	v_mul_f64 v[6:7], v[162:163], v[134:135]
	v_fma_f64 v[6:7], v[160:161], v[132:133], -v[6:7]
	v_add_f64 v[4:5], v[4:5], v[6:7]
	v_mul_f64 v[6:7], v[186:187], v[174:175]
	v_fma_f64 v[6:7], v[184:185], v[172:173], -v[6:7]
	v_add_f64 v[4:5], v[4:5], v[6:7]
	v_mul_f64 v[6:7], v[166:167], v[178:179]
	v_fma_f64 v[6:7], v[164:165], v[176:177], -v[6:7]
	v_add_f64 v[4:5], v[4:5], v[6:7]
	v_mul_f64 v[6:7], v[194:195], v[182:183]
	v_fma_f64 v[6:7], v[192:193], v[180:181], -v[6:7]
	v_add_f64 v[4:5], v[4:5], v[6:7]
	v_mul_f64 v[6:7], v[198:199], v[206:207]
	v_fma_f64 v[6:7], v[196:197], v[204:205], -v[6:7]
	v_add_f64 v[4:5], v[4:5], v[6:7]
	s_waitcnt vmcnt(0)
	v_add_f64 v[4:5], v[250:251], -v[4:5]
	v_add_f64 v[6:7], v[252:253], -v[2:3]
	scratch_store_dwordx4 off, v[4:7], off offset:384
	s_and_saveexec_b64 s[0:1], vcc
	s_cbranch_execz .LBB59_329
; %bb.328:
	scratch_load_dwordx4 v[2:5], off, s40
	v_mov_b32_e32 v6, 0
	v_mov_b32_e32 v7, v6
	;; [unrolled: 1-line block ×4, first 2 shown]
	v_accvgpr_read_b32 v0, a121
	scratch_store_dwordx4 off, v[6:9], off offset:368
	s_waitcnt vmcnt(1)
	ds_write_b128 v0, v[2:5]
.LBB59_329:
	s_or_b64 exec, exec, s[0:1]
	s_waitcnt lgkmcnt(0)
	; wave barrier
	scratch_load_dwordx4 v[168:171], off, off offset:384
	scratch_load_dwordx4 v[172:175], off, off offset:400
	;; [unrolled: 1-line block ×32, first 2 shown]
	v_mov_b32_e32 v2, 0
	ds_read_b128 v[176:179], v2 offset:1328
	ds_read_b128 v[188:191], v2 offset:1344
	;; [unrolled: 1-line block ×17, first 2 shown]
	v_accvgpr_read_b32 v0, a120
	v_cmp_lt_u32_e32 vcc, 21, v0
	s_waitcnt vmcnt(31) lgkmcnt(14)
	v_mul_f64 v[104:105], v[176:177], v[170:171]
	s_waitcnt vmcnt(30)
	v_mul_f64 v[106:107], v[188:189], v[174:175]
	v_fmac_f64_e32 v[104:105], v[178:179], v[168:169]
	s_waitcnt vmcnt(29)
	v_mul_f64 v[108:109], v[200:201], v[182:183]
	v_fmac_f64_e32 v[106:107], v[190:191], v[172:173]
	v_add_f64 v[104:105], v[104:105], 0
	s_waitcnt vmcnt(28) lgkmcnt(13)
	v_mul_f64 v[110:111], v[212:213], v[186:187]
	v_fmac_f64_e32 v[108:109], v[202:203], v[180:181]
	v_add_f64 v[104:105], v[104:105], v[106:107]
	s_waitcnt vmcnt(27) lgkmcnt(12)
	;; [unrolled: 4-line block ×12, first 2 shown]
	v_mul_f64 v[156:157], v[112:113], v[26:27]
	v_fmac_f64_e32 v[154:155], v[118:119], v[20:21]
	v_add_f64 v[104:105], v[104:105], v[152:153]
	v_fmac_f64_e32 v[156:157], v[114:115], v[24:25]
	v_add_f64 v[104:105], v[104:105], v[154:155]
	s_waitcnt vmcnt(16) lgkmcnt(1)
	v_mul_f64 v[106:107], v[100:101], v[30:31]
	v_add_f64 v[104:105], v[104:105], v[156:157]
	v_fmac_f64_e32 v[106:107], v[102:103], v[28:29]
	v_add_f64 v[108:109], v[104:105], v[106:107]
	ds_read_b128 v[144:147], v2 offset:1600
	ds_read_b128 v[148:151], v2 offset:1616
	scratch_load_dwordx4 v[104:107], off, off offset:896
	s_waitcnt vmcnt(16) lgkmcnt(2)
	v_mul_f64 v[110:111], v[96:97], v[34:35]
	v_fmac_f64_e32 v[110:111], v[98:99], v[32:33]
	v_add_f64 v[120:121], v[108:109], v[110:111]
	scratch_load_dwordx4 v[108:111], off, off offset:912
	s_waitcnt vmcnt(16) lgkmcnt(1)
	v_mul_f64 v[122:123], v[144:145], v[38:39]
	v_fmac_f64_e32 v[122:123], v[146:147], v[36:37]
	v_add_f64 v[132:133], v[120:121], v[122:123]
	s_waitcnt vmcnt(15) lgkmcnt(0)
	v_mul_f64 v[134:135], v[148:149], v[42:43]
	scratch_load_dwordx4 v[120:123], off, off offset:928
	v_fmac_f64_e32 v[134:135], v[150:151], v[40:41]
	v_add_f64 v[160:161], v[132:133], v[134:135]
	scratch_load_dwordx4 v[132:135], off, off offset:944
	ds_read_b128 v[152:155], v2 offset:1632
	ds_read_b128 v[156:159], v2 offset:1648
	v_mul_f64 v[170:171], v[178:179], v[170:171]
	v_fma_f64 v[240:241], v[176:177], v[168:169], -v[170:171]
	ds_read_b128 v[168:171], v2 offset:1696
	s_waitcnt vmcnt(16) lgkmcnt(2)
	v_mul_f64 v[162:163], v[152:153], v[46:47]
	v_fmac_f64_e32 v[162:163], v[154:155], v[44:45]
	s_waitcnt vmcnt(15) lgkmcnt(1)
	v_mul_f64 v[166:167], v[156:157], v[50:51]
	v_add_f64 v[164:165], v[160:161], v[162:163]
	ds_read_b128 v[160:163], v2 offset:1664
	v_fmac_f64_e32 v[166:167], v[158:159], v[48:49]
	v_add_f64 v[232:233], v[164:165], v[166:167]
	ds_read_b128 v[164:167], v2 offset:1680
	v_mul_f64 v[174:175], v[190:191], v[174:175]
	s_waitcnt vmcnt(14) lgkmcnt(1)
	v_mul_f64 v[234:235], v[160:161], v[54:55]
	v_fmac_f64_e32 v[234:235], v[162:163], v[52:53]
	v_add_f64 v[232:233], v[232:233], v[234:235]
	s_waitcnt vmcnt(13) lgkmcnt(0)
	v_mul_f64 v[176:177], v[164:165], v[58:59]
	v_fmac_f64_e32 v[176:177], v[166:167], v[56:57]
	v_fma_f64 v[242:243], v[188:189], v[172:173], -v[174:175]
	ds_read_b128 v[172:175], v2 offset:1712
	s_waitcnt vmcnt(12)
	v_mul_f64 v[178:179], v[168:169], v[62:63]
	v_add_f64 v[176:177], v[232:233], v[176:177]
	v_fmac_f64_e32 v[178:179], v[170:171], v[60:61]
	v_add_f64 v[188:189], v[176:177], v[178:179]
	ds_read_b128 v[176:179], v2 offset:1728
	v_mul_f64 v[182:183], v[202:203], v[182:183]
	v_fma_f64 v[244:245], v[200:201], v[180:181], -v[182:183]
	ds_read_b128 v[180:183], v2 offset:1744
	s_waitcnt vmcnt(11) lgkmcnt(2)
	v_mul_f64 v[190:191], v[172:173], v[66:67]
	v_fmac_f64_e32 v[190:191], v[174:175], v[64:65]
	v_add_f64 v[188:189], v[188:189], v[190:191]
	s_waitcnt vmcnt(10) lgkmcnt(1)
	v_mul_f64 v[190:191], v[176:177], v[70:71]
	v_fmac_f64_e32 v[190:191], v[178:179], v[68:69]
	v_mul_f64 v[186:187], v[214:215], v[186:187]
	v_fma_f64 v[246:247], v[212:213], v[184:185], -v[186:187]
	ds_read_b128 v[184:187], v2 offset:1760
	v_add_f64 v[188:189], v[188:189], v[190:191]
	s_waitcnt vmcnt(9) lgkmcnt(1)
	v_mul_f64 v[190:191], v[180:181], v[74:75]
	v_fmac_f64_e32 v[190:191], v[182:183], v[72:73]
	v_add_f64 v[200:201], v[188:189], v[190:191]
	ds_read_b128 v[188:191], v2 offset:1776
	v_mul_f64 v[194:195], v[222:223], v[194:195]
	v_fma_f64 v[232:233], v[220:221], v[192:193], -v[194:195]
	ds_read_b128 v[192:195], v2 offset:1792
	s_waitcnt vmcnt(8) lgkmcnt(2)
	v_mul_f64 v[202:203], v[184:185], v[78:79]
	v_fmac_f64_e32 v[202:203], v[186:187], v[76:77]
	v_add_f64 v[200:201], v[200:201], v[202:203]
	s_waitcnt vmcnt(7) lgkmcnt(1)
	v_mul_f64 v[202:203], v[188:189], v[82:83]
	v_fmac_f64_e32 v[202:203], v[190:191], v[80:81]
	v_mul_f64 v[198:199], v[226:227], v[198:199]
	v_add_f64 v[200:201], v[200:201], v[202:203]
	v_fma_f64 v[234:235], v[224:225], v[196:197], -v[198:199]
	ds_read_b128 v[196:199], v2 offset:1808
	s_waitcnt vmcnt(6) lgkmcnt(1)
	v_mul_f64 v[202:203], v[192:193], v[86:87]
	v_fmac_f64_e32 v[202:203], v[194:195], v[84:85]
	v_add_f64 v[212:213], v[200:201], v[202:203]
	ds_read_b128 v[200:203], v2 offset:1824
	v_mul_f64 v[206:207], v[230:231], v[206:207]
	v_fma_f64 v[236:237], v[228:229], v[204:205], -v[206:207]
	ds_read_b128 v[204:207], v2 offset:1840
	s_waitcnt vmcnt(5) lgkmcnt(2)
	v_mul_f64 v[214:215], v[196:197], v[94:95]
	v_fmac_f64_e32 v[214:215], v[198:199], v[92:93]
	v_add_f64 v[212:213], v[212:213], v[214:215]
	s_waitcnt vmcnt(4) lgkmcnt(1)
	v_mul_f64 v[214:215], v[200:201], v[90:91]
	v_fmac_f64_e32 v[214:215], v[202:203], v[88:89]
	v_mul_f64 v[210:211], v[250:251], v[210:211]
	v_fma_f64 v[238:239], v[248:249], v[208:209], -v[210:211]
	ds_read_b128 v[208:211], v2 offset:1856
	v_add_f64 v[212:213], v[212:213], v[214:215]
	s_waitcnt vmcnt(3) lgkmcnt(1)
	v_mul_f64 v[214:215], v[204:205], v[106:107]
	v_fmac_f64_e32 v[214:215], v[206:207], v[104:105]
	v_add_f64 v[220:221], v[212:213], v[214:215]
	ds_read_b128 v[212:215], v2 offset:1872
	v_mul_f64 v[218:219], v[254:255], v[218:219]
	v_fma_f64 v[248:249], v[252:253], v[216:217], -v[218:219]
	ds_read_b128 v[216:219], v2 offset:1888
	ds_read_b128 v[224:227], v2 offset:1904
	s_waitcnt vmcnt(2) lgkmcnt(3)
	v_mul_f64 v[222:223], v[208:209], v[110:111]
	v_fmac_f64_e32 v[222:223], v[210:211], v[108:109]
	v_add_f64 v[220:221], v[220:221], v[222:223]
	s_waitcnt vmcnt(1) lgkmcnt(2)
	v_mul_f64 v[222:223], v[212:213], v[122:123]
	v_fmac_f64_e32 v[222:223], v[214:215], v[120:121]
	v_add_f64 v[220:221], v[220:221], v[222:223]
	;; [unrolled: 4-line block ×3, first 2 shown]
	scratch_load_dwordx4 v[220:223], off, off offset:960
	v_mul_f64 v[6:7], v[142:143], v[6:7]
	v_fma_f64 v[4:5], v[140:141], v[4:5], -v[6:7]
	v_mul_f64 v[6:7], v[138:139], v[10:11]
	v_fma_f64 v[6:7], v[136:137], v[8:9], -v[6:7]
	s_waitcnt vmcnt(0) lgkmcnt(0)
	v_mul_f64 v[230:231], v[224:225], v[222:223]
	v_fmac_f64_e32 v[230:231], v[226:227], v[220:221]
	v_add_f64 v[252:253], v[228:229], v[230:231]
	v_add_f64 v[228:229], v[240:241], 0
	v_add_f64 v[228:229], v[228:229], v[242:243]
	v_add_f64 v[228:229], v[228:229], v[244:245]
	v_add_f64 v[228:229], v[228:229], v[246:247]
	v_add_f64 v[250:251], v[228:229], v[232:233]
	scratch_load_dwordx4 v[228:231], off, off offset:368
	v_add_f64 v[232:233], v[250:251], v[234:235]
	v_add_f64 v[232:233], v[232:233], v[236:237]
	;; [unrolled: 1-line block ×6, first 2 shown]
	v_mul_f64 v[6:7], v[130:131], v[14:15]
	v_fma_f64 v[6:7], v[128:129], v[12:13], -v[6:7]
	v_add_f64 v[4:5], v[4:5], v[6:7]
	v_mul_f64 v[6:7], v[126:127], v[18:19]
	v_fma_f64 v[6:7], v[124:125], v[16:17], -v[6:7]
	v_add_f64 v[4:5], v[4:5], v[6:7]
	;; [unrolled: 3-line block ×26, first 2 shown]
	s_waitcnt vmcnt(0)
	v_add_f64 v[4:5], v[228:229], -v[4:5]
	v_add_f64 v[6:7], v[230:231], -v[252:253]
	scratch_store_dwordx4 off, v[4:7], off offset:368
	s_and_saveexec_b64 s[0:1], vcc
	s_cbranch_execz .LBB59_331
; %bb.330:
	scratch_load_dwordx4 v[6:9], off, s39
	v_mov_b32_e32 v3, v2
	v_mov_b32_e32 v4, v2
	;; [unrolled: 1-line block ×3, first 2 shown]
	v_accvgpr_read_b32 v0, a121
	scratch_store_dwordx4 off, v[2:5], off offset:352
	s_waitcnt vmcnt(1)
	ds_write_b128 v0, v[6:9]
.LBB59_331:
	s_or_b64 exec, exec, s[0:1]
	s_waitcnt lgkmcnt(0)
	; wave barrier
	scratch_load_dwordx4 v[168:171], off, off offset:368
	scratch_load_dwordx4 v[172:175], off, off offset:384
	;; [unrolled: 1-line block ×16, first 2 shown]
	ds_read_b128 v[232:235], v2 offset:1312
	ds_read_b128 v[176:179], v2 offset:1328
	scratch_load_dwordx4 v[32:35], off, off offset:624
	ds_read_b128 v[236:239], v2 offset:1344
	ds_read_b128 v[188:191], v2 offset:1360
	;; [unrolled: 1-line block ×5, first 2 shown]
	scratch_load_dwordx4 v[36:39], off, off offset:640
	ds_read_b128 v[224:227], v2 offset:1424
	ds_read_b128 v[220:223], v2 offset:1440
	;; [unrolled: 1-line block ×3, first 2 shown]
	scratch_load_dwordx4 v[40:43], off, off offset:656
	ds_read_b128 v[64:67], v2 offset:1472
	ds_read_b128 v[60:63], v2 offset:1488
	;; [unrolled: 1-line block ×4, first 2 shown]
	scratch_load_dwordx4 v[48:51], off, off offset:672
	ds_read_b128 v[80:83], v2 offset:1536
	ds_read_b128 v[72:75], v2 offset:1552
	;; [unrolled: 1-line block ×3, first 2 shown]
	scratch_load_dwordx4 v[76:79], off, off offset:688
	scratch_load_dwordx4 v[84:87], off, off offset:704
	;; [unrolled: 1-line block ×12, first 2 shown]
	v_accvgpr_read_b32 v0, a120
	v_cmp_lt_u32_e32 vcc, 20, v0
	s_waitcnt vmcnt(31) lgkmcnt(14)
	v_mul_f64 v[128:129], v[232:233], v[170:171]
	s_waitcnt vmcnt(30)
	v_mul_f64 v[130:131], v[176:177], v[174:175]
	v_fmac_f64_e32 v[128:129], v[234:235], v[168:169]
	s_waitcnt vmcnt(29)
	v_mul_f64 v[132:133], v[236:237], v[182:183]
	v_fmac_f64_e32 v[130:131], v[178:179], v[172:173]
	v_add_f64 v[128:129], v[128:129], 0
	s_waitcnt vmcnt(28) lgkmcnt(13)
	v_mul_f64 v[134:135], v[188:189], v[186:187]
	v_fmac_f64_e32 v[132:133], v[238:239], v[180:181]
	v_add_f64 v[128:129], v[128:129], v[130:131]
	s_waitcnt vmcnt(27) lgkmcnt(12)
	;; [unrolled: 4-line block ×13, first 2 shown]
	v_mul_f64 v[158:159], v[72:73], v[30:31]
	v_fmac_f64_e32 v[156:157], v[82:83], v[24:25]
	v_add_f64 v[128:129], v[128:129], v[154:155]
	v_add_f64 v[128:129], v[128:129], v[156:157]
	v_fmac_f64_e32 v[158:159], v[74:75], v[28:29]
	v_add_f64 v[132:133], v[128:129], v[158:159]
	ds_read_b128 v[144:147], v2 offset:1584
	ds_read_b128 v[148:151], v2 offset:1600
	scratch_load_dwordx4 v[128:131], off, off offset:880
	s_waitcnt vmcnt(16) lgkmcnt(2)
	v_mul_f64 v[134:135], v[68:69], v[34:35]
	v_fmac_f64_e32 v[134:135], v[70:71], v[32:33]
	s_waitcnt vmcnt(15) lgkmcnt(1)
	v_mul_f64 v[138:139], v[144:145], v[38:39]
	v_add_f64 v[136:137], v[132:133], v[134:135]
	scratch_load_dwordx4 v[132:135], off, off offset:896
	v_fmac_f64_e32 v[138:139], v[146:147], v[36:37]
	v_add_f64 v[140:141], v[136:137], v[138:139]
	s_waitcnt vmcnt(15) lgkmcnt(0)
	v_mul_f64 v[142:143], v[148:149], v[42:43]
	scratch_load_dwordx4 v[136:139], off, off offset:912
	v_fmac_f64_e32 v[142:143], v[150:151], v[40:41]
	v_add_f64 v[160:161], v[140:141], v[142:143]
	scratch_load_dwordx4 v[140:143], off, off offset:928
	ds_read_b128 v[152:155], v2 offset:1616
	ds_read_b128 v[156:159], v2 offset:1632
	v_mul_f64 v[170:171], v[234:235], v[170:171]
	v_mul_f64 v[174:175], v[178:179], v[174:175]
	;; [unrolled: 1-line block ×3, first 2 shown]
	s_waitcnt vmcnt(16) lgkmcnt(1)
	v_mul_f64 v[162:163], v[152:153], v[50:51]
	v_fmac_f64_e32 v[162:163], v[154:155], v[48:49]
	v_add_f64 v[164:165], v[160:161], v[162:163]
	ds_read_b128 v[160:163], v2 offset:1648
	s_waitcnt vmcnt(15) lgkmcnt(1)
	v_mul_f64 v[166:167], v[156:157], v[78:79]
	v_fmac_f64_e32 v[166:167], v[158:159], v[76:77]
	v_add_f64 v[240:241], v[164:165], v[166:167]
	ds_read_b128 v[164:167], v2 offset:1664
	s_waitcnt vmcnt(14) lgkmcnt(1)
	v_mul_f64 v[242:243], v[160:161], v[86:87]
	v_fmac_f64_e32 v[242:243], v[162:163], v[84:85]
	v_add_f64 v[240:241], v[240:241], v[242:243]
	v_fma_f64 v[242:243], v[232:233], v[168:169], -v[170:171]
	ds_read_b128 v[168:171], v2 offset:1680
	s_waitcnt vmcnt(13) lgkmcnt(1)
	v_mul_f64 v[232:233], v[164:165], v[90:91]
	v_fmac_f64_e32 v[232:233], v[166:167], v[88:89]
	v_add_f64 v[232:233], v[240:241], v[232:233]
	v_fma_f64 v[240:241], v[176:177], v[172:173], -v[174:175]
	ds_read_b128 v[172:175], v2 offset:1696
	s_waitcnt vmcnt(12) lgkmcnt(1)
	v_mul_f64 v[176:177], v[168:169], v[94:95]
	v_fmac_f64_e32 v[176:177], v[170:171], v[92:93]
	v_add_f64 v[232:233], v[232:233], v[176:177]
	ds_read_b128 v[176:179], v2 offset:1712
	v_fma_f64 v[236:237], v[236:237], v[180:181], -v[182:183]
	ds_read_b128 v[180:183], v2 offset:1728
	s_waitcnt vmcnt(11) lgkmcnt(2)
	v_mul_f64 v[234:235], v[172:173], v[98:99]
	v_fmac_f64_e32 v[234:235], v[174:175], v[96:97]
	v_add_f64 v[232:233], v[232:233], v[234:235]
	s_waitcnt vmcnt(10) lgkmcnt(1)
	v_mul_f64 v[234:235], v[176:177], v[102:103]
	v_fmac_f64_e32 v[234:235], v[178:179], v[100:101]
	v_mul_f64 v[186:187], v[190:191], v[186:187]
	s_waitcnt vmcnt(9) lgkmcnt(0)
	v_mul_f64 v[190:191], v[180:181], v[106:107]
	v_fma_f64 v[238:239], v[188:189], v[184:185], -v[186:187]
	ds_read_b128 v[184:187], v2 offset:1744
	v_add_f64 v[188:189], v[232:233], v[234:235]
	v_fmac_f64_e32 v[190:191], v[182:183], v[104:105]
	v_add_f64 v[232:233], v[188:189], v[190:191]
	ds_read_b128 v[188:191], v2 offset:1760
	v_mul_f64 v[194:195], v[230:231], v[194:195]
	v_fma_f64 v[244:245], v[228:229], v[192:193], -v[194:195]
	ds_read_b128 v[192:195], v2 offset:1776
	s_waitcnt vmcnt(8) lgkmcnt(2)
	v_mul_f64 v[234:235], v[184:185], v[110:111]
	v_fmac_f64_e32 v[234:235], v[186:187], v[108:109]
	s_waitcnt vmcnt(7) lgkmcnt(1)
	v_mul_f64 v[228:229], v[188:189], v[114:115]
	v_mul_f64 v[198:199], v[202:203], v[198:199]
	v_add_f64 v[232:233], v[232:233], v[234:235]
	v_fmac_f64_e32 v[228:229], v[190:191], v[112:113]
	v_fma_f64 v[246:247], v[200:201], v[196:197], -v[198:199]
	ds_read_b128 v[196:199], v2 offset:1792
	s_waitcnt vmcnt(6) lgkmcnt(1)
	v_mul_f64 v[200:201], v[192:193], v[118:119]
	v_add_f64 v[228:229], v[232:233], v[228:229]
	v_fmac_f64_e32 v[200:201], v[194:195], v[116:117]
	v_add_f64 v[228:229], v[228:229], v[200:201]
	ds_read_b128 v[200:203], v2 offset:1808
	v_mul_f64 v[206:207], v[214:215], v[206:207]
	v_add_f64 v[242:243], v[242:243], 0
	v_fma_f64 v[252:253], v[212:213], v[204:205], -v[206:207]
	ds_read_b128 v[204:207], v2 offset:1824
	v_add_f64 v[240:241], v[242:243], v[240:241]
	v_add_f64 v[236:237], v[240:241], v[236:237]
	;; [unrolled: 1-line block ×3, first 2 shown]
	s_waitcnt vmcnt(5) lgkmcnt(2)
	v_mul_f64 v[230:231], v[196:197], v[126:127]
	v_add_f64 v[236:237], v[236:237], v[244:245]
	v_fmac_f64_e32 v[230:231], v[198:199], v[124:125]
	s_waitcnt vmcnt(4) lgkmcnt(1)
	v_mul_f64 v[212:213], v[200:201], v[122:123]
	v_add_f64 v[236:237], v[236:237], v[246:247]
	v_add_f64 v[228:229], v[228:229], v[230:231]
	v_fmac_f64_e32 v[212:213], v[202:203], v[120:121]
	v_mul_f64 v[210:211], v[226:227], v[210:211]
	v_add_f64 v[252:253], v[236:237], v[252:253]
	scratch_load_dwordx4 v[236:239], off, off offset:352
	s_waitcnt vmcnt(4) lgkmcnt(0)
	v_mul_f64 v[214:215], v[204:205], v[130:131]
	v_fma_f64 v[248:249], v[224:225], v[208:209], -v[210:211]
	ds_read_b128 v[208:211], v2 offset:1840
	v_add_f64 v[212:213], v[228:229], v[212:213]
	v_fmac_f64_e32 v[214:215], v[206:207], v[128:129]
	v_add_f64 v[224:225], v[212:213], v[214:215]
	ds_read_b128 v[212:215], v2 offset:1856
	v_mul_f64 v[218:219], v[222:223], v[218:219]
	v_fma_f64 v[250:251], v[220:221], v[216:217], -v[218:219]
	ds_read_b128 v[216:219], v2 offset:1872
	s_waitcnt vmcnt(3) lgkmcnt(2)
	v_mul_f64 v[220:221], v[208:209], v[134:135]
	v_fmac_f64_e32 v[220:221], v[210:211], v[132:133]
	s_waitcnt vmcnt(2) lgkmcnt(1)
	v_mul_f64 v[222:223], v[212:213], v[138:139]
	v_add_f64 v[220:221], v[224:225], v[220:221]
	v_fmac_f64_e32 v[222:223], v[214:215], v[136:137]
	v_add_f64 v[220:221], v[220:221], v[222:223]
	ds_read_b128 v[224:227], v2 offset:1888
	scratch_load_dwordx4 v[232:235], off, off offset:960
	s_waitcnt vmcnt(2) lgkmcnt(1)
	v_mul_f64 v[222:223], v[216:217], v[142:143]
	v_fmac_f64_e32 v[222:223], v[218:219], v[140:141]
	v_add_f64 v[228:229], v[220:221], v[222:223]
	scratch_load_dwordx4 v[220:223], off, off offset:944
	v_add_f64 v[240:241], v[252:253], v[248:249]
	v_mul_f64 v[6:7], v[46:47], v[6:7]
	v_add_f64 v[240:241], v[240:241], v[250:251]
	v_fma_f64 v[4:5], v[44:45], v[4:5], -v[6:7]
	v_mul_f64 v[6:7], v[66:67], v[10:11]
	v_add_f64 v[4:5], v[240:241], v[4:5]
	v_fma_f64 v[6:7], v[64:65], v[8:9], -v[6:7]
	v_add_f64 v[4:5], v[4:5], v[6:7]
	v_mul_f64 v[6:7], v[62:63], v[14:15]
	v_fma_f64 v[6:7], v[60:61], v[12:13], -v[6:7]
	v_add_f64 v[4:5], v[4:5], v[6:7]
	v_mul_f64 v[6:7], v[58:59], v[18:19]
	;; [unrolled: 3-line block ×24, first 2 shown]
	v_fma_f64 v[6:7], v[212:213], v[136:137], -v[6:7]
	s_waitcnt vmcnt(0) lgkmcnt(0)
	v_mul_f64 v[230:231], v[224:225], v[222:223]
	v_fmac_f64_e32 v[230:231], v[226:227], v[220:221]
	v_add_f64 v[254:255], v[228:229], v[230:231]
	ds_read_b128 v[228:231], v2 offset:1904
	v_add_f64 v[4:5], v[4:5], v[6:7]
	v_mul_f64 v[6:7], v[218:219], v[142:143]
	v_fma_f64 v[6:7], v[216:217], v[140:141], -v[6:7]
	v_add_f64 v[4:5], v[4:5], v[6:7]
	v_mul_f64 v[6:7], v[226:227], v[222:223]
	v_fma_f64 v[6:7], v[224:225], v[220:221], -v[6:7]
	s_waitcnt lgkmcnt(0)
	v_mul_f64 v[2:3], v[228:229], v[234:235]
	v_add_f64 v[4:5], v[4:5], v[6:7]
	v_mul_f64 v[6:7], v[230:231], v[234:235]
	v_fmac_f64_e32 v[2:3], v[230:231], v[232:233]
	v_fma_f64 v[6:7], v[228:229], v[232:233], -v[6:7]
	v_add_f64 v[2:3], v[254:255], v[2:3]
	v_add_f64 v[4:5], v[4:5], v[6:7]
	v_add_f64 v[4:5], v[236:237], -v[4:5]
	v_add_f64 v[6:7], v[238:239], -v[2:3]
	scratch_store_dwordx4 off, v[4:7], off offset:352
	s_and_saveexec_b64 s[0:1], vcc
	s_cbranch_execz .LBB59_333
; %bb.332:
	scratch_load_dwordx4 v[2:5], off, s38
	v_mov_b32_e32 v6, 0
	v_mov_b32_e32 v7, v6
	;; [unrolled: 1-line block ×4, first 2 shown]
	v_accvgpr_read_b32 v0, a121
	scratch_store_dwordx4 off, v[6:9], off offset:336
	s_waitcnt vmcnt(1)
	ds_write_b128 v0, v[2:5]
.LBB59_333:
	s_or_b64 exec, exec, s[0:1]
	s_waitcnt lgkmcnt(0)
	; wave barrier
	scratch_load_dwordx4 v[80:83], off, off offset:352
	scratch_load_dwordx4 v[84:87], off, off offset:368
	scratch_load_dwordx4 v[88:91], off, off offset:384
	scratch_load_dwordx4 v[92:95], off, off offset:400
	scratch_load_dwordx4 v[96:99], off, off offset:416
	scratch_load_dwordx4 v[100:103], off, off offset:432
	scratch_load_dwordx4 v[104:107], off, off offset:448
	scratch_load_dwordx4 v[108:111], off, off offset:464
	scratch_load_dwordx4 v[112:115], off, off offset:480
	scratch_load_dwordx4 v[116:119], off, off offset:496
	scratch_load_dwordx4 v[120:123], off, off offset:512
	scratch_load_dwordx4 v[234:237], off, off offset:528
	scratch_load_dwordx4 v[8:11], off, off offset:544
	scratch_load_dwordx4 v[12:15], off, off offset:560
	scratch_load_dwordx4 v[16:19], off, off offset:576
	scratch_load_dwordx4 v[20:23], off, off offset:592
	scratch_load_dwordx4 v[24:27], off, off offset:608
	scratch_load_dwordx4 v[28:31], off, off offset:624
	scratch_load_dwordx4 v[32:35], off, off offset:640
	scratch_load_dwordx4 v[36:39], off, off offset:656
	scratch_load_dwordx4 v[40:43], off, off offset:672
	scratch_load_dwordx4 v[44:47], off, off offset:688
	scratch_load_dwordx4 v[48:51], off, off offset:704
	scratch_load_dwordx4 v[52:55], off, off offset:720
	scratch_load_dwordx4 v[56:59], off, off offset:736
	scratch_load_dwordx4 v[60:63], off, off offset:752
	scratch_load_dwordx4 v[64:67], off, off offset:768
	scratch_load_dwordx4 v[68:71], off, off offset:784
	scratch_load_dwordx4 v[72:75], off, off offset:800
	scratch_load_dwordx4 v[76:79], off, off offset:816
	scratch_load_dwordx4 v[124:127], off, off offset:832
	v_mov_b32_e32 v2, 0
	ds_read_b128 v[196:199], v2 offset:1296
	ds_read_b128 v[200:203], v2 offset:1312
	;; [unrolled: 1-line block ×20, first 2 shown]
	s_waitcnt vmcnt(30) lgkmcnt(14)
	v_mul_f64 v[140:141], v[196:197], v[82:83]
	s_waitcnt vmcnt(29)
	v_mul_f64 v[142:143], v[200:201], v[86:87]
	v_fmac_f64_e32 v[140:141], v[198:199], v[80:81]
	s_waitcnt vmcnt(28)
	v_mul_f64 v[152:153], v[204:205], v[90:91]
	v_fmac_f64_e32 v[142:143], v[202:203], v[84:85]
	v_add_f64 v[140:141], v[140:141], 0
	s_waitcnt vmcnt(27)
	v_mul_f64 v[154:155], v[208:209], v[94:95]
	v_fmac_f64_e32 v[152:153], v[206:207], v[88:89]
	v_add_f64 v[140:141], v[140:141], v[142:143]
	;; [unrolled: 4-line block ×4, first 2 shown]
	s_waitcnt vmcnt(24) lgkmcnt(13)
	v_mul_f64 v[164:165], v[220:221], v[106:107]
	v_fmac_f64_e32 v[162:163], v[218:219], v[100:101]
	v_add_f64 v[140:141], v[140:141], v[160:161]
	s_waitcnt vmcnt(23) lgkmcnt(12)
	v_mul_f64 v[166:167], v[224:225], v[110:111]
	v_fmac_f64_e32 v[164:165], v[222:223], v[104:105]
	v_add_f64 v[140:141], v[140:141], v[162:163]
	;; [unrolled: 4-line block ×8, first 2 shown]
	v_fmac_f64_e32 v[178:179], v[146:147], v[12:13]
	v_add_f64 v[140:141], v[140:141], v[176:177]
	v_add_f64 v[140:141], v[140:141], v[178:179]
	ds_read_b128 v[176:179], v2 offset:1568
	s_waitcnt vmcnt(16) lgkmcnt(6)
	v_mul_f64 v[180:181], v[136:137], v[18:19]
	s_waitcnt vmcnt(15) lgkmcnt(5)
	v_mul_f64 v[182:183], v[132:133], v[22:23]
	v_fmac_f64_e32 v[180:181], v[138:139], v[16:17]
	v_add_f64 v[152:153], v[140:141], v[180:181]
	v_fmac_f64_e32 v[182:183], v[134:135], v[20:21]
	scratch_load_dwordx4 v[140:143], off, off offset:848
	s_waitcnt vmcnt(15) lgkmcnt(4)
	v_mul_f64 v[154:155], v[128:129], v[26:27]
	v_add_f64 v[152:153], v[152:153], v[182:183]
	v_fmac_f64_e32 v[154:155], v[130:131], v[24:25]
	v_add_f64 v[160:161], v[152:153], v[154:155]
	ds_read_b128 v[180:183], v2 offset:1584
	s_waitcnt vmcnt(14) lgkmcnt(1)
	v_mul_f64 v[162:163], v[176:177], v[30:31]
	scratch_load_dwordx4 v[152:155], off, off offset:864
	v_fmac_f64_e32 v[162:163], v[178:179], v[28:29]
	v_add_f64 v[164:165], v[160:161], v[162:163]
	scratch_load_dwordx4 v[160:163], off, off offset:880
	s_waitcnt vmcnt(15) lgkmcnt(0)
	v_mul_f64 v[166:167], v[180:181], v[34:35]
	v_fmac_f64_e32 v[166:167], v[182:183], v[32:33]
	v_add_f64 v[168:169], v[164:165], v[166:167]
	s_waitcnt vmcnt(14)
	v_mul_f64 v[170:171], v[184:185], v[38:39]
	scratch_load_dwordx4 v[164:167], off, off offset:896
	v_fmac_f64_e32 v[170:171], v[186:187], v[36:37]
	v_add_f64 v[168:169], v[168:169], v[170:171]
	s_waitcnt vmcnt(14)
	v_mul_f64 v[170:171], v[188:189], v[42:43]
	scratch_load_dwordx4 v[172:175], off, off offset:912
	v_fmac_f64_e32 v[170:171], v[190:191], v[40:41]
	v_add_f64 v[232:233], v[168:169], v[170:171]
	scratch_load_dwordx4 v[168:171], off, off offset:928
	v_mul_f64 v[82:83], v[198:199], v[82:83]
	v_fma_f64 v[240:241], v[196:197], v[80:81], -v[82:83]
	ds_read_b128 v[196:199], v2 offset:1648
	s_waitcnt vmcnt(15)
	v_mul_f64 v[80:81], v[192:193], v[46:47]
	v_fmac_f64_e32 v[80:81], v[194:195], v[44:45]
	v_add_f64 v[232:233], v[232:233], v[80:81]
	v_mul_f64 v[80:81], v[202:203], v[86:87]
	v_fma_f64 v[242:243], v[200:201], v[84:85], -v[80:81]
	scratch_load_dwordx4 v[80:83], off, off offset:944
	ds_read_b128 v[84:87], v2 offset:1664
	v_mul_f64 v[90:91], v[206:207], v[90:91]
	v_fma_f64 v[244:245], v[204:205], v[88:89], -v[90:91]
	ds_read_b128 v[88:91], v2 offset:1680
	s_waitcnt vmcnt(15) lgkmcnt(2)
	v_mul_f64 v[200:201], v[196:197], v[50:51]
	v_fmac_f64_e32 v[200:201], v[198:199], v[48:49]
	s_waitcnt vmcnt(14) lgkmcnt(1)
	v_mul_f64 v[202:203], v[84:85], v[54:55]
	v_add_f64 v[200:201], v[232:233], v[200:201]
	v_fmac_f64_e32 v[202:203], v[86:87], v[52:53]
	v_mul_f64 v[94:95], v[210:211], v[94:95]
	v_fma_f64 v[246:247], v[208:209], v[92:93], -v[94:95]
	ds_read_b128 v[92:95], v2 offset:1696
	v_add_f64 v[200:201], v[200:201], v[202:203]
	s_waitcnt vmcnt(13) lgkmcnt(1)
	v_mul_f64 v[202:203], v[88:89], v[58:59]
	v_fmac_f64_e32 v[202:203], v[90:91], v[56:57]
	v_add_f64 v[204:205], v[200:201], v[202:203]
	ds_read_b128 v[200:203], v2 offset:1712
	v_mul_f64 v[98:99], v[214:215], v[98:99]
	v_fma_f64 v[232:233], v[212:213], v[96:97], -v[98:99]
	ds_read_b128 v[96:99], v2 offset:1728
	s_waitcnt vmcnt(12) lgkmcnt(2)
	v_mul_f64 v[206:207], v[92:93], v[62:63]
	v_fmac_f64_e32 v[206:207], v[94:95], v[60:61]
	v_add_f64 v[204:205], v[204:205], v[206:207]
	s_waitcnt vmcnt(11) lgkmcnt(1)
	v_mul_f64 v[206:207], v[200:201], v[66:67]
	v_fmac_f64_e32 v[206:207], v[202:203], v[64:65]
	v_mul_f64 v[102:103], v[218:219], v[102:103]
	v_add_f64 v[204:205], v[204:205], v[206:207]
	v_fma_f64 v[4:5], v[216:217], v[100:101], -v[102:103]
	ds_read_b128 v[100:103], v2 offset:1744
	s_waitcnt vmcnt(10) lgkmcnt(1)
	v_mul_f64 v[206:207], v[96:97], v[70:71]
	v_fmac_f64_e32 v[206:207], v[98:99], v[68:69]
	v_add_f64 v[208:209], v[204:205], v[206:207]
	ds_read_b128 v[204:207], v2 offset:1760
	v_mul_f64 v[106:107], v[222:223], v[106:107]
	v_fma_f64 v[0:1], v[220:221], v[104:105], -v[106:107]
	ds_read_b128 v[104:107], v2 offset:1776
	s_waitcnt vmcnt(9) lgkmcnt(2)
	v_mul_f64 v[210:211], v[100:101], v[74:75]
	v_fmac_f64_e32 v[210:211], v[102:103], v[72:73]
	v_add_f64 v[208:209], v[208:209], v[210:211]
	s_waitcnt vmcnt(8) lgkmcnt(1)
	v_mul_f64 v[210:211], v[204:205], v[78:79]
	v_fmac_f64_e32 v[210:211], v[206:207], v[76:77]
	v_mul_f64 v[6:7], v[226:227], v[110:111]
	v_fma_f64 v[6:7], v[224:225], v[108:109], -v[6:7]
	ds_read_b128 v[108:111], v2 offset:1792
	v_add_f64 v[208:209], v[208:209], v[210:211]
	s_waitcnt vmcnt(7) lgkmcnt(1)
	v_mul_f64 v[210:211], v[104:105], v[126:127]
	v_fmac_f64_e32 v[210:211], v[106:107], v[124:125]
	v_mul_f64 v[114:115], v[230:231], v[114:115]
	v_add_f64 v[212:213], v[208:209], v[210:211]
	ds_read_b128 v[208:211], v2 offset:1808
	v_fma_f64 v[112:113], v[228:229], v[112:113], -v[114:115]
	v_accvgpr_write_b32 a123, v113
	v_accvgpr_write_b32 a122, v112
	ds_read_b128 v[112:115], v2 offset:1824
	s_waitcnt vmcnt(6) lgkmcnt(2)
	v_mul_f64 v[214:215], v[108:109], v[142:143]
	v_fmac_f64_e32 v[214:215], v[110:111], v[140:141]
	v_add_f64 v[212:213], v[212:213], v[214:215]
	s_waitcnt vmcnt(5) lgkmcnt(1)
	v_mul_f64 v[214:215], v[208:209], v[154:155]
	v_fmac_f64_e32 v[214:215], v[210:211], v[152:153]
	v_mul_f64 v[118:119], v[250:251], v[118:119]
	v_add_f64 v[212:213], v[212:213], v[214:215]
	v_fma_f64 v[238:239], v[248:249], v[116:117], -v[118:119]
	ds_read_b128 v[116:119], v2 offset:1840
	s_waitcnt vmcnt(4) lgkmcnt(1)
	v_mul_f64 v[214:215], v[112:113], v[162:163]
	v_fmac_f64_e32 v[214:215], v[114:115], v[160:161]
	v_add_f64 v[216:217], v[212:213], v[214:215]
	ds_read_b128 v[212:215], v2 offset:1856
	v_mul_f64 v[122:123], v[254:255], v[122:123]
	v_fma_f64 v[248:249], v[252:253], v[120:121], -v[122:123]
	ds_read_b128 v[120:123], v2 offset:1872
	s_waitcnt vmcnt(3) lgkmcnt(2)
	v_mul_f64 v[218:219], v[116:117], v[166:167]
	v_fmac_f64_e32 v[218:219], v[118:119], v[164:165]
	v_add_f64 v[216:217], v[216:217], v[218:219]
	s_waitcnt vmcnt(2) lgkmcnt(1)
	v_mul_f64 v[218:219], v[212:213], v[174:175]
	v_fmac_f64_e32 v[218:219], v[214:215], v[172:173]
	v_add_f64 v[216:217], v[216:217], v[218:219]
	;; [unrolled: 4-line block ×3, first 2 shown]
	ds_read_b128 v[216:219], v2 offset:1888
	ds_read_b128 v[224:227], v2 offset:1904
	s_waitcnt vmcnt(0) lgkmcnt(1)
	v_mul_f64 v[222:223], v[216:217], v[82:83]
	v_fmac_f64_e32 v[222:223], v[218:219], v[80:81]
	v_add_f64 v[228:229], v[220:221], v[222:223]
	scratch_load_dwordx4 v[220:223], off, off offset:960
	s_waitcnt vmcnt(0) lgkmcnt(0)
	v_mul_f64 v[230:231], v[224:225], v[222:223]
	v_fmac_f64_e32 v[230:231], v[226:227], v[220:221]
	v_add_f64 v[252:253], v[228:229], v[230:231]
	v_add_f64 v[228:229], v[240:241], 0
	;; [unrolled: 1-line block ×7, first 2 shown]
	scratch_load_dwordx4 v[228:231], off, off offset:336
	v_add_f64 v[250:251], v[4:5], v[0:1]
	v_accvgpr_read_b32 v4, a122
	v_add_f64 v[0:1], v[250:251], v[6:7]
	v_accvgpr_read_b32 v5, a123
	v_add_f64 v[0:1], v[0:1], v[4:5]
	v_add_f64 v[0:1], v[0:1], v[238:239]
	v_mul_f64 v[4:5], v[158:159], v[236:237]
	v_add_f64 v[0:1], v[0:1], v[248:249]
	v_fma_f64 v[4:5], v[156:157], v[234:235], -v[4:5]
	v_add_f64 v[0:1], v[0:1], v[4:5]
	v_mul_f64 v[4:5], v[150:151], v[10:11]
	v_fma_f64 v[4:5], v[148:149], v[8:9], -v[4:5]
	v_add_f64 v[0:1], v[0:1], v[4:5]
	v_mul_f64 v[4:5], v[146:147], v[14:15]
	;; [unrolled: 3-line block ×27, first 2 shown]
	v_fma_f64 v[4:5], v[224:225], v[220:221], -v[4:5]
	v_add_f64 v[0:1], v[0:1], v[4:5]
	s_waitcnt vmcnt(0)
	v_add_f64 v[4:5], v[228:229], -v[0:1]
	v_accvgpr_read_b32 v0, a120
	v_add_f64 v[6:7], v[230:231], -v[252:253]
	v_cmp_lt_u32_e32 vcc, 19, v0
	scratch_store_dwordx4 off, v[4:7], off offset:336
	s_and_saveexec_b64 s[0:1], vcc
	s_cbranch_execz .LBB59_335
; %bb.334:
	scratch_load_dwordx4 v[6:9], off, s37
	v_mov_b32_e32 v3, v2
	v_mov_b32_e32 v4, v2
	;; [unrolled: 1-line block ×3, first 2 shown]
	v_accvgpr_read_b32 v0, a121
	scratch_store_dwordx4 off, v[2:5], off offset:320
	s_waitcnt vmcnt(1)
	ds_write_b128 v0, v[6:9]
.LBB59_335:
	s_or_b64 exec, exec, s[0:1]
	s_waitcnt lgkmcnt(0)
	; wave barrier
	scratch_load_dwordx4 v[132:135], off, off offset:336
	scratch_load_dwordx4 v[160:163], off, off offset:352
	;; [unrolled: 1-line block ×16, first 2 shown]
	ds_read_b128 v[156:159], v2 offset:1280
	ds_read_b128 v[172:175], v2 offset:1296
	scratch_load_dwordx4 v[24:27], off, off offset:592
	ds_read_b128 v[232:235], v2 offset:1312
	ds_read_b128 v[228:231], v2 offset:1328
	scratch_load_dwordx4 v[28:31], off, off offset:608
	ds_read_b128 v[236:239], v2 offset:1344
	ds_read_b128 v[184:187], v2 offset:1360
	;; [unrolled: 1-line block ×5, first 2 shown]
	scratch_load_dwordx4 v[32:35], off, off offset:624
	ds_read_b128 v[220:223], v2 offset:1424
	ds_read_b128 v[216:219], v2 offset:1440
	;; [unrolled: 1-line block ×3, first 2 shown]
	scratch_load_dwordx4 v[36:39], off, off offset:640
	ds_read_b128 v[64:67], v2 offset:1472
	ds_read_b128 v[60:63], v2 offset:1488
	;; [unrolled: 1-line block ×5, first 2 shown]
	scratch_load_dwordx4 v[52:55], off, off offset:656
	scratch_load_dwordx4 v[68:71], off, off offset:672
	;; [unrolled: 1-line block ×11, first 2 shown]
	ds_read_b128 v[144:147], v2 offset:1584
	ds_read_b128 v[148:151], v2 offset:1600
	ds_read_b128 v[152:155], v2 offset:1616
	s_waitcnt vmcnt(30) lgkmcnt(14)
	v_mul_f64 v[0:1], v[156:157], v[134:135]
	s_waitcnt vmcnt(29)
	v_mul_f64 v[108:109], v[172:173], v[162:163]
	v_fmac_f64_e32 v[0:1], v[158:159], v[132:133]
	s_waitcnt vmcnt(28)
	v_mul_f64 v[110:111], v[232:233], v[166:167]
	v_fmac_f64_e32 v[108:109], v[174:175], v[160:161]
	v_add_f64 v[0:1], v[0:1], 0
	s_waitcnt vmcnt(27)
	v_mul_f64 v[112:113], v[228:229], v[170:171]
	v_fmac_f64_e32 v[110:111], v[234:235], v[164:165]
	v_add_f64 v[0:1], v[0:1], v[108:109]
	s_waitcnt vmcnt(26)
	v_mul_f64 v[114:115], v[236:237], v[178:179]
	v_fmac_f64_e32 v[112:113], v[230:231], v[168:169]
	v_add_f64 v[0:1], v[0:1], v[110:111]
	s_waitcnt vmcnt(25)
	v_mul_f64 v[116:117], v[184:185], v[182:183]
	v_fmac_f64_e32 v[114:115], v[238:239], v[176:177]
	v_add_f64 v[0:1], v[0:1], v[112:113]
	s_waitcnt vmcnt(24) lgkmcnt(13)
	v_mul_f64 v[118:119], v[224:225], v[190:191]
	v_fmac_f64_e32 v[116:117], v[186:187], v[180:181]
	v_add_f64 v[0:1], v[0:1], v[114:115]
	s_waitcnt vmcnt(23) lgkmcnt(12)
	v_mul_f64 v[120:121], v[196:197], v[194:195]
	v_fmac_f64_e32 v[118:119], v[226:227], v[188:189]
	v_add_f64 v[0:1], v[0:1], v[116:117]
	;; [unrolled: 4-line block ×9, first 2 shown]
	v_fmac_f64_e32 v[138:139], v[58:59], v[16:17]
	v_add_f64 v[0:1], v[0:1], v[136:137]
	v_add_f64 v[0:1], v[0:1], v[138:139]
	ds_read_b128 v[136:139], v2 offset:1552
	s_waitcnt vmcnt(15) lgkmcnt(5)
	v_mul_f64 v[140:141], v[48:49], v[22:23]
	v_fmac_f64_e32 v[140:141], v[50:51], v[20:21]
	s_waitcnt vmcnt(14) lgkmcnt(4)
	v_mul_f64 v[112:113], v[44:45], v[26:27]
	scratch_load_dwordx4 v[108:111], off, off offset:832
	v_add_f64 v[0:1], v[0:1], v[140:141]
	v_fmac_f64_e32 v[112:113], v[46:47], v[24:25]
	v_add_f64 v[0:1], v[0:1], v[112:113]
	scratch_load_dwordx4 v[112:115], off, off offset:848
	ds_read_b128 v[140:143], v2 offset:1568
	s_waitcnt vmcnt(15) lgkmcnt(1)
	v_mul_f64 v[116:117], v[136:137], v[30:31]
	v_fmac_f64_e32 v[116:117], v[138:139], v[28:29]
	v_add_f64 v[0:1], v[0:1], v[116:117]
	scratch_load_dwordx4 v[116:119], off, off offset:864
	s_waitcnt vmcnt(15) lgkmcnt(0)
	v_mul_f64 v[120:121], v[140:141], v[34:35]
	v_fmac_f64_e32 v[120:121], v[142:143], v[32:33]
	s_waitcnt vmcnt(14)
	v_mul_f64 v[124:125], v[144:145], v[38:39]
	v_add_f64 v[0:1], v[0:1], v[120:121]
	scratch_load_dwordx4 v[120:123], off, off offset:880
	v_fmac_f64_e32 v[124:125], v[146:147], v[36:37]
	v_add_f64 v[0:1], v[0:1], v[124:125]
	s_waitcnt vmcnt(14)
	v_mul_f64 v[124:125], v[148:149], v[54:55]
	scratch_load_dwordx4 v[128:131], off, off offset:896
	v_fmac_f64_e32 v[124:125], v[150:151], v[52:53]
	v_add_f64 v[0:1], v[0:1], v[124:125]
	scratch_load_dwordx4 v[124:127], off, off offset:912
	v_mul_f64 v[134:135], v[158:159], v[134:135]
	v_fma_f64 v[240:241], v[156:157], v[132:133], -v[134:135]
	ds_read_b128 v[156:159], v2 offset:1632
	s_waitcnt vmcnt(15)
	v_mul_f64 v[132:133], v[152:153], v[70:71]
	v_fmac_f64_e32 v[132:133], v[154:155], v[68:69]
	v_add_f64 v[0:1], v[0:1], v[132:133]
	v_mul_f64 v[132:133], v[174:175], v[162:163]
	v_fma_f64 v[242:243], v[172:173], v[160:161], -v[132:133]
	scratch_load_dwordx4 v[132:135], off, off offset:928
	ds_read_b128 v[160:163], v2 offset:1648
	v_mul_f64 v[166:167], v[234:235], v[166:167]
	v_fma_f64 v[244:245], v[232:233], v[164:165], -v[166:167]
	ds_read_b128 v[164:167], v2 offset:1664
	s_waitcnt vmcnt(15) lgkmcnt(2)
	v_mul_f64 v[172:173], v[156:157], v[74:75]
	v_fmac_f64_e32 v[172:173], v[158:159], v[72:73]
	v_add_f64 v[0:1], v[0:1], v[172:173]
	s_waitcnt vmcnt(14) lgkmcnt(1)
	v_mul_f64 v[172:173], v[160:161], v[78:79]
	v_fmac_f64_e32 v[172:173], v[162:163], v[76:77]
	v_mul_f64 v[170:171], v[230:231], v[170:171]
	v_fma_f64 v[246:247], v[228:229], v[168:169], -v[170:171]
	ds_read_b128 v[168:171], v2 offset:1680
	v_add_f64 v[0:1], v[0:1], v[172:173]
	s_waitcnt vmcnt(13) lgkmcnt(1)
	v_mul_f64 v[172:173], v[164:165], v[82:83]
	v_fmac_f64_e32 v[172:173], v[166:167], v[80:81]
	v_add_f64 v[0:1], v[0:1], v[172:173]
	ds_read_b128 v[172:175], v2 offset:1696
	v_mul_f64 v[178:179], v[238:239], v[178:179]
	v_fma_f64 v[236:237], v[236:237], v[176:177], -v[178:179]
	ds_read_b128 v[176:179], v2 offset:1712
	s_waitcnt vmcnt(12) lgkmcnt(2)
	v_mul_f64 v[228:229], v[168:169], v[86:87]
	v_fmac_f64_e32 v[228:229], v[170:171], v[84:85]
	v_add_f64 v[0:1], v[0:1], v[228:229]
	s_waitcnt vmcnt(11) lgkmcnt(1)
	v_mul_f64 v[228:229], v[172:173], v[90:91]
	v_mul_f64 v[182:183], v[186:187], v[182:183]
	v_fmac_f64_e32 v[228:229], v[174:175], v[88:89]
	v_fma_f64 v[238:239], v[184:185], v[180:181], -v[182:183]
	ds_read_b128 v[180:183], v2 offset:1728
	s_waitcnt vmcnt(10) lgkmcnt(1)
	v_mul_f64 v[184:185], v[176:177], v[94:95]
	v_add_f64 v[0:1], v[0:1], v[228:229]
	v_fmac_f64_e32 v[184:185], v[178:179], v[92:93]
	v_add_f64 v[0:1], v[0:1], v[184:185]
	ds_read_b128 v[184:187], v2 offset:1744
	v_mul_f64 v[190:191], v[226:227], v[190:191]
	v_fma_f64 v[252:253], v[224:225], v[188:189], -v[190:191]
	ds_read_b128 v[188:191], v2 offset:1760
	s_waitcnt vmcnt(9) lgkmcnt(2)
	v_mul_f64 v[228:229], v[180:181], v[98:99]
	v_fmac_f64_e32 v[228:229], v[182:183], v[96:97]
	s_waitcnt vmcnt(8) lgkmcnt(1)
	v_mul_f64 v[224:225], v[184:185], v[102:103]
	v_mul_f64 v[194:195], v[198:199], v[194:195]
	v_add_f64 v[0:1], v[0:1], v[228:229]
	v_fmac_f64_e32 v[224:225], v[186:187], v[100:101]
	v_fma_f64 v[254:255], v[196:197], v[192:193], -v[194:195]
	s_waitcnt vmcnt(7) lgkmcnt(0)
	v_mul_f64 v[196:197], v[188:189], v[106:107]
	ds_read_b128 v[192:195], v2 offset:1776
	v_add_f64 v[0:1], v[0:1], v[224:225]
	v_fmac_f64_e32 v[196:197], v[190:191], v[104:105]
	v_add_f64 v[0:1], v[0:1], v[196:197]
	ds_read_b128 v[196:199], v2 offset:1792
	v_mul_f64 v[202:203], v[210:211], v[202:203]
	v_fma_f64 v[248:249], v[208:209], v[200:201], -v[202:203]
	ds_read_b128 v[200:203], v2 offset:1808
	s_waitcnt vmcnt(6) lgkmcnt(2)
	v_mul_f64 v[224:225], v[192:193], v[110:111]
	v_fmac_f64_e32 v[224:225], v[194:195], v[108:109]
	s_waitcnt vmcnt(5) lgkmcnt(1)
	v_mul_f64 v[208:209], v[196:197], v[114:115]
	v_add_f64 v[0:1], v[0:1], v[224:225]
	v_fmac_f64_e32 v[208:209], v[198:199], v[112:113]
	v_add_f64 v[208:209], v[0:1], v[208:209]
	v_mul_f64 v[0:1], v[222:223], v[206:207]
	v_fma_f64 v[0:1], v[220:221], v[204:205], -v[0:1]
	ds_read_b128 v[204:207], v2 offset:1824
	s_waitcnt vmcnt(4) lgkmcnt(1)
	v_mul_f64 v[210:211], v[200:201], v[118:119]
	v_fmac_f64_e32 v[210:211], v[202:203], v[116:117]
	v_add_f64 v[220:221], v[208:209], v[210:211]
	ds_read_b128 v[208:211], v2 offset:1840
	v_mul_f64 v[214:215], v[218:219], v[214:215]
	v_fma_f64 v[250:251], v[216:217], v[212:213], -v[214:215]
	ds_read_b128 v[212:215], v2 offset:1856
	s_waitcnt vmcnt(3) lgkmcnt(2)
	v_mul_f64 v[216:217], v[204:205], v[122:123]
	v_fmac_f64_e32 v[216:217], v[206:207], v[120:121]
	s_waitcnt vmcnt(2) lgkmcnt(1)
	v_mul_f64 v[218:219], v[208:209], v[130:131]
	v_add_f64 v[216:217], v[220:221], v[216:217]
	v_fmac_f64_e32 v[218:219], v[210:211], v[128:129]
	v_add_f64 v[216:217], v[216:217], v[218:219]
	s_waitcnt vmcnt(1) lgkmcnt(0)
	v_mul_f64 v[218:219], v[212:213], v[126:127]
	v_fmac_f64_e32 v[218:219], v[214:215], v[124:125]
	v_add_f64 v[220:221], v[216:217], v[218:219]
	ds_read_b128 v[216:219], v2 offset:1872
	ds_read_b128 v[224:227], v2 offset:1888
	scratch_load_dwordx4 v[232:235], off, off offset:960
	v_accvgpr_write_b32 a123, v1
	v_accvgpr_write_b32 a122, v0
	s_waitcnt vmcnt(1) lgkmcnt(1)
	v_mul_f64 v[222:223], v[216:217], v[134:135]
	v_fmac_f64_e32 v[222:223], v[218:219], v[132:133]
	v_add_f64 v[228:229], v[220:221], v[222:223]
	scratch_load_dwordx4 v[220:223], off, off offset:944
	v_mul_f64 v[6:7], v[42:43], v[6:7]
	v_fma_f64 v[4:5], v[40:41], v[4:5], -v[6:7]
	s_waitcnt vmcnt(0) lgkmcnt(0)
	v_mul_f64 v[230:231], v[224:225], v[222:223]
	v_fmac_f64_e32 v[230:231], v[226:227], v[220:221]
	v_add_f64 v[0:1], v[228:229], v[230:231]
	ds_read_b128 v[228:231], v2 offset:1904
	s_waitcnt lgkmcnt(0)
	v_mul_f64 v[2:3], v[228:229], v[234:235]
	v_fmac_f64_e32 v[2:3], v[230:231], v[232:233]
	v_add_f64 v[2:3], v[0:1], v[2:3]
	v_add_f64 v[0:1], v[240:241], 0
	;; [unrolled: 1-line block ×7, first 2 shown]
	scratch_load_dwordx4 v[236:239], off, off offset:320
	v_add_f64 v[0:1], v[0:1], v[252:253]
	v_add_f64 v[0:1], v[0:1], v[254:255]
	;; [unrolled: 1-line block ×3, first 2 shown]
	v_accvgpr_read_b32 v0, a122
	v_accvgpr_read_b32 v1, a123
	v_add_f64 v[0:1], v[252:253], v[0:1]
	v_add_f64 v[0:1], v[0:1], v[250:251]
	;; [unrolled: 1-line block ×3, first 2 shown]
	v_mul_f64 v[4:5], v[66:67], v[10:11]
	v_fma_f64 v[4:5], v[64:65], v[8:9], -v[4:5]
	v_add_f64 v[0:1], v[0:1], v[4:5]
	v_mul_f64 v[4:5], v[62:63], v[14:15]
	v_fma_f64 v[4:5], v[60:61], v[12:13], -v[4:5]
	v_add_f64 v[0:1], v[0:1], v[4:5]
	;; [unrolled: 3-line block ×28, first 2 shown]
	s_waitcnt vmcnt(0)
	v_add_f64 v[4:5], v[236:237], -v[0:1]
	v_accvgpr_read_b32 v0, a120
	v_add_f64 v[6:7], v[238:239], -v[2:3]
	v_cmp_lt_u32_e32 vcc, 18, v0
	scratch_store_dwordx4 off, v[4:7], off offset:320
	s_and_saveexec_b64 s[0:1], vcc
	s_cbranch_execz .LBB59_337
; %bb.336:
	scratch_load_dwordx4 v[2:5], off, s36
	v_mov_b32_e32 v6, 0
	v_mov_b32_e32 v7, v6
	;; [unrolled: 1-line block ×4, first 2 shown]
	v_accvgpr_read_b32 v0, a121
	scratch_store_dwordx4 off, v[6:9], off offset:304
	s_waitcnt vmcnt(1)
	ds_write_b128 v0, v[2:5]
.LBB59_337:
	s_or_b64 exec, exec, s[0:1]
	s_waitcnt lgkmcnt(0)
	; wave barrier
	scratch_load_dwordx4 v[112:115], off, off offset:320
	scratch_load_dwordx4 v[116:119], off, off offset:336
	;; [unrolled: 1-line block ×30, first 2 shown]
	v_mov_b32_e32 v2, 0
	ds_read_b128 v[144:147], v2 offset:1264
	ds_read_b128 v[156:159], v2 offset:1280
	ds_read_b128 v[168:171], v2 offset:1296
	ds_read_b128 v[180:183], v2 offset:1312
	ds_read_b128 v[192:195], v2 offset:1328
	ds_read_b128 v[204:207], v2 offset:1344
	ds_read_b128 v[212:215], v2 offset:1360
	ds_read_b128 v[216:219], v2 offset:1376
	ds_read_b128 v[220:223], v2 offset:1392
	ds_read_b128 v[224:227], v2 offset:1408
	ds_read_b128 v[228:231], v2 offset:1424
	ds_read_b128 v[248:251], v2 offset:1440
	ds_read_b128 v[252:255], v2 offset:1456
	ds_read_b128 v[84:87], v2 offset:1472
	ds_read_b128 v[80:83], v2 offset:1488
	ds_read_b128 v[76:79], v2 offset:1504
	ds_read_b128 v[72:75], v2 offset:1520
	ds_read_b128 v[132:135], v2 offset:1568
	ds_read_b128 v[136:139], v2 offset:1584
	ds_read_b128 v[140:143], v2 offset:1600
	s_waitcnt vmcnt(29) lgkmcnt(14)
	v_mul_f64 v[0:1], v[144:145], v[114:115]
	s_waitcnt vmcnt(28)
	v_mul_f64 v[88:89], v[156:157], v[118:119]
	v_fmac_f64_e32 v[0:1], v[146:147], v[112:113]
	s_waitcnt vmcnt(27)
	v_mul_f64 v[90:91], v[168:169], v[122:123]
	v_fmac_f64_e32 v[88:89], v[158:159], v[116:117]
	v_add_f64 v[0:1], v[0:1], 0
	s_waitcnt vmcnt(26)
	v_mul_f64 v[92:93], v[180:181], v[154:155]
	v_fmac_f64_e32 v[90:91], v[170:171], v[120:121]
	v_add_f64 v[0:1], v[0:1], v[88:89]
	;; [unrolled: 4-line block ×4, first 2 shown]
	s_waitcnt vmcnt(23) lgkmcnt(13)
	v_mul_f64 v[98:99], v[212:213], v[174:175]
	v_fmac_f64_e32 v[96:97], v[206:207], v[164:165]
	v_add_f64 v[0:1], v[0:1], v[94:95]
	s_waitcnt vmcnt(22) lgkmcnt(12)
	v_mul_f64 v[100:101], v[216:217], v[178:179]
	v_fmac_f64_e32 v[98:99], v[214:215], v[172:173]
	v_add_f64 v[0:1], v[0:1], v[96:97]
	s_waitcnt vmcnt(21) lgkmcnt(11)
	v_mul_f64 v[102:103], v[220:221], v[186:187]
	v_fmac_f64_e32 v[100:101], v[218:219], v[176:177]
	v_add_f64 v[0:1], v[0:1], v[98:99]
	s_waitcnt vmcnt(20) lgkmcnt(10)
	v_mul_f64 v[104:105], v[224:225], v[190:191]
	v_fmac_f64_e32 v[102:103], v[222:223], v[184:185]
	v_add_f64 v[0:1], v[0:1], v[100:101]
	s_waitcnt vmcnt(19) lgkmcnt(9)
	v_mul_f64 v[106:107], v[228:229], v[198:199]
	v_fmac_f64_e32 v[104:105], v[226:227], v[188:189]
	v_add_f64 v[0:1], v[0:1], v[102:103]
	s_waitcnt vmcnt(18) lgkmcnt(8)
	v_mul_f64 v[108:109], v[248:249], v[202:203]
	v_fmac_f64_e32 v[106:107], v[230:231], v[196:197]
	v_add_f64 v[0:1], v[0:1], v[104:105]
	s_waitcnt vmcnt(17) lgkmcnt(7)
	v_mul_f64 v[110:111], v[252:253], v[210:211]
	v_fmac_f64_e32 v[108:109], v[250:251], v[200:201]
	v_add_f64 v[0:1], v[0:1], v[106:107]
	s_waitcnt vmcnt(16) lgkmcnt(6)
	v_mul_f64 v[124:125], v[84:85], v[6:7]
	v_fmac_f64_e32 v[110:111], v[254:255], v[208:209]
	v_add_f64 v[0:1], v[0:1], v[108:109]
	s_waitcnt vmcnt(15) lgkmcnt(5)
	v_mul_f64 v[126:127], v[80:81], v[10:11]
	v_fmac_f64_e32 v[124:125], v[86:87], v[4:5]
	v_add_f64 v[0:1], v[0:1], v[110:111]
	v_fmac_f64_e32 v[126:127], v[82:83], v[8:9]
	v_add_f64 v[0:1], v[0:1], v[124:125]
	scratch_load_dwordx4 v[88:91], off, off offset:800
	s_waitcnt vmcnt(15) lgkmcnt(4)
	v_mul_f64 v[128:129], v[76:77], v[236:237]
	v_add_f64 v[0:1], v[0:1], v[126:127]
	ds_read_b128 v[124:127], v2 offset:1536
	v_fmac_f64_e32 v[128:129], v[78:79], v[234:235]
	v_add_f64 v[0:1], v[0:1], v[128:129]
	ds_read_b128 v[128:131], v2 offset:1552
	s_waitcnt vmcnt(14) lgkmcnt(5)
	v_mul_f64 v[92:93], v[72:73], v[18:19]
	v_fmac_f64_e32 v[92:93], v[74:75], v[16:17]
	v_add_f64 v[0:1], v[0:1], v[92:93]
	s_waitcnt vmcnt(13) lgkmcnt(1)
	v_mul_f64 v[96:97], v[124:125], v[22:23]
	scratch_load_dwordx4 v[92:95], off, off offset:816
	v_fmac_f64_e32 v[96:97], v[126:127], v[20:21]
	v_add_f64 v[0:1], v[0:1], v[96:97]
	s_waitcnt vmcnt(13) lgkmcnt(0)
	v_mul_f64 v[100:101], v[128:129], v[26:27]
	scratch_load_dwordx4 v[96:99], off, off offset:832
	v_fmac_f64_e32 v[100:101], v[130:131], v[24:25]
	v_add_f64 v[0:1], v[0:1], v[100:101]
	scratch_load_dwordx4 v[100:103], off, off offset:848
	s_waitcnt vmcnt(14)
	v_mul_f64 v[104:105], v[132:133], v[30:31]
	v_fmac_f64_e32 v[104:105], v[134:135], v[28:29]
	v_add_f64 v[0:1], v[0:1], v[104:105]
	s_waitcnt vmcnt(13)
	v_mul_f64 v[104:105], v[136:137], v[34:35]
	v_fmac_f64_e32 v[104:105], v[138:139], v[32:33]
	v_add_f64 v[0:1], v[0:1], v[104:105]
	scratch_load_dwordx4 v[104:107], off, off offset:864
	s_waitcnt vmcnt(13)
	v_mul_f64 v[108:109], v[140:141], v[38:39]
	v_fmac_f64_e32 v[108:109], v[142:143], v[36:37]
	v_add_f64 v[0:1], v[0:1], v[108:109]
	scratch_load_dwordx4 v[108:111], off, off offset:880
	v_mul_f64 v[114:115], v[146:147], v[114:115]
	v_fma_f64 v[240:241], v[144:145], v[112:113], -v[114:115]
	v_mul_f64 v[112:113], v[158:159], v[118:119]
	ds_read_b128 v[148:151], v2 offset:1616
	ds_read_b128 v[144:147], v2 offset:1632
	v_fma_f64 v[242:243], v[156:157], v[116:117], -v[112:113]
	scratch_load_dwordx4 v[116:119], off, off offset:896
	scratch_load_dwordx4 v[112:115], off, off offset:912
	v_mul_f64 v[122:123], v[170:171], v[122:123]
	v_fma_f64 v[244:245], v[168:169], v[120:121], -v[122:123]
	scratch_load_dwordx4 v[120:123], off, off offset:928
	s_waitcnt vmcnt(16) lgkmcnt(1)
	v_mul_f64 v[156:157], v[148:149], v[42:43]
	v_fmac_f64_e32 v[156:157], v[150:151], v[40:41]
	v_mul_f64 v[154:155], v[182:183], v[154:155]
	v_add_f64 v[0:1], v[0:1], v[156:157]
	v_fma_f64 v[246:247], v[180:181], v[152:153], -v[154:155]
	ds_read_b128 v[152:155], v2 offset:1648
	s_waitcnt vmcnt(15) lgkmcnt(1)
	v_mul_f64 v[156:157], v[144:145], v[46:47]
	v_fmac_f64_e32 v[156:157], v[146:147], v[44:45]
	v_add_f64 v[0:1], v[0:1], v[156:157]
	ds_read_b128 v[156:159], v2 offset:1664
	v_mul_f64 v[162:163], v[194:195], v[162:163]
	v_fma_f64 v[232:233], v[192:193], v[160:161], -v[162:163]
	ds_read_b128 v[160:163], v2 offset:1680
	s_waitcnt vmcnt(14) lgkmcnt(2)
	v_mul_f64 v[168:169], v[152:153], v[50:51]
	v_fmac_f64_e32 v[168:169], v[154:155], v[48:49]
	v_mul_f64 v[166:167], v[206:207], v[166:167]
	v_add_f64 v[0:1], v[0:1], v[168:169]
	s_waitcnt vmcnt(13) lgkmcnt(1)
	v_mul_f64 v[168:169], v[156:157], v[54:55]
	v_fma_f64 v[12:13], v[204:205], v[164:165], -v[166:167]
	ds_read_b128 v[164:167], v2 offset:1696
	v_accvgpr_write_b32 a125, v7
	v_fmac_f64_e32 v[168:169], v[158:159], v[52:53]
	v_accvgpr_write_b32 a124, v6
	v_accvgpr_write_b32 a123, v5
	;; [unrolled: 1-line block ×3, first 2 shown]
	v_add_f64 v[0:1], v[0:1], v[168:169]
	s_waitcnt vmcnt(12) lgkmcnt(1)
	v_mul_f64 v[6:7], v[160:161], v[58:59]
	ds_read_b128 v[168:171], v2 offset:1712
	v_fmac_f64_e32 v[6:7], v[162:163], v[56:57]
	v_accvgpr_write_b32 a129, v11
	v_add_f64 v[0:1], v[0:1], v[6:7]
	v_mul_f64 v[6:7], v[214:215], v[174:175]
	v_accvgpr_write_b32 a128, v10
	v_accvgpr_write_b32 a127, v9
	;; [unrolled: 1-line block ×3, first 2 shown]
	v_fma_f64 v[8:9], v[212:213], v[172:173], -v[6:7]
	s_waitcnt vmcnt(11) lgkmcnt(1)
	v_mul_f64 v[6:7], v[164:165], v[62:63]
	v_fmac_f64_e32 v[6:7], v[166:167], v[60:61]
	ds_read_b128 v[172:175], v2 offset:1728
	v_add_f64 v[0:1], v[0:1], v[6:7]
	s_waitcnt vmcnt(10) lgkmcnt(1)
	v_mul_f64 v[6:7], v[168:169], v[66:67]
	v_fmac_f64_e32 v[6:7], v[170:171], v[64:65]
	v_add_f64 v[0:1], v[0:1], v[6:7]
	v_mul_f64 v[6:7], v[218:219], v[178:179]
	v_fma_f64 v[10:11], v[216:217], v[176:177], -v[6:7]
	ds_read_b128 v[176:179], v2 offset:1744
	ds_read_b128 v[180:183], v2 offset:1760
	s_waitcnt vmcnt(9) lgkmcnt(2)
	v_mul_f64 v[6:7], v[172:173], v[70:71]
	v_fmac_f64_e32 v[6:7], v[174:175], v[68:69]
	v_add_f64 v[0:1], v[0:1], v[6:7]
	s_waitcnt vmcnt(8) lgkmcnt(1)
	v_mul_f64 v[6:7], v[176:177], v[90:91]
	v_fmac_f64_e32 v[6:7], v[178:179], v[88:89]
	v_add_f64 v[0:1], v[0:1], v[6:7]
	v_mul_f64 v[6:7], v[222:223], v[186:187]
	v_fma_f64 v[4:5], v[220:221], v[184:185], -v[6:7]
	ds_read_b128 v[184:187], v2 offset:1776
	v_mul_f64 v[6:7], v[226:227], v[190:191]
	v_fma_f64 v[6:7], v[224:225], v[188:189], -v[6:7]
	ds_read_b128 v[188:191], v2 offset:1792
	s_waitcnt vmcnt(7) lgkmcnt(2)
	v_mul_f64 v[14:15], v[180:181], v[94:95]
	v_fmac_f64_e32 v[14:15], v[182:183], v[92:93]
	v_add_f64 v[0:1], v[0:1], v[14:15]
	s_waitcnt vmcnt(6) lgkmcnt(1)
	v_mul_f64 v[14:15], v[184:185], v[98:99]
	v_fmac_f64_e32 v[14:15], v[186:187], v[96:97]
	v_add_f64 v[0:1], v[0:1], v[14:15]
	s_waitcnt vmcnt(5) lgkmcnt(0)
	v_mul_f64 v[14:15], v[188:189], v[102:103]
	ds_read_b128 v[192:195], v2 offset:1808
	v_fmac_f64_e32 v[14:15], v[190:191], v[100:101]
	v_add_f64 v[14:15], v[0:1], v[14:15]
	v_mul_f64 v[0:1], v[230:231], v[198:199]
	v_fma_f64 v[0:1], v[228:229], v[196:197], -v[0:1]
	ds_read_b128 v[196:199], v2 offset:1824
	v_mul_f64 v[202:203], v[250:251], v[202:203]
	s_waitcnt vmcnt(4) lgkmcnt(1)
	v_mul_f64 v[204:205], v[192:193], v[106:107]
	v_fma_f64 v[238:239], v[248:249], v[200:201], -v[202:203]
	ds_read_b128 v[200:203], v2 offset:1840
	v_fmac_f64_e32 v[204:205], v[194:195], v[104:105]
	v_add_f64 v[14:15], v[14:15], v[204:205]
	ds_read_b128 v[204:207], v2 offset:1856
	s_waitcnt vmcnt(3) lgkmcnt(2)
	v_mul_f64 v[212:213], v[196:197], v[110:111]
	v_mul_f64 v[210:211], v[254:255], v[210:211]
	v_fmac_f64_e32 v[212:213], v[198:199], v[108:109]
	v_fma_f64 v[248:249], v[252:253], v[208:209], -v[210:211]
	ds_read_b128 v[208:211], v2 offset:1872
	ds_read_b128 v[216:219], v2 offset:1888
	v_add_f64 v[14:15], v[14:15], v[212:213]
	s_waitcnt vmcnt(2) lgkmcnt(3)
	v_mul_f64 v[212:213], v[200:201], v[118:119]
	v_fmac_f64_e32 v[212:213], v[202:203], v[116:117]
	v_add_f64 v[14:15], v[14:15], v[212:213]
	s_waitcnt vmcnt(1) lgkmcnt(2)
	v_mul_f64 v[212:213], v[204:205], v[114:115]
	v_fmac_f64_e32 v[212:213], v[206:207], v[112:113]
	v_add_f64 v[14:15], v[14:15], v[212:213]
	s_waitcnt vmcnt(0) lgkmcnt(1)
	v_mul_f64 v[212:213], v[208:209], v[122:123]
	v_fmac_f64_e32 v[212:213], v[210:211], v[120:121]
	v_add_f64 v[14:15], v[14:15], v[212:213]
	scratch_load_dwordx4 v[212:215], off, off offset:944
	ds_read_b128 v[224:227], v2 offset:1904
	s_waitcnt vmcnt(0) lgkmcnt(1)
	v_mul_f64 v[220:221], v[216:217], v[214:215]
	v_fmac_f64_e32 v[220:221], v[218:219], v[212:213]
	v_add_f64 v[14:15], v[14:15], v[220:221]
	scratch_load_dwordx4 v[220:223], off, off offset:960
	s_waitcnt vmcnt(0) lgkmcnt(0)
	v_mul_f64 v[228:229], v[224:225], v[222:223]
	v_fmac_f64_e32 v[228:229], v[226:227], v[220:221]
	v_add_f64 v[252:253], v[14:15], v[228:229]
	scratch_load_dwordx4 v[228:231], off, off offset:304
	v_add_f64 v[14:15], v[240:241], 0
	v_add_f64 v[14:15], v[14:15], v[242:243]
	;; [unrolled: 1-line block ×10, first 2 shown]
	v_accvgpr_read_b32 v6, a122
	v_accvgpr_read_b32 v8, a124
	v_accvgpr_read_b32 v9, a125
	v_add_f64 v[0:1], v[4:5], v[0:1]
	v_accvgpr_read_b32 v7, a123
	v_mul_f64 v[4:5], v[86:87], v[8:9]
	v_add_f64 v[0:1], v[0:1], v[238:239]
	v_fma_f64 v[4:5], v[84:85], v[6:7], -v[4:5]
	v_accvgpr_read_b32 v6, a126
	v_add_f64 v[0:1], v[0:1], v[248:249]
	v_accvgpr_read_b32 v8, a128
	v_accvgpr_read_b32 v9, a129
	v_add_f64 v[0:1], v[0:1], v[4:5]
	v_accvgpr_read_b32 v7, a127
	v_mul_f64 v[4:5], v[82:83], v[8:9]
	v_fma_f64 v[4:5], v[80:81], v[6:7], -v[4:5]
	v_add_f64 v[0:1], v[0:1], v[4:5]
	v_mul_f64 v[4:5], v[78:79], v[236:237]
	v_fma_f64 v[4:5], v[76:77], v[234:235], -v[4:5]
	v_add_f64 v[0:1], v[0:1], v[4:5]
	;; [unrolled: 3-line block ×27, first 2 shown]
	s_waitcnt vmcnt(0)
	v_add_f64 v[4:5], v[228:229], -v[0:1]
	v_accvgpr_read_b32 v0, a120
	v_add_f64 v[6:7], v[230:231], -v[252:253]
	v_cmp_lt_u32_e32 vcc, 17, v0
	scratch_store_dwordx4 off, v[4:7], off offset:304
	s_and_saveexec_b64 s[0:1], vcc
	s_cbranch_execz .LBB59_339
; %bb.338:
	scratch_load_dwordx4 v[6:9], off, s35
	v_mov_b32_e32 v3, v2
	v_mov_b32_e32 v4, v2
	;; [unrolled: 1-line block ×3, first 2 shown]
	v_accvgpr_read_b32 v0, a121
	scratch_store_dwordx4 off, v[2:5], off offset:288
	s_waitcnt vmcnt(1)
	ds_write_b128 v0, v[6:9]
.LBB59_339:
	s_or_b64 exec, exec, s[0:1]
	s_waitcnt lgkmcnt(0)
	; wave barrier
	scratch_load_dwordx4 v[88:91], off, off offset:304
	scratch_load_dwordx4 v[92:95], off, off offset:320
	;; [unrolled: 1-line block ×17, first 2 shown]
	ds_read_b128 v[212:215], v2 offset:1248
	ds_read_b128 v[204:207], v2 offset:1264
	;; [unrolled: 1-line block ×3, first 2 shown]
	scratch_load_dwordx4 v[20:23], off, off offset:576
	ds_read_b128 v[216:219], v2 offset:1296
	ds_read_b128 v[208:211], v2 offset:1312
	;; [unrolled: 1-line block ×5, first 2 shown]
	scratch_load_dwordx4 v[24:27], off, off offset:592
	ds_read_b128 v[180:183], v2 offset:1376
	ds_read_b128 v[160:163], v2 offset:1392
	;; [unrolled: 1-line block ×3, first 2 shown]
	scratch_load_dwordx4 v[28:31], off, off offset:608
	ds_read_b128 v[172:175], v2 offset:1424
	ds_read_b128 v[148:151], v2 offset:1440
	;; [unrolled: 1-line block ×5, first 2 shown]
	scratch_load_dwordx4 v[36:39], off, off offset:624
	ds_read_b128 v[48:51], v2 offset:1504
	scratch_load_dwordx4 v[52:55], off, off offset:640
	scratch_load_dwordx4 v[56:59], off, off offset:656
	;; [unrolled: 1-line block ×9, first 2 shown]
	ds_read_b128 v[140:143], v2 offset:1520
	ds_read_b128 v[232:235], v2 offset:1584
	;; [unrolled: 1-line block ×3, first 2 shown]
	s_waitcnt vmcnt(29) lgkmcnt(14)
	v_mul_f64 v[0:1], v[212:213], v[90:91]
	s_waitcnt vmcnt(28)
	v_mul_f64 v[152:153], v[204:205], v[94:95]
	v_fmac_f64_e32 v[0:1], v[214:215], v[88:89]
	s_waitcnt vmcnt(27)
	v_mul_f64 v[154:155], v[196:197], v[98:99]
	v_fmac_f64_e32 v[152:153], v[206:207], v[92:93]
	v_add_f64 v[0:1], v[0:1], 0
	s_waitcnt vmcnt(26)
	v_mul_f64 v[164:165], v[216:217], v[102:103]
	v_fmac_f64_e32 v[154:155], v[198:199], v[96:97]
	v_add_f64 v[0:1], v[0:1], v[152:153]
	;; [unrolled: 4-line block ×4, first 2 shown]
	s_waitcnt vmcnt(23) lgkmcnt(13)
	v_mul_f64 v[170:171], v[184:185], v[114:115]
	v_fmac_f64_e32 v[168:169], v[202:203], v[108:109]
	v_add_f64 v[0:1], v[0:1], v[166:167]
	s_waitcnt vmcnt(22) lgkmcnt(12)
	v_mul_f64 v[176:177], v[156:157], v[118:119]
	v_fmac_f64_e32 v[170:171], v[186:187], v[112:113]
	v_add_f64 v[0:1], v[0:1], v[168:169]
	;; [unrolled: 4-line block ×10, first 2 shown]
	v_fmac_f64_e32 v[224:225], v[34:35], v[12:13]
	v_add_f64 v[0:1], v[0:1], v[222:223]
	ds_read_b128 v[220:223], v2 offset:1536
	v_add_f64 v[0:1], v[0:1], v[224:225]
	ds_read_b128 v[224:227], v2 offset:1552
	s_waitcnt vmcnt(13) lgkmcnt(5)
	v_mul_f64 v[164:165], v[48:49], v[18:19]
	scratch_load_dwordx4 v[152:155], off, off offset:784
	v_fmac_f64_e32 v[164:165], v[50:51], v[16:17]
	s_waitcnt vmcnt(13) lgkmcnt(4)
	v_mul_f64 v[168:169], v[140:141], v[22:23]
	v_add_f64 v[0:1], v[0:1], v[164:165]
	v_fmac_f64_e32 v[168:169], v[142:143], v[20:21]
	scratch_load_dwordx4 v[164:167], off, off offset:800
	v_add_f64 v[0:1], v[0:1], v[168:169]
	s_waitcnt vmcnt(13) lgkmcnt(1)
	v_mul_f64 v[176:177], v[220:221], v[26:27]
	scratch_load_dwordx4 v[168:171], off, off offset:816
	v_fmac_f64_e32 v[176:177], v[222:223], v[24:25]
	s_waitcnt vmcnt(13) lgkmcnt(0)
	v_mul_f64 v[188:189], v[224:225], v[30:31]
	v_add_f64 v[0:1], v[0:1], v[176:177]
	scratch_load_dwordx4 v[176:179], off, off offset:832
	v_fmac_f64_e32 v[188:189], v[226:227], v[28:29]
	v_add_f64 v[0:1], v[0:1], v[188:189]
	s_waitcnt vmcnt(13)
	v_mul_f64 v[188:189], v[228:229], v[38:39]
	v_fmac_f64_e32 v[188:189], v[230:231], v[36:37]
	v_add_f64 v[0:1], v[0:1], v[188:189]
	scratch_load_dwordx4 v[188:191], off, off offset:848
	s_waitcnt vmcnt(13)
	v_mul_f64 v[192:193], v[232:233], v[54:55]
	v_fmac_f64_e32 v[192:193], v[234:235], v[52:53]
	v_mul_f64 v[90:91], v[214:215], v[90:91]
	v_add_f64 v[0:1], v[0:1], v[192:193]
	scratch_load_dwordx4 v[192:195], off, off offset:864
	v_fma_f64 v[240:241], v[212:213], v[88:89], -v[90:91]
	v_mul_f64 v[88:89], v[206:207], v[94:95]
	ds_read_b128 v[236:239], v2 offset:1600
	ds_read_b128 v[212:215], v2 offset:1616
	v_fma_f64 v[242:243], v[204:205], v[92:93], -v[88:89]
	scratch_load_dwordx4 v[92:95], off, off offset:880
	scratch_load_dwordx4 v[88:91], off, off offset:896
	v_mul_f64 v[98:99], v[198:199], v[98:99]
	v_fma_f64 v[244:245], v[196:197], v[96:97], -v[98:99]
	scratch_load_dwordx4 v[96:99], off, off offset:912
	s_waitcnt vmcnt(16) lgkmcnt(1)
	v_mul_f64 v[204:205], v[236:237], v[58:59]
	v_mul_f64 v[102:103], v[218:219], v[102:103]
	v_fmac_f64_e32 v[204:205], v[238:239], v[56:57]
	v_fma_f64 v[216:217], v[216:217], v[100:101], -v[102:103]
	ds_read_b128 v[100:103], v2 offset:1632
	s_waitcnt vmcnt(15) lgkmcnt(1)
	v_mul_f64 v[196:197], v[212:213], v[62:63]
	v_add_f64 v[0:1], v[0:1], v[204:205]
	v_fmac_f64_e32 v[196:197], v[214:215], v[60:61]
	v_add_f64 v[0:1], v[0:1], v[196:197]
	ds_read_b128 v[196:199], v2 offset:1648
	v_mul_f64 v[106:107], v[210:211], v[106:107]
	v_fma_f64 v[218:219], v[208:209], v[104:105], -v[106:107]
	ds_read_b128 v[104:107], v2 offset:1664
	s_waitcnt vmcnt(14) lgkmcnt(2)
	v_mul_f64 v[204:205], v[100:101], v[66:67]
	v_fmac_f64_e32 v[204:205], v[102:103], v[64:65]
	v_add_f64 v[0:1], v[0:1], v[204:205]
	s_waitcnt vmcnt(13) lgkmcnt(1)
	v_mul_f64 v[204:205], v[196:197], v[70:71]
	v_mul_f64 v[110:111], v[202:203], v[110:111]
	v_fmac_f64_e32 v[204:205], v[198:199], v[68:69]
	v_fma_f64 v[246:247], v[200:201], v[108:109], -v[110:111]
	ds_read_b128 v[108:111], v2 offset:1680
	s_waitcnt vmcnt(12) lgkmcnt(1)
	v_mul_f64 v[200:201], v[104:105], v[74:75]
	v_add_f64 v[0:1], v[0:1], v[204:205]
	v_fmac_f64_e32 v[200:201], v[106:107], v[72:73]
	v_add_f64 v[0:1], v[0:1], v[200:201]
	ds_read_b128 v[200:203], v2 offset:1696
	v_mul_f64 v[114:115], v[186:187], v[114:115]
	v_fma_f64 v[252:253], v[184:185], v[112:113], -v[114:115]
	ds_read_b128 v[112:115], v2 offset:1712
	s_waitcnt vmcnt(11) lgkmcnt(2)
	v_mul_f64 v[184:185], v[108:109], v[78:79]
	v_fmac_f64_e32 v[184:185], v[110:111], v[76:77]
	v_add_f64 v[0:1], v[0:1], v[184:185]
	s_waitcnt vmcnt(10) lgkmcnt(1)
	v_mul_f64 v[184:185], v[200:201], v[82:83]
	v_mul_f64 v[118:119], v[158:159], v[118:119]
	v_fmac_f64_e32 v[184:185], v[202:203], v[80:81]
	v_fma_f64 v[254:255], v[156:157], v[116:117], -v[118:119]
	s_waitcnt vmcnt(9) lgkmcnt(0)
	v_mul_f64 v[156:157], v[112:113], v[86:87]
	v_add_f64 v[0:1], v[0:1], v[184:185]
	ds_read_b128 v[116:119], v2 offset:1728
	v_fmac_f64_e32 v[156:157], v[114:115], v[84:85]
	v_add_f64 v[0:1], v[0:1], v[156:157]
	ds_read_b128 v[156:159], v2 offset:1744
	v_mul_f64 v[122:123], v[182:183], v[122:123]
	v_fma_f64 v[248:249], v[180:181], v[120:121], -v[122:123]
	ds_read_b128 v[120:123], v2 offset:1760
	v_accvgpr_write_b32 a125, v7
	v_mul_f64 v[126:127], v[162:163], v[126:127]
	v_accvgpr_write_b32 a124, v6
	v_accvgpr_write_b32 a123, v5
	;; [unrolled: 1-line block ×3, first 2 shown]
	v_fma_f64 v[4:5], v[160:161], v[124:125], -v[126:127]
	ds_read_b128 v[124:127], v2 offset:1776
	s_waitcnt vmcnt(8) lgkmcnt(3)
	v_mul_f64 v[184:185], v[116:117], v[154:155]
	v_fmac_f64_e32 v[184:185], v[118:119], v[152:153]
	s_waitcnt vmcnt(7) lgkmcnt(2)
	v_mul_f64 v[180:181], v[156:157], v[166:167]
	v_add_f64 v[0:1], v[0:1], v[184:185]
	v_fmac_f64_e32 v[180:181], v[158:159], v[164:165]
	s_waitcnt vmcnt(6) lgkmcnt(1)
	v_mul_f64 v[6:7], v[120:121], v[170:171]
	ds_read_b128 v[160:163], v2 offset:1792
	v_add_f64 v[0:1], v[0:1], v[180:181]
	v_fmac_f64_e32 v[6:7], v[122:123], v[168:169]
	v_add_f64 v[0:1], v[0:1], v[6:7]
	s_waitcnt vmcnt(5) lgkmcnt(1)
	v_mul_f64 v[6:7], v[124:125], v[178:179]
	v_fmac_f64_e32 v[6:7], v[126:127], v[176:177]
	v_add_f64 v[0:1], v[0:1], v[6:7]
	v_mul_f64 v[6:7], v[146:147], v[130:131]
	v_fma_f64 v[6:7], v[144:145], v[128:129], -v[6:7]
	ds_read_b128 v[128:131], v2 offset:1808
	s_waitcnt vmcnt(4) lgkmcnt(1)
	v_mul_f64 v[144:145], v[160:161], v[190:191]
	v_fmac_f64_e32 v[144:145], v[162:163], v[188:189]
	v_add_f64 v[180:181], v[0:1], v[144:145]
	v_mul_f64 v[0:1], v[174:175], v[134:135]
	v_fma_f64 v[0:1], v[172:173], v[132:133], -v[0:1]
	ds_read_b128 v[132:135], v2 offset:1824
	ds_read_b128 v[144:147], v2 offset:1840
	v_mul_f64 v[138:139], v[150:151], v[138:139]
	v_fma_f64 v[250:251], v[148:149], v[136:137], -v[138:139]
	ds_read_b128 v[136:139], v2 offset:1856
	s_waitcnt vmcnt(3) lgkmcnt(3)
	v_mul_f64 v[172:173], v[128:129], v[194:195]
	v_fmac_f64_e32 v[172:173], v[130:131], v[192:193]
	s_waitcnt vmcnt(2) lgkmcnt(2)
	v_mul_f64 v[148:149], v[132:133], v[94:95]
	v_add_f64 v[172:173], v[180:181], v[172:173]
	v_fmac_f64_e32 v[148:149], v[134:135], v[92:93]
	s_waitcnt vmcnt(1) lgkmcnt(1)
	v_mul_f64 v[150:151], v[144:145], v[90:91]
	v_add_f64 v[148:149], v[172:173], v[148:149]
	v_fmac_f64_e32 v[150:151], v[146:147], v[88:89]
	v_add_f64 v[148:149], v[148:149], v[150:151]
	ds_read_b128 v[172:175], v2 offset:1872
	scratch_load_dwordx4 v[208:211], off, off offset:960
	s_waitcnt vmcnt(1) lgkmcnt(1)
	v_mul_f64 v[150:151], v[136:137], v[98:99]
	v_fmac_f64_e32 v[150:151], v[138:139], v[96:97]
	v_add_f64 v[180:181], v[148:149], v[150:151]
	scratch_load_dwordx4 v[148:151], off, off offset:928
	ds_read_b128 v[184:187], v2 offset:1888
	v_accvgpr_write_b32 a127, v1
	v_accvgpr_write_b32 a126, v0
	s_waitcnt vmcnt(0) lgkmcnt(1)
	v_mul_f64 v[182:183], v[172:173], v[150:151]
	v_fmac_f64_e32 v[182:183], v[174:175], v[148:149]
	v_add_f64 v[204:205], v[180:181], v[182:183]
	scratch_load_dwordx4 v[180:183], off, off offset:944
	s_waitcnt vmcnt(0) lgkmcnt(0)
	v_mul_f64 v[206:207], v[184:185], v[182:183]
	v_fmac_f64_e32 v[206:207], v[186:187], v[180:181]
	v_add_f64 v[0:1], v[204:205], v[206:207]
	ds_read_b128 v[204:207], v2 offset:1904
	s_waitcnt lgkmcnt(0)
	v_mul_f64 v[2:3], v[204:205], v[210:211]
	v_fmac_f64_e32 v[2:3], v[206:207], v[208:209]
	v_add_f64 v[2:3], v[0:1], v[2:3]
	v_add_f64 v[0:1], v[240:241], 0
	;; [unrolled: 1-line block ×6, first 2 shown]
	scratch_load_dwordx4 v[216:219], off, off offset:288
	v_add_f64 v[0:1], v[0:1], v[246:247]
	v_add_f64 v[0:1], v[0:1], v[252:253]
	;; [unrolled: 1-line block ×6, first 2 shown]
	v_accvgpr_read_b32 v0, a126
	v_accvgpr_read_b32 v243, a125
	;; [unrolled: 1-line block ×4, first 2 shown]
	v_add_f64 v[0:1], v[252:253], v[0:1]
	v_accvgpr_read_b32 v241, a123
	v_accvgpr_read_b32 v240, a122
	v_mul_f64 v[4:5], v[46:47], v[242:243]
	v_add_f64 v[0:1], v[0:1], v[250:251]
	v_fma_f64 v[4:5], v[44:45], v[240:241], -v[4:5]
	v_add_f64 v[0:1], v[0:1], v[4:5]
	v_mul_f64 v[4:5], v[42:43], v[10:11]
	v_fma_f64 v[4:5], v[40:41], v[8:9], -v[4:5]
	v_add_f64 v[0:1], v[0:1], v[4:5]
	v_mul_f64 v[4:5], v[34:35], v[14:15]
	;; [unrolled: 3-line block ×28, first 2 shown]
	v_fma_f64 v[4:5], v[204:205], v[208:209], -v[4:5]
	v_add_f64 v[0:1], v[0:1], v[4:5]
	s_waitcnt vmcnt(0)
	v_add_f64 v[4:5], v[216:217], -v[0:1]
	v_accvgpr_read_b32 v0, a120
	v_add_f64 v[6:7], v[218:219], -v[2:3]
	v_cmp_lt_u32_e32 vcc, 16, v0
	scratch_store_dwordx4 off, v[4:7], off offset:288
	s_and_saveexec_b64 s[0:1], vcc
	s_cbranch_execz .LBB59_341
; %bb.340:
	scratch_load_dwordx4 v[2:5], off, s34
	v_mov_b32_e32 v6, 0
	v_mov_b32_e32 v7, v6
	;; [unrolled: 1-line block ×4, first 2 shown]
	v_accvgpr_read_b32 v0, a121
	scratch_store_dwordx4 off, v[6:9], off offset:272
	s_waitcnt vmcnt(1)
	ds_write_b128 v0, v[2:5]
.LBB59_341:
	s_or_b64 exec, exec, s[0:1]
	s_waitcnt lgkmcnt(0)
	; wave barrier
	scratch_load_dwordx4 v[96:99], off, off offset:288
	scratch_load_dwordx4 v[100:103], off, off offset:304
	;; [unrolled: 1-line block ×30, first 2 shown]
	v_mov_b32_e32 v2, 0
	ds_read_b128 v[136:139], v2 offset:1232
	ds_read_b128 v[144:147], v2 offset:1248
	;; [unrolled: 1-line block ×20, first 2 shown]
	s_waitcnt vmcnt(29) lgkmcnt(14)
	v_mul_f64 v[0:1], v[136:137], v[98:99]
	s_waitcnt vmcnt(28)
	v_mul_f64 v[72:73], v[144:145], v[102:103]
	v_fmac_f64_e32 v[0:1], v[138:139], v[96:97]
	s_waitcnt vmcnt(27)
	v_mul_f64 v[74:75], v[148:149], v[106:107]
	v_fmac_f64_e32 v[72:73], v[146:147], v[100:101]
	v_add_f64 v[0:1], v[0:1], 0
	s_waitcnt vmcnt(26)
	v_mul_f64 v[76:77], v[164:165], v[110:111]
	v_fmac_f64_e32 v[74:75], v[150:151], v[104:105]
	v_add_f64 v[0:1], v[0:1], v[72:73]
	s_waitcnt vmcnt(25)
	v_mul_f64 v[78:79], v[176:177], v[114:115]
	v_fmac_f64_e32 v[76:77], v[166:167], v[108:109]
	v_add_f64 v[0:1], v[0:1], v[74:75]
	s_waitcnt vmcnt(24)
	v_mul_f64 v[80:81], v[188:189], v[154:155]
	v_fmac_f64_e32 v[78:79], v[178:179], v[112:113]
	v_add_f64 v[0:1], v[0:1], v[76:77]
	s_waitcnt vmcnt(23) lgkmcnt(13)
	v_mul_f64 v[82:83], v[200:201], v[158:159]
	v_fmac_f64_e32 v[80:81], v[190:191], v[152:153]
	v_add_f64 v[0:1], v[0:1], v[78:79]
	s_waitcnt vmcnt(22) lgkmcnt(12)
	v_mul_f64 v[84:85], v[208:209], v[162:163]
	v_fmac_f64_e32 v[82:83], v[202:203], v[156:157]
	v_add_f64 v[0:1], v[0:1], v[80:81]
	;; [unrolled: 4-line block ×9, first 2 shown]
	s_waitcnt vmcnt(14) lgkmcnt(4)
	v_mul_f64 v[120:121], v[68:69], v[6:7]
	v_fmac_f64_e32 v[118:119], v[254:255], v[204:205]
	v_accvgpr_write_b32 a125, v7
	v_add_f64 v[0:1], v[0:1], v[116:117]
	v_fmac_f64_e32 v[120:121], v[70:71], v[4:5]
	v_accvgpr_write_b32 a124, v6
	v_accvgpr_write_b32 a123, v5
	;; [unrolled: 1-line block ×3, first 2 shown]
	v_add_f64 v[0:1], v[0:1], v[118:119]
	ds_read_b128 v[116:119], v2 offset:1504
	s_waitcnt vmcnt(13)
	v_mov_b64_e32 v[4:5], v[8:9]
	v_mov_b64_e32 v[6:7], v[10:11]
	s_waitcnt lgkmcnt(4)
	v_mul_f64 v[76:77], v[64:65], v[6:7]
	scratch_load_dwordx4 v[72:75], off, off offset:768
	v_add_f64 v[0:1], v[0:1], v[120:121]
	v_fmac_f64_e32 v[76:77], v[66:67], v[4:5]
	s_waitcnt vmcnt(13)
	v_mov_b64_e32 v[4:5], v[12:13]
	v_add_f64 v[0:1], v[0:1], v[76:77]
	v_mov_b64_e32 v[6:7], v[14:15]
	scratch_load_dwordx4 v[76:79], off, off offset:784
	ds_read_b128 v[120:123], v2 offset:1520
	s_waitcnt lgkmcnt(1)
	v_mul_f64 v[80:81], v[116:117], v[6:7]
	v_fmac_f64_e32 v[80:81], v[118:119], v[4:5]
	v_add_f64 v[0:1], v[0:1], v[80:81]
	scratch_load_dwordx4 v[80:83], off, off offset:800
	s_waitcnt vmcnt(14) lgkmcnt(0)
	v_mul_f64 v[84:85], v[120:121], v[236:237]
	v_fmac_f64_e32 v[84:85], v[122:123], v[234:235]
	s_waitcnt vmcnt(13)
	v_mul_f64 v[88:89], v[124:125], v[22:23]
	v_add_f64 v[0:1], v[0:1], v[84:85]
	v_fmac_f64_e32 v[88:89], v[126:127], v[20:21]
	scratch_load_dwordx4 v[84:87], off, off offset:816
	v_add_f64 v[0:1], v[0:1], v[88:89]
	s_waitcnt vmcnt(13)
	v_mul_f64 v[88:89], v[128:129], v[26:27]
	v_fmac_f64_e32 v[88:89], v[130:131], v[24:25]
	v_add_f64 v[0:1], v[0:1], v[88:89]
	scratch_load_dwordx4 v[88:91], off, off offset:832
	s_waitcnt vmcnt(13)
	v_mul_f64 v[92:93], v[132:133], v[30:31]
	v_fmac_f64_e32 v[92:93], v[134:135], v[28:29]
	v_add_f64 v[0:1], v[0:1], v[92:93]
	scratch_load_dwordx4 v[92:95], off, off offset:848
	v_mul_f64 v[98:99], v[138:139], v[98:99]
	v_fma_f64 v[240:241], v[136:137], v[96:97], -v[98:99]
	v_mul_f64 v[96:97], v[146:147], v[102:103]
	ds_read_b128 v[140:143], v2 offset:1584
	ds_read_b128 v[136:139], v2 offset:1600
	v_fma_f64 v[242:243], v[144:145], v[100:101], -v[96:97]
	scratch_load_dwordx4 v[100:103], off, off offset:864
	scratch_load_dwordx4 v[96:99], off, off offset:880
	s_waitcnt vmcnt(15) lgkmcnt(1)
	v_mul_f64 v[144:145], v[140:141], v[34:35]
	v_fmac_f64_e32 v[144:145], v[142:143], v[32:33]
	v_mul_f64 v[106:107], v[150:151], v[106:107]
	v_add_f64 v[0:1], v[0:1], v[144:145]
	s_waitcnt vmcnt(14) lgkmcnt(0)
	v_mul_f64 v[144:145], v[136:137], v[38:39]
	v_fma_f64 v[244:245], v[148:149], v[104:105], -v[106:107]
	v_mul_f64 v[104:105], v[166:167], v[110:111]
	v_fmac_f64_e32 v[144:145], v[138:139], v[36:37]
	v_fma_f64 v[246:247], v[164:165], v[108:109], -v[104:105]
	scratch_load_dwordx4 v[104:107], off, off offset:896
	v_add_f64 v[0:1], v[0:1], v[144:145]
	ds_read_b128 v[144:147], v2 offset:1616
	ds_read_b128 v[148:151], v2 offset:1632
	v_mul_f64 v[108:109], v[178:179], v[114:115]
	v_fma_f64 v[232:233], v[176:177], v[112:113], -v[108:109]
	scratch_load_dwordx4 v[108:111], off, off offset:912
	s_waitcnt vmcnt(15) lgkmcnt(1)
	v_mul_f64 v[112:113], v[144:145], v[42:43]
	v_fmac_f64_e32 v[112:113], v[146:147], v[40:41]
	v_add_f64 v[0:1], v[0:1], v[112:113]
	v_mul_f64 v[112:113], v[190:191], v[154:155]
	v_fma_f64 v[16:17], v[188:189], v[152:153], -v[112:113]
	scratch_load_dwordx4 v[112:115], off, off offset:928
	ds_read_b128 v[152:155], v2 offset:1648
	s_waitcnt vmcnt(15) lgkmcnt(1)
	v_mul_f64 v[6:7], v[148:149], v[46:47]
	v_fmac_f64_e32 v[6:7], v[150:151], v[44:45]
	v_accvgpr_write_b32 a133, v15
	v_add_f64 v[0:1], v[0:1], v[6:7]
	v_mul_f64 v[6:7], v[202:203], v[158:159]
	v_accvgpr_write_b32 a132, v14
	v_accvgpr_write_b32 a131, v13
	;; [unrolled: 1-line block ×3, first 2 shown]
	v_fma_f64 v[12:13], v[200:201], v[156:157], -v[6:7]
	ds_read_b128 v[156:159], v2 offset:1664
	s_waitcnt vmcnt(14) lgkmcnt(1)
	v_mul_f64 v[6:7], v[152:153], v[50:51]
	v_fmac_f64_e32 v[6:7], v[154:155], v[48:49]
	v_accvgpr_write_b32 a129, v11
	v_add_f64 v[0:1], v[0:1], v[6:7]
	v_mul_f64 v[6:7], v[210:211], v[162:163]
	v_accvgpr_write_b32 a128, v10
	v_accvgpr_write_b32 a127, v9
	;; [unrolled: 1-line block ×3, first 2 shown]
	v_fma_f64 v[10:11], v[208:209], v[160:161], -v[6:7]
	ds_read_b128 v[160:163], v2 offset:1680
	ds_read_b128 v[164:167], v2 offset:1696
	s_waitcnt vmcnt(13) lgkmcnt(2)
	v_mul_f64 v[6:7], v[156:157], v[54:55]
	v_fmac_f64_e32 v[6:7], v[158:159], v[52:53]
	v_add_f64 v[0:1], v[0:1], v[6:7]
	s_waitcnt vmcnt(12) lgkmcnt(1)
	v_mul_f64 v[6:7], v[160:161], v[62:63]
	v_fmac_f64_e32 v[6:7], v[162:163], v[60:61]
	v_add_f64 v[0:1], v[0:1], v[6:7]
	v_mul_f64 v[6:7], v[214:215], v[170:171]
	v_fma_f64 v[8:9], v[212:213], v[168:169], -v[6:7]
	s_waitcnt vmcnt(11) lgkmcnt(0)
	v_mul_f64 v[6:7], v[164:165], v[58:59]
	v_fmac_f64_e32 v[6:7], v[166:167], v[56:57]
	ds_read_b128 v[168:171], v2 offset:1712
	v_add_f64 v[0:1], v[0:1], v[6:7]
	v_mul_f64 v[6:7], v[218:219], v[174:175]
	v_fma_f64 v[14:15], v[216:217], v[172:173], -v[6:7]
	ds_read_b128 v[172:175], v2 offset:1728
	s_waitcnt vmcnt(10) lgkmcnt(1)
	v_mul_f64 v[6:7], v[168:169], v[74:75]
	ds_read_b128 v[176:179], v2 offset:1744
	v_fmac_f64_e32 v[6:7], v[170:171], v[72:73]
	v_add_f64 v[0:1], v[0:1], v[6:7]
	s_waitcnt vmcnt(9) lgkmcnt(1)
	v_mul_f64 v[6:7], v[172:173], v[78:79]
	v_fmac_f64_e32 v[6:7], v[174:175], v[76:77]
	v_add_f64 v[0:1], v[0:1], v[6:7]
	v_mul_f64 v[6:7], v[222:223], v[182:183]
	v_fma_f64 v[4:5], v[220:221], v[180:181], -v[6:7]
	ds_read_b128 v[180:183], v2 offset:1760
	s_waitcnt vmcnt(8) lgkmcnt(1)
	v_mul_f64 v[6:7], v[176:177], v[82:83]
	v_fmac_f64_e32 v[6:7], v[178:179], v[80:81]
	v_add_f64 v[0:1], v[0:1], v[6:7]
	v_mul_f64 v[6:7], v[226:227], v[186:187]
	v_fma_f64 v[6:7], v[224:225], v[184:185], -v[6:7]
	ds_read_b128 v[184:187], v2 offset:1776
	ds_read_b128 v[188:191], v2 offset:1792
	s_waitcnt vmcnt(7) lgkmcnt(2)
	v_mul_f64 v[18:19], v[180:181], v[86:87]
	v_fmac_f64_e32 v[18:19], v[182:183], v[84:85]
	v_add_f64 v[0:1], v[0:1], v[18:19]
	s_waitcnt vmcnt(6) lgkmcnt(1)
	v_mul_f64 v[18:19], v[184:185], v[90:91]
	v_fmac_f64_e32 v[18:19], v[186:187], v[88:89]
	v_add_f64 v[18:19], v[0:1], v[18:19]
	v_mul_f64 v[0:1], v[230:231], v[194:195]
	v_fma_f64 v[0:1], v[228:229], v[192:193], -v[0:1]
	ds_read_b128 v[192:195], v2 offset:1808
	s_waitcnt vmcnt(5) lgkmcnt(1)
	v_mul_f64 v[200:201], v[188:189], v[94:95]
	v_fmac_f64_e32 v[200:201], v[190:191], v[92:93]
	v_mul_f64 v[198:199], v[250:251], v[198:199]
	v_fma_f64 v[238:239], v[248:249], v[196:197], -v[198:199]
	ds_read_b128 v[196:199], v2 offset:1824
	v_add_f64 v[18:19], v[18:19], v[200:201]
	s_waitcnt vmcnt(4) lgkmcnt(1)
	v_mul_f64 v[200:201], v[192:193], v[102:103]
	v_fmac_f64_e32 v[200:201], v[194:195], v[100:101]
	v_add_f64 v[18:19], v[18:19], v[200:201]
	ds_read_b128 v[200:203], v2 offset:1840
	v_mul_f64 v[206:207], v[254:255], v[206:207]
	v_fma_f64 v[248:249], v[252:253], v[204:205], -v[206:207]
	ds_read_b128 v[204:207], v2 offset:1856
	s_waitcnt vmcnt(3) lgkmcnt(2)
	v_mul_f64 v[208:209], v[196:197], v[98:99]
	v_fmac_f64_e32 v[208:209], v[198:199], v[96:97]
	v_add_f64 v[18:19], v[18:19], v[208:209]
	s_waitcnt vmcnt(2) lgkmcnt(1)
	v_mul_f64 v[208:209], v[200:201], v[106:107]
	v_fmac_f64_e32 v[208:209], v[202:203], v[104:105]
	v_add_f64 v[18:19], v[18:19], v[208:209]
	;; [unrolled: 4-line block ×3, first 2 shown]
	ds_read_b128 v[208:211], v2 offset:1872
	ds_read_b128 v[216:219], v2 offset:1888
	;; [unrolled: 1-line block ×3, first 2 shown]
	s_waitcnt vmcnt(0) lgkmcnt(2)
	v_mul_f64 v[212:213], v[208:209], v[114:115]
	v_fmac_f64_e32 v[212:213], v[210:211], v[112:113]
	v_add_f64 v[18:19], v[18:19], v[212:213]
	scratch_load_dwordx4 v[212:215], off, off offset:944
	s_waitcnt vmcnt(0) lgkmcnt(1)
	v_mul_f64 v[220:221], v[216:217], v[214:215]
	v_fmac_f64_e32 v[220:221], v[218:219], v[212:213]
	v_add_f64 v[18:19], v[18:19], v[220:221]
	scratch_load_dwordx4 v[220:223], off, off offset:960
	;; [unrolled: 5-line block ×3, first 2 shown]
	v_add_f64 v[18:19], v[240:241], 0
	v_add_f64 v[18:19], v[18:19], v[242:243]
	;; [unrolled: 1-line block ×12, first 2 shown]
	v_accvgpr_read_b32 v6, a122
	v_accvgpr_read_b32 v8, a124
	;; [unrolled: 1-line block ×3, first 2 shown]
	v_add_f64 v[0:1], v[4:5], v[0:1]
	v_accvgpr_read_b32 v7, a123
	v_mul_f64 v[4:5], v[70:71], v[8:9]
	v_add_f64 v[0:1], v[0:1], v[238:239]
	v_fma_f64 v[4:5], v[68:69], v[6:7], -v[4:5]
	v_accvgpr_read_b32 v6, a126
	v_add_f64 v[0:1], v[0:1], v[248:249]
	v_accvgpr_read_b32 v8, a128
	v_accvgpr_read_b32 v9, a129
	v_add_f64 v[0:1], v[0:1], v[4:5]
	v_accvgpr_read_b32 v7, a127
	v_mul_f64 v[4:5], v[66:67], v[8:9]
	v_fma_f64 v[4:5], v[64:65], v[6:7], -v[4:5]
	v_accvgpr_read_b32 v6, a130
	v_accvgpr_read_b32 v8, a132
	;; [unrolled: 1-line block ×3, first 2 shown]
	v_add_f64 v[0:1], v[0:1], v[4:5]
	v_accvgpr_read_b32 v7, a131
	v_mul_f64 v[4:5], v[118:119], v[8:9]
	v_fma_f64 v[4:5], v[116:117], v[6:7], -v[4:5]
	v_add_f64 v[0:1], v[0:1], v[4:5]
	v_mul_f64 v[4:5], v[122:123], v[236:237]
	v_fma_f64 v[4:5], v[120:121], v[234:235], -v[4:5]
	v_add_f64 v[0:1], v[0:1], v[4:5]
	;; [unrolled: 3-line block ×26, first 2 shown]
	s_waitcnt vmcnt(0)
	v_add_f64 v[4:5], v[228:229], -v[0:1]
	v_accvgpr_read_b32 v0, a120
	v_add_f64 v[6:7], v[230:231], -v[252:253]
	v_cmp_lt_u32_e32 vcc, 15, v0
	scratch_store_dwordx4 off, v[4:7], off offset:272
	s_and_saveexec_b64 s[0:1], vcc
	s_cbranch_execz .LBB59_343
; %bb.342:
	scratch_load_dwordx4 v[6:9], off, s33
	v_mov_b32_e32 v3, v2
	v_mov_b32_e32 v4, v2
	;; [unrolled: 1-line block ×3, first 2 shown]
	v_accvgpr_read_b32 v0, a121
	scratch_store_dwordx4 off, v[2:5], off offset:256
	s_waitcnt vmcnt(1)
	ds_write_b128 v0, v[6:9]
.LBB59_343:
	s_or_b64 exec, exec, s[0:1]
	s_waitcnt lgkmcnt(0)
	; wave barrier
	scratch_load_dwordx4 v[72:75], off, off offset:272
	scratch_load_dwordx4 v[76:79], off, off offset:288
	;; [unrolled: 1-line block ×17, first 2 shown]
	ds_read_b128 v[176:179], v2 offset:1216
	ds_read_b128 v[192:195], v2 offset:1232
	ds_read_b128 v[188:191], v2 offset:1248
	scratch_load_dwordx4 v[20:23], off, off offset:544
	ds_read_b128 v[236:239], v2 offset:1264
	ds_read_b128 v[232:235], v2 offset:1280
	;; [unrolled: 1-line block ×5, first 2 shown]
	scratch_load_dwordx4 v[168:171], off, off offset:560
	ds_read_b128 v[224:227], v2 offset:1344
	ds_read_b128 v[212:215], v2 offset:1360
	;; [unrolled: 1-line block ×3, first 2 shown]
	scratch_load_dwordx4 v[12:15], off, off offset:576
	ds_read_b128 v[216:219], v2 offset:1392
	ds_read_b128 v[204:207], v2 offset:1408
	;; [unrolled: 1-line block ×5, first 2 shown]
	scratch_load_dwordx4 v[28:31], off, off offset:592
	ds_read_b128 v[32:35], v2 offset:1472
	scratch_load_dwordx4 v[36:39], off, off offset:608
	scratch_load_dwordx4 v[40:43], off, off offset:624
	;; [unrolled: 1-line block ×9, first 2 shown]
	ds_read_b128 v[132:135], v2 offset:1488
	s_waitcnt lgkmcnt(2)
	v_accvgpr_write_b32 a129, v19
	v_accvgpr_write_b32 a128, v18
	;; [unrolled: 1-line block ×4, first 2 shown]
	ds_read_b128 v[172:175], v2 offset:1552
	s_waitcnt vmcnt(29)
	v_mul_f64 v[0:1], v[176:177], v[74:75]
	s_waitcnt vmcnt(28)
	v_mul_f64 v[136:137], v[192:193], v[78:79]
	v_fmac_f64_e32 v[0:1], v[178:179], v[72:73]
	s_waitcnt vmcnt(27)
	v_mul_f64 v[138:139], v[188:189], v[82:83]
	v_fmac_f64_e32 v[136:137], v[194:195], v[76:77]
	v_add_f64 v[0:1], v[0:1], 0
	s_waitcnt vmcnt(26)
	v_mul_f64 v[140:141], v[236:237], v[86:87]
	v_fmac_f64_e32 v[138:139], v[190:191], v[80:81]
	v_add_f64 v[0:1], v[0:1], v[136:137]
	;; [unrolled: 4-line block ×14, first 2 shown]
	v_fmac_f64_e32 v[164:165], v[18:19], v[4:5]
	v_add_f64 v[0:1], v[0:1], v[162:163]
	s_waitcnt vmcnt(13) lgkmcnt(2)
	v_mul_f64 v[140:141], v[32:33], v[26:27]
	scratch_load_dwordx4 v[136:139], off, off offset:752
	v_add_f64 v[0:1], v[0:1], v[164:165]
	v_fmac_f64_e32 v[140:141], v[34:35], v[24:25]
	v_add_f64 v[0:1], v[0:1], v[140:141]
	ds_read_b128 v[160:163], v2 offset:1504
	scratch_load_dwordx4 v[140:143], off, off offset:768
	ds_read_b128 v[164:167], v2 offset:1520
	s_waitcnt vmcnt(13)
	v_mov_b64_e32 v[16:17], v[168:169]
	v_mov_b64_e32 v[18:19], v[170:171]
	ds_read_b128 v[168:171], v2 offset:1536
	s_waitcnt lgkmcnt(4)
	v_mul_f64 v[144:145], v[132:133], v[22:23]
	v_fmac_f64_e32 v[144:145], v[134:135], v[20:21]
	s_waitcnt lgkmcnt(2)
	v_mul_f64 v[148:149], v[160:161], v[18:19]
	v_add_f64 v[0:1], v[0:1], v[144:145]
	v_fmac_f64_e32 v[148:149], v[162:163], v[16:17]
	s_waitcnt vmcnt(12) lgkmcnt(1)
	v_mul_f64 v[152:153], v[164:165], v[14:15]
	scratch_load_dwordx4 v[144:147], off, off offset:784
	v_add_f64 v[0:1], v[0:1], v[148:149]
	v_fmac_f64_e32 v[152:153], v[166:167], v[12:13]
	scratch_load_dwordx4 v[148:151], off, off offset:800
	v_add_f64 v[0:1], v[0:1], v[152:153]
	s_waitcnt vmcnt(13) lgkmcnt(0)
	v_mul_f64 v[152:153], v[168:169], v[30:31]
	v_fmac_f64_e32 v[152:153], v[170:171], v[28:29]
	v_add_f64 v[0:1], v[0:1], v[152:153]
	scratch_load_dwordx4 v[152:155], off, off offset:816
	s_waitcnt vmcnt(13)
	v_mul_f64 v[156:157], v[172:173], v[38:39]
	v_fmac_f64_e32 v[156:157], v[174:175], v[36:37]
	v_mul_f64 v[74:75], v[178:179], v[74:75]
	v_add_f64 v[0:1], v[0:1], v[156:157]
	scratch_load_dwordx4 v[156:159], off, off offset:832
	v_fma_f64 v[240:241], v[176:177], v[72:73], -v[74:75]
	v_mul_f64 v[72:73], v[194:195], v[78:79]
	ds_read_b128 v[180:183], v2 offset:1568
	ds_read_b128 v[176:179], v2 offset:1584
	v_fma_f64 v[242:243], v[192:193], v[76:77], -v[72:73]
	scratch_load_dwordx4 v[76:79], off, off offset:848
	scratch_load_dwordx4 v[72:75], off, off offset:864
	v_mul_f64 v[82:83], v[190:191], v[82:83]
	v_fma_f64 v[244:245], v[188:189], v[80:81], -v[82:83]
	v_mul_f64 v[80:81], v[238:239], v[86:87]
	v_fma_f64 v[236:237], v[236:237], v[84:85], -v[80:81]
	scratch_load_dwordx4 v[80:83], off, off offset:880
	ds_read_b128 v[188:191], v2 offset:1600
	v_mul_f64 v[84:85], v[234:235], v[90:91]
	s_waitcnt vmcnt(16) lgkmcnt(2)
	v_mul_f64 v[192:193], v[180:181], v[42:43]
	v_fma_f64 v[238:239], v[232:233], v[88:89], -v[84:85]
	scratch_load_dwordx4 v[84:87], off, off offset:896
	v_fmac_f64_e32 v[192:193], v[182:183], v[40:41]
	v_add_f64 v[0:1], v[0:1], v[192:193]
	s_waitcnt vmcnt(16) lgkmcnt(1)
	v_mul_f64 v[192:193], v[176:177], v[46:47]
	v_fmac_f64_e32 v[192:193], v[178:179], v[44:45]
	v_add_f64 v[0:1], v[0:1], v[192:193]
	ds_read_b128 v[192:195], v2 offset:1616
	s_waitcnt vmcnt(15) lgkmcnt(1)
	v_mul_f64 v[88:89], v[188:189], v[50:51]
	v_fmac_f64_e32 v[88:89], v[190:191], v[48:49]
	v_add_f64 v[0:1], v[0:1], v[88:89]
	v_mul_f64 v[88:89], v[230:231], v[94:95]
	v_fma_f64 v[246:247], v[228:229], v[92:93], -v[88:89]
	scratch_load_dwordx4 v[88:91], off, off offset:912
	scratch_load_dwordx4 v[232:235], off, off offset:960
	ds_read_b128 v[92:95], v2 offset:1632
	v_mul_f64 v[98:99], v[222:223], v[98:99]
	v_fma_f64 v[252:253], v[220:221], v[96:97], -v[98:99]
	ds_read_b128 v[96:99], v2 offset:1648
	v_mul_f64 v[102:103], v[210:211], v[102:103]
	s_waitcnt vmcnt(16) lgkmcnt(2)
	v_mul_f64 v[228:229], v[192:193], v[54:55]
	v_fma_f64 v[254:255], v[208:209], v[100:101], -v[102:103]
	ds_read_b128 v[100:103], v2 offset:1664
	ds_read_b128 v[208:211], v2 offset:1680
	v_fmac_f64_e32 v[228:229], v[194:195], v[52:53]
	s_waitcnt vmcnt(15) lgkmcnt(3)
	v_mul_f64 v[220:221], v[92:93], v[58:59]
	v_add_f64 v[0:1], v[0:1], v[228:229]
	v_fmac_f64_e32 v[220:221], v[94:95], v[56:57]
	v_mul_f64 v[106:107], v[226:227], v[106:107]
	v_add_f64 v[0:1], v[0:1], v[220:221]
	s_waitcnt vmcnt(14) lgkmcnt(2)
	v_mul_f64 v[220:221], v[96:97], v[62:63]
	v_fma_f64 v[248:249], v[224:225], v[104:105], -v[106:107]
	ds_read_b128 v[104:107], v2 offset:1696
	v_fmac_f64_e32 v[220:221], v[98:99], v[60:61]
	v_mul_f64 v[110:111], v[214:215], v[110:111]
	v_add_f64 v[0:1], v[0:1], v[220:221]
	s_waitcnt vmcnt(13) lgkmcnt(2)
	v_mul_f64 v[220:221], v[100:101], v[70:71]
	v_fma_f64 v[8:9], v[212:213], v[108:109], -v[110:111]
	ds_read_b128 v[108:111], v2 offset:1712
	v_fmac_f64_e32 v[220:221], v[102:103], v[68:69]
	v_accvgpr_write_b32 a125, v7
	v_add_f64 v[0:1], v[0:1], v[220:221]
	s_waitcnt vmcnt(12) lgkmcnt(2)
	v_mul_f64 v[220:221], v[208:209], v[66:67]
	v_accvgpr_write_b32 a124, v6
	v_accvgpr_write_b32 a123, v5
	;; [unrolled: 1-line block ×3, first 2 shown]
	v_fmac_f64_e32 v[220:221], v[210:211], v[64:65]
	s_waitcnt vmcnt(11) lgkmcnt(1)
	v_mul_f64 v[6:7], v[104:105], v[138:139]
	v_add_f64 v[0:1], v[0:1], v[220:221]
	v_fmac_f64_e32 v[6:7], v[106:107], v[136:137]
	v_add_f64 v[0:1], v[0:1], v[6:7]
	s_waitcnt vmcnt(10) lgkmcnt(0)
	v_mul_f64 v[6:7], v[108:109], v[142:143]
	v_fmac_f64_e32 v[6:7], v[110:111], v[140:141]
	ds_read_b128 v[212:215], v2 offset:1728
	v_add_f64 v[0:1], v[0:1], v[6:7]
	v_mul_f64 v[6:7], v[202:203], v[114:115]
	v_fma_f64 v[6:7], v[200:201], v[112:113], -v[6:7]
	ds_read_b128 v[112:115], v2 offset:1744
	v_mul_f64 v[118:119], v[218:219], v[118:119]
	v_fma_f64 v[4:5], v[216:217], v[116:117], -v[118:119]
	ds_read_b128 v[116:119], v2 offset:1760
	s_waitcnt vmcnt(9) lgkmcnt(2)
	v_mul_f64 v[200:201], v[212:213], v[146:147]
	v_fmac_f64_e32 v[200:201], v[214:215], v[144:145]
	s_waitcnt vmcnt(8) lgkmcnt(1)
	v_mul_f64 v[10:11], v[112:113], v[150:151]
	v_add_f64 v[0:1], v[0:1], v[200:201]
	v_fmac_f64_e32 v[10:11], v[114:115], v[148:149]
	v_add_f64 v[0:1], v[0:1], v[10:11]
	ds_read_b128 v[200:203], v2 offset:1776
	s_waitcnt vmcnt(7) lgkmcnt(1)
	v_mul_f64 v[10:11], v[116:117], v[154:155]
	v_fmac_f64_e32 v[10:11], v[118:119], v[152:153]
	v_add_f64 v[10:11], v[0:1], v[10:11]
	v_mul_f64 v[0:1], v[206:207], v[122:123]
	v_fma_f64 v[0:1], v[204:205], v[120:121], -v[0:1]
	ds_read_b128 v[120:123], v2 offset:1792
	v_mul_f64 v[126:127], v[198:199], v[126:127]
	v_fma_f64 v[124:125], v[196:197], v[124:125], -v[126:127]
	s_waitcnt vmcnt(6) lgkmcnt(1)
	v_mul_f64 v[204:205], v[200:201], v[158:159]
	v_accvgpr_write_b32 a131, v125
	v_fmac_f64_e32 v[204:205], v[202:203], v[156:157]
	v_accvgpr_write_b32 a130, v124
	ds_read_b128 v[124:127], v2 offset:1808
	s_waitcnt vmcnt(5) lgkmcnt(1)
	v_mul_f64 v[196:197], v[120:121], v[78:79]
	v_add_f64 v[10:11], v[10:11], v[204:205]
	v_fmac_f64_e32 v[196:197], v[122:123], v[76:77]
	v_add_f64 v[10:11], v[10:11], v[196:197]
	ds_read_b128 v[196:199], v2 offset:1824
	v_mul_f64 v[130:131], v[186:187], v[130:131]
	v_fma_f64 v[250:251], v[184:185], v[128:129], -v[130:131]
	ds_read_b128 v[128:131], v2 offset:1840
	s_waitcnt vmcnt(4) lgkmcnt(2)
	v_mul_f64 v[184:185], v[124:125], v[74:75]
	v_fmac_f64_e32 v[184:185], v[126:127], v[72:73]
	v_add_f64 v[10:11], v[10:11], v[184:185]
	s_waitcnt vmcnt(3) lgkmcnt(1)
	v_mul_f64 v[184:185], v[196:197], v[82:83]
	v_fmac_f64_e32 v[184:185], v[198:199], v[80:81]
	v_add_f64 v[10:11], v[10:11], v[184:185]
	;; [unrolled: 4-line block ×3, first 2 shown]
	ds_read_b128 v[184:187], v2 offset:1856
	ds_read_b128 v[216:219], v2 offset:1872
	;; [unrolled: 1-line block ×3, first 2 shown]
	s_waitcnt vmcnt(1) lgkmcnt(2)
	v_mul_f64 v[204:205], v[184:185], v[90:91]
	v_fmac_f64_e32 v[204:205], v[186:187], v[88:89]
	v_add_f64 v[10:11], v[10:11], v[204:205]
	scratch_load_dwordx4 v[204:207], off, off offset:928
	s_waitcnt vmcnt(0) lgkmcnt(1)
	v_mul_f64 v[220:221], v[216:217], v[206:207]
	v_fmac_f64_e32 v[220:221], v[218:219], v[204:205]
	v_add_f64 v[10:11], v[10:11], v[220:221]
	scratch_load_dwordx4 v[220:223], off, off offset:944
	s_waitcnt vmcnt(0) lgkmcnt(0)
	v_mul_f64 v[228:229], v[224:225], v[222:223]
	v_fmac_f64_e32 v[228:229], v[226:227], v[220:221]
	v_add_f64 v[10:11], v[10:11], v[228:229]
	ds_read_b128 v[228:231], v2 offset:1904
	s_waitcnt lgkmcnt(0)
	v_mul_f64 v[2:3], v[228:229], v[234:235]
	v_fmac_f64_e32 v[2:3], v[230:231], v[232:233]
	v_add_f64 v[2:3], v[10:11], v[2:3]
	v_add_f64 v[10:11], v[240:241], 0
	;; [unrolled: 1-line block ×6, first 2 shown]
	scratch_load_dwordx4 v[236:239], off, off offset:256
	v_add_f64 v[10:11], v[10:11], v[246:247]
	v_add_f64 v[10:11], v[10:11], v[252:253]
	;; [unrolled: 1-line block ×8, first 2 shown]
	v_accvgpr_read_b32 v0, a130
	v_accvgpr_read_b32 v6, a122
	;; [unrolled: 1-line block ×7, first 2 shown]
	v_add_f64 v[0:1], v[252:253], v[0:1]
	v_accvgpr_read_b32 v7, a123
	v_accvgpr_read_b32 v241, a127
	;; [unrolled: 1-line block ×3, first 2 shown]
	v_mul_f64 v[4:5], v[242:243], v[8:9]
	v_add_f64 v[0:1], v[0:1], v[250:251]
	v_fma_f64 v[4:5], v[240:241], v[6:7], -v[4:5]
	v_add_f64 v[0:1], v[0:1], v[4:5]
	v_mul_f64 v[4:5], v[34:35], v[26:27]
	v_fma_f64 v[4:5], v[32:33], v[24:25], -v[4:5]
	v_add_f64 v[0:1], v[0:1], v[4:5]
	v_mul_f64 v[4:5], v[134:135], v[22:23]
	;; [unrolled: 3-line block ×28, first 2 shown]
	v_fma_f64 v[4:5], v[228:229], v[232:233], -v[4:5]
	v_add_f64 v[0:1], v[0:1], v[4:5]
	s_waitcnt vmcnt(0)
	v_add_f64 v[4:5], v[236:237], -v[0:1]
	v_accvgpr_read_b32 v0, a120
	v_add_f64 v[6:7], v[238:239], -v[2:3]
	v_cmp_lt_u32_e32 vcc, 14, v0
	scratch_store_dwordx4 off, v[4:7], off offset:256
	s_and_saveexec_b64 s[0:1], vcc
	s_cbranch_execz .LBB59_345
; %bb.344:
	scratch_load_dwordx4 v[2:5], off, s31
	v_mov_b32_e32 v6, 0
	v_mov_b32_e32 v7, v6
	;; [unrolled: 1-line block ×4, first 2 shown]
	v_accvgpr_read_b32 v0, a121
	scratch_store_dwordx4 off, v[6:9], off offset:240
	s_waitcnt vmcnt(1)
	ds_write_b128 v0, v[2:5]
.LBB59_345:
	s_or_b64 exec, exec, s[0:1]
	s_waitcnt lgkmcnt(0)
	; wave barrier
	scratch_load_dwordx4 v[80:83], off, off offset:256
	scratch_load_dwordx4 v[84:87], off, off offset:272
	;; [unrolled: 1-line block ×29, first 2 shown]
	v_mov_b32_e32 v2, 0
	ds_read_b128 v[132:135], v2 offset:1200
	ds_read_b128 v[136:139], v2 offset:1216
	;; [unrolled: 1-line block ×22, first 2 shown]
	s_waitcnt vmcnt(28) lgkmcnt(14)
	v_mul_f64 v[0:1], v[132:133], v[82:83]
	s_waitcnt vmcnt(27)
	v_mul_f64 v[56:57], v[136:137], v[86:87]
	v_fmac_f64_e32 v[0:1], v[134:135], v[80:81]
	s_waitcnt vmcnt(26)
	v_mul_f64 v[58:59], v[140:141], v[90:91]
	v_fmac_f64_e32 v[56:57], v[138:139], v[84:85]
	v_add_f64 v[0:1], v[0:1], 0
	s_waitcnt vmcnt(25)
	v_mul_f64 v[60:61], v[148:149], v[94:95]
	v_fmac_f64_e32 v[58:59], v[142:143], v[88:89]
	v_add_f64 v[0:1], v[0:1], v[56:57]
	;; [unrolled: 4-line block ×6, first 2 shown]
	s_waitcnt vmcnt(20) lgkmcnt(13)
	v_mul_f64 v[70:71], v[204:205], v[154:155]
	v_fmac_f64_e32 v[68:69], v[198:199], v[144:145]
	v_add_f64 v[0:1], v[0:1], v[66:67]
	s_waitcnt vmcnt(19) lgkmcnt(12)
	v_mul_f64 v[72:73], v[208:209], v[158:159]
	v_fmac_f64_e32 v[70:71], v[206:207], v[152:153]
	v_add_f64 v[0:1], v[0:1], v[68:69]
	;; [unrolled: 4-line block ×8, first 2 shown]
	v_fmac_f64_e32 v[112:113], v[250:251], v[192:193]
	v_add_f64 v[0:1], v[0:1], v[110:111]
	s_waitcnt vmcnt(12) lgkmcnt(5)
	v_mul_f64 v[60:61], v[252:253], v[202:203]
	scratch_load_dwordx4 v[56:59], off, off offset:720
	ds_read_b128 v[108:111], v2 offset:1488
	v_add_f64 v[0:1], v[0:1], v[112:113]
	v_fmac_f64_e32 v[60:61], v[254:255], v[200:201]
	v_add_f64 v[0:1], v[0:1], v[60:61]
	s_waitcnt vmcnt(12) lgkmcnt(5)
	v_mul_f64 v[64:65], v[52:53], v[6:7]
	scratch_load_dwordx4 v[60:63], off, off offset:736
	v_accvgpr_write_b32 a125, v7
	v_fmac_f64_e32 v[64:65], v[54:55], v[4:5]
	v_accvgpr_write_b32 a124, v6
	v_accvgpr_write_b32 a123, v5
	;; [unrolled: 1-line block ×3, first 2 shown]
	ds_read_b128 v[112:115], v2 offset:1504
	s_waitcnt vmcnt(12)
	v_mov_b64_e32 v[4:5], v[8:9]
	v_mov_b64_e32 v[6:7], v[10:11]
	s_waitcnt lgkmcnt(1)
	v_mul_f64 v[68:69], v[108:109], v[6:7]
	v_fmac_f64_e32 v[68:69], v[110:111], v[4:5]
	s_waitcnt vmcnt(11)
	v_mov_b64_e32 v[4:5], v[12:13]
	v_add_f64 v[0:1], v[0:1], v[64:65]
	v_mov_b64_e32 v[6:7], v[14:15]
	scratch_load_dwordx4 v[64:67], off, off offset:752
	v_add_f64 v[0:1], v[0:1], v[68:69]
	s_waitcnt lgkmcnt(0)
	v_mul_f64 v[68:69], v[112:113], v[6:7]
	v_fmac_f64_e32 v[68:69], v[114:115], v[4:5]
	s_waitcnt vmcnt(11)
	v_mov_b64_e32 v[4:5], v[16:17]
	v_add_f64 v[0:1], v[0:1], v[68:69]
	scratch_load_dwordx4 v[68:71], off, off offset:768
	v_mov_b64_e32 v[6:7], v[18:19]
	v_mul_f64 v[76:77], v[116:117], v[6:7]
	scratch_load_dwordx4 v[72:75], off, off offset:784
	v_fmac_f64_e32 v[76:77], v[118:119], v[4:5]
	v_add_f64 v[0:1], v[0:1], v[76:77]
	s_waitcnt vmcnt(12)
	v_mul_f64 v[76:77], v[120:121], v[236:237]
	v_fmac_f64_e32 v[76:77], v[122:123], v[234:235]
	v_add_f64 v[0:1], v[0:1], v[76:77]
	scratch_load_dwordx4 v[76:79], off, off offset:800
	v_mul_f64 v[82:83], v[134:135], v[82:83]
	v_fma_f64 v[240:241], v[132:133], v[80:81], -v[82:83]
	scratch_load_dwordx4 v[80:83], off, off offset:816
	v_mul_f64 v[86:87], v[138:139], v[86:87]
	v_fma_f64 v[242:243], v[136:137], v[84:85], -v[86:87]
	scratch_load_dwordx4 v[84:87], off, off offset:832
	v_mul_f64 v[90:91], v[142:143], v[90:91]
	s_waitcnt vmcnt(14)
	v_mul_f64 v[132:133], v[124:125], v[26:27]
	v_fma_f64 v[244:245], v[140:141], v[88:89], -v[90:91]
	scratch_load_dwordx4 v[88:91], off, off offset:848
	v_fmac_f64_e32 v[132:133], v[126:127], v[24:25]
	s_waitcnt vmcnt(14)
	v_mul_f64 v[136:137], v[128:129], v[30:31]
	v_mul_f64 v[94:95], v[150:151], v[94:95]
	v_add_f64 v[0:1], v[0:1], v[132:133]
	v_fmac_f64_e32 v[136:137], v[130:131], v[28:29]
	v_fma_f64 v[246:247], v[148:149], v[92:93], -v[94:95]
	v_mul_f64 v[92:93], v[162:163], v[98:99]
	ds_read_b128 v[132:135], v2 offset:1584
	v_add_f64 v[0:1], v[0:1], v[136:137]
	ds_read_b128 v[136:139], v2 offset:1600
	v_fma_f64 v[232:233], v[160:161], v[96:97], -v[92:93]
	scratch_load_dwordx4 v[96:99], off, off offset:864
	scratch_load_dwordx4 v[92:95], off, off offset:880
	v_mul_f64 v[102:103], v[174:175], v[102:103]
	v_fma_f64 v[20:21], v[172:173], v[100:101], -v[102:103]
	scratch_load_dwordx4 v[100:103], off, off offset:896
	v_accvgpr_write_b32 a137, v19
	v_mul_f64 v[6:7], v[186:187], v[106:107]
	v_accvgpr_write_b32 a136, v18
	v_accvgpr_write_b32 a135, v17
	;; [unrolled: 1-line block ×3, first 2 shown]
	v_fma_f64 v[16:17], v[184:185], v[104:105], -v[6:7]
	scratch_load_dwordx4 v[104:107], off, off offset:912
	s_waitcnt vmcnt(17) lgkmcnt(1)
	v_mul_f64 v[140:141], v[132:133], v[34:35]
	v_fmac_f64_e32 v[140:141], v[134:135], v[32:33]
	v_add_f64 v[0:1], v[0:1], v[140:141]
	ds_read_b128 v[140:143], v2 offset:1616
	v_accvgpr_write_b32 a133, v15
	v_mul_f64 v[6:7], v[198:199], v[146:147]
	v_accvgpr_write_b32 a132, v14
	v_accvgpr_write_b32 a131, v13
	;; [unrolled: 1-line block ×3, first 2 shown]
	v_fma_f64 v[12:13], v[196:197], v[144:145], -v[6:7]
	ds_read_b128 v[144:147], v2 offset:1632
	s_waitcnt vmcnt(16) lgkmcnt(2)
	v_mul_f64 v[148:149], v[136:137], v[38:39]
	v_fmac_f64_e32 v[148:149], v[138:139], v[36:37]
	v_add_f64 v[0:1], v[0:1], v[148:149]
	s_waitcnt vmcnt(15) lgkmcnt(1)
	v_mul_f64 v[6:7], v[140:141], v[42:43]
	ds_read_b128 v[148:151], v2 offset:1648
	v_fmac_f64_e32 v[6:7], v[142:143], v[40:41]
	v_add_f64 v[0:1], v[0:1], v[6:7]
	s_waitcnt vmcnt(14) lgkmcnt(1)
	v_mul_f64 v[6:7], v[144:145], v[46:47]
	v_fmac_f64_e32 v[6:7], v[146:147], v[44:45]
	v_accvgpr_write_b32 a129, v11
	v_add_f64 v[0:1], v[0:1], v[6:7]
	v_mul_f64 v[6:7], v[206:207], v[154:155]
	v_accvgpr_write_b32 a128, v10
	v_accvgpr_write_b32 a127, v9
	;; [unrolled: 1-line block ×3, first 2 shown]
	v_fma_f64 v[10:11], v[204:205], v[152:153], -v[6:7]
	ds_read_b128 v[152:155], v2 offset:1664
	s_waitcnt vmcnt(13) lgkmcnt(1)
	v_mul_f64 v[6:7], v[148:149], v[50:51]
	v_fmac_f64_e32 v[6:7], v[150:151], v[48:49]
	v_add_f64 v[0:1], v[0:1], v[6:7]
	v_mul_f64 v[6:7], v[210:211], v[158:159]
	v_fma_f64 v[14:15], v[208:209], v[156:157], -v[6:7]
	ds_read_b128 v[156:159], v2 offset:1680
	ds_read_b128 v[160:163], v2 offset:1696
	s_waitcnt vmcnt(12) lgkmcnt(2)
	v_mul_f64 v[6:7], v[152:153], v[58:59]
	v_fmac_f64_e32 v[6:7], v[154:155], v[56:57]
	v_add_f64 v[0:1], v[0:1], v[6:7]
	s_waitcnt vmcnt(11) lgkmcnt(1)
	v_mul_f64 v[6:7], v[156:157], v[62:63]
	v_fmac_f64_e32 v[6:7], v[158:159], v[60:61]
	v_add_f64 v[0:1], v[0:1], v[6:7]
	v_mul_f64 v[6:7], v[214:215], v[166:167]
	v_fma_f64 v[8:9], v[212:213], v[164:165], -v[6:7]
	ds_read_b128 v[164:167], v2 offset:1712
	v_mul_f64 v[18:19], v[218:219], v[170:171]
	v_fma_f64 v[18:19], v[216:217], v[168:169], -v[18:19]
	ds_read_b128 v[168:171], v2 offset:1728
	s_waitcnt vmcnt(10) lgkmcnt(2)
	v_mul_f64 v[6:7], v[160:161], v[66:67]
	v_fmac_f64_e32 v[6:7], v[162:163], v[64:65]
	v_add_f64 v[0:1], v[0:1], v[6:7]
	s_waitcnt vmcnt(9) lgkmcnt(1)
	v_mul_f64 v[6:7], v[164:165], v[70:71]
	ds_read_b128 v[172:175], v2 offset:1744
	v_fmac_f64_e32 v[6:7], v[166:167], v[68:69]
	v_add_f64 v[0:1], v[0:1], v[6:7]
	s_waitcnt vmcnt(8) lgkmcnt(1)
	v_mul_f64 v[6:7], v[168:169], v[74:75]
	v_fmac_f64_e32 v[6:7], v[170:171], v[72:73]
	v_add_f64 v[0:1], v[0:1], v[6:7]
	v_mul_f64 v[6:7], v[222:223], v[178:179]
	v_fma_f64 v[4:5], v[220:221], v[176:177], -v[6:7]
	ds_read_b128 v[176:179], v2 offset:1760
	s_waitcnt vmcnt(7) lgkmcnt(1)
	v_mul_f64 v[6:7], v[172:173], v[78:79]
	v_fmac_f64_e32 v[6:7], v[174:175], v[76:77]
	v_add_f64 v[0:1], v[0:1], v[6:7]
	v_mul_f64 v[6:7], v[226:227], v[182:183]
	v_fma_f64 v[6:7], v[224:225], v[180:181], -v[6:7]
	ds_read_b128 v[180:183], v2 offset:1776
	ds_read_b128 v[184:187], v2 offset:1792
	s_waitcnt vmcnt(6) lgkmcnt(2)
	v_mul_f64 v[22:23], v[176:177], v[82:83]
	v_fmac_f64_e32 v[22:23], v[178:179], v[80:81]
	v_add_f64 v[0:1], v[0:1], v[22:23]
	s_waitcnt vmcnt(5) lgkmcnt(1)
	v_mul_f64 v[22:23], v[180:181], v[86:87]
	v_fmac_f64_e32 v[22:23], v[182:183], v[84:85]
	v_add_f64 v[22:23], v[0:1], v[22:23]
	v_mul_f64 v[0:1], v[230:231], v[190:191]
	v_fma_f64 v[0:1], v[228:229], v[188:189], -v[0:1]
	ds_read_b128 v[188:191], v2 offset:1808
	s_waitcnt vmcnt(4) lgkmcnt(1)
	v_mul_f64 v[196:197], v[184:185], v[90:91]
	v_fmac_f64_e32 v[196:197], v[186:187], v[88:89]
	v_mul_f64 v[194:195], v[250:251], v[194:195]
	v_fma_f64 v[238:239], v[248:249], v[192:193], -v[194:195]
	ds_read_b128 v[192:195], v2 offset:1824
	v_add_f64 v[22:23], v[22:23], v[196:197]
	s_waitcnt vmcnt(3) lgkmcnt(1)
	v_mul_f64 v[196:197], v[188:189], v[98:99]
	v_fmac_f64_e32 v[196:197], v[190:191], v[96:97]
	v_add_f64 v[22:23], v[22:23], v[196:197]
	ds_read_b128 v[196:199], v2 offset:1840
	v_mul_f64 v[202:203], v[254:255], v[202:203]
	v_fma_f64 v[248:249], v[252:253], v[200:201], -v[202:203]
	ds_read_b128 v[200:203], v2 offset:1856
	s_waitcnt vmcnt(2) lgkmcnt(2)
	v_mul_f64 v[204:205], v[192:193], v[94:95]
	v_fmac_f64_e32 v[204:205], v[194:195], v[92:93]
	v_add_f64 v[22:23], v[22:23], v[204:205]
	s_waitcnt vmcnt(1) lgkmcnt(1)
	v_mul_f64 v[204:205], v[196:197], v[102:103]
	v_fmac_f64_e32 v[204:205], v[198:199], v[100:101]
	v_add_f64 v[22:23], v[22:23], v[204:205]
	s_waitcnt vmcnt(0) lgkmcnt(0)
	v_mul_f64 v[204:205], v[200:201], v[106:107]
	v_fmac_f64_e32 v[204:205], v[202:203], v[104:105]
	v_add_f64 v[22:23], v[22:23], v[204:205]
	scratch_load_dwordx4 v[204:207], off, off offset:928
	ds_read_b128 v[208:211], v2 offset:1872
	ds_read_b128 v[216:219], v2 offset:1888
	;; [unrolled: 1-line block ×3, first 2 shown]
	s_waitcnt vmcnt(0) lgkmcnt(2)
	v_mul_f64 v[212:213], v[208:209], v[206:207]
	v_fmac_f64_e32 v[212:213], v[210:211], v[204:205]
	v_add_f64 v[22:23], v[22:23], v[212:213]
	scratch_load_dwordx4 v[212:215], off, off offset:944
	s_waitcnt vmcnt(0) lgkmcnt(1)
	v_mul_f64 v[220:221], v[216:217], v[214:215]
	v_fmac_f64_e32 v[220:221], v[218:219], v[212:213]
	v_add_f64 v[22:23], v[22:23], v[220:221]
	scratch_load_dwordx4 v[220:223], off, off offset:960
	;; [unrolled: 5-line block ×3, first 2 shown]
	v_add_f64 v[22:23], v[240:241], 0
	v_add_f64 v[22:23], v[22:23], v[242:243]
	;; [unrolled: 1-line block ×14, first 2 shown]
	v_accvgpr_read_b32 v6, a122
	v_accvgpr_read_b32 v8, a124
	;; [unrolled: 1-line block ×3, first 2 shown]
	v_add_f64 v[0:1], v[4:5], v[0:1]
	v_accvgpr_read_b32 v7, a123
	v_mul_f64 v[4:5], v[54:55], v[8:9]
	v_add_f64 v[0:1], v[0:1], v[238:239]
	v_fma_f64 v[4:5], v[52:53], v[6:7], -v[4:5]
	v_accvgpr_read_b32 v6, a126
	v_add_f64 v[0:1], v[0:1], v[248:249]
	v_accvgpr_read_b32 v8, a128
	v_accvgpr_read_b32 v9, a129
	v_add_f64 v[0:1], v[0:1], v[4:5]
	v_accvgpr_read_b32 v7, a127
	v_mul_f64 v[4:5], v[110:111], v[8:9]
	v_fma_f64 v[4:5], v[108:109], v[6:7], -v[4:5]
	v_accvgpr_read_b32 v6, a130
	v_accvgpr_read_b32 v8, a132
	;; [unrolled: 1-line block ×3, first 2 shown]
	v_add_f64 v[0:1], v[0:1], v[4:5]
	v_accvgpr_read_b32 v7, a131
	v_mul_f64 v[4:5], v[114:115], v[8:9]
	v_fma_f64 v[4:5], v[112:113], v[6:7], -v[4:5]
	v_accvgpr_read_b32 v6, a134
	v_accvgpr_read_b32 v8, a136
	;; [unrolled: 1-line block ×3, first 2 shown]
	v_add_f64 v[0:1], v[0:1], v[4:5]
	v_accvgpr_read_b32 v7, a135
	v_mul_f64 v[4:5], v[118:119], v[8:9]
	v_fma_f64 v[4:5], v[116:117], v[6:7], -v[4:5]
	v_add_f64 v[0:1], v[0:1], v[4:5]
	v_mul_f64 v[4:5], v[122:123], v[236:237]
	v_fma_f64 v[4:5], v[120:121], v[234:235], -v[4:5]
	v_add_f64 v[0:1], v[0:1], v[4:5]
	;; [unrolled: 3-line block ×25, first 2 shown]
	s_waitcnt vmcnt(0)
	v_add_f64 v[4:5], v[228:229], -v[0:1]
	v_accvgpr_read_b32 v0, a120
	v_add_f64 v[6:7], v[230:231], -v[252:253]
	v_cmp_lt_u32_e32 vcc, 13, v0
	scratch_store_dwordx4 off, v[4:7], off offset:240
	s_and_saveexec_b64 s[0:1], vcc
	s_cbranch_execz .LBB59_347
; %bb.346:
	scratch_load_dwordx4 v[6:9], off, s30
	v_mov_b32_e32 v3, v2
	v_mov_b32_e32 v4, v2
	;; [unrolled: 1-line block ×3, first 2 shown]
	v_accvgpr_read_b32 v0, a121
	scratch_store_dwordx4 off, v[2:5], off offset:224
	s_waitcnt vmcnt(1)
	ds_write_b128 v0, v[6:9]
.LBB59_347:
	s_or_b64 exec, exec, s[0:1]
	s_waitcnt lgkmcnt(0)
	; wave barrier
	scratch_load_dwordx4 v[80:83], off, off offset:240
	scratch_load_dwordx4 v[84:87], off, off offset:256
	;; [unrolled: 1-line block ×17, first 2 shown]
	ds_read_b128 v[136:139], v2 offset:1184
	ds_read_b128 v[132:135], v2 offset:1200
	scratch_load_dwordx4 v[4:7], off, off offset:512
	ds_read_b128 v[236:239], v2 offset:1216
	ds_read_b128 v[228:231], v2 offset:1232
	;; [unrolled: 1-line block ×5, first 2 shown]
	scratch_load_dwordx4 v[8:11], off, off offset:528
	ds_read_b128 v[232:235], v2 offset:1296
	ds_read_b128 v[216:219], v2 offset:1312
	;; [unrolled: 1-line block ×3, first 2 shown]
	scratch_load_dwordx4 v[12:15], off, off offset:544
	ds_read_b128 v[220:223], v2 offset:1344
	ds_read_b128 v[172:175], v2 offset:1360
	;; [unrolled: 1-line block ×5, first 2 shown]
	scratch_load_dwordx4 v[16:19], off, off offset:560
	ds_read_b128 v[208:211], v2 offset:1424
	ds_read_b128 v[204:207], v2 offset:1440
	;; [unrolled: 1-line block ×3, first 2 shown]
	scratch_load_dwordx4 v[24:27], off, off offset:576
	scratch_load_dwordx4 v[28:31], off, off offset:592
	;; [unrolled: 1-line block ×8, first 2 shown]
	ds_read_b128 v[116:119], v2 offset:1504
	ds_read_b128 v[120:123], v2 offset:1520
	;; [unrolled: 1-line block ×4, first 2 shown]
	s_waitcnt vmcnt(28) lgkmcnt(14)
	v_mul_f64 v[0:1], v[136:137], v[82:83]
	s_waitcnt vmcnt(27)
	v_mul_f64 v[56:57], v[132:133], v[86:87]
	v_fmac_f64_e32 v[0:1], v[138:139], v[80:81]
	s_waitcnt vmcnt(26)
	v_mul_f64 v[58:59], v[236:237], v[90:91]
	v_fmac_f64_e32 v[56:57], v[134:135], v[84:85]
	v_add_f64 v[0:1], v[0:1], 0
	s_waitcnt vmcnt(25)
	v_mul_f64 v[60:61], v[228:229], v[94:95]
	v_fmac_f64_e32 v[58:59], v[238:239], v[88:89]
	v_add_f64 v[0:1], v[0:1], v[56:57]
	;; [unrolled: 4-line block ×6, first 2 shown]
	s_waitcnt vmcnt(20) lgkmcnt(13)
	v_mul_f64 v[70:71], v[216:217], v[154:155]
	v_fmac_f64_e32 v[68:69], v[234:235], v[144:145]
	v_add_f64 v[0:1], v[0:1], v[66:67]
	s_waitcnt vmcnt(19) lgkmcnt(12)
	v_mul_f64 v[72:73], v[160:161], v[158:159]
	v_fmac_f64_e32 v[70:71], v[218:219], v[152:153]
	v_add_f64 v[0:1], v[0:1], v[68:69]
	s_waitcnt vmcnt(18) lgkmcnt(11)
	v_mul_f64 v[74:75], v[220:221], v[166:167]
	v_fmac_f64_e32 v[72:73], v[162:163], v[156:157]
	v_add_f64 v[0:1], v[0:1], v[70:71]
	s_waitcnt vmcnt(17) lgkmcnt(10)
	v_mul_f64 v[76:77], v[172:173], v[170:171]
	v_fmac_f64_e32 v[74:75], v[222:223], v[164:165]
	v_add_f64 v[0:1], v[0:1], v[72:73]
	s_waitcnt vmcnt(16) lgkmcnt(9)
	v_mul_f64 v[78:79], v[212:213], v[178:179]
	v_fmac_f64_e32 v[76:77], v[174:175], v[168:169]
	v_add_f64 v[0:1], v[0:1], v[74:75]
	s_waitcnt vmcnt(15) lgkmcnt(8)
	v_mul_f64 v[108:109], v[184:185], v[182:183]
	v_fmac_f64_e32 v[78:79], v[214:215], v[176:177]
	v_add_f64 v[0:1], v[0:1], v[76:77]
	s_waitcnt vmcnt(14) lgkmcnt(7)
	v_mul_f64 v[110:111], v[196:197], v[190:191]
	v_fmac_f64_e32 v[108:109], v[186:187], v[180:181]
	v_add_f64 v[0:1], v[0:1], v[78:79]
	v_fmac_f64_e32 v[110:111], v[198:199], v[188:189]
	v_add_f64 v[0:1], v[0:1], v[108:109]
	s_waitcnt vmcnt(13) lgkmcnt(6)
	v_mul_f64 v[112:113], v[208:209], v[194:195]
	v_add_f64 v[0:1], v[0:1], v[110:111]
	scratch_load_dwordx4 v[56:59], off, off offset:704
	scratch_load_dwordx4 v[60:63], off, off offset:720
	ds_read_b128 v[108:111], v2 offset:1472
	s_waitcnt vmcnt(14) lgkmcnt(6)
	v_mul_f64 v[114:115], v[204:205], v[202:203]
	v_fmac_f64_e32 v[112:113], v[210:211], v[192:193]
	v_add_f64 v[0:1], v[0:1], v[112:113]
	v_fmac_f64_e32 v[114:115], v[206:207], v[200:201]
	s_waitcnt vmcnt(13) lgkmcnt(5)
	v_mul_f64 v[64:65], v[20:21], v[6:7]
	v_accvgpr_write_b32 a125, v7
	v_add_f64 v[0:1], v[0:1], v[114:115]
	v_fmac_f64_e32 v[64:65], v[22:23], v[4:5]
	v_accvgpr_write_b32 a124, v6
	v_accvgpr_write_b32 a123, v5
	;; [unrolled: 1-line block ×3, first 2 shown]
	ds_read_b128 v[112:115], v2 offset:1488
	s_waitcnt vmcnt(12)
	v_mov_b64_e32 v[4:5], v[8:9]
	v_mov_b64_e32 v[6:7], v[10:11]
	s_waitcnt lgkmcnt(1)
	v_mul_f64 v[68:69], v[108:109], v[6:7]
	v_fmac_f64_e32 v[68:69], v[110:111], v[4:5]
	s_waitcnt vmcnt(11)
	v_mov_b64_e32 v[4:5], v[12:13]
	v_add_f64 v[0:1], v[0:1], v[64:65]
	v_mov_b64_e32 v[6:7], v[14:15]
	v_add_f64 v[0:1], v[0:1], v[68:69]
	s_waitcnt lgkmcnt(0)
	v_mul_f64 v[68:69], v[112:113], v[6:7]
	scratch_load_dwordx4 v[64:67], off, off offset:736
	v_fmac_f64_e32 v[68:69], v[114:115], v[4:5]
	v_add_f64 v[0:1], v[0:1], v[68:69]
	scratch_load_dwordx4 v[68:71], off, off offset:752
	scratch_load_dwordx4 v[72:75], off, off offset:768
	s_waitcnt vmcnt(13)
	v_mul_f64 v[76:77], v[116:117], v[18:19]
	v_fmac_f64_e32 v[76:77], v[118:119], v[16:17]
	v_add_f64 v[0:1], v[0:1], v[76:77]
	s_waitcnt vmcnt(12)
	v_mul_f64 v[76:77], v[120:121], v[26:27]
	v_fmac_f64_e32 v[76:77], v[122:123], v[24:25]
	v_add_f64 v[0:1], v[0:1], v[76:77]
	scratch_load_dwordx4 v[76:79], off, off offset:784
	v_mul_f64 v[82:83], v[138:139], v[82:83]
	v_fma_f64 v[240:241], v[136:137], v[80:81], -v[82:83]
	scratch_load_dwordx4 v[80:83], off, off offset:800
	v_mul_f64 v[86:87], v[134:135], v[86:87]
	v_fma_f64 v[242:243], v[132:133], v[84:85], -v[86:87]
	scratch_load_dwordx4 v[84:87], off, off offset:816
	s_waitcnt vmcnt(14)
	v_mul_f64 v[136:137], v[124:125], v[30:31]
	v_mul_f64 v[90:91], v[238:239], v[90:91]
	v_fmac_f64_e32 v[136:137], v[126:127], v[28:29]
	v_fma_f64 v[236:237], v[236:237], v[88:89], -v[90:91]
	scratch_load_dwordx4 v[88:91], off, off offset:832
	v_add_f64 v[0:1], v[0:1], v[136:137]
	s_waitcnt vmcnt(14)
	v_mul_f64 v[136:137], v[128:129], v[34:35]
	v_mul_f64 v[94:95], v[230:231], v[94:95]
	v_fmac_f64_e32 v[136:137], v[130:131], v[32:33]
	v_fma_f64 v[238:239], v[228:229], v[92:93], -v[94:95]
	v_mul_f64 v[92:93], v[226:227], v[98:99]
	ds_read_b128 v[132:135], v2 offset:1568
	v_add_f64 v[0:1], v[0:1], v[136:137]
	ds_read_b128 v[136:139], v2 offset:1584
	v_fma_f64 v[244:245], v[224:225], v[96:97], -v[92:93]
	scratch_load_dwordx4 v[96:99], off, off offset:848
	scratch_load_dwordx4 v[92:95], off, off offset:864
	v_mul_f64 v[102:103], v[150:151], v[102:103]
	v_fma_f64 v[246:247], v[148:149], v[100:101], -v[102:103]
	scratch_load_dwordx4 v[100:103], off, off offset:880
	v_mul_f64 v[106:107], v[142:143], v[106:107]
	v_fma_f64 v[252:253], v[140:141], v[104:105], -v[106:107]
	v_mul_f64 v[104:105], v[234:235], v[146:147]
	v_fma_f64 v[254:255], v[232:233], v[144:145], -v[104:105]
	scratch_load_dwordx4 v[104:107], off, off offset:896
	ds_read_b128 v[140:143], v2 offset:1600
	ds_read_b128 v[144:147], v2 offset:1616
	s_waitcnt vmcnt(17) lgkmcnt(3)
	v_mul_f64 v[228:229], v[132:133], v[38:39]
	v_fmac_f64_e32 v[228:229], v[134:135], v[36:37]
	s_waitcnt vmcnt(16) lgkmcnt(2)
	v_mul_f64 v[224:225], v[136:137], v[42:43]
	v_add_f64 v[0:1], v[0:1], v[228:229]
	v_fmac_f64_e32 v[224:225], v[138:139], v[40:41]
	s_waitcnt vmcnt(15) lgkmcnt(1)
	v_mul_f64 v[148:149], v[140:141], v[46:47]
	v_add_f64 v[0:1], v[0:1], v[224:225]
	v_fmac_f64_e32 v[148:149], v[142:143], v[44:45]
	v_add_f64 v[0:1], v[0:1], v[148:149]
	ds_read_b128 v[148:151], v2 offset:1632
	v_mul_f64 v[154:155], v[218:219], v[154:155]
	v_fma_f64 v[248:249], v[216:217], v[152:153], -v[154:155]
	ds_read_b128 v[152:155], v2 offset:1648
	v_accvgpr_write_b32 a133, v15
	v_mul_f64 v[158:159], v[162:163], v[158:159]
	v_accvgpr_write_b32 a132, v14
	v_accvgpr_write_b32 a131, v13
	;; [unrolled: 1-line block ×3, first 2 shown]
	v_fma_f64 v[12:13], v[160:161], v[156:157], -v[158:159]
	ds_read_b128 v[156:159], v2 offset:1664
	ds_read_b128 v[160:163], v2 offset:1680
	s_waitcnt vmcnt(14) lgkmcnt(4)
	v_mul_f64 v[224:225], v[144:145], v[50:51]
	v_fmac_f64_e32 v[224:225], v[146:147], v[48:49]
	s_waitcnt vmcnt(13) lgkmcnt(3)
	v_mul_f64 v[216:217], v[148:149], v[54:55]
	v_add_f64 v[0:1], v[0:1], v[224:225]
	v_fmac_f64_e32 v[216:217], v[150:151], v[52:53]
	s_waitcnt vmcnt(12) lgkmcnt(2)
	v_mul_f64 v[6:7], v[152:153], v[58:59]
	v_add_f64 v[0:1], v[0:1], v[216:217]
	v_fmac_f64_e32 v[6:7], v[154:155], v[56:57]
	v_add_f64 v[0:1], v[0:1], v[6:7]
	s_waitcnt vmcnt(11) lgkmcnt(1)
	v_mul_f64 v[6:7], v[156:157], v[62:63]
	v_fmac_f64_e32 v[6:7], v[158:159], v[60:61]
	v_accvgpr_write_b32 a129, v11
	v_add_f64 v[0:1], v[0:1], v[6:7]
	v_mul_f64 v[6:7], v[222:223], v[166:167]
	v_accvgpr_write_b32 a128, v10
	v_accvgpr_write_b32 a127, v9
	;; [unrolled: 1-line block ×3, first 2 shown]
	v_fma_f64 v[8:9], v[220:221], v[164:165], -v[6:7]
	ds_read_b128 v[164:167], v2 offset:1696
	v_mul_f64 v[170:171], v[174:175], v[170:171]
	v_fma_f64 v[6:7], v[172:173], v[168:169], -v[170:171]
	ds_read_b128 v[168:171], v2 offset:1712
	s_waitcnt vmcnt(10) lgkmcnt(2)
	v_mul_f64 v[216:217], v[160:161], v[66:67]
	v_fmac_f64_e32 v[216:217], v[162:163], v[64:65]
	s_waitcnt vmcnt(9) lgkmcnt(1)
	v_mul_f64 v[10:11], v[164:165], v[70:71]
	v_add_f64 v[0:1], v[0:1], v[216:217]
	v_fmac_f64_e32 v[10:11], v[166:167], v[68:69]
	v_add_f64 v[0:1], v[0:1], v[10:11]
	s_waitcnt vmcnt(8) lgkmcnt(0)
	v_mul_f64 v[10:11], v[168:169], v[74:75]
	v_fmac_f64_e32 v[10:11], v[170:171], v[72:73]
	ds_read_b128 v[172:175], v2 offset:1728
	v_add_f64 v[0:1], v[0:1], v[10:11]
	v_mul_f64 v[10:11], v[214:215], v[178:179]
	v_fma_f64 v[10:11], v[212:213], v[176:177], -v[10:11]
	ds_read_b128 v[176:179], v2 offset:1744
	v_mul_f64 v[182:183], v[186:187], v[182:183]
	v_fma_f64 v[4:5], v[184:185], v[180:181], -v[182:183]
	ds_read_b128 v[180:183], v2 offset:1760
	ds_read_b128 v[184:187], v2 offset:1776
	s_waitcnt vmcnt(7) lgkmcnt(3)
	v_mul_f64 v[212:213], v[172:173], v[78:79]
	v_fmac_f64_e32 v[212:213], v[174:175], v[76:77]
	s_waitcnt vmcnt(6) lgkmcnt(2)
	v_mul_f64 v[14:15], v[176:177], v[82:83]
	v_add_f64 v[0:1], v[0:1], v[212:213]
	v_fmac_f64_e32 v[14:15], v[178:179], v[80:81]
	v_add_f64 v[0:1], v[0:1], v[14:15]
	s_waitcnt vmcnt(5) lgkmcnt(1)
	v_mul_f64 v[14:15], v[180:181], v[86:87]
	v_fmac_f64_e32 v[14:15], v[182:183], v[84:85]
	v_add_f64 v[14:15], v[0:1], v[14:15]
	v_mul_f64 v[0:1], v[198:199], v[190:191]
	v_fma_f64 v[0:1], v[196:197], v[188:189], -v[0:1]
	ds_read_b128 v[188:191], v2 offset:1792
	v_mul_f64 v[194:195], v[210:211], v[194:195]
	s_waitcnt vmcnt(4) lgkmcnt(1)
	v_mul_f64 v[196:197], v[184:185], v[90:91]
	v_fma_f64 v[192:193], v[208:209], v[192:193], -v[194:195]
	v_fmac_f64_e32 v[196:197], v[186:187], v[88:89]
	v_accvgpr_write_b32 a134, v192
	v_accvgpr_write_b32 a135, v193
	ds_read_b128 v[192:195], v2 offset:1808
	v_add_f64 v[14:15], v[14:15], v[196:197]
	s_waitcnt vmcnt(3) lgkmcnt(1)
	v_mul_f64 v[196:197], v[188:189], v[98:99]
	v_fmac_f64_e32 v[196:197], v[190:191], v[96:97]
	v_add_f64 v[14:15], v[14:15], v[196:197]
	ds_read_b128 v[196:199], v2 offset:1824
	v_mul_f64 v[202:203], v[206:207], v[202:203]
	v_fma_f64 v[250:251], v[204:205], v[200:201], -v[202:203]
	ds_read_b128 v[200:203], v2 offset:1840
	s_waitcnt vmcnt(2) lgkmcnt(2)
	v_mul_f64 v[204:205], v[192:193], v[94:95]
	v_fmac_f64_e32 v[204:205], v[194:195], v[92:93]
	v_add_f64 v[14:15], v[14:15], v[204:205]
	s_waitcnt vmcnt(1) lgkmcnt(1)
	v_mul_f64 v[204:205], v[196:197], v[102:103]
	v_fmac_f64_e32 v[204:205], v[198:199], v[100:101]
	v_add_f64 v[14:15], v[14:15], v[204:205]
	;; [unrolled: 4-line block ×3, first 2 shown]
	scratch_load_dwordx4 v[204:207], off, off offset:912
	scratch_load_dwordx4 v[232:235], off, off offset:960
	ds_read_b128 v[208:211], v2 offset:1856
	ds_read_b128 v[216:219], v2 offset:1872
	;; [unrolled: 1-line block ×3, first 2 shown]
	s_waitcnt vmcnt(1) lgkmcnt(2)
	v_mul_f64 v[212:213], v[208:209], v[206:207]
	v_fmac_f64_e32 v[212:213], v[210:211], v[204:205]
	v_add_f64 v[14:15], v[14:15], v[212:213]
	scratch_load_dwordx4 v[212:215], off, off offset:928
	s_waitcnt vmcnt(0) lgkmcnt(1)
	v_mul_f64 v[220:221], v[216:217], v[214:215]
	v_fmac_f64_e32 v[220:221], v[218:219], v[212:213]
	v_add_f64 v[14:15], v[14:15], v[220:221]
	scratch_load_dwordx4 v[220:223], off, off offset:944
	s_waitcnt vmcnt(0) lgkmcnt(0)
	v_mul_f64 v[228:229], v[224:225], v[222:223]
	v_fmac_f64_e32 v[228:229], v[226:227], v[220:221]
	v_add_f64 v[14:15], v[14:15], v[228:229]
	ds_read_b128 v[228:231], v2 offset:1904
	s_waitcnt lgkmcnt(0)
	v_mul_f64 v[2:3], v[228:229], v[234:235]
	v_fmac_f64_e32 v[2:3], v[230:231], v[232:233]
	v_add_f64 v[2:3], v[14:15], v[2:3]
	v_add_f64 v[14:15], v[240:241], 0
	;; [unrolled: 1-line block ×5, first 2 shown]
	scratch_load_dwordx4 v[236:239], off, off offset:224
	v_add_f64 v[14:15], v[14:15], v[244:245]
	v_add_f64 v[14:15], v[14:15], v[246:247]
	;; [unrolled: 1-line block ×10, first 2 shown]
	v_accvgpr_read_b32 v6, a122
	v_add_f64 v[252:253], v[4:5], v[0:1]
	v_accvgpr_read_b32 v0, a134
	v_accvgpr_read_b32 v8, a124
	;; [unrolled: 1-line block ×5, first 2 shown]
	v_mul_f64 v[4:5], v[22:23], v[8:9]
	v_add_f64 v[0:1], v[252:253], v[0:1]
	v_fma_f64 v[4:5], v[20:21], v[6:7], -v[4:5]
	v_accvgpr_read_b32 v6, a126
	v_add_f64 v[0:1], v[0:1], v[250:251]
	v_accvgpr_read_b32 v8, a128
	v_accvgpr_read_b32 v9, a129
	v_add_f64 v[0:1], v[0:1], v[4:5]
	v_accvgpr_read_b32 v7, a127
	v_mul_f64 v[4:5], v[110:111], v[8:9]
	v_fma_f64 v[4:5], v[108:109], v[6:7], -v[4:5]
	v_accvgpr_read_b32 v6, a130
	v_accvgpr_read_b32 v8, a132
	;; [unrolled: 1-line block ×3, first 2 shown]
	v_add_f64 v[0:1], v[0:1], v[4:5]
	v_accvgpr_read_b32 v7, a131
	v_mul_f64 v[4:5], v[114:115], v[8:9]
	v_fma_f64 v[4:5], v[112:113], v[6:7], -v[4:5]
	v_add_f64 v[0:1], v[0:1], v[4:5]
	v_mul_f64 v[4:5], v[118:119], v[18:19]
	v_fma_f64 v[4:5], v[116:117], v[16:17], -v[4:5]
	v_add_f64 v[0:1], v[0:1], v[4:5]
	;; [unrolled: 3-line block ×27, first 2 shown]
	s_waitcnt vmcnt(0)
	v_add_f64 v[4:5], v[236:237], -v[0:1]
	v_accvgpr_read_b32 v0, a120
	v_add_f64 v[6:7], v[238:239], -v[2:3]
	v_cmp_lt_u32_e32 vcc, 12, v0
	scratch_store_dwordx4 off, v[4:7], off offset:224
	s_and_saveexec_b64 s[0:1], vcc
	s_cbranch_execz .LBB59_349
; %bb.348:
	scratch_load_dwordx4 v[2:5], off, s29
	v_mov_b32_e32 v6, 0
	v_mov_b32_e32 v7, v6
	;; [unrolled: 1-line block ×4, first 2 shown]
	v_accvgpr_read_b32 v0, a121
	scratch_store_dwordx4 off, v[6:9], off offset:208
	s_waitcnt vmcnt(1)
	ds_write_b128 v0, v[2:5]
.LBB59_349:
	s_or_b64 exec, exec, s[0:1]
	s_waitcnt lgkmcnt(0)
	; wave barrier
	scratch_load_dwordx4 v[68:71], off, off offset:224
	scratch_load_dwordx4 v[72:75], off, off offset:240
	;; [unrolled: 1-line block ×28, first 2 shown]
	v_mov_b32_e32 v2, 0
	ds_read_b128 v[124:127], v2 offset:1168
	ds_read_b128 v[128:131], v2 offset:1184
	;; [unrolled: 1-line block ×23, first 2 shown]
	s_waitcnt vmcnt(27) lgkmcnt(14)
	v_mul_f64 v[0:1], v[124:125], v[70:71]
	s_waitcnt vmcnt(26)
	v_mul_f64 v[40:41], v[128:129], v[74:75]
	v_fmac_f64_e32 v[0:1], v[126:127], v[68:69]
	s_waitcnt vmcnt(25)
	v_mul_f64 v[42:43], v[132:133], v[78:79]
	v_fmac_f64_e32 v[40:41], v[130:131], v[72:73]
	v_add_f64 v[0:1], v[0:1], 0
	s_waitcnt vmcnt(24)
	v_mul_f64 v[44:45], v[136:137], v[82:83]
	v_fmac_f64_e32 v[42:43], v[134:135], v[76:77]
	v_add_f64 v[0:1], v[0:1], v[40:41]
	;; [unrolled: 4-line block ×7, first 2 shown]
	s_waitcnt vmcnt(18) lgkmcnt(13)
	v_mul_f64 v[56:57], v[200:201], v[146:147]
	v_fmac_f64_e32 v[54:55], v[194:195], v[112:113]
	v_add_f64 v[0:1], v[0:1], v[52:53]
	s_waitcnt vmcnt(17) lgkmcnt(12)
	v_mul_f64 v[58:59], v[204:205], v[150:151]
	v_fmac_f64_e32 v[56:57], v[202:203], v[144:145]
	v_add_f64 v[0:1], v[0:1], v[54:55]
	;; [unrolled: 4-line block ×7, first 2 shown]
	scratch_load_dwordx4 v[40:43], off, off offset:672
	scratch_load_dwordx4 v[44:47], off, off offset:688
	s_waitcnt vmcnt(13) lgkmcnt(6)
	v_mul_f64 v[102:103], v[228:229], v[186:187]
	v_fmac_f64_e32 v[100:101], v[226:227], v[176:177]
	v_add_f64 v[0:1], v[0:1], v[66:67]
	v_add_f64 v[0:1], v[0:1], v[100:101]
	v_fmac_f64_e32 v[102:103], v[230:231], v[184:185]
	v_add_f64 v[0:1], v[0:1], v[102:103]
	ds_read_b128 v[100:103], v2 offset:1472
	s_waitcnt vmcnt(12) lgkmcnt(6)
	v_mul_f64 v[48:49], v[248:249], v[190:191]
	v_fmac_f64_e32 v[48:49], v[250:251], v[188:189]
	v_add_f64 v[0:1], v[0:1], v[48:49]
	s_waitcnt vmcnt(11) lgkmcnt(5)
	v_mul_f64 v[48:49], v[252:253], v[198:199]
	v_fmac_f64_e32 v[48:49], v[254:255], v[196:197]
	v_add_f64 v[0:1], v[0:1], v[48:49]
	scratch_load_dwordx4 v[48:51], off, off offset:704
	scratch_load_dwordx4 v[52:55], off, off offset:720
	s_waitcnt vmcnt(12) lgkmcnt(0)
	v_mul_f64 v[56:57], v[100:101], v[6:7]
	v_accvgpr_write_b32 a125, v7
	v_fmac_f64_e32 v[56:57], v[102:103], v[4:5]
	v_accvgpr_write_b32 a124, v6
	v_accvgpr_write_b32 a123, v5
	;; [unrolled: 1-line block ×3, first 2 shown]
	s_waitcnt vmcnt(11)
	v_mov_b64_e32 v[4:5], v[8:9]
	v_mov_b64_e32 v[6:7], v[10:11]
	v_add_f64 v[0:1], v[0:1], v[56:57]
	v_mul_f64 v[56:57], v[104:105], v[6:7]
	v_fmac_f64_e32 v[56:57], v[106:107], v[4:5]
	v_add_f64 v[0:1], v[0:1], v[56:57]
	scratch_load_dwordx4 v[56:59], off, off offset:736
	s_waitcnt vmcnt(11)
	v_mov_b64_e32 v[4:5], v[12:13]
	v_mov_b64_e32 v[6:7], v[14:15]
	v_mul_f64 v[60:61], v[108:109], v[6:7]
	v_fmac_f64_e32 v[60:61], v[110:111], v[4:5]
	s_waitcnt vmcnt(10)
	v_mov_b64_e32 v[4:5], v[16:17]
	v_mov_b64_e32 v[6:7], v[18:19]
	v_add_f64 v[0:1], v[0:1], v[60:61]
	scratch_load_dwordx4 v[60:63], off, off offset:752
	v_mul_f64 v[64:65], v[116:117], v[6:7]
	v_fmac_f64_e32 v[64:65], v[118:119], v[4:5]
	v_add_f64 v[0:1], v[0:1], v[64:65]
	scratch_load_dwordx4 v[64:67], off, off offset:768
	v_mul_f64 v[70:71], v[126:127], v[70:71]
	s_waitcnt vmcnt(11)
	v_mov_b64_e32 v[4:5], v[20:21]
	v_fma_f64 v[240:241], v[124:125], v[68:69], -v[70:71]
	v_mov_b64_e32 v[6:7], v[22:23]
	scratch_load_dwordx4 v[68:71], off, off offset:784
	v_mul_f64 v[124:125], v[120:121], v[6:7]
	v_mul_f64 v[74:75], v[130:131], v[74:75]
	v_fmac_f64_e32 v[124:125], v[122:123], v[4:5]
	v_fma_f64 v[242:243], v[128:129], v[72:73], -v[74:75]
	scratch_load_dwordx4 v[72:75], off, off offset:800
	v_mul_f64 v[78:79], v[134:135], v[78:79]
	v_add_f64 v[0:1], v[0:1], v[124:125]
	ds_read_b128 v[124:127], v2 offset:1552
	ds_read_b128 v[128:131], v2 offset:1568
	v_fma_f64 v[244:245], v[132:133], v[76:77], -v[78:79]
	v_mul_f64 v[76:77], v[138:139], v[82:83]
	v_fma_f64 v[246:247], v[136:137], v[80:81], -v[76:77]
	scratch_load_dwordx4 v[76:79], off, off offset:816
	s_waitcnt vmcnt(13) lgkmcnt(1)
	v_mul_f64 v[132:133], v[124:125], v[236:237]
	v_fmac_f64_e32 v[132:133], v[126:127], v[234:235]
	v_add_f64 v[0:1], v[0:1], v[132:133]
	s_waitcnt vmcnt(12) lgkmcnt(0)
	v_mul_f64 v[132:133], v[128:129], v[30:31]
	scratch_load_dwordx4 v[80:83], off, off offset:832
	v_fmac_f64_e32 v[132:133], v[130:131], v[28:29]
	v_mul_f64 v[86:87], v[142:143], v[86:87]
	v_add_f64 v[0:1], v[0:1], v[132:133]
	v_fma_f64 v[232:233], v[140:141], v[84:85], -v[86:87]
	ds_read_b128 v[132:135], v2 offset:1584
	v_mul_f64 v[84:85], v[158:159], v[90:91]
	v_fma_f64 v[24:25], v[156:157], v[88:89], -v[84:85]
	scratch_load_dwordx4 v[88:91], off, off offset:848
	scratch_load_dwordx4 v[84:87], off, off offset:864
	v_accvgpr_write_b32 a141, v23
	v_mul_f64 v[6:7], v[170:171], v[94:95]
	v_accvgpr_write_b32 a140, v22
	v_accvgpr_write_b32 a139, v21
	;; [unrolled: 1-line block ×3, first 2 shown]
	v_fma_f64 v[20:21], v[168:169], v[92:93], -v[6:7]
	s_waitcnt vmcnt(14) lgkmcnt(0)
	v_mul_f64 v[6:7], v[132:133], v[34:35]
	v_fmac_f64_e32 v[6:7], v[134:135], v[32:33]
	v_accvgpr_write_b32 a137, v19
	v_add_f64 v[0:1], v[0:1], v[6:7]
	v_mul_f64 v[6:7], v[182:183], v[98:99]
	v_accvgpr_write_b32 a136, v18
	v_accvgpr_write_b32 a135, v17
	;; [unrolled: 1-line block ×3, first 2 shown]
	ds_read_b128 v[136:139], v2 offset:1600
	v_fma_f64 v[16:17], v[180:181], v[96:97], -v[6:7]
	scratch_load_dwordx4 v[96:99], off, off offset:880
	scratch_load_dwordx4 v[92:95], off, off offset:896
	v_accvgpr_write_b32 a133, v15
	v_mul_f64 v[6:7], v[194:195], v[114:115]
	v_accvgpr_write_b32 a132, v14
	v_accvgpr_write_b32 a131, v13
	v_accvgpr_write_b32 a130, v12
	v_fma_f64 v[12:13], v[192:193], v[112:113], -v[6:7]
	scratch_load_dwordx4 v[112:115], off, off offset:912
	ds_read_b128 v[140:143], v2 offset:1616
	s_waitcnt vmcnt(16) lgkmcnt(1)
	v_mul_f64 v[6:7], v[136:137], v[38:39]
	v_fmac_f64_e32 v[6:7], v[138:139], v[36:37]
	v_add_f64 v[0:1], v[0:1], v[6:7]
	v_mul_f64 v[6:7], v[202:203], v[146:147]
	v_fma_f64 v[14:15], v[200:201], v[144:145], -v[6:7]
	ds_read_b128 v[144:147], v2 offset:1632
	s_waitcnt vmcnt(15) lgkmcnt(1)
	v_mul_f64 v[6:7], v[140:141], v[42:43]
	v_fmac_f64_e32 v[6:7], v[142:143], v[40:41]
	v_accvgpr_write_b32 a129, v11
	v_add_f64 v[0:1], v[0:1], v[6:7]
	v_mul_f64 v[6:7], v[206:207], v[150:151]
	v_accvgpr_write_b32 a128, v10
	v_accvgpr_write_b32 a127, v9
	v_accvgpr_write_b32 a126, v8
	v_fma_f64 v[10:11], v[204:205], v[148:149], -v[6:7]
	ds_read_b128 v[148:151], v2 offset:1648
	v_mul_f64 v[18:19], v[210:211], v[154:155]
	v_fma_f64 v[18:19], v[208:209], v[152:153], -v[18:19]
	ds_read_b128 v[152:155], v2 offset:1664
	s_waitcnt vmcnt(14) lgkmcnt(2)
	v_mul_f64 v[6:7], v[144:145], v[46:47]
	v_fmac_f64_e32 v[6:7], v[146:147], v[44:45]
	v_add_f64 v[0:1], v[0:1], v[6:7]
	s_waitcnt vmcnt(13) lgkmcnt(1)
	v_mul_f64 v[6:7], v[148:149], v[50:51]
	ds_read_b128 v[156:159], v2 offset:1680
	v_fmac_f64_e32 v[6:7], v[150:151], v[48:49]
	v_add_f64 v[0:1], v[0:1], v[6:7]
	s_waitcnt vmcnt(12) lgkmcnt(1)
	v_mul_f64 v[6:7], v[152:153], v[54:55]
	v_fmac_f64_e32 v[6:7], v[154:155], v[52:53]
	v_add_f64 v[0:1], v[0:1], v[6:7]
	v_mul_f64 v[6:7], v[214:215], v[162:163]
	v_fma_f64 v[8:9], v[212:213], v[160:161], -v[6:7]
	ds_read_b128 v[160:163], v2 offset:1696
	s_waitcnt vmcnt(11) lgkmcnt(1)
	v_mul_f64 v[6:7], v[156:157], v[58:59]
	v_fmac_f64_e32 v[6:7], v[158:159], v[56:57]
	v_add_f64 v[0:1], v[0:1], v[6:7]
	v_mul_f64 v[6:7], v[218:219], v[166:167]
	v_fma_f64 v[22:23], v[216:217], v[164:165], -v[6:7]
	ds_read_b128 v[164:167], v2 offset:1712
	ds_read_b128 v[168:171], v2 offset:1728
	s_waitcnt vmcnt(10) lgkmcnt(2)
	v_mul_f64 v[6:7], v[160:161], v[62:63]
	v_fmac_f64_e32 v[6:7], v[162:163], v[60:61]
	v_add_f64 v[0:1], v[0:1], v[6:7]
	s_waitcnt vmcnt(9) lgkmcnt(1)
	v_mul_f64 v[6:7], v[164:165], v[66:67]
	v_fmac_f64_e32 v[6:7], v[166:167], v[64:65]
	v_add_f64 v[0:1], v[0:1], v[6:7]
	v_mul_f64 v[6:7], v[222:223], v[174:175]
	v_fma_f64 v[4:5], v[220:221], v[172:173], -v[6:7]
	ds_read_b128 v[172:175], v2 offset:1744
	v_mul_f64 v[6:7], v[226:227], v[178:179]
	v_fma_f64 v[6:7], v[224:225], v[176:177], -v[6:7]
	ds_read_b128 v[176:179], v2 offset:1760
	s_waitcnt vmcnt(8) lgkmcnt(2)
	v_mul_f64 v[26:27], v[168:169], v[70:71]
	v_fmac_f64_e32 v[26:27], v[170:171], v[68:69]
	v_add_f64 v[0:1], v[0:1], v[26:27]
	s_waitcnt vmcnt(7) lgkmcnt(1)
	v_mul_f64 v[26:27], v[172:173], v[74:75]
	v_fmac_f64_e32 v[26:27], v[174:175], v[72:73]
	v_add_f64 v[0:1], v[0:1], v[26:27]
	s_waitcnt vmcnt(6) lgkmcnt(0)
	v_mul_f64 v[26:27], v[176:177], v[78:79]
	v_fmac_f64_e32 v[26:27], v[178:179], v[76:77]
	ds_read_b128 v[180:183], v2 offset:1776
	v_add_f64 v[26:27], v[0:1], v[26:27]
	v_mul_f64 v[0:1], v[230:231], v[186:187]
	v_fma_f64 v[0:1], v[228:229], v[184:185], -v[0:1]
	ds_read_b128 v[184:187], v2 offset:1792
	s_waitcnt vmcnt(5) lgkmcnt(1)
	v_mul_f64 v[192:193], v[180:181], v[82:83]
	v_fmac_f64_e32 v[192:193], v[182:183], v[80:81]
	v_mul_f64 v[190:191], v[250:251], v[190:191]
	v_add_f64 v[26:27], v[26:27], v[192:193]
	v_fma_f64 v[238:239], v[248:249], v[188:189], -v[190:191]
	ds_read_b128 v[188:191], v2 offset:1808
	s_waitcnt vmcnt(4) lgkmcnt(1)
	v_mul_f64 v[192:193], v[184:185], v[90:91]
	v_fmac_f64_e32 v[192:193], v[186:187], v[88:89]
	v_add_f64 v[26:27], v[26:27], v[192:193]
	ds_read_b128 v[192:195], v2 offset:1824
	v_mul_f64 v[198:199], v[254:255], v[198:199]
	v_fma_f64 v[248:249], v[252:253], v[196:197], -v[198:199]
	ds_read_b128 v[196:199], v2 offset:1840
	ds_read_b128 v[208:211], v2 offset:1872
	s_waitcnt vmcnt(3) lgkmcnt(3)
	v_mul_f64 v[200:201], v[188:189], v[86:87]
	v_fmac_f64_e32 v[200:201], v[190:191], v[84:85]
	v_add_f64 v[26:27], v[26:27], v[200:201]
	s_waitcnt vmcnt(2) lgkmcnt(2)
	v_mul_f64 v[200:201], v[192:193], v[98:99]
	v_fmac_f64_e32 v[200:201], v[194:195], v[96:97]
	v_add_f64 v[26:27], v[26:27], v[200:201]
	;; [unrolled: 4-line block ×3, first 2 shown]
	ds_read_b128 v[200:203], v2 offset:1856
	ds_read_b128 v[216:219], v2 offset:1888
	;; [unrolled: 1-line block ×3, first 2 shown]
	s_waitcnt vmcnt(0) lgkmcnt(2)
	v_mul_f64 v[204:205], v[200:201], v[114:115]
	v_fmac_f64_e32 v[204:205], v[202:203], v[112:113]
	v_add_f64 v[26:27], v[26:27], v[204:205]
	scratch_load_dwordx4 v[204:207], off, off offset:928
	s_waitcnt vmcnt(0)
	v_mul_f64 v[212:213], v[208:209], v[206:207]
	v_fmac_f64_e32 v[212:213], v[210:211], v[204:205]
	v_add_f64 v[26:27], v[26:27], v[212:213]
	scratch_load_dwordx4 v[212:215], off, off offset:944
	s_waitcnt vmcnt(0) lgkmcnt(1)
	v_mul_f64 v[220:221], v[216:217], v[214:215]
	v_fmac_f64_e32 v[220:221], v[218:219], v[212:213]
	v_add_f64 v[26:27], v[26:27], v[220:221]
	scratch_load_dwordx4 v[220:223], off, off offset:960
	s_waitcnt vmcnt(0) lgkmcnt(0)
	v_mul_f64 v[228:229], v[224:225], v[222:223]
	v_fmac_f64_e32 v[228:229], v[226:227], v[220:221]
	v_add_f64 v[252:253], v[26:27], v[228:229]
	scratch_load_dwordx4 v[228:231], off, off offset:208
	v_add_f64 v[26:27], v[240:241], 0
	v_add_f64 v[26:27], v[26:27], v[242:243]
	;; [unrolled: 1-line block ×16, first 2 shown]
	v_accvgpr_read_b32 v6, a122
	v_accvgpr_read_b32 v8, a124
	;; [unrolled: 1-line block ×3, first 2 shown]
	v_add_f64 v[0:1], v[4:5], v[0:1]
	v_accvgpr_read_b32 v7, a123
	v_mul_f64 v[4:5], v[102:103], v[8:9]
	v_add_f64 v[0:1], v[0:1], v[238:239]
	v_fma_f64 v[4:5], v[100:101], v[6:7], -v[4:5]
	v_accvgpr_read_b32 v6, a126
	v_add_f64 v[0:1], v[0:1], v[248:249]
	v_accvgpr_read_b32 v8, a128
	v_accvgpr_read_b32 v9, a129
	v_add_f64 v[0:1], v[0:1], v[4:5]
	v_accvgpr_read_b32 v7, a127
	v_mul_f64 v[4:5], v[106:107], v[8:9]
	v_fma_f64 v[4:5], v[104:105], v[6:7], -v[4:5]
	v_accvgpr_read_b32 v6, a130
	v_accvgpr_read_b32 v8, a132
	v_accvgpr_read_b32 v9, a133
	v_add_f64 v[0:1], v[0:1], v[4:5]
	v_accvgpr_read_b32 v7, a131
	v_mul_f64 v[4:5], v[110:111], v[8:9]
	v_fma_f64 v[4:5], v[108:109], v[6:7], -v[4:5]
	v_accvgpr_read_b32 v6, a134
	;; [unrolled: 7-line block ×3, first 2 shown]
	v_accvgpr_read_b32 v8, a140
	v_accvgpr_read_b32 v9, a141
	v_add_f64 v[0:1], v[0:1], v[4:5]
	v_accvgpr_read_b32 v7, a139
	v_mul_f64 v[4:5], v[122:123], v[8:9]
	v_fma_f64 v[4:5], v[120:121], v[6:7], -v[4:5]
	v_add_f64 v[0:1], v[0:1], v[4:5]
	v_mul_f64 v[4:5], v[126:127], v[236:237]
	v_fma_f64 v[4:5], v[124:125], v[234:235], -v[4:5]
	v_add_f64 v[0:1], v[0:1], v[4:5]
	;; [unrolled: 3-line block ×24, first 2 shown]
	s_waitcnt vmcnt(0)
	v_add_f64 v[4:5], v[228:229], -v[0:1]
	v_accvgpr_read_b32 v0, a120
	v_add_f64 v[6:7], v[230:231], -v[252:253]
	v_cmp_lt_u32_e32 vcc, 11, v0
	scratch_store_dwordx4 off, v[4:7], off offset:208
	s_and_saveexec_b64 s[0:1], vcc
	s_cbranch_execz .LBB59_351
; %bb.350:
	scratch_load_dwordx4 v[6:9], off, s28
	v_mov_b32_e32 v3, v2
	v_mov_b32_e32 v4, v2
	;; [unrolled: 1-line block ×3, first 2 shown]
	v_accvgpr_read_b32 v0, a121
	scratch_store_dwordx4 off, v[2:5], off offset:192
	s_waitcnt vmcnt(1)
	ds_write_b128 v0, v[6:9]
.LBB59_351:
	s_or_b64 exec, exec, s[0:1]
	s_waitcnt lgkmcnt(0)
	; wave barrier
	scratch_load_dwordx4 v[40:43], off, off offset:208
	scratch_load_dwordx4 v[44:47], off, off offset:224
	;; [unrolled: 1-line block ×18, first 2 shown]
	ds_read_b128 v[164:167], v2 offset:1152
	ds_read_b128 v[232:235], v2 offset:1168
	;; [unrolled: 1-line block ×6, first 2 shown]
	scratch_load_dwordx4 v[140:143], off, off offset:496
	ds_read_b128 v[224:227], v2 offset:1248
	ds_read_b128 v[212:215], v2 offset:1264
	;; [unrolled: 1-line block ×3, first 2 shown]
	scratch_load_dwordx4 v[4:7], off, off offset:512
	ds_read_b128 v[228:231], v2 offset:1296
	ds_read_b128 v[216:219], v2 offset:1312
	;; [unrolled: 1-line block ×5, first 2 shown]
	scratch_load_dwordx4 v[8:11], off, off offset:528
	ds_read_b128 v[208:211], v2 offset:1376
	ds_read_b128 v[196:199], v2 offset:1392
	;; [unrolled: 1-line block ×3, first 2 shown]
	scratch_load_dwordx4 v[12:15], off, off offset:544
	ds_read_b128 v[200:203], v2 offset:1424
	scratch_load_dwordx4 v[16:19], off, off offset:560
	scratch_load_dwordx4 v[20:23], off, off offset:576
	;; [unrolled: 1-line block ×7, first 2 shown]
	ds_read_b128 v[236:239], v2 offset:1440
	ds_read_b128 v[156:159], v2 offset:1504
	;; [unrolled: 1-line block ×4, first 2 shown]
	s_waitcnt vmcnt(28) lgkmcnt(14)
	v_mul_f64 v[0:1], v[164:165], v[42:43]
	s_waitcnt vmcnt(27)
	v_mul_f64 v[108:109], v[232:233], v[46:47]
	v_fmac_f64_e32 v[0:1], v[166:167], v[40:41]
	s_waitcnt vmcnt(26)
	v_mul_f64 v[110:111], v[168:169], v[50:51]
	v_fmac_f64_e32 v[108:109], v[234:235], v[44:45]
	v_add_f64 v[0:1], v[0:1], 0
	s_waitcnt vmcnt(25)
	v_mul_f64 v[116:117], v[220:221], v[54:55]
	v_fmac_f64_e32 v[110:111], v[170:171], v[48:49]
	v_add_f64 v[0:1], v[0:1], v[108:109]
	;; [unrolled: 4-line block ×6, first 2 shown]
	s_waitcnt vmcnt(20) lgkmcnt(13)
	v_mul_f64 v[126:127], v[180:181], v[78:79]
	v_fmac_f64_e32 v[124:125], v[214:215], v[68:69]
	v_add_f64 v[0:1], v[0:1], v[122:123]
	s_waitcnt vmcnt(19) lgkmcnt(12)
	v_mul_f64 v[128:129], v[228:229], v[82:83]
	v_fmac_f64_e32 v[126:127], v[182:183], v[76:77]
	v_add_f64 v[0:1], v[0:1], v[124:125]
	;; [unrolled: 4-line block ×9, first 2 shown]
	v_add_f64 v[0:1], v[0:1], v[148:149]
	v_fmac_f64_e32 v[150:151], v[186:187], v[112:113]
	s_waitcnt vmcnt(11) lgkmcnt(4)
	v_mul_f64 v[116:117], v[200:201], v[138:139]
	v_add_f64 v[0:1], v[0:1], v[150:151]
	v_fmac_f64_e32 v[116:117], v[202:203], v[136:137]
	v_add_f64 v[0:1], v[0:1], v[116:117]
	ds_read_b128 v[144:147], v2 offset:1456
	s_waitcnt vmcnt(10) lgkmcnt(4)
	v_mul_f64 v[116:117], v[236:237], v[142:143]
	scratch_load_dwordx4 v[108:111], off, off offset:672
	v_fmac_f64_e32 v[116:117], v[238:239], v[140:141]
	v_add_f64 v[0:1], v[0:1], v[116:117]
	scratch_load_dwordx4 v[116:119], off, off offset:688
	ds_read_b128 v[148:151], v2 offset:1472
	scratch_load_dwordx4 v[120:123], off, off offset:704
	s_waitcnt vmcnt(12) lgkmcnt(1)
	v_mul_f64 v[124:125], v[144:145], v[6:7]
	v_fmac_f64_e32 v[124:125], v[146:147], v[4:5]
	v_add_f64 v[0:1], v[0:1], v[124:125]
	s_waitcnt vmcnt(11) lgkmcnt(0)
	v_mul_f64 v[124:125], v[148:149], v[10:11]
	v_fmac_f64_e32 v[124:125], v[150:151], v[8:9]
	s_waitcnt vmcnt(10)
	v_mul_f64 v[128:129], v[152:153], v[14:15]
	v_add_f64 v[0:1], v[0:1], v[124:125]
	scratch_load_dwordx4 v[124:127], off, off offset:720
	v_fmac_f64_e32 v[128:129], v[154:155], v[12:13]
	v_add_f64 v[0:1], v[0:1], v[128:129]
	scratch_load_dwordx4 v[128:131], off, off offset:736
	s_waitcnt vmcnt(11)
	v_mul_f64 v[132:133], v[156:157], v[18:19]
	v_fmac_f64_e32 v[132:133], v[158:159], v[16:17]
	v_add_f64 v[0:1], v[0:1], v[132:133]
	scratch_load_dwordx4 v[132:135], off, off offset:752
	v_mul_f64 v[42:43], v[166:167], v[42:43]
	v_fma_f64 v[240:241], v[164:165], v[40:41], -v[42:43]
	scratch_load_dwordx4 v[40:43], off, off offset:768
	v_mul_f64 v[46:47], v[234:235], v[46:47]
	v_fma_f64 v[242:243], v[232:233], v[44:45], -v[46:47]
	;; [unrolled: 3-line block ×3, first 2 shown]
	v_mul_f64 v[48:49], v[222:223], v[54:55]
	v_fma_f64 v[246:247], v[220:221], v[52:53], -v[48:49]
	scratch_load_dwordx4 v[48:51], off, off offset:800
	scratch_load_dwordx4 v[52:55], off, off offset:816
	s_waitcnt vmcnt(15)
	v_mul_f64 v[164:165], v[160:161], v[22:23]
	v_fmac_f64_e32 v[164:165], v[162:163], v[20:21]
	v_add_f64 v[0:1], v[0:1], v[164:165]
	ds_read_b128 v[164:167], v2 offset:1536
	ds_read_b128 v[168:171], v2 offset:1552
	v_mul_f64 v[58:59], v[174:175], v[58:59]
	v_fma_f64 v[252:253], v[172:173], v[56:57], -v[58:59]
	ds_read_b128 v[172:175], v2 offset:1568
	v_mul_f64 v[56:57], v[178:179], v[62:63]
	v_fma_f64 v[254:255], v[176:177], v[60:61], -v[56:57]
	scratch_load_dwordx4 v[60:63], off, off offset:832
	scratch_load_dwordx4 v[56:59], off, off offset:848
	s_waitcnt vmcnt(16) lgkmcnt(2)
	v_mul_f64 v[232:233], v[164:165], v[34:35]
	v_fmac_f64_e32 v[232:233], v[166:167], v[32:33]
	s_waitcnt vmcnt(15) lgkmcnt(1)
	v_mul_f64 v[220:221], v[168:169], v[38:39]
	v_mul_f64 v[66:67], v[226:227], v[66:67]
	v_add_f64 v[0:1], v[0:1], v[232:233]
	v_fmac_f64_e32 v[220:221], v[170:171], v[36:37]
	v_fma_f64 v[248:249], v[224:225], v[64:65], -v[66:67]
	s_waitcnt vmcnt(14) lgkmcnt(0)
	v_mul_f64 v[64:65], v[172:173], v[30:31]
	v_add_f64 v[0:1], v[0:1], v[220:221]
	v_fmac_f64_e32 v[64:65], v[174:175], v[28:29]
	v_accvgpr_write_b32 a149, v23
	v_add_f64 v[0:1], v[0:1], v[64:65]
	v_mul_f64 v[64:65], v[214:215], v[70:71]
	v_accvgpr_write_b32 a148, v22
	v_accvgpr_write_b32 a147, v21
	;; [unrolled: 1-line block ×3, first 2 shown]
	ds_read_b128 v[176:179], v2 offset:1584
	v_fma_f64 v[20:21], v[212:213], v[68:69], -v[64:65]
	scratch_load_dwordx4 v[68:71], off, off offset:864
	scratch_load_dwordx4 v[64:67], off, off offset:880
	v_accvgpr_write_b32 a133, v7
	v_accvgpr_write_b32 a132, v6
	;; [unrolled: 1-line block ×5, first 2 shown]
	v_mul_f64 v[6:7], v[182:183], v[78:79]
	v_accvgpr_write_b32 a144, v18
	v_accvgpr_write_b32 a143, v17
	;; [unrolled: 1-line block ×3, first 2 shown]
	v_fma_f64 v[16:17], v[180:181], v[76:77], -v[6:7]
	s_waitcnt vmcnt(15) lgkmcnt(0)
	v_mul_f64 v[76:77], v[176:177], v[26:27]
	v_fmac_f64_e32 v[76:77], v[178:179], v[24:25]
	v_accvgpr_write_b32 a141, v15
	v_add_f64 v[0:1], v[0:1], v[76:77]
	v_mul_f64 v[76:77], v[230:231], v[82:83]
	v_accvgpr_write_b32 a140, v14
	v_accvgpr_write_b32 a139, v13
	;; [unrolled: 1-line block ×3, first 2 shown]
	v_fma_f64 v[12:13], v[228:229], v[80:81], -v[76:77]
	scratch_load_dwordx4 v[76:79], off, off offset:896
	scratch_load_dwordx4 v[232:235], off, off offset:960
	ds_read_b128 v[180:183], v2 offset:1600
	ds_read_b128 v[80:83], v2 offset:1616
	v_accvgpr_write_b32 a137, v11
	v_accvgpr_write_b32 a136, v10
	v_accvgpr_write_b32 a135, v9
	v_accvgpr_write_b32 a134, v8
	s_waitcnt vmcnt(16) lgkmcnt(1)
	v_mul_f64 v[10:11], v[180:181], v[74:75]
	v_fmac_f64_e32 v[10:11], v[182:183], v[72:73]
	v_add_f64 v[0:1], v[0:1], v[10:11]
	v_mul_f64 v[10:11], v[218:219], v[86:87]
	v_fma_f64 v[10:11], v[216:217], v[84:85], -v[10:11]
	ds_read_b128 v[84:87], v2 offset:1632
	v_mul_f64 v[90:91], v[190:191], v[90:91]
	v_fma_f64 v[8:9], v[188:189], v[88:89], -v[90:91]
	ds_read_b128 v[88:91], v2 offset:1648
	s_waitcnt vmcnt(15) lgkmcnt(2)
	v_mul_f64 v[212:213], v[80:81], v[110:111]
	v_fmac_f64_e32 v[212:213], v[82:83], v[108:109]
	s_waitcnt vmcnt(14) lgkmcnt(1)
	v_mul_f64 v[14:15], v[84:85], v[118:119]
	v_add_f64 v[0:1], v[0:1], v[212:213]
	v_fmac_f64_e32 v[14:15], v[86:87], v[116:117]
	v_add_f64 v[0:1], v[0:1], v[14:15]
	s_waitcnt vmcnt(13) lgkmcnt(0)
	v_mul_f64 v[14:15], v[88:89], v[122:123]
	v_fmac_f64_e32 v[14:15], v[90:91], v[120:121]
	ds_read_b128 v[188:191], v2 offset:1664
	v_add_f64 v[0:1], v[0:1], v[14:15]
	v_mul_f64 v[14:15], v[206:207], v[94:95]
	v_fma_f64 v[14:15], v[204:205], v[92:93], -v[14:15]
	ds_read_b128 v[92:95], v2 offset:1680
	v_mul_f64 v[98:99], v[194:195], v[98:99]
	v_fma_f64 v[6:7], v[192:193], v[96:97], -v[98:99]
	ds_read_b128 v[96:99], v2 offset:1696
	ds_read_b128 v[192:195], v2 offset:1712
	s_waitcnt vmcnt(12) lgkmcnt(3)
	v_mul_f64 v[204:205], v[188:189], v[126:127]
	v_fmac_f64_e32 v[204:205], v[190:191], v[124:125]
	s_waitcnt vmcnt(11) lgkmcnt(2)
	v_mul_f64 v[18:19], v[92:93], v[130:131]
	v_add_f64 v[0:1], v[0:1], v[204:205]
	v_fmac_f64_e32 v[18:19], v[94:95], v[128:129]
	v_add_f64 v[0:1], v[0:1], v[18:19]
	s_waitcnt vmcnt(10) lgkmcnt(1)
	v_mul_f64 v[18:19], v[96:97], v[134:135]
	v_fmac_f64_e32 v[18:19], v[98:99], v[132:133]
	v_add_f64 v[0:1], v[0:1], v[18:19]
	v_mul_f64 v[18:19], v[210:211], v[102:103]
	v_fma_f64 v[18:19], v[208:209], v[100:101], -v[18:19]
	ds_read_b128 v[100:103], v2 offset:1728
	v_mul_f64 v[106:107], v[198:199], v[106:107]
	v_fma_f64 v[4:5], v[196:197], v[104:105], -v[106:107]
	ds_read_b128 v[104:107], v2 offset:1744
	s_waitcnt vmcnt(9) lgkmcnt(2)
	v_mul_f64 v[204:205], v[192:193], v[42:43]
	v_fmac_f64_e32 v[204:205], v[194:195], v[40:41]
	s_waitcnt vmcnt(8) lgkmcnt(1)
	v_mul_f64 v[22:23], v[100:101], v[46:47]
	v_add_f64 v[0:1], v[0:1], v[204:205]
	v_fmac_f64_e32 v[22:23], v[102:103], v[44:45]
	v_add_f64 v[0:1], v[0:1], v[22:23]
	s_waitcnt vmcnt(7) lgkmcnt(0)
	v_mul_f64 v[22:23], v[104:105], v[50:51]
	ds_read_b128 v[196:199], v2 offset:1760
	v_fmac_f64_e32 v[22:23], v[106:107], v[48:49]
	v_add_f64 v[0:1], v[0:1], v[22:23]
	v_mul_f64 v[22:23], v[186:187], v[114:115]
	v_fma_f64 v[22:23], v[184:185], v[112:113], -v[22:23]
	ds_read_b128 v[112:115], v2 offset:1776
	s_waitcnt vmcnt(6) lgkmcnt(1)
	v_mul_f64 v[184:185], v[196:197], v[54:55]
	v_fmac_f64_e32 v[184:185], v[198:199], v[52:53]
	v_add_f64 v[184:185], v[0:1], v[184:185]
	v_mul_f64 v[0:1], v[202:203], v[138:139]
	v_fma_f64 v[0:1], v[200:201], v[136:137], -v[0:1]
	ds_read_b128 v[136:139], v2 offset:1792
	s_waitcnt vmcnt(5) lgkmcnt(1)
	v_mul_f64 v[186:187], v[112:113], v[62:63]
	v_fmac_f64_e32 v[186:187], v[114:115], v[60:61]
	v_add_f64 v[200:201], v[184:185], v[186:187]
	ds_read_b128 v[184:187], v2 offset:1808
	v_mul_f64 v[142:143], v[238:239], v[142:143]
	v_fma_f64 v[250:251], v[236:237], v[140:141], -v[142:143]
	ds_read_b128 v[140:143], v2 offset:1824
	ds_read_b128 v[208:211], v2 offset:1856
	s_waitcnt vmcnt(4) lgkmcnt(3)
	v_mul_f64 v[202:203], v[136:137], v[58:59]
	v_fmac_f64_e32 v[202:203], v[138:139], v[56:57]
	v_add_f64 v[200:201], v[200:201], v[202:203]
	s_waitcnt vmcnt(3) lgkmcnt(2)
	v_mul_f64 v[202:203], v[184:185], v[70:71]
	v_fmac_f64_e32 v[202:203], v[186:187], v[68:69]
	v_add_f64 v[200:201], v[200:201], v[202:203]
	;; [unrolled: 4-line block ×3, first 2 shown]
	ds_read_b128 v[200:203], v2 offset:1840
	ds_read_b128 v[216:219], v2 offset:1872
	;; [unrolled: 1-line block ×3, first 2 shown]
	s_waitcnt vmcnt(1) lgkmcnt(2)
	v_mul_f64 v[206:207], v[200:201], v[78:79]
	v_fmac_f64_e32 v[206:207], v[202:203], v[76:77]
	v_add_f64 v[212:213], v[204:205], v[206:207]
	scratch_load_dwordx4 v[204:207], off, off offset:912
	s_waitcnt vmcnt(0)
	v_mul_f64 v[214:215], v[208:209], v[206:207]
	v_fmac_f64_e32 v[214:215], v[210:211], v[204:205]
	v_add_f64 v[220:221], v[212:213], v[214:215]
	scratch_load_dwordx4 v[212:215], off, off offset:928
	s_waitcnt vmcnt(0) lgkmcnt(1)
	v_mul_f64 v[222:223], v[216:217], v[214:215]
	v_fmac_f64_e32 v[222:223], v[218:219], v[212:213]
	v_add_f64 v[228:229], v[220:221], v[222:223]
	scratch_load_dwordx4 v[220:223], off, off offset:944
	s_waitcnt vmcnt(0) lgkmcnt(0)
	v_mul_f64 v[230:231], v[224:225], v[222:223]
	v_fmac_f64_e32 v[230:231], v[226:227], v[220:221]
	v_add_f64 v[236:237], v[228:229], v[230:231]
	ds_read_b128 v[228:231], v2 offset:1904
	s_waitcnt lgkmcnt(0)
	v_mul_f64 v[2:3], v[228:229], v[234:235]
	v_fmac_f64_e32 v[2:3], v[230:231], v[232:233]
	v_add_f64 v[2:3], v[236:237], v[2:3]
	v_add_f64 v[236:237], v[240:241], 0
	;; [unrolled: 1-line block ×9, first 2 shown]
	scratch_load_dwordx4 v[236:239], off, off offset:192
	v_add_f64 v[16:17], v[20:21], v[16:17]
	v_add_f64 v[12:13], v[16:17], v[12:13]
	;; [unrolled: 1-line block ×8, first 2 shown]
	v_accvgpr_read_b32 v6, a130
	v_accvgpr_read_b32 v8, a132
	v_accvgpr_read_b32 v9, a133
	v_add_f64 v[252:253], v[4:5], v[22:23]
	v_accvgpr_read_b32 v7, a131
	v_mul_f64 v[4:5], v[146:147], v[8:9]
	v_add_f64 v[0:1], v[252:253], v[0:1]
	v_fma_f64 v[4:5], v[144:145], v[6:7], -v[4:5]
	v_accvgpr_read_b32 v6, a134
	v_add_f64 v[0:1], v[0:1], v[250:251]
	v_accvgpr_read_b32 v8, a136
	v_accvgpr_read_b32 v9, a137
	v_add_f64 v[0:1], v[0:1], v[4:5]
	v_accvgpr_read_b32 v7, a135
	v_mul_f64 v[4:5], v[150:151], v[8:9]
	v_fma_f64 v[4:5], v[148:149], v[6:7], -v[4:5]
	v_accvgpr_read_b32 v6, a138
	v_accvgpr_read_b32 v8, a140
	v_accvgpr_read_b32 v9, a141
	v_add_f64 v[0:1], v[0:1], v[4:5]
	v_accvgpr_read_b32 v7, a139
	v_mul_f64 v[4:5], v[154:155], v[8:9]
	v_fma_f64 v[4:5], v[152:153], v[6:7], -v[4:5]
	v_accvgpr_read_b32 v6, a142
	;; [unrolled: 7-line block ×3, first 2 shown]
	v_accvgpr_read_b32 v8, a148
	v_accvgpr_read_b32 v9, a149
	v_add_f64 v[0:1], v[0:1], v[4:5]
	v_accvgpr_read_b32 v7, a147
	v_mul_f64 v[4:5], v[162:163], v[8:9]
	v_fma_f64 v[4:5], v[160:161], v[6:7], -v[4:5]
	v_add_f64 v[0:1], v[0:1], v[4:5]
	v_mul_f64 v[4:5], v[166:167], v[34:35]
	v_fma_f64 v[4:5], v[164:165], v[32:33], -v[4:5]
	v_add_f64 v[0:1], v[0:1], v[4:5]
	;; [unrolled: 3-line block ×25, first 2 shown]
	s_waitcnt vmcnt(0)
	v_add_f64 v[4:5], v[236:237], -v[0:1]
	v_accvgpr_read_b32 v0, a120
	v_add_f64 v[6:7], v[238:239], -v[2:3]
	v_cmp_lt_u32_e32 vcc, 10, v0
	scratch_store_dwordx4 off, v[4:7], off offset:192
	s_and_saveexec_b64 s[0:1], vcc
	s_cbranch_execz .LBB59_353
; %bb.352:
	scratch_load_dwordx4 v[2:5], off, s27
	v_mov_b32_e32 v6, 0
	v_mov_b32_e32 v7, v6
	;; [unrolled: 1-line block ×4, first 2 shown]
	v_accvgpr_read_b32 v0, a121
	scratch_store_dwordx4 off, v[6:9], off offset:176
	s_waitcnt vmcnt(1)
	ds_write_b128 v0, v[2:5]
.LBB59_353:
	s_or_b64 exec, exec, s[0:1]
	s_waitcnt lgkmcnt(0)
	; wave barrier
	scratch_load_dwordx4 v[56:59], off, off offset:192
	scratch_load_dwordx4 v[60:63], off, off offset:208
	;; [unrolled: 1-line block ×28, first 2 shown]
	v_mov_b32_e32 v2, 0
	ds_read_b128 v[116:119], v2 offset:1136
	ds_read_b128 v[120:123], v2 offset:1152
	;; [unrolled: 1-line block ×22, first 2 shown]
	s_waitcnt vmcnt(27) lgkmcnt(14)
	v_mul_f64 v[0:1], v[116:117], v[58:59]
	s_waitcnt vmcnt(26)
	v_mul_f64 v[32:33], v[120:121], v[62:63]
	v_fmac_f64_e32 v[0:1], v[118:119], v[56:57]
	s_waitcnt vmcnt(25)
	v_mul_f64 v[34:35], v[124:125], v[66:67]
	v_fmac_f64_e32 v[32:33], v[122:123], v[60:61]
	v_add_f64 v[0:1], v[0:1], 0
	v_fmac_f64_e32 v[34:35], v[126:127], v[64:65]
	v_add_f64 v[0:1], v[0:1], v[32:33]
	v_add_f64 v[0:1], v[0:1], v[34:35]
	scratch_load_dwordx4 v[32:35], off, off offset:640
	s_waitcnt vmcnt(25)
	v_mul_f64 v[36:37], v[128:129], v[70:71]
	s_waitcnt vmcnt(24)
	v_mul_f64 v[38:39], v[132:133], v[74:75]
	v_fmac_f64_e32 v[36:37], v[130:131], v[68:69]
	s_waitcnt vmcnt(23)
	v_mul_f64 v[40:41], v[140:141], v[78:79]
	v_fmac_f64_e32 v[38:39], v[134:135], v[72:73]
	v_add_f64 v[0:1], v[0:1], v[36:37]
	s_waitcnt vmcnt(22)
	v_mul_f64 v[42:43], v[152:153], v[82:83]
	v_fmac_f64_e32 v[40:41], v[142:143], v[76:77]
	v_add_f64 v[0:1], v[0:1], v[38:39]
	s_waitcnt vmcnt(21)
	v_mul_f64 v[44:45], v[164:165], v[86:87]
	v_fmac_f64_e32 v[42:43], v[154:155], v[80:81]
	v_add_f64 v[0:1], v[0:1], v[40:41]
	s_waitcnt vmcnt(20) lgkmcnt(13)
	v_mul_f64 v[46:47], v[176:177], v[94:95]
	v_fmac_f64_e32 v[44:45], v[166:167], v[84:85]
	v_add_f64 v[0:1], v[0:1], v[42:43]
	s_waitcnt vmcnt(19) lgkmcnt(12)
	v_mul_f64 v[48:49], v[188:189], v[98:99]
	v_fmac_f64_e32 v[46:47], v[178:179], v[92:93]
	v_add_f64 v[0:1], v[0:1], v[44:45]
	;; [unrolled: 4-line block ×9, first 2 shown]
	v_add_f64 v[0:1], v[0:1], v[104:105]
	v_fmac_f64_e32 v[106:107], v[222:223], v[168:169]
	s_waitcnt vmcnt(11) lgkmcnt(4)
	v_mul_f64 v[40:41], v[224:225], v[174:175]
	v_add_f64 v[0:1], v[0:1], v[106:107]
	v_fmac_f64_e32 v[40:41], v[226:227], v[172:173]
	scratch_load_dwordx4 v[36:39], off, off offset:656
	v_add_f64 v[0:1], v[0:1], v[40:41]
	s_waitcnt vmcnt(11) lgkmcnt(3)
	v_mul_f64 v[40:41], v[228:229], v[182:183]
	v_fmac_f64_e32 v[40:41], v[230:231], v[180:181]
	s_waitcnt vmcnt(10) lgkmcnt(2)
	v_mul_f64 v[44:45], v[248:249], v[186:187]
	v_add_f64 v[0:1], v[0:1], v[40:41]
	v_fmac_f64_e32 v[44:45], v[250:251], v[184:185]
	scratch_load_dwordx4 v[40:43], off, off offset:672
	ds_read_b128 v[88:91], v2 offset:1472
	v_add_f64 v[0:1], v[0:1], v[44:45]
	s_waitcnt vmcnt(10) lgkmcnt(2)
	v_mul_f64 v[44:45], v[252:253], v[194:195]
	v_fmac_f64_e32 v[44:45], v[254:255], v[192:193]
	v_add_f64 v[0:1], v[0:1], v[44:45]
	scratch_load_dwordx4 v[44:47], off, off offset:688
	ds_read_b128 v[104:107], v2 offset:1488
	s_waitcnt vmcnt(10) lgkmcnt(1)
	v_mul_f64 v[48:49], v[88:89], v[6:7]
	v_accvgpr_write_b32 a125, v7
	v_fmac_f64_e32 v[48:49], v[90:91], v[4:5]
	v_accvgpr_write_b32 a124, v6
	v_accvgpr_write_b32 a123, v5
	;; [unrolled: 1-line block ×3, first 2 shown]
	s_waitcnt vmcnt(9)
	v_mov_b64_e32 v[4:5], v[8:9]
	v_add_f64 v[0:1], v[0:1], v[48:49]
	scratch_load_dwordx4 v[48:51], off, off offset:704
	v_mov_b64_e32 v[6:7], v[10:11]
	s_waitcnt lgkmcnt(0)
	v_mul_f64 v[52:53], v[104:105], v[6:7]
	v_fmac_f64_e32 v[52:53], v[106:107], v[4:5]
	v_add_f64 v[0:1], v[0:1], v[52:53]
	scratch_load_dwordx4 v[52:55], off, off offset:720
	v_mul_f64 v[58:59], v[118:119], v[58:59]
	s_waitcnt vmcnt(10)
	v_mov_b64_e32 v[4:5], v[12:13]
	v_fma_f64 v[240:241], v[116:117], v[56:57], -v[58:59]
	scratch_load_dwordx4 v[56:59], off, off offset:736
	v_mov_b64_e32 v[6:7], v[14:15]
	v_mul_f64 v[112:113], v[108:109], v[6:7]
	v_fmac_f64_e32 v[112:113], v[110:111], v[4:5]
	v_add_f64 v[0:1], v[0:1], v[112:113]
	ds_read_b128 v[112:115], v2 offset:1520
	ds_read_b128 v[116:119], v2 offset:1536
	v_mul_f64 v[62:63], v[122:123], v[62:63]
	v_fma_f64 v[242:243], v[120:121], v[60:61], -v[62:63]
	scratch_load_dwordx4 v[60:63], off, off offset:752
	s_waitcnt vmcnt(11)
	v_mov_b64_e32 v[4:5], v[16:17]
	v_mul_f64 v[66:67], v[126:127], v[66:67]
	v_mov_b64_e32 v[6:7], v[18:19]
	v_fma_f64 v[244:245], v[124:125], v[64:65], -v[66:67]
	scratch_load_dwordx4 v[64:67], off, off offset:768
	s_waitcnt lgkmcnt(1)
	v_mul_f64 v[120:121], v[112:113], v[6:7]
	v_fmac_f64_e32 v[120:121], v[114:115], v[4:5]
	s_waitcnt vmcnt(11)
	v_mov_b64_e32 v[4:5], v[20:21]
	v_mov_b64_e32 v[6:7], v[22:23]
	v_add_f64 v[0:1], v[0:1], v[120:121]
	s_waitcnt lgkmcnt(0)
	v_mul_f64 v[120:121], v[116:117], v[6:7]
	v_fmac_f64_e32 v[120:121], v[118:119], v[4:5]
	v_mul_f64 v[70:71], v[130:131], v[70:71]
	v_add_f64 v[0:1], v[0:1], v[120:121]
	v_fma_f64 v[246:247], v[128:129], v[68:69], -v[70:71]
	scratch_load_dwordx4 v[68:71], off, off offset:784
	ds_read_b128 v[120:123], v2 offset:1552
	ds_read_b128 v[124:127], v2 offset:1568
	v_mul_f64 v[74:75], v[134:135], v[74:75]
	v_accvgpr_write_b32 a129, v11
	v_fma_f64 v[232:233], v[132:133], v[72:73], -v[74:75]
	scratch_load_dwordx4 v[72:75], off, off offset:800
	v_accvgpr_write_b32 a128, v10
	v_accvgpr_write_b32 a127, v9
	;; [unrolled: 1-line block ×3, first 2 shown]
	v_mul_f64 v[78:79], v[142:143], v[78:79]
	s_waitcnt vmcnt(12)
	v_mov_b64_e32 v[8:9], v[24:25]
	v_fma_f64 v[28:29], v[140:141], v[76:77], -v[78:79]
	v_mov_b64_e32 v[10:11], v[26:27]
	scratch_load_dwordx4 v[76:79], off, off offset:816
	s_waitcnt lgkmcnt(1)
	v_mul_f64 v[6:7], v[120:121], v[10:11]
	v_fmac_f64_e32 v[6:7], v[122:123], v[8:9]
	v_accvgpr_write_b32 a145, v27
	v_add_f64 v[0:1], v[0:1], v[6:7]
	v_mul_f64 v[6:7], v[154:155], v[82:83]
	v_accvgpr_write_b32 a144, v26
	v_accvgpr_write_b32 a143, v25
	v_accvgpr_write_b32 a142, v24
	v_fma_f64 v[24:25], v[152:153], v[80:81], -v[6:7]
	s_waitcnt vmcnt(12) lgkmcnt(0)
	v_mul_f64 v[6:7], v[124:125], v[236:237]
	v_fmac_f64_e32 v[6:7], v[126:127], v[234:235]
	scratch_load_dwordx4 v[80:83], off, off offset:832
	v_accvgpr_write_b32 a141, v23
	v_add_f64 v[0:1], v[0:1], v[6:7]
	v_mul_f64 v[6:7], v[166:167], v[86:87]
	v_accvgpr_write_b32 a140, v22
	v_accvgpr_write_b32 a139, v21
	;; [unrolled: 1-line block ×3, first 2 shown]
	v_fma_f64 v[20:21], v[164:165], v[84:85], -v[6:7]
	scratch_load_dwordx4 v[84:87], off, off offset:848
	ds_read_b128 v[132:135], v2 offset:1584
	ds_read_b128 v[128:131], v2 offset:1600
	v_accvgpr_write_b32 a137, v19
	v_mul_f64 v[6:7], v[178:179], v[94:95]
	v_accvgpr_write_b32 a133, v15
	v_accvgpr_write_b32 a136, v18
	;; [unrolled: 1-line block ×4, first 2 shown]
	v_fma_f64 v[16:17], v[176:177], v[92:93], -v[6:7]
	v_mul_f64 v[6:7], v[190:191], v[98:99]
	v_accvgpr_write_b32 a132, v14
	v_accvgpr_write_b32 a131, v13
	;; [unrolled: 1-line block ×3, first 2 shown]
	v_fma_f64 v[14:15], v[188:189], v[96:97], -v[6:7]
	scratch_load_dwordx4 v[96:99], off, off offset:864
	scratch_load_dwordx4 v[92:95], off, off offset:880
	s_waitcnt vmcnt(15) lgkmcnt(1)
	v_mul_f64 v[6:7], v[132:133], v[34:35]
	v_fmac_f64_e32 v[6:7], v[134:135], v[32:33]
	v_add_f64 v[0:1], v[0:1], v[6:7]
	v_mul_f64 v[6:7], v[198:199], v[102:103]
	v_fma_f64 v[12:13], v[196:197], v[100:101], -v[6:7]
	scratch_load_dwordx4 v[100:103], off, off offset:896
	v_mul_f64 v[6:7], v[202:203], v[138:139]
	v_fma_f64 v[18:19], v[200:201], v[136:137], -v[6:7]
	ds_read_b128 v[136:139], v2 offset:1616
	ds_read_b128 v[140:143], v2 offset:1632
	s_waitcnt vmcnt(15) lgkmcnt(2)
	v_mul_f64 v[6:7], v[128:129], v[38:39]
	v_fmac_f64_e32 v[6:7], v[130:131], v[36:37]
	v_add_f64 v[0:1], v[0:1], v[6:7]
	s_waitcnt vmcnt(14) lgkmcnt(1)
	v_mul_f64 v[6:7], v[136:137], v[42:43]
	v_fmac_f64_e32 v[6:7], v[138:139], v[40:41]
	v_add_f64 v[0:1], v[0:1], v[6:7]
	v_mul_f64 v[6:7], v[206:207], v[146:147]
	v_fma_f64 v[10:11], v[204:205], v[144:145], -v[6:7]
	ds_read_b128 v[144:147], v2 offset:1648
	s_waitcnt vmcnt(13) lgkmcnt(1)
	v_mul_f64 v[6:7], v[140:141], v[46:47]
	v_fmac_f64_e32 v[6:7], v[142:143], v[44:45]
	v_add_f64 v[0:1], v[0:1], v[6:7]
	v_mul_f64 v[6:7], v[210:211], v[150:151]
	v_fma_f64 v[22:23], v[208:209], v[148:149], -v[6:7]
	ds_read_b128 v[148:151], v2 offset:1664
	s_waitcnt vmcnt(12) lgkmcnt(1)
	v_mul_f64 v[6:7], v[144:145], v[50:51]
	ds_read_b128 v[152:155], v2 offset:1680
	v_fmac_f64_e32 v[6:7], v[146:147], v[48:49]
	v_add_f64 v[0:1], v[0:1], v[6:7]
	v_mul_f64 v[6:7], v[214:215], v[158:159]
	v_fma_f64 v[8:9], v[212:213], v[156:157], -v[6:7]
	s_waitcnt vmcnt(11) lgkmcnt(1)
	v_mul_f64 v[6:7], v[148:149], v[54:55]
	v_fmac_f64_e32 v[6:7], v[150:151], v[52:53]
	ds_read_b128 v[156:159], v2 offset:1696
	v_add_f64 v[0:1], v[0:1], v[6:7]
	s_waitcnt vmcnt(10) lgkmcnt(1)
	v_mul_f64 v[6:7], v[152:153], v[58:59]
	v_fmac_f64_e32 v[6:7], v[154:155], v[56:57]
	v_add_f64 v[0:1], v[0:1], v[6:7]
	v_mul_f64 v[6:7], v[218:219], v[162:163]
	v_fma_f64 v[26:27], v[216:217], v[160:161], -v[6:7]
	ds_read_b128 v[160:163], v2 offset:1712
	ds_read_b128 v[164:167], v2 offset:1728
	s_waitcnt vmcnt(9) lgkmcnt(2)
	v_mul_f64 v[6:7], v[156:157], v[62:63]
	v_fmac_f64_e32 v[6:7], v[158:159], v[60:61]
	v_add_f64 v[0:1], v[0:1], v[6:7]
	s_waitcnt vmcnt(8) lgkmcnt(1)
	v_mul_f64 v[6:7], v[160:161], v[66:67]
	v_fmac_f64_e32 v[6:7], v[162:163], v[64:65]
	v_add_f64 v[0:1], v[0:1], v[6:7]
	v_mul_f64 v[6:7], v[222:223], v[170:171]
	v_fma_f64 v[4:5], v[220:221], v[168:169], -v[6:7]
	ds_read_b128 v[168:171], v2 offset:1744
	v_mul_f64 v[6:7], v[226:227], v[174:175]
	v_fma_f64 v[6:7], v[224:225], v[172:173], -v[6:7]
	ds_read_b128 v[172:175], v2 offset:1760
	s_waitcnt vmcnt(7) lgkmcnt(2)
	v_mul_f64 v[30:31], v[164:165], v[70:71]
	v_fmac_f64_e32 v[30:31], v[166:167], v[68:69]
	v_add_f64 v[0:1], v[0:1], v[30:31]
	s_waitcnt vmcnt(6) lgkmcnt(1)
	v_mul_f64 v[30:31], v[168:169], v[74:75]
	v_fmac_f64_e32 v[30:31], v[170:171], v[72:73]
	v_add_f64 v[0:1], v[0:1], v[30:31]
	s_waitcnt vmcnt(5) lgkmcnt(0)
	v_mul_f64 v[30:31], v[172:173], v[78:79]
	ds_read_b128 v[176:179], v2 offset:1776
	v_fmac_f64_e32 v[30:31], v[174:175], v[76:77]
	v_add_f64 v[30:31], v[0:1], v[30:31]
	v_mul_f64 v[0:1], v[230:231], v[182:183]
	v_fma_f64 v[0:1], v[228:229], v[180:181], -v[0:1]
	ds_read_b128 v[180:183], v2 offset:1792
	v_mul_f64 v[186:187], v[250:251], v[186:187]
	s_waitcnt vmcnt(4) lgkmcnt(1)
	v_mul_f64 v[188:189], v[176:177], v[82:83]
	v_fma_f64 v[238:239], v[248:249], v[184:185], -v[186:187]
	ds_read_b128 v[184:187], v2 offset:1808
	v_fmac_f64_e32 v[188:189], v[178:179], v[80:81]
	v_add_f64 v[30:31], v[30:31], v[188:189]
	ds_read_b128 v[188:191], v2 offset:1824
	s_waitcnt vmcnt(3) lgkmcnt(2)
	v_mul_f64 v[196:197], v[180:181], v[86:87]
	v_mul_f64 v[194:195], v[254:255], v[194:195]
	v_fmac_f64_e32 v[196:197], v[182:183], v[84:85]
	v_fma_f64 v[248:249], v[252:253], v[192:193], -v[194:195]
	ds_read_b128 v[192:195], v2 offset:1840
	ds_read_b128 v[200:203], v2 offset:1856
	v_add_f64 v[30:31], v[30:31], v[196:197]
	s_waitcnt vmcnt(2) lgkmcnt(3)
	v_mul_f64 v[196:197], v[184:185], v[98:99]
	v_fmac_f64_e32 v[196:197], v[186:187], v[96:97]
	v_add_f64 v[30:31], v[30:31], v[196:197]
	s_waitcnt vmcnt(1) lgkmcnt(2)
	v_mul_f64 v[196:197], v[188:189], v[94:95]
	v_fmac_f64_e32 v[196:197], v[190:191], v[92:93]
	;; [unrolled: 4-line block ×3, first 2 shown]
	v_add_f64 v[30:31], v[30:31], v[196:197]
	scratch_load_dwordx4 v[196:199], off, off offset:912
	ds_read_b128 v[208:211], v2 offset:1872
	ds_read_b128 v[216:219], v2 offset:1888
	;; [unrolled: 1-line block ×3, first 2 shown]
	s_waitcnt vmcnt(0) lgkmcnt(3)
	v_mul_f64 v[204:205], v[200:201], v[198:199]
	v_fmac_f64_e32 v[204:205], v[202:203], v[196:197]
	v_add_f64 v[30:31], v[30:31], v[204:205]
	scratch_load_dwordx4 v[204:207], off, off offset:928
	s_waitcnt vmcnt(0) lgkmcnt(2)
	v_mul_f64 v[212:213], v[208:209], v[206:207]
	v_fmac_f64_e32 v[212:213], v[210:211], v[204:205]
	v_add_f64 v[30:31], v[30:31], v[212:213]
	scratch_load_dwordx4 v[212:215], off, off offset:944
	;; [unrolled: 5-line block ×3, first 2 shown]
	s_waitcnt vmcnt(0) lgkmcnt(0)
	v_mul_f64 v[228:229], v[224:225], v[222:223]
	v_fmac_f64_e32 v[228:229], v[226:227], v[220:221]
	v_add_f64 v[252:253], v[30:31], v[228:229]
	v_add_f64 v[30:31], v[240:241], 0
	;; [unrolled: 1-line block ×3, first 2 shown]
	scratch_load_dwordx4 v[228:231], off, off offset:176
	v_add_f64 v[30:31], v[30:31], v[244:245]
	v_add_f64 v[30:31], v[30:31], v[246:247]
	;; [unrolled: 1-line block ×16, first 2 shown]
	v_accvgpr_read_b32 v6, a122
	v_accvgpr_read_b32 v8, a124
	;; [unrolled: 1-line block ×3, first 2 shown]
	v_add_f64 v[0:1], v[4:5], v[0:1]
	v_accvgpr_read_b32 v7, a123
	v_mul_f64 v[4:5], v[90:91], v[8:9]
	v_add_f64 v[0:1], v[0:1], v[238:239]
	v_fma_f64 v[4:5], v[88:89], v[6:7], -v[4:5]
	v_accvgpr_read_b32 v6, a126
	v_add_f64 v[0:1], v[0:1], v[248:249]
	v_accvgpr_read_b32 v8, a128
	v_accvgpr_read_b32 v9, a129
	v_add_f64 v[0:1], v[0:1], v[4:5]
	v_accvgpr_read_b32 v7, a127
	v_mul_f64 v[4:5], v[106:107], v[8:9]
	v_fma_f64 v[4:5], v[104:105], v[6:7], -v[4:5]
	v_accvgpr_read_b32 v6, a130
	v_accvgpr_read_b32 v8, a132
	v_accvgpr_read_b32 v9, a133
	v_add_f64 v[0:1], v[0:1], v[4:5]
	v_accvgpr_read_b32 v7, a131
	v_mul_f64 v[4:5], v[110:111], v[8:9]
	v_fma_f64 v[4:5], v[108:109], v[6:7], -v[4:5]
	v_accvgpr_read_b32 v6, a134
	;; [unrolled: 7-line block ×4, first 2 shown]
	v_accvgpr_read_b32 v8, a144
	v_accvgpr_read_b32 v9, a145
	v_add_f64 v[0:1], v[0:1], v[4:5]
	v_accvgpr_read_b32 v7, a143
	v_mul_f64 v[4:5], v[122:123], v[8:9]
	v_fma_f64 v[4:5], v[120:121], v[6:7], -v[4:5]
	v_add_f64 v[0:1], v[0:1], v[4:5]
	v_mul_f64 v[4:5], v[126:127], v[236:237]
	v_fma_f64 v[4:5], v[124:125], v[234:235], -v[4:5]
	v_add_f64 v[0:1], v[0:1], v[4:5]
	;; [unrolled: 3-line block ×23, first 2 shown]
	s_waitcnt vmcnt(0)
	v_add_f64 v[4:5], v[228:229], -v[0:1]
	v_accvgpr_read_b32 v0, a120
	v_add_f64 v[6:7], v[230:231], -v[252:253]
	v_cmp_lt_u32_e32 vcc, 9, v0
	scratch_store_dwordx4 off, v[4:7], off offset:176
	s_and_saveexec_b64 s[0:1], vcc
	s_cbranch_execz .LBB59_355
; %bb.354:
	scratch_load_dwordx4 v[6:9], off, s26
	v_mov_b32_e32 v3, v2
	v_mov_b32_e32 v4, v2
	;; [unrolled: 1-line block ×3, first 2 shown]
	v_accvgpr_read_b32 v0, a121
	scratch_store_dwordx4 off, v[2:5], off offset:160
	s_waitcnt vmcnt(1)
	ds_write_b128 v0, v[6:9]
.LBB59_355:
	s_or_b64 exec, exec, s[0:1]
	s_waitcnt lgkmcnt(0)
	; wave barrier
	scratch_load_dwordx4 v[56:59], off, off offset:176
	scratch_load_dwordx4 v[60:63], off, off offset:192
	;; [unrolled: 1-line block ×18, first 2 shown]
	ds_read_b128 v[116:119], v2 offset:1120
	ds_read_b128 v[220:223], v2 offset:1136
	;; [unrolled: 1-line block ×6, first 2 shown]
	scratch_load_dwordx4 v[180:183], off, off offset:464
	ds_read_b128 v[204:207], v2 offset:1216
	ds_read_b128 v[132:135], v2 offset:1232
	scratch_load_dwordx4 v[184:187], off, off offset:480
	ds_read_b128 v[224:227], v2 offset:1248
	ds_read_b128 v[216:219], v2 offset:1264
	;; [unrolled: 1-line block ×5, first 2 shown]
	scratch_load_dwordx4 v[192:195], off, off offset:496
	ds_read_b128 v[200:203], v2 offset:1328
	ds_read_b128 v[164:167], v2 offset:1344
	scratch_load_dwordx4 v[4:7], off, off offset:512
	ds_read_b128 v[212:215], v2 offset:1360
	ds_read_b128 v[188:191], v2 offset:1376
	ds_read_b128 v[176:179], v2 offset:1392
	scratch_load_dwordx4 v[8:11], off, off offset:528
	scratch_load_dwordx4 v[12:15], off, off offset:544
	scratch_load_dwordx4 v[16:19], off, off offset:560
	scratch_load_dwordx4 v[20:23], off, off offset:576
	scratch_load_dwordx4 v[24:27], off, off offset:592
	scratch_load_dwordx4 v[28:31], off, off offset:608
	ds_read_b128 v[228:231], v2 offset:1408
	ds_read_b128 v[232:235], v2 offset:1424
	;; [unrolled: 1-line block ×4, first 2 shown]
	s_waitcnt vmcnt(27) lgkmcnt(14)
	v_mul_f64 v[0:1], v[116:117], v[58:59]
	s_waitcnt vmcnt(26)
	v_mul_f64 v[32:33], v[220:221], v[62:63]
	v_fmac_f64_e32 v[0:1], v[118:119], v[56:57]
	s_waitcnt vmcnt(25)
	v_mul_f64 v[34:35], v[208:209], v[66:67]
	v_fmac_f64_e32 v[32:33], v[222:223], v[60:61]
	v_add_f64 v[0:1], v[0:1], 0
	v_fmac_f64_e32 v[34:35], v[210:211], v[64:65]
	v_add_f64 v[0:1], v[0:1], v[32:33]
	v_add_f64 v[0:1], v[0:1], v[34:35]
	scratch_load_dwordx4 v[32:35], off, off offset:624
	s_waitcnt vmcnt(25)
	v_mul_f64 v[36:37], v[120:121], v[70:71]
	s_waitcnt vmcnt(24)
	v_mul_f64 v[38:39], v[128:129], v[74:75]
	v_fmac_f64_e32 v[36:37], v[122:123], v[68:69]
	s_waitcnt vmcnt(23)
	v_mul_f64 v[40:41], v[124:125], v[78:79]
	v_fmac_f64_e32 v[38:39], v[130:131], v[72:73]
	v_add_f64 v[0:1], v[0:1], v[36:37]
	s_waitcnt vmcnt(22)
	v_mul_f64 v[42:43], v[204:205], v[82:83]
	v_fmac_f64_e32 v[40:41], v[126:127], v[76:77]
	v_add_f64 v[0:1], v[0:1], v[38:39]
	;; [unrolled: 4-line block ×3, first 2 shown]
	s_waitcnt vmcnt(20) lgkmcnt(13)
	v_mul_f64 v[46:47], v[224:225], v[94:95]
	v_fmac_f64_e32 v[44:45], v[134:135], v[84:85]
	v_add_f64 v[0:1], v[0:1], v[42:43]
	s_waitcnt vmcnt(19) lgkmcnt(12)
	v_mul_f64 v[48:49], v[216:217], v[98:99]
	v_fmac_f64_e32 v[46:47], v[226:227], v[92:93]
	v_add_f64 v[0:1], v[0:1], v[44:45]
	;; [unrolled: 4-line block ×9, first 2 shown]
	v_fmac_f64_e32 v[106:107], v[190:191], v[168:169]
	v_add_f64 v[0:1], v[0:1], v[104:105]
	s_waitcnt vmcnt(11) lgkmcnt(4)
	v_mul_f64 v[40:41], v[176:177], v[174:175]
	v_add_f64 v[0:1], v[0:1], v[106:107]
	v_fmac_f64_e32 v[40:41], v[178:179], v[172:173]
	scratch_load_dwordx4 v[36:39], off, off offset:640
	v_add_f64 v[0:1], v[0:1], v[40:41]
	s_waitcnt vmcnt(11) lgkmcnt(3)
	v_mul_f64 v[40:41], v[228:229], v[182:183]
	v_fmac_f64_e32 v[40:41], v[230:231], v[180:181]
	v_add_f64 v[0:1], v[0:1], v[40:41]
	scratch_load_dwordx4 v[40:43], off, off offset:656
	ds_read_b128 v[88:91], v2 offset:1456
	s_waitcnt vmcnt(11) lgkmcnt(3)
	v_mul_f64 v[44:45], v[232:233], v[186:187]
	v_fmac_f64_e32 v[44:45], v[234:235], v[184:185]
	v_add_f64 v[0:1], v[0:1], v[44:45]
	s_waitcnt vmcnt(10) lgkmcnt(2)
	v_mul_f64 v[44:45], v[236:237], v[194:195]
	v_fmac_f64_e32 v[44:45], v[238:239], v[192:193]
	s_waitcnt vmcnt(9) lgkmcnt(0)
	v_mul_f64 v[48:49], v[88:89], v[6:7]
	ds_read_b128 v[104:107], v2 offset:1472
	v_add_f64 v[0:1], v[0:1], v[44:45]
	scratch_load_dwordx4 v[44:47], off, off offset:672
	v_fmac_f64_e32 v[48:49], v[90:91], v[4:5]
	v_accvgpr_write_b32 a125, v7
	v_add_f64 v[0:1], v[0:1], v[48:49]
	scratch_load_dwordx4 v[48:51], off, off offset:688
	v_accvgpr_write_b32 a124, v6
	v_accvgpr_write_b32 a123, v5
	;; [unrolled: 1-line block ×3, first 2 shown]
	s_waitcnt vmcnt(10)
	v_mov_b64_e32 v[4:5], v[8:9]
	v_mov_b64_e32 v[6:7], v[10:11]
	s_waitcnt lgkmcnt(0)
	v_mul_f64 v[52:53], v[104:105], v[6:7]
	v_fmac_f64_e32 v[52:53], v[106:107], v[4:5]
	v_add_f64 v[0:1], v[0:1], v[52:53]
	scratch_load_dwordx4 v[52:55], off, off offset:704
	v_mul_f64 v[58:59], v[118:119], v[58:59]
	v_fma_f64 v[240:241], v[116:117], v[56:57], -v[58:59]
	scratch_load_dwordx4 v[56:59], off, off offset:720
	v_mul_f64 v[62:63], v[222:223], v[62:63]
	v_fma_f64 v[242:243], v[220:221], v[60:61], -v[62:63]
	scratch_load_dwordx4 v[60:63], off, off offset:736
	s_waitcnt vmcnt(12)
	v_mov_b64_e32 v[4:5], v[12:13]
	v_mul_f64 v[66:67], v[210:211], v[66:67]
	v_mov_b64_e32 v[6:7], v[14:15]
	v_fma_f64 v[244:245], v[208:209], v[64:65], -v[66:67]
	scratch_load_dwordx4 v[64:67], off, off offset:752
	v_mul_f64 v[112:113], v[108:109], v[6:7]
	v_fmac_f64_e32 v[112:113], v[110:111], v[4:5]
	v_add_f64 v[0:1], v[0:1], v[112:113]
	ds_read_b128 v[112:115], v2 offset:1504
	ds_read_b128 v[116:119], v2 offset:1520
	s_waitcnt vmcnt(12)
	v_mov_b64_e32 v[4:5], v[16:17]
	v_mul_f64 v[70:71], v[122:123], v[70:71]
	v_mov_b64_e32 v[6:7], v[18:19]
	v_fma_f64 v[246:247], v[120:121], v[68:69], -v[70:71]
	scratch_load_dwordx4 v[68:71], off, off offset:768
	v_mul_f64 v[74:75], v[130:131], v[74:75]
	s_waitcnt lgkmcnt(1)
	v_mul_f64 v[220:221], v[112:113], v[6:7]
	v_fma_f64 v[252:253], v[128:129], v[72:73], -v[74:75]
	scratch_load_dwordx4 v[72:75], off, off offset:784
	v_fmac_f64_e32 v[220:221], v[114:115], v[4:5]
	s_waitcnt vmcnt(13)
	v_mov_b64_e32 v[4:5], v[20:21]
	ds_read_b128 v[120:123], v2 offset:1536
	v_mul_f64 v[78:79], v[126:127], v[78:79]
	v_mov_b64_e32 v[6:7], v[22:23]
	v_fma_f64 v[254:255], v[124:125], v[76:77], -v[78:79]
	scratch_load_dwordx4 v[76:79], off, off offset:800
	s_waitcnt lgkmcnt(1)
	v_mul_f64 v[208:209], v[116:117], v[6:7]
	ds_read_b128 v[124:127], v2 offset:1552
	v_fmac_f64_e32 v[208:209], v[118:119], v[4:5]
	s_waitcnt vmcnt(13)
	v_mov_b64_e32 v[4:5], v[24:25]
	v_mul_f64 v[82:83], v[206:207], v[82:83]
	v_mov_b64_e32 v[6:7], v[26:27]
	v_fma_f64 v[248:249], v[204:205], v[80:81], -v[82:83]
	scratch_load_dwordx4 v[80:83], off, off offset:816
	v_add_f64 v[0:1], v[0:1], v[220:221]
	s_waitcnt lgkmcnt(1)
	v_mul_f64 v[128:129], v[120:121], v[6:7]
	v_add_f64 v[0:1], v[0:1], v[208:209]
	v_fmac_f64_e32 v[128:129], v[122:123], v[4:5]
	v_add_f64 v[0:1], v[0:1], v[128:129]
	s_waitcnt vmcnt(13) lgkmcnt(0)
	v_mul_f64 v[128:129], v[124:125], v[30:31]
	v_accvgpr_write_b32 a145, v27
	v_fmac_f64_e32 v[128:129], v[126:127], v[28:29]
	v_mul_f64 v[86:87], v[134:135], v[86:87]
	v_accvgpr_write_b32 a144, v26
	v_accvgpr_write_b32 a143, v25
	;; [unrolled: 1-line block ×3, first 2 shown]
	v_add_f64 v[0:1], v[0:1], v[128:129]
	v_fma_f64 v[24:25], v[132:133], v[84:85], -v[86:87]
	scratch_load_dwordx4 v[84:87], off, off offset:832
	ds_read_b128 v[132:135], v2 offset:1568
	ds_read_b128 v[128:131], v2 offset:1584
	v_accvgpr_write_b32 a141, v23
	v_mul_f64 v[6:7], v[226:227], v[94:95]
	v_accvgpr_write_b32 a137, v19
	v_accvgpr_write_b32 a140, v22
	;; [unrolled: 1-line block ×4, first 2 shown]
	v_fma_f64 v[20:21], v[224:225], v[92:93], -v[6:7]
	v_mul_f64 v[92:93], v[218:219], v[98:99]
	v_accvgpr_write_b32 a129, v11
	v_accvgpr_write_b32 a136, v18
	;; [unrolled: 1-line block ×4, first 2 shown]
	v_fma_f64 v[16:17], v[216:217], v[96:97], -v[92:93]
	scratch_load_dwordx4 v[96:99], off, off offset:848
	scratch_load_dwordx4 v[92:95], off, off offset:864
	v_accvgpr_write_b32 a128, v10
	v_accvgpr_write_b32 a127, v9
	;; [unrolled: 1-line block ×3, first 2 shown]
	s_waitcnt vmcnt(15) lgkmcnt(1)
	v_mul_f64 v[10:11], v[132:133], v[34:35]
	v_fmac_f64_e32 v[10:11], v[134:135], v[32:33]
	v_accvgpr_write_b32 a133, v15
	v_add_f64 v[0:1], v[0:1], v[10:11]
	v_mul_f64 v[10:11], v[198:199], v[102:103]
	v_accvgpr_write_b32 a132, v14
	v_accvgpr_write_b32 a131, v13
	;; [unrolled: 1-line block ×3, first 2 shown]
	v_fma_f64 v[12:13], v[196:197], v[100:101], -v[10:11]
	scratch_load_dwordx4 v[100:103], off, off offset:880
	v_mul_f64 v[138:139], v[142:143], v[138:139]
	v_fma_f64 v[10:11], v[140:141], v[136:137], -v[138:139]
	ds_read_b128 v[136:139], v2 offset:1600
	ds_read_b128 v[140:143], v2 offset:1616
	s_waitcnt vmcnt(15) lgkmcnt(2)
	v_mul_f64 v[14:15], v[128:129], v[38:39]
	v_fmac_f64_e32 v[14:15], v[130:131], v[36:37]
	v_add_f64 v[0:1], v[0:1], v[14:15]
	s_waitcnt vmcnt(14) lgkmcnt(1)
	v_mul_f64 v[14:15], v[136:137], v[42:43]
	v_fmac_f64_e32 v[14:15], v[138:139], v[40:41]
	v_add_f64 v[0:1], v[0:1], v[14:15]
	v_mul_f64 v[14:15], v[154:155], v[146:147]
	v_fma_f64 v[14:15], v[152:153], v[144:145], -v[14:15]
	ds_read_b128 v[144:147], v2 offset:1632
	s_waitcnt vmcnt(13) lgkmcnt(1)
	v_mul_f64 v[152:153], v[140:141], v[46:47]
	v_mul_f64 v[150:151], v[202:203], v[150:151]
	v_fmac_f64_e32 v[152:153], v[142:143], v[44:45]
	v_fma_f64 v[8:9], v[200:201], v[148:149], -v[150:151]
	ds_read_b128 v[148:151], v2 offset:1648
	s_waitcnt vmcnt(12) lgkmcnt(1)
	v_mul_f64 v[18:19], v[144:145], v[50:51]
	v_add_f64 v[0:1], v[0:1], v[152:153]
	v_fmac_f64_e32 v[18:19], v[146:147], v[48:49]
	v_add_f64 v[0:1], v[0:1], v[18:19]
	ds_read_b128 v[152:155], v2 offset:1664
	v_mul_f64 v[18:19], v[166:167], v[158:159]
	v_fma_f64 v[18:19], v[164:165], v[156:157], -v[18:19]
	ds_read_b128 v[156:159], v2 offset:1680
	v_mul_f64 v[162:163], v[214:215], v[162:163]
	s_waitcnt vmcnt(11) lgkmcnt(2)
	v_mul_f64 v[164:165], v[148:149], v[54:55]
	v_fma_f64 v[6:7], v[212:213], v[160:161], -v[162:163]
	ds_read_b128 v[160:163], v2 offset:1696
	v_fmac_f64_e32 v[164:165], v[150:151], v[52:53]
	v_add_f64 v[0:1], v[0:1], v[164:165]
	s_waitcnt vmcnt(10) lgkmcnt(2)
	v_mul_f64 v[164:165], v[152:153], v[58:59]
	v_fmac_f64_e32 v[164:165], v[154:155], v[56:57]
	s_waitcnt vmcnt(9) lgkmcnt(1)
	v_mul_f64 v[22:23], v[156:157], v[62:63]
	v_add_f64 v[0:1], v[0:1], v[164:165]
	v_fmac_f64_e32 v[22:23], v[158:159], v[60:61]
	v_add_f64 v[0:1], v[0:1], v[22:23]
	ds_read_b128 v[164:167], v2 offset:1712
	s_waitcnt vmcnt(8) lgkmcnt(1)
	v_mul_f64 v[22:23], v[160:161], v[66:67]
	v_fmac_f64_e32 v[22:23], v[162:163], v[64:65]
	v_add_f64 v[0:1], v[0:1], v[22:23]
	v_mul_f64 v[22:23], v[190:191], v[170:171]
	v_fma_f64 v[22:23], v[188:189], v[168:169], -v[22:23]
	ds_read_b128 v[168:171], v2 offset:1728
	v_mul_f64 v[174:175], v[178:179], v[174:175]
	v_fma_f64 v[4:5], v[176:177], v[172:173], -v[174:175]
	ds_read_b128 v[172:175], v2 offset:1744
	s_waitcnt vmcnt(7) lgkmcnt(2)
	v_mul_f64 v[188:189], v[164:165], v[70:71]
	v_fmac_f64_e32 v[188:189], v[166:167], v[68:69]
	s_waitcnt vmcnt(6) lgkmcnt(1)
	v_mul_f64 v[26:27], v[168:169], v[74:75]
	ds_read_b128 v[176:179], v2 offset:1760
	v_add_f64 v[0:1], v[0:1], v[188:189]
	v_fmac_f64_e32 v[26:27], v[170:171], v[72:73]
	v_add_f64 v[0:1], v[0:1], v[26:27]
	s_waitcnt vmcnt(5) lgkmcnt(1)
	v_mul_f64 v[26:27], v[172:173], v[78:79]
	v_fmac_f64_e32 v[26:27], v[174:175], v[76:77]
	v_add_f64 v[0:1], v[0:1], v[26:27]
	v_mul_f64 v[26:27], v[230:231], v[182:183]
	v_fma_f64 v[26:27], v[228:229], v[180:181], -v[26:27]
	ds_read_b128 v[180:183], v2 offset:1776
	s_waitcnt vmcnt(4) lgkmcnt(1)
	v_mul_f64 v[188:189], v[176:177], v[82:83]
	v_fmac_f64_e32 v[188:189], v[178:179], v[80:81]
	v_add_f64 v[196:197], v[0:1], v[188:189]
	v_mul_f64 v[0:1], v[234:235], v[186:187]
	v_fma_f64 v[0:1], v[232:233], v[184:185], -v[0:1]
	ds_read_b128 v[184:187], v2 offset:1792
	ds_read_b128 v[188:191], v2 offset:1808
	s_waitcnt vmcnt(3) lgkmcnt(2)
	v_mul_f64 v[198:199], v[180:181], v[86:87]
	v_mul_f64 v[194:195], v[238:239], v[194:195]
	v_fmac_f64_e32 v[198:199], v[182:183], v[84:85]
	v_fma_f64 v[250:251], v[236:237], v[192:193], -v[194:195]
	ds_read_b128 v[192:195], v2 offset:1824
	ds_read_b128 v[200:203], v2 offset:1840
	v_add_f64 v[196:197], v[196:197], v[198:199]
	s_waitcnt vmcnt(2) lgkmcnt(3)
	v_mul_f64 v[198:199], v[184:185], v[98:99]
	v_fmac_f64_e32 v[198:199], v[186:187], v[96:97]
	v_add_f64 v[196:197], v[196:197], v[198:199]
	s_waitcnt vmcnt(1) lgkmcnt(2)
	v_mul_f64 v[198:199], v[188:189], v[94:95]
	v_fmac_f64_e32 v[198:199], v[190:191], v[92:93]
	v_add_f64 v[196:197], v[196:197], v[198:199]
	scratch_load_dwordx4 v[232:235], off, off offset:960
	s_waitcnt vmcnt(1) lgkmcnt(1)
	v_mul_f64 v[198:199], v[192:193], v[102:103]
	v_fmac_f64_e32 v[198:199], v[194:195], v[100:101]
	v_add_f64 v[204:205], v[196:197], v[198:199]
	scratch_load_dwordx4 v[196:199], off, off offset:896
	ds_read_b128 v[208:211], v2 offset:1856
	ds_read_b128 v[216:219], v2 offset:1872
	ds_read_b128 v[224:227], v2 offset:1888
	s_waitcnt vmcnt(0) lgkmcnt(3)
	v_mul_f64 v[206:207], v[200:201], v[198:199]
	v_fmac_f64_e32 v[206:207], v[202:203], v[196:197]
	v_add_f64 v[212:213], v[204:205], v[206:207]
	scratch_load_dwordx4 v[204:207], off, off offset:912
	s_waitcnt vmcnt(0) lgkmcnt(2)
	v_mul_f64 v[214:215], v[208:209], v[206:207]
	v_fmac_f64_e32 v[214:215], v[210:211], v[204:205]
	v_add_f64 v[220:221], v[212:213], v[214:215]
	scratch_load_dwordx4 v[212:215], off, off offset:928
	;; [unrolled: 5-line block ×3, first 2 shown]
	s_waitcnt vmcnt(0) lgkmcnt(0)
	v_mul_f64 v[230:231], v[224:225], v[222:223]
	v_fmac_f64_e32 v[230:231], v[226:227], v[220:221]
	v_add_f64 v[236:237], v[228:229], v[230:231]
	ds_read_b128 v[228:231], v2 offset:1904
	s_waitcnt lgkmcnt(0)
	v_mul_f64 v[2:3], v[228:229], v[234:235]
	v_fmac_f64_e32 v[2:3], v[230:231], v[232:233]
	v_add_f64 v[2:3], v[236:237], v[2:3]
	v_add_f64 v[236:237], v[240:241], 0
	;; [unrolled: 1-line block ×9, first 2 shown]
	scratch_load_dwordx4 v[236:239], off, off offset:160
	v_add_f64 v[20:21], v[24:25], v[20:21]
	v_add_f64 v[16:17], v[20:21], v[16:17]
	;; [unrolled: 1-line block ×10, first 2 shown]
	v_accvgpr_read_b32 v6, a122
	v_accvgpr_read_b32 v8, a124
	;; [unrolled: 1-line block ×3, first 2 shown]
	v_add_f64 v[252:253], v[4:5], v[26:27]
	v_accvgpr_read_b32 v7, a123
	v_mul_f64 v[4:5], v[90:91], v[8:9]
	v_add_f64 v[0:1], v[252:253], v[0:1]
	v_fma_f64 v[4:5], v[88:89], v[6:7], -v[4:5]
	v_accvgpr_read_b32 v6, a126
	v_add_f64 v[0:1], v[0:1], v[250:251]
	v_accvgpr_read_b32 v8, a128
	v_accvgpr_read_b32 v9, a129
	v_add_f64 v[0:1], v[0:1], v[4:5]
	v_accvgpr_read_b32 v7, a127
	v_mul_f64 v[4:5], v[106:107], v[8:9]
	v_fma_f64 v[4:5], v[104:105], v[6:7], -v[4:5]
	v_accvgpr_read_b32 v6, a130
	v_accvgpr_read_b32 v8, a132
	v_accvgpr_read_b32 v9, a133
	v_add_f64 v[0:1], v[0:1], v[4:5]
	v_accvgpr_read_b32 v7, a131
	v_mul_f64 v[4:5], v[110:111], v[8:9]
	v_fma_f64 v[4:5], v[108:109], v[6:7], -v[4:5]
	v_accvgpr_read_b32 v6, a134
	;; [unrolled: 7-line block ×4, first 2 shown]
	v_accvgpr_read_b32 v8, a144
	v_accvgpr_read_b32 v9, a145
	v_add_f64 v[0:1], v[0:1], v[4:5]
	v_accvgpr_read_b32 v7, a143
	v_mul_f64 v[4:5], v[122:123], v[8:9]
	v_fma_f64 v[4:5], v[120:121], v[6:7], -v[4:5]
	v_add_f64 v[0:1], v[0:1], v[4:5]
	v_mul_f64 v[4:5], v[126:127], v[30:31]
	v_fma_f64 v[4:5], v[124:125], v[28:29], -v[4:5]
	v_add_f64 v[0:1], v[0:1], v[4:5]
	;; [unrolled: 3-line block ×24, first 2 shown]
	s_waitcnt vmcnt(0)
	v_add_f64 v[4:5], v[236:237], -v[0:1]
	v_accvgpr_read_b32 v0, a120
	v_add_f64 v[6:7], v[238:239], -v[2:3]
	v_cmp_lt_u32_e32 vcc, 8, v0
	scratch_store_dwordx4 off, v[4:7], off offset:160
	s_and_saveexec_b64 s[0:1], vcc
	s_cbranch_execz .LBB59_357
; %bb.356:
	scratch_load_dwordx4 v[2:5], off, s25
	v_mov_b32_e32 v6, 0
	v_mov_b32_e32 v7, v6
	;; [unrolled: 1-line block ×4, first 2 shown]
	v_accvgpr_read_b32 v0, a121
	scratch_store_dwordx4 off, v[6:9], off offset:144
	s_waitcnt vmcnt(1)
	ds_write_b128 v0, v[2:5]
.LBB59_357:
	s_or_b64 exec, exec, s[0:1]
	s_waitcnt lgkmcnt(0)
	; wave barrier
	scratch_load_dwordx4 v[48:51], off, off offset:160
	scratch_load_dwordx4 v[52:55], off, off offset:176
	;; [unrolled: 1-line block ×28, first 2 shown]
	v_mov_b32_e32 v2, 0
	ds_read_b128 v[104:107], v2 offset:1104
	ds_read_b128 v[112:115], v2 offset:1120
	ds_read_b128 v[116:119], v2 offset:1136
	ds_read_b128 v[120:123], v2 offset:1152
	ds_read_b128 v[124:127], v2 offset:1168
	ds_read_b128 v[128:131], v2 offset:1184
	ds_read_b128 v[132:135], v2 offset:1200
	ds_read_b128 v[148:151], v2 offset:1216
	ds_read_b128 v[160:163], v2 offset:1232
	ds_read_b128 v[172:175], v2 offset:1248
	ds_read_b128 v[184:187], v2 offset:1264
	ds_read_b128 v[192:195], v2 offset:1280
	ds_read_b128 v[196:199], v2 offset:1296
	ds_read_b128 v[200:203], v2 offset:1312
	ds_read_b128 v[204:207], v2 offset:1328
	ds_read_b128 v[208:211], v2 offset:1344
	ds_read_b128 v[212:215], v2 offset:1360
	ds_read_b128 v[216:219], v2 offset:1376
	scratch_load_dwordx4 a[122:125], off, off offset:608
	scratch_load_dwordx4 a[126:129], off, off offset:624
	ds_read_b128 v[220:223], v2 offset:1392
	ds_read_b128 v[224:227], v2 offset:1408
	;; [unrolled: 1-line block ×4, first 2 shown]
	scratch_load_dwordx4 v[234:237], off, off offset:640
	ds_read_b128 v[252:255], v2 offset:1456
	s_waitcnt vmcnt(30) lgkmcnt(14)
	v_mul_f64 v[0:1], v[104:105], v[50:51]
	s_waitcnt vmcnt(29)
	v_mul_f64 v[24:25], v[112:113], v[54:55]
	v_fmac_f64_e32 v[0:1], v[106:107], v[48:49]
	s_waitcnt vmcnt(28)
	v_mul_f64 v[26:27], v[116:117], v[58:59]
	v_fmac_f64_e32 v[24:25], v[114:115], v[52:53]
	v_add_f64 v[0:1], v[0:1], 0
	s_waitcnt vmcnt(27)
	v_mul_f64 v[28:29], v[120:121], v[62:63]
	v_fmac_f64_e32 v[26:27], v[118:119], v[56:57]
	v_add_f64 v[0:1], v[0:1], v[24:25]
	;; [unrolled: 4-line block ×7, first 2 shown]
	s_waitcnt vmcnt(21) lgkmcnt(13)
	v_mul_f64 v[40:41], v[172:173], v[86:87]
	v_fmac_f64_e32 v[38:39], v[162:163], v[80:81]
	v_add_f64 v[0:1], v[0:1], v[36:37]
	s_waitcnt vmcnt(20) lgkmcnt(12)
	v_mul_f64 v[42:43], v[184:185], v[94:95]
	v_fmac_f64_e32 v[40:41], v[174:175], v[84:85]
	v_add_f64 v[0:1], v[0:1], v[38:39]
	;; [unrolled: 4-line block ×8, first 2 shown]
	v_add_f64 v[0:1], v[0:1], v[96:97]
	v_fmac_f64_e32 v[98:99], v[214:215], v[152:153]
	s_waitcnt vmcnt(13) lgkmcnt(5)
	v_mul_f64 v[32:33], v[216:217], v[158:159]
	v_add_f64 v[0:1], v[0:1], v[98:99]
	v_fmac_f64_e32 v[32:33], v[218:219], v[156:157]
	v_add_f64 v[0:1], v[0:1], v[32:33]
	s_waitcnt vmcnt(12) lgkmcnt(4)
	v_mul_f64 v[32:33], v[220:221], v[166:167]
	v_fmac_f64_e32 v[32:33], v[222:223], v[164:165]
	s_waitcnt vmcnt(11) lgkmcnt(3)
	v_mul_f64 v[36:37], v[224:225], v[170:171]
	v_add_f64 v[0:1], v[0:1], v[32:33]
	v_fmac_f64_e32 v[36:37], v[226:227], v[168:169]
	v_add_f64 v[0:1], v[0:1], v[36:37]
	s_waitcnt vmcnt(10) lgkmcnt(2)
	v_mul_f64 v[36:37], v[228:229], v[178:179]
	v_fmac_f64_e32 v[36:37], v[230:231], v[176:177]
	v_add_f64 v[0:1], v[0:1], v[36:37]
	scratch_load_dwordx4 v[36:39], off, off offset:656
	s_waitcnt vmcnt(10) lgkmcnt(1)
	v_mul_f64 v[40:41], v[248:249], v[182:183]
	v_fmac_f64_e32 v[40:41], v[250:251], v[180:181]
	v_add_f64 v[0:1], v[0:1], v[40:41]
	scratch_load_dwordx4 v[40:43], off, off offset:672
	ds_read_b128 v[88:91], v2 offset:1472
	s_waitcnt vmcnt(10) lgkmcnt(1)
	v_mul_f64 v[44:45], v[252:253], v[190:191]
	v_fmac_f64_e32 v[44:45], v[254:255], v[188:189]
	v_add_f64 v[0:1], v[0:1], v[44:45]
	scratch_load_dwordx4 v[44:47], off, off offset:688
	v_mul_f64 v[50:51], v[106:107], v[50:51]
	v_fma_f64 v[240:241], v[104:105], v[48:49], -v[50:51]
	scratch_load_dwordx4 v[48:51], off, off offset:704
	s_waitcnt vmcnt(11) lgkmcnt(0)
	v_mul_f64 v[96:97], v[88:89], v[6:7]
	v_mul_f64 v[54:55], v[114:115], v[54:55]
	v_fmac_f64_e32 v[96:97], v[90:91], v[4:5]
	v_fma_f64 v[242:243], v[112:113], v[52:53], -v[54:55]
	scratch_load_dwordx4 v[52:55], off, off offset:720
	v_add_f64 v[0:1], v[0:1], v[96:97]
	ds_read_b128 v[96:99], v2 offset:1488
	ds_read_b128 v[104:107], v2 offset:1504
	v_accvgpr_write_b32 a133, v7
	v_accvgpr_write_b32 a132, v6
	;; [unrolled: 1-line block ×4, first 2 shown]
	s_waitcnt vmcnt(11)
	v_mov_b64_e32 v[4:5], v[8:9]
	v_mov_b64_e32 v[6:7], v[10:11]
	v_mul_f64 v[58:59], v[118:119], v[58:59]
	s_waitcnt lgkmcnt(1)
	v_mul_f64 v[112:113], v[96:97], v[6:7]
	v_fma_f64 v[244:245], v[116:117], v[56:57], -v[58:59]
	scratch_load_dwordx4 v[56:59], off, off offset:736
	v_fmac_f64_e32 v[112:113], v[98:99], v[4:5]
	s_waitcnt vmcnt(11)
	v_mov_b64_e32 v[4:5], v[12:13]
	v_mul_f64 v[62:63], v[122:123], v[62:63]
	v_mov_b64_e32 v[6:7], v[14:15]
	v_fma_f64 v[246:247], v[120:121], v[60:61], -v[62:63]
	scratch_load_dwordx4 v[60:63], off, off offset:752
	v_add_f64 v[0:1], v[0:1], v[112:113]
	s_waitcnt lgkmcnt(0)
	v_mul_f64 v[112:113], v[104:105], v[6:7]
	v_fmac_f64_e32 v[112:113], v[106:107], v[4:5]
	v_mul_f64 v[66:67], v[126:127], v[66:67]
	v_add_f64 v[0:1], v[0:1], v[112:113]
	ds_read_b128 v[112:115], v2 offset:1520
	ds_read_b128 v[116:119], v2 offset:1536
	v_fma_f64 v[232:233], v[124:125], v[64:65], -v[66:67]
	scratch_load_dwordx4 v[64:67], off, off offset:768
	v_accvgpr_write_b32 a137, v11
	v_accvgpr_write_b32 a136, v10
	;; [unrolled: 1-line block ×4, first 2 shown]
	s_waitcnt vmcnt(12)
	v_mov_b64_e32 v[8:9], v[16:17]
	v_mov_b64_e32 v[10:11], v[18:19]
	v_mul_f64 v[70:71], v[130:131], v[70:71]
	s_waitcnt lgkmcnt(1)
	v_mul_f64 v[6:7], v[112:113], v[10:11]
	v_fma_f64 v[32:33], v[128:129], v[68:69], -v[70:71]
	scratch_load_dwordx4 v[68:71], off, off offset:784
	v_fmac_f64_e32 v[6:7], v[114:115], v[8:9]
	v_add_f64 v[0:1], v[0:1], v[6:7]
	v_mul_f64 v[6:7], v[134:135], v[74:75]
	v_fma_f64 v[28:29], v[132:133], v[72:73], -v[6:7]
	s_waitcnt vmcnt(12)
	v_mov_b64_e32 v[8:9], v[20:21]
	scratch_load_dwordx4 v[72:75], off, off offset:800
	v_mov_b64_e32 v[10:11], v[22:23]
	s_waitcnt lgkmcnt(0)
	v_mul_f64 v[6:7], v[116:117], v[10:11]
	v_fmac_f64_e32 v[6:7], v[118:119], v[8:9]
	v_add_f64 v[0:1], v[0:1], v[6:7]
	v_mul_f64 v[6:7], v[150:151], v[78:79]
	v_fma_f64 v[24:25], v[148:149], v[76:77], -v[6:7]
	scratch_load_dwordx4 v[76:79], off, off offset:816
	ds_read_b128 v[124:127], v2 offset:1552
	ds_read_b128 v[120:123], v2 offset:1568
	v_accvgpr_write_b32 a149, v23
	v_mul_f64 v[6:7], v[162:163], v[82:83]
	v_accvgpr_write_b32 a145, v19
	v_accvgpr_write_b32 a148, v22
	;; [unrolled: 1-line block ×4, first 2 shown]
	v_fma_f64 v[20:21], v[160:161], v[80:81], -v[6:7]
	v_mul_f64 v[6:7], v[174:175], v[86:87]
	s_waitcnt vmcnt(13)
	v_accvgpr_read_b32 v8, a122
	v_accvgpr_write_b32 a144, v18
	v_accvgpr_write_b32 a143, v17
	;; [unrolled: 1-line block ×3, first 2 shown]
	v_fma_f64 v[16:17], v[172:173], v[84:85], -v[6:7]
	scratch_load_dwordx4 v[84:87], off, off offset:832
	scratch_load_dwordx4 v[80:83], off, off offset:848
	v_accvgpr_read_b32 v10, a124
	v_accvgpr_read_b32 v11, a125
	;; [unrolled: 1-line block ×3, first 2 shown]
	s_waitcnt lgkmcnt(1)
	v_mul_f64 v[6:7], v[124:125], v[10:11]
	v_fmac_f64_e32 v[6:7], v[126:127], v[8:9]
	s_waitcnt vmcnt(14)
	v_accvgpr_read_b32 v8, a126
	v_accvgpr_read_b32 v10, a128
	;; [unrolled: 1-line block ×3, first 2 shown]
	v_add_f64 v[0:1], v[0:1], v[6:7]
	v_accvgpr_read_b32 v9, a127
	s_waitcnt lgkmcnt(0)
	v_mul_f64 v[6:7], v[120:121], v[10:11]
	v_fmac_f64_e32 v[6:7], v[122:123], v[8:9]
	v_accvgpr_write_b32 a141, v15
	v_add_f64 v[0:1], v[0:1], v[6:7]
	v_mul_f64 v[6:7], v[186:187], v[94:95]
	v_accvgpr_write_b32 a140, v14
	v_accvgpr_write_b32 a139, v13
	v_accvgpr_write_b32 a138, v12
	v_fma_f64 v[14:15], v[184:185], v[92:93], -v[6:7]
	scratch_load_dwordx4 v[92:95], off, off offset:864
	v_mul_f64 v[6:7], v[194:195], v[102:103]
	v_fma_f64 v[18:19], v[192:193], v[100:101], -v[6:7]
	scratch_load_dwordx4 v[100:103], off, off offset:880
	v_mul_f64 v[6:7], v[198:199], v[110:111]
	v_fma_f64 v[12:13], v[196:197], v[108:109], -v[6:7]
	scratch_load_dwordx4 v[108:111], off, off offset:896
	ds_read_b128 v[128:131], v2 offset:1584
	ds_read_b128 v[132:135], v2 offset:1600
	;; [unrolled: 1-line block ×5, first 2 shown]
	s_waitcnt vmcnt(16) lgkmcnt(4)
	v_mul_f64 v[6:7], v[128:129], v[236:237]
	v_fmac_f64_e32 v[6:7], v[130:131], v[234:235]
	v_add_f64 v[0:1], v[0:1], v[6:7]
	v_mul_f64 v[6:7], v[202:203], v[138:139]
	v_fma_f64 v[22:23], v[200:201], v[136:137], -v[6:7]
	ds_read_b128 v[136:139], v2 offset:1616
	s_waitcnt vmcnt(15) lgkmcnt(4)
	v_mul_f64 v[6:7], v[132:133], v[38:39]
	v_fmac_f64_e32 v[6:7], v[134:135], v[36:37]
	v_add_f64 v[0:1], v[0:1], v[6:7]
	v_mul_f64 v[6:7], v[206:207], v[142:143]
	v_fma_f64 v[10:11], v[204:205], v[140:141], -v[6:7]
	ds_read_b128 v[140:143], v2 offset:1632
	;; [unrolled: 7-line block ×3, first 2 shown]
	s_waitcnt vmcnt(13) lgkmcnt(1)
	v_mul_f64 v[6:7], v[140:141], v[46:47]
	v_fmac_f64_e32 v[6:7], v[142:143], v[44:45]
	v_add_f64 v[0:1], v[0:1], v[6:7]
	v_mul_f64 v[182:183], v[250:251], v[182:183]
	s_waitcnt vmcnt(12) lgkmcnt(0)
	v_mul_f64 v[6:7], v[144:145], v[50:51]
	v_fmac_f64_e32 v[6:7], v[146:147], v[48:49]
	v_add_f64 v[0:1], v[0:1], v[6:7]
	v_mul_f64 v[6:7], v[214:215], v[154:155]
	v_fma_f64 v[8:9], v[212:213], v[152:153], -v[6:7]
	s_waitcnt vmcnt(11)
	v_mul_f64 v[6:7], v[148:149], v[54:55]
	v_fmac_f64_e32 v[6:7], v[150:151], v[52:53]
	ds_read_b128 v[152:155], v2 offset:1680
	v_add_f64 v[0:1], v[0:1], v[6:7]
	v_mul_f64 v[6:7], v[218:219], v[158:159]
	v_fma_f64 v[30:31], v[216:217], v[156:157], -v[6:7]
	ds_read_b128 v[156:159], v2 offset:1696
	s_waitcnt vmcnt(10) lgkmcnt(1)
	v_mul_f64 v[6:7], v[152:153], v[58:59]
	v_fmac_f64_e32 v[6:7], v[154:155], v[56:57]
	v_add_f64 v[0:1], v[0:1], v[6:7]
	s_waitcnt vmcnt(5)
	v_mul_f64 v[184:185], v[172:173], v[78:79]
	s_waitcnt lgkmcnt(0)
	v_mul_f64 v[6:7], v[156:157], v[62:63]
	v_fmac_f64_e32 v[6:7], v[158:159], v[60:61]
	v_add_f64 v[0:1], v[0:1], v[6:7]
	v_mul_f64 v[6:7], v[222:223], v[166:167]
	v_fma_f64 v[4:5], v[220:221], v[164:165], -v[6:7]
	ds_read_b128 v[164:167], v2 offset:1728
	v_mul_f64 v[6:7], v[160:161], v[66:67]
	v_fmac_f64_e32 v[6:7], v[162:163], v[64:65]
	v_add_f64 v[0:1], v[0:1], v[6:7]
	v_mul_f64 v[6:7], v[226:227], v[170:171]
	v_fma_f64 v[6:7], v[224:225], v[168:169], -v[6:7]
	ds_read_b128 v[168:171], v2 offset:1744
	s_waitcnt lgkmcnt(1)
	v_mul_f64 v[34:35], v[164:165], v[70:71]
	v_fmac_f64_e32 v[34:35], v[166:167], v[68:69]
	v_add_f64 v[0:1], v[0:1], v[34:35]
	v_fmac_f64_e32 v[184:185], v[174:175], v[76:77]
	s_waitcnt lgkmcnt(0)
	v_mul_f64 v[34:35], v[168:169], v[74:75]
	v_fmac_f64_e32 v[34:35], v[170:171], v[72:73]
	v_add_f64 v[34:35], v[0:1], v[34:35]
	v_mul_f64 v[0:1], v[230:231], v[178:179]
	v_fma_f64 v[0:1], v[228:229], v[176:177], -v[0:1]
	ds_read_b128 v[176:179], v2 offset:1776
	v_fma_f64 v[238:239], v[248:249], v[180:181], -v[182:183]
	ds_read_b128 v[180:183], v2 offset:1792
	v_add_f64 v[34:35], v[34:35], v[184:185]
	v_mul_f64 v[190:191], v[254:255], v[190:191]
	s_waitcnt vmcnt(4) lgkmcnt(1)
	v_mul_f64 v[184:185], v[176:177], v[86:87]
	v_fmac_f64_e32 v[184:185], v[178:179], v[84:85]
	v_add_f64 v[34:35], v[34:35], v[184:185]
	ds_read_b128 v[184:187], v2 offset:1808
	v_fma_f64 v[248:249], v[252:253], v[188:189], -v[190:191]
	ds_read_b128 v[188:191], v2 offset:1824
	s_waitcnt vmcnt(3) lgkmcnt(2)
	v_mul_f64 v[192:193], v[180:181], v[82:83]
	v_fmac_f64_e32 v[192:193], v[182:183], v[80:81]
	v_add_f64 v[34:35], v[34:35], v[192:193]
	s_waitcnt vmcnt(2) lgkmcnt(1)
	v_mul_f64 v[192:193], v[184:185], v[94:95]
	v_fmac_f64_e32 v[192:193], v[186:187], v[92:93]
	v_add_f64 v[34:35], v[34:35], v[192:193]
	;; [unrolled: 4-line block ×3, first 2 shown]
	ds_read_b128 v[192:195], v2 offset:1840
	ds_read_b128 v[200:203], v2 offset:1856
	ds_read_b128 v[208:211], v2 offset:1872
	ds_read_b128 v[216:219], v2 offset:1888
	ds_read_b128 v[224:227], v2 offset:1904
	s_waitcnt vmcnt(0) lgkmcnt(4)
	v_mul_f64 v[196:197], v[192:193], v[110:111]
	v_fmac_f64_e32 v[196:197], v[194:195], v[108:109]
	v_add_f64 v[34:35], v[34:35], v[196:197]
	scratch_load_dwordx4 v[196:199], off, off offset:912
	s_waitcnt vmcnt(0) lgkmcnt(3)
	v_mul_f64 v[204:205], v[200:201], v[198:199]
	v_fmac_f64_e32 v[204:205], v[202:203], v[196:197]
	v_add_f64 v[34:35], v[34:35], v[204:205]
	scratch_load_dwordx4 v[204:207], off, off offset:928
	;; [unrolled: 5-line block ×4, first 2 shown]
	s_waitcnt vmcnt(0) lgkmcnt(0)
	v_mul_f64 v[228:229], v[224:225], v[222:223]
	v_fmac_f64_e32 v[228:229], v[226:227], v[220:221]
	v_add_f64 v[252:253], v[34:35], v[228:229]
	v_add_f64 v[34:35], v[240:241], 0
	;; [unrolled: 1-line block ×6, first 2 shown]
	scratch_load_dwordx4 v[228:231], off, off offset:144
	v_add_f64 v[32:33], v[34:35], v[32:33]
	v_add_f64 v[28:29], v[32:33], v[28:29]
	;; [unrolled: 1-line block ×15, first 2 shown]
	v_accvgpr_read_b32 v6, a130
	v_accvgpr_read_b32 v8, a132
	;; [unrolled: 1-line block ×3, first 2 shown]
	v_add_f64 v[0:1], v[4:5], v[0:1]
	v_accvgpr_read_b32 v7, a131
	v_mul_f64 v[4:5], v[90:91], v[8:9]
	v_add_f64 v[0:1], v[0:1], v[238:239]
	v_fma_f64 v[4:5], v[88:89], v[6:7], -v[4:5]
	v_accvgpr_read_b32 v6, a134
	v_add_f64 v[0:1], v[0:1], v[248:249]
	v_accvgpr_read_b32 v8, a136
	v_accvgpr_read_b32 v9, a137
	v_add_f64 v[0:1], v[0:1], v[4:5]
	v_accvgpr_read_b32 v7, a135
	v_mul_f64 v[4:5], v[98:99], v[8:9]
	v_fma_f64 v[4:5], v[96:97], v[6:7], -v[4:5]
	v_accvgpr_read_b32 v6, a138
	v_accvgpr_read_b32 v8, a140
	v_accvgpr_read_b32 v9, a141
	v_add_f64 v[0:1], v[0:1], v[4:5]
	v_accvgpr_read_b32 v7, a139
	v_mul_f64 v[4:5], v[106:107], v[8:9]
	v_fma_f64 v[4:5], v[104:105], v[6:7], -v[4:5]
	v_accvgpr_read_b32 v6, a142
	;; [unrolled: 7-line block ×5, first 2 shown]
	v_accvgpr_read_b32 v8, a128
	v_accvgpr_read_b32 v9, a129
	v_add_f64 v[0:1], v[0:1], v[4:5]
	v_accvgpr_read_b32 v7, a127
	v_mul_f64 v[4:5], v[122:123], v[8:9]
	v_fma_f64 v[4:5], v[120:121], v[6:7], -v[4:5]
	v_add_f64 v[0:1], v[0:1], v[4:5]
	v_mul_f64 v[4:5], v[130:131], v[236:237]
	v_fma_f64 v[4:5], v[128:129], v[234:235], -v[4:5]
	v_add_f64 v[0:1], v[0:1], v[4:5]
	;; [unrolled: 3-line block ×22, first 2 shown]
	s_waitcnt vmcnt(0)
	v_add_f64 v[4:5], v[228:229], -v[0:1]
	v_accvgpr_read_b32 v0, a120
	v_add_f64 v[6:7], v[230:231], -v[252:253]
	v_cmp_lt_u32_e32 vcc, 7, v0
	scratch_store_dwordx4 off, v[4:7], off offset:144
	s_and_saveexec_b64 s[0:1], vcc
	s_cbranch_execz .LBB59_359
; %bb.358:
	scratch_load_dwordx4 v[6:9], off, s24
	v_mov_b32_e32 v3, v2
	v_mov_b32_e32 v4, v2
	v_mov_b32_e32 v5, v2
	v_accvgpr_read_b32 v0, a121
	scratch_store_dwordx4 off, v[2:5], off offset:128
	s_waitcnt vmcnt(1)
	ds_write_b128 v0, v[6:9]
.LBB59_359:
	s_or_b64 exec, exec, s[0:1]
	s_waitcnt lgkmcnt(0)
	; wave barrier
	scratch_load_dwordx4 v[48:51], off, off offset:144
	scratch_load_dwordx4 v[52:55], off, off offset:160
	;; [unrolled: 1-line block ×18, first 2 shown]
	ds_read_b128 v[104:107], v2 offset:1088
	ds_read_b128 v[208:211], v2 offset:1104
	;; [unrolled: 1-line block ×6, first 2 shown]
	scratch_load_dwordx4 v[164:167], off, off offset:432
	ds_read_b128 v[192:195], v2 offset:1184
	ds_read_b128 v[124:127], v2 offset:1200
	scratch_load_dwordx4 v[168:171], off, off offset:448
	ds_read_b128 v[212:215], v2 offset:1216
	ds_read_b128 v[204:207], v2 offset:1232
	;; [unrolled: 1-line block ×5, first 2 shown]
	scratch_load_dwordx4 v[176:179], off, off offset:464
	ds_read_b128 v[200:203], v2 offset:1296
	ds_read_b128 v[172:175], v2 offset:1312
	scratch_load_dwordx4 v[180:183], off, off offset:480
	ds_read_b128 v[216:219], v2 offset:1328
	ds_read_b128 v[184:187], v2 offset:1344
	;; [unrolled: 1-line block ×3, first 2 shown]
	scratch_load_dwordx4 v[188:191], off, off offset:496
	scratch_load_dwordx4 v[4:7], off, off offset:512
	;; [unrolled: 1-line block ×8, first 2 shown]
	ds_read_b128 v[220:223], v2 offset:1376
	ds_read_b128 v[224:227], v2 offset:1392
	;; [unrolled: 1-line block ×5, first 2 shown]
	s_waitcnt vmcnt(29) lgkmcnt(14)
	v_mul_f64 v[0:1], v[104:105], v[50:51]
	s_waitcnt vmcnt(28)
	v_mul_f64 v[24:25], v[208:209], v[54:55]
	v_fmac_f64_e32 v[0:1], v[106:107], v[48:49]
	s_waitcnt vmcnt(27)
	v_mul_f64 v[26:27], v[196:197], v[58:59]
	v_fmac_f64_e32 v[24:25], v[210:211], v[52:53]
	v_add_f64 v[0:1], v[0:1], 0
	s_waitcnt vmcnt(26)
	v_mul_f64 v[28:29], v[112:113], v[62:63]
	v_fmac_f64_e32 v[26:27], v[198:199], v[56:57]
	v_add_f64 v[0:1], v[0:1], v[24:25]
	;; [unrolled: 4-line block ×7, first 2 shown]
	s_waitcnt vmcnt(20) lgkmcnt(13)
	v_mul_f64 v[40:41], v[204:205], v[86:87]
	v_fmac_f64_e32 v[38:39], v[214:215], v[80:81]
	v_add_f64 v[0:1], v[0:1], v[36:37]
	s_waitcnt vmcnt(19) lgkmcnt(12)
	v_mul_f64 v[42:43], v[128:129], v[94:95]
	v_fmac_f64_e32 v[40:41], v[206:207], v[84:85]
	v_add_f64 v[0:1], v[0:1], v[38:39]
	;; [unrolled: 4-line block ×8, first 2 shown]
	v_fmac_f64_e32 v[98:99], v[186:187], v[152:153]
	v_add_f64 v[0:1], v[0:1], v[96:97]
	s_waitcnt vmcnt(12) lgkmcnt(5)
	v_mul_f64 v[32:33], v[160:161], v[158:159]
	v_add_f64 v[0:1], v[0:1], v[98:99]
	v_fmac_f64_e32 v[32:33], v[162:163], v[156:157]
	v_add_f64 v[0:1], v[0:1], v[32:33]
	s_waitcnt vmcnt(11) lgkmcnt(4)
	v_mul_f64 v[32:33], v[220:221], v[166:167]
	v_fmac_f64_e32 v[32:33], v[222:223], v[164:165]
	v_add_f64 v[0:1], v[0:1], v[32:33]
	scratch_load_dwordx4 v[32:35], off, off offset:624
	s_waitcnt vmcnt(11) lgkmcnt(3)
	v_mul_f64 v[36:37], v[224:225], v[170:171]
	v_fmac_f64_e32 v[36:37], v[226:227], v[168:169]
	v_add_f64 v[0:1], v[0:1], v[36:37]
	s_waitcnt vmcnt(10) lgkmcnt(2)
	v_mul_f64 v[36:37], v[228:229], v[178:179]
	v_fmac_f64_e32 v[36:37], v[230:231], v[176:177]
	v_add_f64 v[0:1], v[0:1], v[36:37]
	scratch_load_dwordx4 v[36:39], off, off offset:640
	s_waitcnt vmcnt(10) lgkmcnt(1)
	v_mul_f64 v[40:41], v[232:233], v[182:183]
	v_fmac_f64_e32 v[40:41], v[234:235], v[180:181]
	ds_read_b128 v[88:91], v2 offset:1456
	s_waitcnt vmcnt(9) lgkmcnt(1)
	v_mul_f64 v[44:45], v[236:237], v[190:191]
	v_add_f64 v[0:1], v[0:1], v[40:41]
	scratch_load_dwordx4 v[40:43], off, off offset:656
	v_fmac_f64_e32 v[44:45], v[238:239], v[188:189]
	v_add_f64 v[0:1], v[0:1], v[44:45]
	scratch_load_dwordx4 v[44:47], off, off offset:672
	v_mul_f64 v[50:51], v[106:107], v[50:51]
	v_fma_f64 v[240:241], v[104:105], v[48:49], -v[50:51]
	scratch_load_dwordx4 v[48:51], off, off offset:688
	s_waitcnt vmcnt(11) lgkmcnt(0)
	v_mul_f64 v[96:97], v[88:89], v[6:7]
	v_mul_f64 v[54:55], v[210:211], v[54:55]
	v_fmac_f64_e32 v[96:97], v[90:91], v[4:5]
	v_fma_f64 v[242:243], v[208:209], v[52:53], -v[54:55]
	scratch_load_dwordx4 v[52:55], off, off offset:704
	v_mul_f64 v[58:59], v[198:199], v[58:59]
	v_add_f64 v[0:1], v[0:1], v[96:97]
	ds_read_b128 v[96:99], v2 offset:1472
	ds_read_b128 v[104:107], v2 offset:1488
	v_fma_f64 v[244:245], v[196:197], v[56:57], -v[58:59]
	scratch_load_dwordx4 v[56:59], off, off offset:720
	v_mul_f64 v[62:63], v[114:115], v[62:63]
	v_accvgpr_write_b32 a133, v7
	v_fma_f64 v[246:247], v[112:113], v[60:61], -v[62:63]
	scratch_load_dwordx4 v[60:63], off, off offset:736
	v_accvgpr_write_b32 a132, v6
	v_accvgpr_write_b32 a131, v5
	;; [unrolled: 1-line block ×3, first 2 shown]
	s_waitcnt vmcnt(13)
	v_mov_b64_e32 v[4:5], v[8:9]
	v_mov_b64_e32 v[6:7], v[10:11]
	s_waitcnt lgkmcnt(1)
	v_mul_f64 v[208:209], v[96:97], v[6:7]
	v_fmac_f64_e32 v[208:209], v[98:99], v[4:5]
	s_waitcnt vmcnt(12)
	v_mov_b64_e32 v[4:5], v[12:13]
	ds_read_b128 v[112:115], v2 offset:1504
	v_mov_b64_e32 v[6:7], v[14:15]
	s_waitcnt lgkmcnt(1)
	v_mul_f64 v[196:197], v[104:105], v[6:7]
	v_mul_f64 v[66:67], v[122:123], v[66:67]
	;; [unrolled: 1-line block ×3, first 2 shown]
	v_fmac_f64_e32 v[196:197], v[106:107], v[4:5]
	v_fma_f64 v[252:253], v[120:121], v[64:65], -v[66:67]
	scratch_load_dwordx4 v[64:67], off, off offset:752
	v_fma_f64 v[254:255], v[116:117], v[68:69], -v[70:71]
	ds_read_b128 v[116:119], v2 offset:1520
	s_waitcnt vmcnt(12)
	v_mov_b64_e32 v[4:5], v[16:17]
	v_mov_b64_e32 v[6:7], v[18:19]
	scratch_load_dwordx4 v[68:71], off, off offset:768
	s_waitcnt lgkmcnt(1)
	v_mul_f64 v[120:121], v[112:113], v[6:7]
	v_mul_f64 v[74:75], v[194:195], v[74:75]
	v_add_f64 v[0:1], v[0:1], v[208:209]
	v_fmac_f64_e32 v[120:121], v[114:115], v[4:5]
	v_fma_f64 v[248:249], v[192:193], v[72:73], -v[74:75]
	s_waitcnt vmcnt(12)
	v_mov_b64_e32 v[4:5], v[20:21]
	scratch_load_dwordx4 v[72:75], off, off offset:784
	v_add_f64 v[0:1], v[0:1], v[196:197]
	v_mov_b64_e32 v[6:7], v[22:23]
	v_add_f64 v[0:1], v[0:1], v[120:121]
	s_waitcnt lgkmcnt(0)
	v_mul_f64 v[120:121], v[116:117], v[6:7]
	v_fmac_f64_e32 v[120:121], v[118:119], v[4:5]
	v_mul_f64 v[78:79], v[126:127], v[78:79]
	v_add_f64 v[0:1], v[0:1], v[120:121]
	v_fma_f64 v[28:29], v[124:125], v[76:77], -v[78:79]
	scratch_load_dwordx4 v[76:79], off, off offset:800
	ds_read_b128 v[124:127], v2 offset:1536
	ds_read_b128 v[120:123], v2 offset:1552
	v_mul_f64 v[6:7], v[214:215], v[82:83]
	v_fma_f64 v[24:25], v[212:213], v[80:81], -v[6:7]
	s_waitcnt vmcnt(13)
	v_accvgpr_read_b32 v4, a122
	v_accvgpr_write_b32 a137, v11
	v_accvgpr_write_b32 a149, v23
	v_mul_f64 v[80:81], v[206:207], v[86:87]
	v_accvgpr_read_b32 v6, a124
	v_accvgpr_read_b32 v7, a125
	v_accvgpr_write_b32 a136, v10
	v_accvgpr_write_b32 a135, v9
	;; [unrolled: 1-line block ×6, first 2 shown]
	v_fma_f64 v[20:21], v[204:205], v[84:85], -v[80:81]
	scratch_load_dwordx4 v[84:87], off, off offset:816
	v_accvgpr_read_b32 v5, a123
	s_waitcnt lgkmcnt(1)
	v_mul_f64 v[10:11], v[124:125], v[6:7]
	v_fmac_f64_e32 v[10:11], v[126:127], v[4:5]
	s_waitcnt vmcnt(13)
	v_accvgpr_read_b32 v4, a126
	v_accvgpr_read_b32 v6, a128
	;; [unrolled: 1-line block ×3, first 2 shown]
	v_add_f64 v[0:1], v[0:1], v[10:11]
	v_accvgpr_read_b32 v5, a127
	s_waitcnt lgkmcnt(0)
	v_mul_f64 v[10:11], v[120:121], v[6:7]
	v_fmac_f64_e32 v[10:11], v[122:123], v[4:5]
	v_accvgpr_write_b32 a145, v19
	scratch_load_dwordx4 v[80:83], off, off offset:832
	v_add_f64 v[0:1], v[0:1], v[10:11]
	v_mul_f64 v[10:11], v[130:131], v[94:95]
	v_accvgpr_write_b32 a141, v15
	v_accvgpr_write_b32 a144, v18
	;; [unrolled: 1-line block ×4, first 2 shown]
	v_fma_f64 v[16:17], v[128:129], v[92:93], -v[10:11]
	v_mul_f64 v[92:93], v[134:135], v[102:103]
	v_accvgpr_write_b32 a140, v14
	v_accvgpr_write_b32 a139, v13
	;; [unrolled: 1-line block ×3, first 2 shown]
	v_fma_f64 v[12:13], v[132:133], v[100:101], -v[92:93]
	scratch_load_dwordx4 v[92:95], off, off offset:848
	ds_read_b128 v[128:131], v2 offset:1568
	ds_read_b128 v[132:135], v2 offset:1584
	scratch_load_dwordx4 v[100:103], off, off offset:864
	v_mul_f64 v[14:15], v[150:151], v[110:111]
	v_fma_f64 v[14:15], v[148:149], v[108:109], -v[14:15]
	s_waitcnt vmcnt(15) lgkmcnt(1)
	v_mul_f64 v[108:109], v[128:129], v[34:35]
	v_fmac_f64_e32 v[108:109], v[130:131], v[32:33]
	v_add_f64 v[0:1], v[0:1], v[108:109]
	v_mul_f64 v[108:109], v[202:203], v[138:139]
	v_fma_f64 v[10:11], v[200:201], v[136:137], -v[108:109]
	scratch_load_dwordx4 v[108:111], off, off offset:880
	s_waitcnt vmcnt(15) lgkmcnt(0)
	v_mul_f64 v[18:19], v[132:133], v[38:39]
	v_fmac_f64_e32 v[18:19], v[134:135], v[36:37]
	ds_read_b128 v[136:139], v2 offset:1600
	v_add_f64 v[0:1], v[0:1], v[18:19]
	v_mul_f64 v[18:19], v[174:175], v[142:143]
	v_fma_f64 v[18:19], v[172:173], v[140:141], -v[18:19]
	ds_read_b128 v[140:143], v2 offset:1616
	v_mul_f64 v[146:147], v[218:219], v[146:147]
	v_fma_f64 v[8:9], v[216:217], v[144:145], -v[146:147]
	ds_read_b128 v[144:147], v2 offset:1632
	s_waitcnt vmcnt(14) lgkmcnt(2)
	v_mul_f64 v[148:149], v[136:137], v[42:43]
	v_fmac_f64_e32 v[148:149], v[138:139], v[40:41]
	s_waitcnt vmcnt(13) lgkmcnt(1)
	v_mul_f64 v[22:23], v[140:141], v[46:47]
	v_add_f64 v[0:1], v[0:1], v[148:149]
	v_fmac_f64_e32 v[22:23], v[142:143], v[44:45]
	ds_read_b128 v[148:151], v2 offset:1648
	v_add_f64 v[0:1], v[0:1], v[22:23]
	s_waitcnt vmcnt(12) lgkmcnt(1)
	v_mul_f64 v[22:23], v[144:145], v[50:51]
	v_fmac_f64_e32 v[22:23], v[146:147], v[48:49]
	v_add_f64 v[0:1], v[0:1], v[22:23]
	v_mul_f64 v[22:23], v[186:187], v[154:155]
	v_fma_f64 v[22:23], v[184:185], v[152:153], -v[22:23]
	ds_read_b128 v[152:155], v2 offset:1664
	v_mul_f64 v[158:159], v[162:163], v[158:159]
	v_fma_f64 v[6:7], v[160:161], v[156:157], -v[158:159]
	ds_read_b128 v[156:159], v2 offset:1680
	s_waitcnt vmcnt(11) lgkmcnt(2)
	v_mul_f64 v[172:173], v[148:149], v[54:55]
	v_fmac_f64_e32 v[172:173], v[150:151], v[52:53]
	s_waitcnt vmcnt(10) lgkmcnt(1)
	v_mul_f64 v[26:27], v[152:153], v[58:59]
	v_add_f64 v[0:1], v[0:1], v[172:173]
	v_fmac_f64_e32 v[26:27], v[154:155], v[56:57]
	v_add_f64 v[0:1], v[0:1], v[26:27]
	s_waitcnt vmcnt(9) lgkmcnt(0)
	v_mul_f64 v[26:27], v[156:157], v[62:63]
	v_fmac_f64_e32 v[26:27], v[158:159], v[60:61]
	ds_read_b128 v[160:163], v2 offset:1696
	v_add_f64 v[0:1], v[0:1], v[26:27]
	v_mul_f64 v[26:27], v[222:223], v[166:167]
	v_fma_f64 v[26:27], v[220:221], v[164:165], -v[26:27]
	ds_read_b128 v[164:167], v2 offset:1712
	v_mul_f64 v[170:171], v[226:227], v[170:171]
	v_fma_f64 v[4:5], v[224:225], v[168:169], -v[170:171]
	ds_read_b128 v[168:171], v2 offset:1728
	s_waitcnt vmcnt(8) lgkmcnt(2)
	v_mul_f64 v[172:173], v[160:161], v[66:67]
	v_fmac_f64_e32 v[172:173], v[162:163], v[64:65]
	s_waitcnt vmcnt(7) lgkmcnt(1)
	v_mul_f64 v[30:31], v[164:165], v[70:71]
	v_add_f64 v[0:1], v[0:1], v[172:173]
	v_fmac_f64_e32 v[30:31], v[166:167], v[68:69]
	v_add_f64 v[0:1], v[0:1], v[30:31]
	ds_read_b128 v[172:175], v2 offset:1744
	s_waitcnt vmcnt(6) lgkmcnt(1)
	v_mul_f64 v[30:31], v[168:169], v[74:75]
	v_fmac_f64_e32 v[30:31], v[170:171], v[72:73]
	v_add_f64 v[30:31], v[0:1], v[30:31]
	v_mul_f64 v[0:1], v[230:231], v[178:179]
	v_fma_f64 v[0:1], v[228:229], v[176:177], -v[0:1]
	ds_read_b128 v[176:179], v2 offset:1760
	v_mul_f64 v[182:183], v[234:235], v[182:183]
	s_waitcnt vmcnt(5) lgkmcnt(1)
	v_mul_f64 v[184:185], v[172:173], v[78:79]
	v_fma_f64 v[180:181], v[232:233], v[180:181], -v[182:183]
	v_fmac_f64_e32 v[184:185], v[174:175], v[76:77]
	v_accvgpr_write_b32 a150, v180
	v_mul_f64 v[190:191], v[238:239], v[190:191]
	v_accvgpr_write_b32 a151, v181
	ds_read_b128 v[180:183], v2 offset:1776
	v_add_f64 v[30:31], v[30:31], v[184:185]
	v_fma_f64 v[250:251], v[236:237], v[188:189], -v[190:191]
	scratch_load_dwordx4 v[236:239], off, off offset:128
	s_waitcnt vmcnt(5) lgkmcnt(1)
	v_mul_f64 v[184:185], v[176:177], v[86:87]
	v_fmac_f64_e32 v[184:185], v[178:179], v[84:85]
	v_add_f64 v[30:31], v[30:31], v[184:185]
	ds_read_b128 v[184:187], v2 offset:1792
	ds_read_b128 v[188:191], v2 offset:1808
	s_waitcnt vmcnt(4) lgkmcnt(2)
	v_mul_f64 v[192:193], v[180:181], v[82:83]
	v_fmac_f64_e32 v[192:193], v[182:183], v[80:81]
	v_add_f64 v[30:31], v[30:31], v[192:193]
	s_waitcnt vmcnt(3) lgkmcnt(1)
	v_mul_f64 v[192:193], v[184:185], v[94:95]
	v_fmac_f64_e32 v[192:193], v[186:187], v[92:93]
	v_add_f64 v[30:31], v[30:31], v[192:193]
	;; [unrolled: 4-line block ×3, first 2 shown]
	ds_read_b128 v[192:195], v2 offset:1824
	ds_read_b128 v[200:203], v2 offset:1840
	scratch_load_dwordx4 v[232:235], off, off offset:960
	ds_read_b128 v[208:211], v2 offset:1856
	ds_read_b128 v[216:219], v2 offset:1872
	s_waitcnt vmcnt(2) lgkmcnt(3)
	v_mul_f64 v[196:197], v[192:193], v[110:111]
	v_fmac_f64_e32 v[196:197], v[194:195], v[108:109]
	v_add_f64 v[30:31], v[30:31], v[196:197]
	scratch_load_dwordx4 v[196:199], off, off offset:896
	ds_read_b128 v[224:227], v2 offset:1888
	s_waitcnt vmcnt(0) lgkmcnt(3)
	v_mul_f64 v[204:205], v[200:201], v[198:199]
	v_fmac_f64_e32 v[204:205], v[202:203], v[196:197]
	v_add_f64 v[30:31], v[30:31], v[204:205]
	scratch_load_dwordx4 v[204:207], off, off offset:912
	s_waitcnt vmcnt(0) lgkmcnt(2)
	v_mul_f64 v[212:213], v[208:209], v[206:207]
	v_fmac_f64_e32 v[212:213], v[210:211], v[204:205]
	v_add_f64 v[30:31], v[30:31], v[212:213]
	scratch_load_dwordx4 v[212:215], off, off offset:928
	;; [unrolled: 5-line block ×3, first 2 shown]
	s_waitcnt vmcnt(0) lgkmcnt(0)
	v_mul_f64 v[228:229], v[224:225], v[222:223]
	v_fmac_f64_e32 v[228:229], v[226:227], v[220:221]
	v_add_f64 v[30:31], v[30:31], v[228:229]
	ds_read_b128 v[228:231], v2 offset:1904
	s_waitcnt lgkmcnt(0)
	v_mul_f64 v[2:3], v[228:229], v[234:235]
	v_fmac_f64_e32 v[2:3], v[230:231], v[232:233]
	v_add_f64 v[2:3], v[30:31], v[2:3]
	v_add_f64 v[30:31], v[240:241], 0
	;; [unrolled: 1-line block ×21, first 2 shown]
	v_accvgpr_read_b32 v6, a130
	v_add_f64 v[252:253], v[4:5], v[0:1]
	v_accvgpr_read_b32 v0, a150
	v_accvgpr_read_b32 v8, a132
	v_accvgpr_read_b32 v9, a133
	v_accvgpr_read_b32 v1, a151
	v_accvgpr_read_b32 v7, a131
	v_mul_f64 v[4:5], v[90:91], v[8:9]
	v_add_f64 v[0:1], v[252:253], v[0:1]
	v_fma_f64 v[4:5], v[88:89], v[6:7], -v[4:5]
	v_accvgpr_read_b32 v6, a134
	v_add_f64 v[0:1], v[0:1], v[250:251]
	v_accvgpr_read_b32 v8, a136
	v_accvgpr_read_b32 v9, a137
	v_add_f64 v[0:1], v[0:1], v[4:5]
	v_accvgpr_read_b32 v7, a135
	v_mul_f64 v[4:5], v[98:99], v[8:9]
	v_fma_f64 v[4:5], v[96:97], v[6:7], -v[4:5]
	v_accvgpr_read_b32 v6, a138
	v_accvgpr_read_b32 v8, a140
	v_accvgpr_read_b32 v9, a141
	v_add_f64 v[0:1], v[0:1], v[4:5]
	v_accvgpr_read_b32 v7, a139
	v_mul_f64 v[4:5], v[106:107], v[8:9]
	v_fma_f64 v[4:5], v[104:105], v[6:7], -v[4:5]
	v_accvgpr_read_b32 v6, a142
	;; [unrolled: 7-line block ×5, first 2 shown]
	v_accvgpr_read_b32 v8, a128
	v_accvgpr_read_b32 v9, a129
	v_add_f64 v[0:1], v[0:1], v[4:5]
	v_accvgpr_read_b32 v7, a127
	v_mul_f64 v[4:5], v[122:123], v[8:9]
	v_fma_f64 v[4:5], v[120:121], v[6:7], -v[4:5]
	v_add_f64 v[0:1], v[0:1], v[4:5]
	v_mul_f64 v[4:5], v[130:131], v[34:35]
	v_fma_f64 v[4:5], v[128:129], v[32:33], -v[4:5]
	v_add_f64 v[0:1], v[0:1], v[4:5]
	;; [unrolled: 3-line block ×23, first 2 shown]
	v_add_f64 v[4:5], v[236:237], -v[0:1]
	v_accvgpr_read_b32 v0, a120
	v_add_f64 v[6:7], v[238:239], -v[2:3]
	v_cmp_lt_u32_e32 vcc, 6, v0
	scratch_store_dwordx4 off, v[4:7], off offset:128
	s_and_saveexec_b64 s[0:1], vcc
	s_cbranch_execz .LBB59_361
; %bb.360:
	scratch_load_dwordx4 v[2:5], off, s23
	v_mov_b32_e32 v6, 0
	v_mov_b32_e32 v7, v6
	;; [unrolled: 1-line block ×4, first 2 shown]
	v_accvgpr_read_b32 v0, a121
	scratch_store_dwordx4 off, v[6:9], off offset:112
	s_waitcnt vmcnt(1)
	ds_write_b128 v0, v[2:5]
.LBB59_361:
	s_or_b64 exec, exec, s[0:1]
	s_waitcnt lgkmcnt(0)
	; wave barrier
	scratch_load_dwordx4 v[40:43], off, off offset:128
	scratch_load_dwordx4 v[44:47], off, off offset:144
	;; [unrolled: 1-line block ×29, first 2 shown]
	v_mov_b32_e32 v2, 0
	ds_read_b128 v[80:83], v2 offset:1072
	ds_read_b128 v[100:103], v2 offset:1088
	;; [unrolled: 1-line block ×18, first 2 shown]
	scratch_load_dwordx4 a[122:125], off, off offset:592
	scratch_load_dwordx4 a[126:129], off, off offset:608
	ds_read_b128 v[228:231], v2 offset:1424
	ds_read_b128 v[248:251], v2 offset:1440
	scratch_load_dwordx4 a[130:133], off, off offset:624
	scratch_load_dwordx4 v[234:237], off, off offset:640
	ds_read_b128 v[252:255], v2 offset:1456
	scratch_load_dwordx4 a[134:137], off, off offset:656
	ds_read_b128 v[224:227], v2 offset:1408
	s_waitcnt vmcnt(33) lgkmcnt(14)
	v_mul_f64 v[0:1], v[80:81], v[42:43]
	s_waitcnt vmcnt(32)
	v_mul_f64 v[20:21], v[100:101], v[46:47]
	v_fmac_f64_e32 v[0:1], v[82:83], v[40:41]
	s_waitcnt vmcnt(31)
	v_mul_f64 v[22:23], v[104:105], v[50:51]
	v_fmac_f64_e32 v[20:21], v[102:103], v[44:45]
	v_add_f64 v[0:1], v[0:1], 0
	s_waitcnt vmcnt(30)
	v_mul_f64 v[24:25], v[108:109], v[54:55]
	v_fmac_f64_e32 v[22:23], v[106:107], v[48:49]
	v_add_f64 v[0:1], v[0:1], v[20:21]
	;; [unrolled: 4-line block ×6, first 2 shown]
	s_waitcnt vmcnt(25) lgkmcnt(13)
	v_mul_f64 v[34:35], v[144:145], v[74:75]
	v_fmac_f64_e32 v[32:33], v[134:135], v[68:69]
	v_add_f64 v[0:1], v[0:1], v[30:31]
	s_waitcnt vmcnt(24) lgkmcnt(12)
	v_mul_f64 v[36:37], v[156:157], v[78:79]
	v_fmac_f64_e32 v[34:35], v[146:147], v[72:73]
	v_add_f64 v[0:1], v[0:1], v[32:33]
	;; [unrolled: 4-line block ×7, first 2 shown]
	v_fmac_f64_e32 v[218:219], v[198:199], v[124:125]
	v_add_f64 v[0:1], v[0:1], v[216:217]
	ds_read_b128 v[212:215], v2 offset:1360
	s_waitcnt vmcnt(18) lgkmcnt(7)
	v_mul_f64 v[220:221], v[200:201], v[130:131]
	v_add_f64 v[0:1], v[0:1], v[218:219]
	ds_read_b128 v[216:219], v2 offset:1376
	v_fmac_f64_e32 v[220:221], v[202:203], v[128:129]
	s_waitcnt vmcnt(17) lgkmcnt(7)
	v_mul_f64 v[20:21], v[204:205], v[138:139]
	v_add_f64 v[0:1], v[0:1], v[220:221]
	v_fmac_f64_e32 v[20:21], v[206:207], v[136:137]
	s_waitcnt vmcnt(16) lgkmcnt(6)
	v_mul_f64 v[24:25], v[208:209], v[142:143]
	ds_read_b128 v[220:223], v2 offset:1392
	v_add_f64 v[0:1], v[0:1], v[20:21]
	v_fmac_f64_e32 v[24:25], v[210:211], v[140:141]
	v_add_f64 v[0:1], v[0:1], v[24:25]
	s_waitcnt vmcnt(15) lgkmcnt(2)
	v_mul_f64 v[24:25], v[212:213], v[150:151]
	v_fmac_f64_e32 v[24:25], v[214:215], v[148:149]
	s_waitcnt vmcnt(14) lgkmcnt(1)
	v_mul_f64 v[28:29], v[216:217], v[154:155]
	v_add_f64 v[0:1], v[0:1], v[24:25]
	v_fmac_f64_e32 v[28:29], v[218:219], v[152:153]
	v_add_f64 v[0:1], v[0:1], v[28:29]
	s_waitcnt vmcnt(13) lgkmcnt(0)
	v_mul_f64 v[28:29], v[220:221], v[162:163]
	v_fmac_f64_e32 v[28:29], v[222:223], v[160:161]
	s_waitcnt vmcnt(12)
	v_mul_f64 v[32:33], v[224:225], v[166:167]
	v_add_f64 v[0:1], v[0:1], v[28:29]
	v_fmac_f64_e32 v[32:33], v[226:227], v[164:165]
	v_add_f64 v[0:1], v[0:1], v[32:33]
	s_waitcnt vmcnt(11)
	v_mul_f64 v[32:33], v[228:229], v[174:175]
	v_fmac_f64_e32 v[32:33], v[230:231], v[172:173]
	s_waitcnt vmcnt(10)
	v_mul_f64 v[36:37], v[248:249], v[178:179]
	v_mul_f64 v[42:43], v[82:83], v[42:43]
	v_add_f64 v[0:1], v[0:1], v[32:33]
	v_fmac_f64_e32 v[36:37], v[250:251], v[176:177]
	v_fma_f64 v[240:241], v[80:81], v[40:41], -v[42:43]
	ds_read_b128 v[80:83], v2 offset:1472
	s_waitcnt vmcnt(9)
	v_mul_f64 v[40:41], v[252:253], v[186:187]
	v_add_f64 v[0:1], v[0:1], v[36:37]
	v_fmac_f64_e32 v[40:41], v[254:255], v[184:185]
	v_add_f64 v[0:1], v[0:1], v[40:41]
	v_mul_f64 v[40:41], v[102:103], v[46:47]
	v_fma_f64 v[242:243], v[100:101], v[44:45], -v[40:41]
	scratch_load_dwordx4 v[40:43], off, off offset:672
	s_waitcnt vmcnt(9) lgkmcnt(0)
	v_mul_f64 v[44:45], v[80:81], v[6:7]
	v_fmac_f64_e32 v[44:45], v[82:83], v[4:5]
	v_add_f64 v[0:1], v[0:1], v[44:45]
	scratch_load_dwordx4 v[44:47], off, off offset:688
	v_mul_f64 v[50:51], v[106:107], v[50:51]
	v_fma_f64 v[244:245], v[104:105], v[48:49], -v[50:51]
	ds_read_b128 v[100:103], v2 offset:1488
	v_mul_f64 v[48:49], v[110:111], v[54:55]
	v_fma_f64 v[246:247], v[108:109], v[52:53], -v[48:49]
	scratch_load_dwordx4 v[52:55], off, off offset:704
	scratch_load_dwordx4 v[48:51], off, off offset:720
	v_accvgpr_write_b32 a141, v7
	v_accvgpr_write_b32 a140, v6
	;; [unrolled: 1-line block ×4, first 2 shown]
	s_waitcnt vmcnt(11)
	v_mov_b64_e32 v[4:5], v[8:9]
	v_mul_f64 v[58:59], v[114:115], v[58:59]
	v_mov_b64_e32 v[6:7], v[10:11]
	v_fma_f64 v[232:233], v[112:113], v[56:57], -v[58:59]
	ds_read_b128 v[104:107], v2 offset:1504
	ds_read_b128 v[108:111], v2 offset:1520
	s_waitcnt lgkmcnt(2)
	v_mul_f64 v[56:57], v[100:101], v[6:7]
	v_fmac_f64_e32 v[56:57], v[102:103], v[4:5]
	v_accvgpr_write_b32 a145, v11
	v_add_f64 v[0:1], v[0:1], v[56:57]
	v_mul_f64 v[56:57], v[118:119], v[62:63]
	v_accvgpr_write_b32 a144, v10
	v_accvgpr_write_b32 a143, v9
	;; [unrolled: 1-line block ×3, first 2 shown]
	v_fma_f64 v[36:37], v[116:117], v[60:61], -v[56:57]
	scratch_load_dwordx4 v[56:59], off, off offset:736
	scratch_load_dwordx4 v[60:63], off, off offset:752
	s_waitcnt vmcnt(12)
	v_mov_b64_e32 v[8:9], v[12:13]
	v_mov_b64_e32 v[10:11], v[14:15]
	s_waitcnt lgkmcnt(1)
	v_mul_f64 v[6:7], v[104:105], v[10:11]
	v_fmac_f64_e32 v[6:7], v[106:107], v[8:9]
	v_add_f64 v[0:1], v[0:1], v[6:7]
	v_mul_f64 v[6:7], v[122:123], v[66:67]
	v_fma_f64 v[32:33], v[120:121], v[64:65], -v[6:7]
	scratch_load_dwordx4 v[64:67], off, off offset:768
	v_mul_f64 v[6:7], v[134:135], v[70:71]
	v_fma_f64 v[28:29], v[132:133], v[68:69], -v[6:7]
	scratch_load_dwordx4 v[68:71], off, off offset:784
	v_mul_f64 v[6:7], v[146:147], v[74:75]
	v_fma_f64 v[24:25], v[144:145], v[72:73], -v[6:7]
	s_waitcnt vmcnt(13)
	v_mov_b64_e32 v[8:9], v[16:17]
	scratch_load_dwordx4 v[72:75], off, off offset:800
	ds_read_b128 v[112:115], v2 offset:1536
	ds_read_b128 v[116:119], v2 offset:1552
	v_mov_b64_e32 v[10:11], v[18:19]
	s_waitcnt lgkmcnt(2)
	v_mul_f64 v[6:7], v[108:109], v[10:11]
	v_fmac_f64_e32 v[6:7], v[110:111], v[8:9]
	v_add_f64 v[0:1], v[0:1], v[6:7]
	v_mul_f64 v[6:7], v[158:159], v[78:79]
	s_waitcnt vmcnt(13)
	v_accvgpr_read_b32 v8, a122
	v_accvgpr_write_b32 a153, v19
	v_fma_f64 v[20:21], v[156:157], v[76:77], -v[6:7]
	v_accvgpr_read_b32 v10, a124
	v_accvgpr_read_b32 v11, a125
	v_mul_f64 v[76:77], v[170:171], v[86:87]
	v_accvgpr_write_b32 a152, v18
	v_accvgpr_write_b32 a151, v17
	;; [unrolled: 1-line block ×3, first 2 shown]
	v_accvgpr_read_b32 v9, a123
	s_waitcnt lgkmcnt(1)
	v_mul_f64 v[6:7], v[112:113], v[10:11]
	v_fma_f64 v[16:17], v[168:169], v[84:85], -v[76:77]
	scratch_load_dwordx4 v[76:79], off, off offset:816
	v_fmac_f64_e32 v[6:7], v[114:115], v[8:9]
	v_accvgpr_write_b32 a149, v15
	v_add_f64 v[0:1], v[0:1], v[6:7]
	v_mul_f64 v[6:7], v[182:183], v[90:91]
	v_mul_f64 v[84:85], v[190:191], v[94:95]
	v_accvgpr_write_b32 a148, v14
	v_accvgpr_write_b32 a147, v13
	;; [unrolled: 1-line block ×3, first 2 shown]
	v_fma_f64 v[18:19], v[180:181], v[88:89], -v[6:7]
	ds_read_b128 v[120:123], v2 offset:1568
	v_fma_f64 v[14:15], v[188:189], v[92:93], -v[84:85]
	scratch_load_dwordx4 v[88:91], off, off offset:832
	scratch_load_dwordx4 v[84:87], off, off offset:848
	v_mul_f64 v[22:23], v[194:195], v[98:99]
	scratch_load_dwordx4 v[92:95], off, off offset:864
	v_fma_f64 v[22:23], v[192:193], v[96:97], -v[22:23]
	v_mul_f64 v[96:97], v[198:199], v[126:127]
	v_fma_f64 v[12:13], v[196:197], v[124:125], -v[96:97]
	scratch_load_dwordx4 v[96:99], off, off offset:880
	s_waitcnt vmcnt(17)
	v_accvgpr_read_b32 v8, a126
	v_accvgpr_read_b32 v10, a128
	;; [unrolled: 1-line block ×4, first 2 shown]
	s_waitcnt lgkmcnt(1)
	v_mul_f64 v[6:7], v[116:117], v[10:11]
	ds_read_b128 v[124:127], v2 offset:1584
	v_fmac_f64_e32 v[6:7], v[118:119], v[8:9]
	s_waitcnt vmcnt(16)
	v_accvgpr_read_b32 v8, a130
	v_mul_f64 v[26:27], v[202:203], v[130:131]
	v_accvgpr_read_b32 v10, a132
	v_accvgpr_read_b32 v11, a133
	v_fma_f64 v[26:27], v[200:201], v[128:129], -v[26:27]
	ds_read_b128 v[128:131], v2 offset:1600
	v_add_f64 v[0:1], v[0:1], v[6:7]
	v_accvgpr_read_b32 v9, a131
	s_waitcnt lgkmcnt(2)
	v_mul_f64 v[6:7], v[120:121], v[10:11]
	v_fmac_f64_e32 v[6:7], v[122:123], v[8:9]
	v_add_f64 v[0:1], v[0:1], v[6:7]
	s_waitcnt vmcnt(15) lgkmcnt(1)
	v_mul_f64 v[6:7], v[124:125], v[236:237]
	s_waitcnt vmcnt(14)
	v_accvgpr_read_b32 v8, a134
	ds_read_b128 v[132:135], v2 offset:1616
	v_fmac_f64_e32 v[6:7], v[126:127], v[234:235]
	v_accvgpr_read_b32 v10, a136
	v_accvgpr_read_b32 v11, a137
	v_add_f64 v[0:1], v[0:1], v[6:7]
	v_accvgpr_read_b32 v9, a135
	s_waitcnt lgkmcnt(1)
	v_mul_f64 v[6:7], v[128:129], v[10:11]
	v_fmac_f64_e32 v[6:7], v[130:131], v[8:9]
	v_add_f64 v[0:1], v[0:1], v[6:7]
	v_mul_f64 v[6:7], v[206:207], v[138:139]
	v_fma_f64 v[10:11], v[204:205], v[136:137], -v[6:7]
	ds_read_b128 v[136:139], v2 offset:1632
	s_waitcnt vmcnt(13) lgkmcnt(1)
	v_mul_f64 v[6:7], v[132:133], v[42:43]
	v_fmac_f64_e32 v[6:7], v[134:135], v[40:41]
	v_add_f64 v[0:1], v[0:1], v[6:7]
	v_mul_f64 v[6:7], v[210:211], v[142:143]
	v_fma_f64 v[30:31], v[208:209], v[140:141], -v[6:7]
	ds_read_b128 v[140:143], v2 offset:1648
	ds_read_b128 v[144:147], v2 offset:1664
	s_waitcnt vmcnt(12) lgkmcnt(2)
	v_mul_f64 v[6:7], v[136:137], v[46:47]
	v_fmac_f64_e32 v[6:7], v[138:139], v[44:45]
	v_add_f64 v[0:1], v[0:1], v[6:7]
	s_waitcnt vmcnt(11) lgkmcnt(1)
	v_mul_f64 v[6:7], v[140:141], v[54:55]
	v_fmac_f64_e32 v[6:7], v[142:143], v[52:53]
	v_add_f64 v[0:1], v[0:1], v[6:7]
	v_mul_f64 v[6:7], v[214:215], v[150:151]
	v_fma_f64 v[8:9], v[212:213], v[148:149], -v[6:7]
	ds_read_b128 v[148:151], v2 offset:1680
	v_mul_f64 v[34:35], v[218:219], v[154:155]
	v_fma_f64 v[34:35], v[216:217], v[152:153], -v[34:35]
	ds_read_b128 v[152:155], v2 offset:1696
	s_waitcnt vmcnt(10) lgkmcnt(2)
	v_mul_f64 v[6:7], v[144:145], v[50:51]
	v_fmac_f64_e32 v[6:7], v[146:147], v[48:49]
	v_add_f64 v[0:1], v[0:1], v[6:7]
	s_waitcnt vmcnt(9) lgkmcnt(1)
	v_mul_f64 v[6:7], v[148:149], v[58:59]
	ds_read_b128 v[156:159], v2 offset:1712
	v_fmac_f64_e32 v[6:7], v[150:151], v[56:57]
	v_add_f64 v[0:1], v[0:1], v[6:7]
	s_waitcnt vmcnt(8) lgkmcnt(1)
	v_mul_f64 v[6:7], v[152:153], v[62:63]
	v_fmac_f64_e32 v[6:7], v[154:155], v[60:61]
	v_add_f64 v[0:1], v[0:1], v[6:7]
	v_mul_f64 v[6:7], v[222:223], v[162:163]
	v_fma_f64 v[4:5], v[220:221], v[160:161], -v[6:7]
	ds_read_b128 v[160:163], v2 offset:1728
	s_waitcnt vmcnt(7) lgkmcnt(1)
	v_mul_f64 v[6:7], v[156:157], v[66:67]
	v_fmac_f64_e32 v[6:7], v[158:159], v[64:65]
	v_add_f64 v[0:1], v[0:1], v[6:7]
	v_mul_f64 v[6:7], v[226:227], v[166:167]
	v_fma_f64 v[6:7], v[224:225], v[164:165], -v[6:7]
	ds_read_b128 v[164:167], v2 offset:1744
	ds_read_b128 v[168:171], v2 offset:1760
	s_waitcnt vmcnt(6) lgkmcnt(2)
	v_mul_f64 v[38:39], v[160:161], v[70:71]
	v_fmac_f64_e32 v[38:39], v[162:163], v[68:69]
	v_add_f64 v[0:1], v[0:1], v[38:39]
	s_waitcnt vmcnt(5) lgkmcnt(1)
	v_mul_f64 v[38:39], v[164:165], v[74:75]
	v_fmac_f64_e32 v[38:39], v[166:167], v[72:73]
	v_add_f64 v[38:39], v[0:1], v[38:39]
	v_mul_f64 v[0:1], v[230:231], v[174:175]
	v_fma_f64 v[0:1], v[228:229], v[172:173], -v[0:1]
	ds_read_b128 v[172:175], v2 offset:1776
	s_waitcnt vmcnt(4) lgkmcnt(1)
	v_mul_f64 v[180:181], v[168:169], v[78:79]
	v_fmac_f64_e32 v[180:181], v[170:171], v[76:77]
	v_mul_f64 v[178:179], v[250:251], v[178:179]
	v_fma_f64 v[238:239], v[248:249], v[176:177], -v[178:179]
	ds_read_b128 v[176:179], v2 offset:1792
	v_add_f64 v[38:39], v[38:39], v[180:181]
	s_waitcnt vmcnt(3) lgkmcnt(1)
	v_mul_f64 v[180:181], v[172:173], v[90:91]
	v_fmac_f64_e32 v[180:181], v[174:175], v[88:89]
	v_add_f64 v[38:39], v[38:39], v[180:181]
	ds_read_b128 v[180:183], v2 offset:1808
	v_mul_f64 v[186:187], v[254:255], v[186:187]
	v_fma_f64 v[248:249], v[252:253], v[184:185], -v[186:187]
	ds_read_b128 v[184:187], v2 offset:1824
	s_waitcnt vmcnt(2) lgkmcnt(2)
	v_mul_f64 v[188:189], v[176:177], v[86:87]
	v_fmac_f64_e32 v[188:189], v[178:179], v[84:85]
	v_add_f64 v[38:39], v[38:39], v[188:189]
	s_waitcnt vmcnt(1) lgkmcnt(1)
	v_mul_f64 v[188:189], v[180:181], v[94:95]
	v_fmac_f64_e32 v[188:189], v[182:183], v[92:93]
	v_add_f64 v[38:39], v[38:39], v[188:189]
	;; [unrolled: 4-line block ×3, first 2 shown]
	scratch_load_dwordx4 v[188:191], off, off offset:896
	ds_read_b128 v[192:195], v2 offset:1840
	ds_read_b128 v[200:203], v2 offset:1856
	;; [unrolled: 1-line block ×5, first 2 shown]
	s_waitcnt vmcnt(0) lgkmcnt(4)
	v_mul_f64 v[196:197], v[192:193], v[190:191]
	v_fmac_f64_e32 v[196:197], v[194:195], v[188:189]
	v_add_f64 v[38:39], v[38:39], v[196:197]
	scratch_load_dwordx4 v[196:199], off, off offset:912
	s_waitcnt vmcnt(0) lgkmcnt(3)
	v_mul_f64 v[204:205], v[200:201], v[198:199]
	v_fmac_f64_e32 v[204:205], v[202:203], v[196:197]
	v_add_f64 v[38:39], v[38:39], v[204:205]
	scratch_load_dwordx4 v[204:207], off, off offset:928
	;; [unrolled: 5-line block ×4, first 2 shown]
	s_waitcnt vmcnt(0) lgkmcnt(0)
	v_mul_f64 v[228:229], v[224:225], v[222:223]
	v_fmac_f64_e32 v[228:229], v[226:227], v[220:221]
	v_add_f64 v[252:253], v[38:39], v[228:229]
	v_add_f64 v[38:39], v[240:241], 0
	;; [unrolled: 1-line block ×8, first 2 shown]
	scratch_load_dwordx4 v[228:231], off, off offset:112
	v_add_f64 v[28:29], v[32:33], v[28:29]
	v_add_f64 v[24:25], v[28:29], v[24:25]
	v_add_f64 v[20:21], v[24:25], v[20:21]
	v_add_f64 v[16:17], v[20:21], v[16:17]
	v_add_f64 v[16:17], v[16:17], v[18:19]
	v_add_f64 v[14:15], v[16:17], v[14:15]
	v_add_f64 v[14:15], v[14:15], v[22:23]
	v_add_f64 v[12:13], v[14:15], v[12:13]
	v_add_f64 v[12:13], v[12:13], v[26:27]
	v_add_f64 v[10:11], v[12:13], v[10:11]
	v_add_f64 v[10:11], v[10:11], v[30:31]
	v_add_f64 v[8:9], v[10:11], v[8:9]
	v_add_f64 v[8:9], v[8:9], v[34:35]
	v_add_f64 v[250:251], v[8:9], v[4:5]
	v_add_f64 v[4:5], v[250:251], v[6:7]
	v_accvgpr_read_b32 v6, a138
	v_accvgpr_read_b32 v8, a140
	;; [unrolled: 1-line block ×3, first 2 shown]
	v_add_f64 v[0:1], v[4:5], v[0:1]
	v_accvgpr_read_b32 v7, a139
	v_mul_f64 v[4:5], v[82:83], v[8:9]
	v_add_f64 v[0:1], v[0:1], v[238:239]
	v_fma_f64 v[4:5], v[80:81], v[6:7], -v[4:5]
	v_accvgpr_read_b32 v6, a142
	v_add_f64 v[0:1], v[0:1], v[248:249]
	v_accvgpr_read_b32 v8, a144
	v_accvgpr_read_b32 v9, a145
	v_add_f64 v[0:1], v[0:1], v[4:5]
	v_accvgpr_read_b32 v7, a143
	v_mul_f64 v[4:5], v[102:103], v[8:9]
	v_fma_f64 v[4:5], v[100:101], v[6:7], -v[4:5]
	v_accvgpr_read_b32 v6, a146
	v_accvgpr_read_b32 v8, a148
	v_accvgpr_read_b32 v9, a149
	v_add_f64 v[0:1], v[0:1], v[4:5]
	v_accvgpr_read_b32 v7, a147
	v_mul_f64 v[4:5], v[106:107], v[8:9]
	v_fma_f64 v[4:5], v[104:105], v[6:7], -v[4:5]
	v_accvgpr_read_b32 v6, a150
	;; [unrolled: 7-line block ×5, first 2 shown]
	v_accvgpr_read_b32 v8, a132
	v_accvgpr_read_b32 v9, a133
	v_add_f64 v[0:1], v[0:1], v[4:5]
	v_accvgpr_read_b32 v7, a131
	v_mul_f64 v[4:5], v[122:123], v[8:9]
	v_fma_f64 v[4:5], v[120:121], v[6:7], -v[4:5]
	v_add_f64 v[0:1], v[0:1], v[4:5]
	v_mul_f64 v[4:5], v[126:127], v[236:237]
	v_accvgpr_read_b32 v6, a134
	v_fma_f64 v[4:5], v[124:125], v[234:235], -v[4:5]
	v_accvgpr_read_b32 v8, a136
	v_accvgpr_read_b32 v9, a137
	v_add_f64 v[0:1], v[0:1], v[4:5]
	v_accvgpr_read_b32 v7, a135
	v_mul_f64 v[4:5], v[130:131], v[8:9]
	v_fma_f64 v[4:5], v[128:129], v[6:7], -v[4:5]
	v_add_f64 v[0:1], v[0:1], v[4:5]
	v_mul_f64 v[4:5], v[134:135], v[42:43]
	v_fma_f64 v[4:5], v[132:133], v[40:41], -v[4:5]
	v_add_f64 v[0:1], v[0:1], v[4:5]
	;; [unrolled: 3-line block ×20, first 2 shown]
	s_waitcnt vmcnt(0)
	v_add_f64 v[4:5], v[228:229], -v[0:1]
	v_accvgpr_read_b32 v0, a120
	v_add_f64 v[6:7], v[230:231], -v[252:253]
	v_cmp_lt_u32_e32 vcc, 5, v0
	scratch_store_dwordx4 off, v[4:7], off offset:112
	s_and_saveexec_b64 s[0:1], vcc
	s_cbranch_execz .LBB59_363
; %bb.362:
	scratch_load_dwordx4 v[6:9], off, s12
	v_mov_b32_e32 v3, v2
	v_mov_b32_e32 v4, v2
	;; [unrolled: 1-line block ×3, first 2 shown]
	v_accvgpr_read_b32 v0, a121
	scratch_store_dwordx4 off, v[2:5], off offset:96
	s_waitcnt vmcnt(1)
	ds_write_b128 v0, v[6:9]
.LBB59_363:
	s_or_b64 exec, exec, s[0:1]
	s_waitcnt lgkmcnt(0)
	; wave barrier
	scratch_load_dwordx4 v[40:43], off, off offset:112
	scratch_load_dwordx4 v[44:47], off, off offset:128
	;; [unrolled: 1-line block ×18, first 2 shown]
	ds_read_b128 v[80:83], v2 offset:1056
	ds_read_b128 v[204:207], v2 offset:1072
	;; [unrolled: 1-line block ×6, first 2 shown]
	scratch_load_dwordx4 v[148:151], off, off offset:400
	ds_read_b128 v[180:183], v2 offset:1152
	ds_read_b128 v[112:115], v2 offset:1168
	scratch_load_dwordx4 v[152:155], off, off offset:416
	ds_read_b128 v[208:211], v2 offset:1184
	ds_read_b128 v[200:203], v2 offset:1200
	ds_read_b128 v[188:191], v2 offset:1216
	ds_read_b128 v[120:123], v2 offset:1232
	ds_read_b128 v[132:135], v2 offset:1248
	scratch_load_dwordx4 v[160:163], off, off offset:432
	ds_read_b128 v[196:199], v2 offset:1264
	ds_read_b128 v[192:195], v2 offset:1280
	;; [unrolled: 1-line block ×4, first 2 shown]
	scratch_load_dwordx4 v[164:167], off, off offset:448
	ds_read_b128 v[168:171], v2 offset:1328
	scratch_load_dwordx4 v[172:175], off, off offset:464
	scratch_load_dwordx4 v[176:179], off, off offset:480
	;; [unrolled: 1-line block ×7, first 2 shown]
	ds_read_b128 v[228:231], v2 offset:1408
	ds_read_b128 v[232:235], v2 offset:1424
	scratch_load_dwordx4 a[126:129], off, off offset:608
	scratch_load_dwordx4 a[130:133], off, off offset:624
	ds_read_b128 v[236:239], v2 offset:1440
	scratch_load_dwordx4 a[122:125], off, off offset:592
	ds_read_b128 v[224:227], v2 offset:1392
	s_waitcnt vmcnt(31) lgkmcnt(14)
	v_mul_f64 v[0:1], v[80:81], v[42:43]
	s_waitcnt vmcnt(30)
	v_mul_f64 v[20:21], v[204:205], v[46:47]
	v_fmac_f64_e32 v[0:1], v[82:83], v[40:41]
	s_waitcnt vmcnt(29)
	v_mul_f64 v[22:23], v[100:101], v[50:51]
	v_fmac_f64_e32 v[20:21], v[206:207], v[44:45]
	v_add_f64 v[0:1], v[0:1], 0
	v_fmac_f64_e32 v[22:23], v[102:103], v[48:49]
	v_add_f64 v[0:1], v[0:1], v[20:21]
	v_add_f64 v[0:1], v[0:1], v[22:23]
	scratch_load_dwordx4 v[20:23], off, off offset:576
	s_waitcnt vmcnt(29)
	v_mul_f64 v[24:25], v[116:117], v[54:55]
	s_waitcnt vmcnt(28)
	v_mul_f64 v[26:27], v[104:105], v[58:59]
	v_fmac_f64_e32 v[24:25], v[118:119], v[52:53]
	s_waitcnt vmcnt(27)
	v_mul_f64 v[28:29], v[108:109], v[62:63]
	v_fmac_f64_e32 v[26:27], v[106:107], v[56:57]
	v_add_f64 v[0:1], v[0:1], v[24:25]
	s_waitcnt vmcnt(26)
	v_mul_f64 v[30:31], v[180:181], v[66:67]
	v_fmac_f64_e32 v[28:29], v[110:111], v[60:61]
	v_add_f64 v[0:1], v[0:1], v[26:27]
	;; [unrolled: 4-line block ×3, first 2 shown]
	s_waitcnt vmcnt(24) lgkmcnt(13)
	v_mul_f64 v[34:35], v[208:209], v[74:75]
	v_fmac_f64_e32 v[32:33], v[114:115], v[68:69]
	v_add_f64 v[0:1], v[0:1], v[30:31]
	s_waitcnt vmcnt(23) lgkmcnt(12)
	v_mul_f64 v[36:37], v[200:201], v[78:79]
	v_fmac_f64_e32 v[34:35], v[210:211], v[72:73]
	v_add_f64 v[0:1], v[0:1], v[32:33]
	;; [unrolled: 4-line block ×8, first 2 shown]
	ds_read_b128 v[212:215], v2 offset:1344
	s_waitcnt vmcnt(16) lgkmcnt(6)
	v_mul_f64 v[222:223], v[144:145], v[138:139]
	v_fmac_f64_e32 v[220:221], v[158:159], v[128:129]
	v_add_f64 v[0:1], v[0:1], v[218:219]
	ds_read_b128 v[216:219], v2 offset:1360
	v_add_f64 v[0:1], v[0:1], v[220:221]
	v_fmac_f64_e32 v[222:223], v[146:147], v[136:137]
	v_add_f64 v[0:1], v[0:1], v[222:223]
	s_waitcnt vmcnt(15) lgkmcnt(6)
	v_mul_f64 v[24:25], v[168:169], v[142:143]
	ds_read_b128 v[220:223], v2 offset:1376
	v_fmac_f64_e32 v[24:25], v[170:171], v[140:141]
	v_add_f64 v[0:1], v[0:1], v[24:25]
	s_waitcnt vmcnt(14) lgkmcnt(2)
	v_mul_f64 v[24:25], v[212:213], v[150:151]
	v_fmac_f64_e32 v[24:25], v[214:215], v[148:149]
	s_waitcnt vmcnt(13) lgkmcnt(1)
	v_mul_f64 v[28:29], v[216:217], v[154:155]
	v_add_f64 v[0:1], v[0:1], v[24:25]
	v_fmac_f64_e32 v[28:29], v[218:219], v[152:153]
	v_add_f64 v[0:1], v[0:1], v[28:29]
	s_waitcnt vmcnt(12) lgkmcnt(0)
	v_mul_f64 v[28:29], v[220:221], v[162:163]
	v_fmac_f64_e32 v[28:29], v[222:223], v[160:161]
	s_waitcnt vmcnt(11)
	v_mul_f64 v[32:33], v[224:225], v[166:167]
	v_add_f64 v[0:1], v[0:1], v[28:29]
	v_fmac_f64_e32 v[32:33], v[226:227], v[164:165]
	v_add_f64 v[0:1], v[0:1], v[32:33]
	s_waitcnt vmcnt(10)
	v_mul_f64 v[32:33], v[228:229], v[174:175]
	v_fmac_f64_e32 v[32:33], v[230:231], v[172:173]
	s_waitcnt vmcnt(9)
	v_mul_f64 v[36:37], v[232:233], v[178:179]
	v_add_f64 v[0:1], v[0:1], v[32:33]
	v_fmac_f64_e32 v[36:37], v[234:235], v[176:177]
	v_mul_f64 v[42:43], v[82:83], v[42:43]
	v_add_f64 v[0:1], v[0:1], v[36:37]
	scratch_load_dwordx4 v[36:39], off, off offset:640
	v_fma_f64 v[240:241], v[80:81], v[40:41], -v[42:43]
	ds_read_b128 v[80:83], v2 offset:1456
	s_waitcnt vmcnt(9)
	v_mul_f64 v[40:41], v[236:237], v[186:187]
	v_fmac_f64_e32 v[40:41], v[238:239], v[184:185]
	v_add_f64 v[0:1], v[0:1], v[40:41]
	v_mul_f64 v[40:41], v[206:207], v[46:47]
	v_fma_f64 v[242:243], v[204:205], v[44:45], -v[40:41]
	scratch_load_dwordx4 v[40:43], off, off offset:656
	s_waitcnt vmcnt(9) lgkmcnt(0)
	v_mul_f64 v[44:45], v[80:81], v[6:7]
	v_fmac_f64_e32 v[44:45], v[82:83], v[4:5]
	v_add_f64 v[0:1], v[0:1], v[44:45]
	scratch_load_dwordx4 v[44:47], off, off offset:672
	v_mul_f64 v[50:51], v[102:103], v[50:51]
	v_fma_f64 v[244:245], v[100:101], v[48:49], -v[50:51]
	ds_read_b128 v[100:103], v2 offset:1472
	v_mul_f64 v[48:49], v[118:119], v[54:55]
	v_fma_f64 v[246:247], v[116:117], v[52:53], -v[48:49]
	scratch_load_dwordx4 v[52:55], off, off offset:688
	scratch_load_dwordx4 v[48:51], off, off offset:704
	v_accvgpr_write_b32 a137, v7
	v_accvgpr_write_b32 a136, v6
	;; [unrolled: 1-line block ×4, first 2 shown]
	s_waitcnt vmcnt(11)
	v_mov_b64_e32 v[4:5], v[8:9]
	v_mul_f64 v[58:59], v[106:107], v[58:59]
	v_mov_b64_e32 v[6:7], v[10:11]
	v_fma_f64 v[252:253], v[104:105], v[56:57], -v[58:59]
	s_waitcnt lgkmcnt(0)
	v_mul_f64 v[56:57], v[100:101], v[6:7]
	ds_read_b128 v[104:107], v2 offset:1488
	v_fmac_f64_e32 v[56:57], v[102:103], v[4:5]
	v_add_f64 v[0:1], v[0:1], v[56:57]
	v_mul_f64 v[56:57], v[110:111], v[62:63]
	v_fma_f64 v[254:255], v[108:109], v[60:61], -v[56:57]
	scratch_load_dwordx4 v[56:59], off, off offset:720
	scratch_load_dwordx4 v[60:63], off, off offset:736
	s_waitcnt vmcnt(12)
	v_mov_b64_e32 v[4:5], v[12:13]
	v_mul_f64 v[66:67], v[182:183], v[66:67]
	v_mov_b64_e32 v[6:7], v[14:15]
	v_fma_f64 v[248:249], v[180:181], v[64:65], -v[66:67]
	v_mul_f64 v[64:65], v[114:115], v[70:71]
	v_fma_f64 v[32:33], v[112:113], v[68:69], -v[64:65]
	ds_read_b128 v[112:115], v2 offset:1520
	s_waitcnt lgkmcnt(1)
	v_mul_f64 v[108:109], v[104:105], v[6:7]
	v_fmac_f64_e32 v[108:109], v[106:107], v[4:5]
	v_add_f64 v[0:1], v[0:1], v[108:109]
	ds_read_b128 v[108:111], v2 offset:1504
	ds_read_b128 v[116:119], v2 offset:1536
	scratch_load_dwordx4 v[64:67], off, off offset:752
	scratch_load_dwordx4 v[68:71], off, off offset:768
	v_mul_f64 v[6:7], v[210:211], v[74:75]
	v_fma_f64 v[28:29], v[208:209], v[72:73], -v[6:7]
	s_waitcnt vmcnt(13)
	v_mov_b64_e32 v[4:5], v[16:17]
	v_mov_b64_e32 v[6:7], v[18:19]
	s_waitcnt lgkmcnt(1)
	v_mul_f64 v[72:73], v[108:109], v[6:7]
	v_fmac_f64_e32 v[72:73], v[110:111], v[4:5]
	v_add_f64 v[0:1], v[0:1], v[72:73]
	v_mul_f64 v[72:73], v[202:203], v[78:79]
	v_fma_f64 v[24:25], v[200:201], v[76:77], -v[72:73]
	scratch_load_dwordx4 v[72:75], off, off offset:784
	s_waitcnt vmcnt(10)
	v_mov_b64_e32 v[4:5], v[20:21]
	v_accvgpr_write_b32 a141, v11
	v_mov_b64_e32 v[6:7], v[22:23]
	v_mul_f64 v[76:77], v[190:191], v[86:87]
	v_accvgpr_write_b32 a140, v10
	v_accvgpr_write_b32 a139, v9
	v_accvgpr_write_b32 a138, v8
	v_mul_f64 v[10:11], v[112:113], v[6:7]
	v_fma_f64 v[250:251], v[188:189], v[84:85], -v[76:77]
	scratch_load_dwordx4 v[76:79], off, off offset:800
	v_fmac_f64_e32 v[10:11], v[114:115], v[4:5]
	v_accvgpr_write_b32 a153, v23
	v_add_f64 v[0:1], v[0:1], v[10:11]
	v_mul_f64 v[10:11], v[122:123], v[90:91]
	v_accvgpr_write_b32 a152, v22
	v_accvgpr_write_b32 a151, v21
	;; [unrolled: 1-line block ×3, first 2 shown]
	v_fma_f64 v[20:21], v[120:121], v[88:89], -v[10:11]
	ds_read_b128 v[120:123], v2 offset:1552
	scratch_load_dwordx4 v[88:91], off, off offset:816
	scratch_load_dwordx4 v[84:87], off, off offset:832
	v_accvgpr_write_b32 a145, v15
	v_accvgpr_write_b32 a144, v14
	;; [unrolled: 1-line block ×5, first 2 shown]
	v_mul_f64 v[14:15], v[134:135], v[94:95]
	v_accvgpr_write_b32 a148, v18
	v_accvgpr_write_b32 a147, v17
	;; [unrolled: 1-line block ×3, first 2 shown]
	v_fma_f64 v[16:17], v[132:133], v[92:93], -v[14:15]
	v_mul_f64 v[92:93], v[198:199], v[98:99]
	v_fma_f64 v[14:15], v[196:197], v[96:97], -v[92:93]
	scratch_load_dwordx4 v[92:95], off, off offset:848
	v_mul_f64 v[96:97], v[158:159], v[130:131]
	v_fma_f64 v[12:13], v[156:157], v[128:129], -v[96:97]
	scratch_load_dwordx4 v[96:99], off, off offset:864
	v_accvgpr_read_b32 v4, a122
	v_accvgpr_read_b32 v6, a124
	v_accvgpr_read_b32 v7, a125
	v_accvgpr_read_b32 v5, a123
	s_waitcnt lgkmcnt(1)
	v_mul_f64 v[10:11], v[116:117], v[6:7]
	v_mul_f64 v[18:19], v[194:195], v[126:127]
	v_fmac_f64_e32 v[10:11], v[118:119], v[4:5]
	v_accvgpr_read_b32 v4, a126
	v_fma_f64 v[18:19], v[192:193], v[124:125], -v[18:19]
	ds_read_b128 v[124:127], v2 offset:1568
	ds_read_b128 v[128:131], v2 offset:1584
	v_accvgpr_read_b32 v6, a128
	v_accvgpr_read_b32 v7, a129
	v_add_f64 v[0:1], v[0:1], v[10:11]
	v_accvgpr_read_b32 v5, a127
	s_waitcnt lgkmcnt(2)
	v_mul_f64 v[10:11], v[120:121], v[6:7]
	v_fmac_f64_e32 v[10:11], v[122:123], v[4:5]
	v_accvgpr_read_b32 v4, a130
	v_accvgpr_read_b32 v6, a132
	;; [unrolled: 1-line block ×3, first 2 shown]
	v_add_f64 v[0:1], v[0:1], v[10:11]
	v_accvgpr_read_b32 v5, a131
	s_waitcnt lgkmcnt(1)
	v_mul_f64 v[10:11], v[124:125], v[6:7]
	ds_read_b128 v[132:135], v2 offset:1600
	v_fmac_f64_e32 v[10:11], v[126:127], v[4:5]
	v_add_f64 v[0:1], v[0:1], v[10:11]
	s_waitcnt vmcnt(14) lgkmcnt(1)
	v_mul_f64 v[10:11], v[128:129], v[38:39]
	v_fmac_f64_e32 v[10:11], v[130:131], v[36:37]
	v_add_f64 v[0:1], v[0:1], v[10:11]
	v_mul_f64 v[10:11], v[146:147], v[138:139]
	v_fma_f64 v[22:23], v[144:145], v[136:137], -v[10:11]
	ds_read_b128 v[136:139], v2 offset:1616
	s_waitcnt vmcnt(13) lgkmcnt(1)
	v_mul_f64 v[10:11], v[132:133], v[42:43]
	v_fmac_f64_e32 v[10:11], v[134:135], v[40:41]
	v_add_f64 v[0:1], v[0:1], v[10:11]
	v_mul_f64 v[10:11], v[170:171], v[142:143]
	v_fma_f64 v[8:9], v[168:169], v[140:141], -v[10:11]
	ds_read_b128 v[140:143], v2 offset:1632
	ds_read_b128 v[144:147], v2 offset:1648
	s_waitcnt vmcnt(12) lgkmcnt(2)
	v_mul_f64 v[10:11], v[136:137], v[46:47]
	v_fmac_f64_e32 v[10:11], v[138:139], v[44:45]
	v_add_f64 v[0:1], v[0:1], v[10:11]
	s_waitcnt vmcnt(11) lgkmcnt(1)
	v_mul_f64 v[10:11], v[140:141], v[54:55]
	v_fmac_f64_e32 v[10:11], v[142:143], v[52:53]
	v_add_f64 v[0:1], v[0:1], v[10:11]
	v_mul_f64 v[10:11], v[214:215], v[150:151]
	v_fma_f64 v[26:27], v[212:213], v[148:149], -v[10:11]
	ds_read_b128 v[148:151], v2 offset:1664
	v_mul_f64 v[154:155], v[218:219], v[154:155]
	v_fma_f64 v[6:7], v[216:217], v[152:153], -v[154:155]
	ds_read_b128 v[152:155], v2 offset:1680
	s_waitcnt vmcnt(10) lgkmcnt(2)
	v_mul_f64 v[10:11], v[144:145], v[50:51]
	v_fmac_f64_e32 v[10:11], v[146:147], v[48:49]
	v_add_f64 v[0:1], v[0:1], v[10:11]
	s_waitcnt vmcnt(9) lgkmcnt(1)
	v_mul_f64 v[10:11], v[148:149], v[58:59]
	ds_read_b128 v[156:159], v2 offset:1696
	v_fmac_f64_e32 v[10:11], v[150:151], v[56:57]
	v_add_f64 v[0:1], v[0:1], v[10:11]
	s_waitcnt vmcnt(8) lgkmcnt(1)
	v_mul_f64 v[10:11], v[152:153], v[62:63]
	v_fmac_f64_e32 v[10:11], v[154:155], v[60:61]
	v_add_f64 v[0:1], v[0:1], v[10:11]
	v_mul_f64 v[10:11], v[222:223], v[162:163]
	v_fma_f64 v[30:31], v[220:221], v[160:161], -v[10:11]
	ds_read_b128 v[160:163], v2 offset:1712
	s_waitcnt vmcnt(7) lgkmcnt(1)
	v_mul_f64 v[10:11], v[156:157], v[66:67]
	v_fmac_f64_e32 v[10:11], v[158:159], v[64:65]
	v_add_f64 v[0:1], v[0:1], v[10:11]
	v_mul_f64 v[10:11], v[226:227], v[166:167]
	v_fma_f64 v[4:5], v[224:225], v[164:165], -v[10:11]
	ds_read_b128 v[164:167], v2 offset:1728
	ds_read_b128 v[168:171], v2 offset:1744
	s_waitcnt vmcnt(6) lgkmcnt(2)
	v_mul_f64 v[10:11], v[160:161], v[70:71]
	v_fmac_f64_e32 v[10:11], v[162:163], v[68:69]
	v_add_f64 v[0:1], v[0:1], v[10:11]
	s_waitcnt vmcnt(5) lgkmcnt(1)
	v_mul_f64 v[10:11], v[164:165], v[74:75]
	v_fmac_f64_e32 v[10:11], v[166:167], v[72:73]
	v_add_f64 v[10:11], v[0:1], v[10:11]
	v_mul_f64 v[0:1], v[230:231], v[174:175]
	v_fma_f64 v[34:35], v[228:229], v[172:173], -v[0:1]
	ds_read_b128 v[172:175], v2 offset:1760
	s_waitcnt vmcnt(4) lgkmcnt(1)
	v_mul_f64 v[180:181], v[168:169], v[78:79]
	v_fmac_f64_e32 v[180:181], v[170:171], v[76:77]
	v_mul_f64 v[0:1], v[234:235], v[178:179]
	v_fma_f64 v[0:1], v[232:233], v[176:177], -v[0:1]
	ds_read_b128 v[176:179], v2 offset:1776
	v_add_f64 v[10:11], v[10:11], v[180:181]
	s_waitcnt vmcnt(3) lgkmcnt(1)
	v_mul_f64 v[180:181], v[172:173], v[90:91]
	v_fmac_f64_e32 v[180:181], v[174:175], v[88:89]
	v_add_f64 v[188:189], v[10:11], v[180:181]
	ds_read_b128 v[180:183], v2 offset:1792
	v_mul_f64 v[10:11], v[238:239], v[186:187]
	v_fma_f64 v[10:11], v[236:237], v[184:185], -v[10:11]
	ds_read_b128 v[184:187], v2 offset:1808
	s_waitcnt vmcnt(2) lgkmcnt(2)
	v_mul_f64 v[190:191], v[176:177], v[86:87]
	v_fmac_f64_e32 v[190:191], v[178:179], v[84:85]
	v_add_f64 v[188:189], v[188:189], v[190:191]
	s_waitcnt vmcnt(1) lgkmcnt(1)
	v_mul_f64 v[190:191], v[180:181], v[94:95]
	v_fmac_f64_e32 v[190:191], v[182:183], v[92:93]
	v_add_f64 v[188:189], v[188:189], v[190:191]
	;; [unrolled: 4-line block ×3, first 2 shown]
	scratch_load_dwordx4 v[188:191], off, off offset:880
	scratch_load_dwordx4 v[232:235], off, off offset:960
	ds_read_b128 v[192:195], v2 offset:1824
	ds_read_b128 v[200:203], v2 offset:1840
	;; [unrolled: 1-line block ×5, first 2 shown]
	s_waitcnt vmcnt(1) lgkmcnt(4)
	v_mul_f64 v[198:199], v[192:193], v[190:191]
	v_fmac_f64_e32 v[198:199], v[194:195], v[188:189]
	v_add_f64 v[204:205], v[196:197], v[198:199]
	scratch_load_dwordx4 v[196:199], off, off offset:896
	s_waitcnt vmcnt(0) lgkmcnt(3)
	v_mul_f64 v[206:207], v[200:201], v[198:199]
	v_fmac_f64_e32 v[206:207], v[202:203], v[196:197]
	v_add_f64 v[212:213], v[204:205], v[206:207]
	scratch_load_dwordx4 v[204:207], off, off offset:912
	;; [unrolled: 5-line block ×4, first 2 shown]
	s_waitcnt vmcnt(0) lgkmcnt(0)
	v_mul_f64 v[230:231], v[224:225], v[222:223]
	v_fmac_f64_e32 v[230:231], v[226:227], v[220:221]
	v_add_f64 v[236:237], v[228:229], v[230:231]
	ds_read_b128 v[228:231], v2 offset:1904
	s_waitcnt lgkmcnt(0)
	v_mul_f64 v[2:3], v[228:229], v[234:235]
	v_fmac_f64_e32 v[2:3], v[230:231], v[232:233]
	v_add_f64 v[2:3], v[236:237], v[2:3]
	v_add_f64 v[236:237], v[240:241], 0
	;; [unrolled: 1-line block ×11, first 2 shown]
	scratch_load_dwordx4 v[236:239], off, off offset:96
	v_add_f64 v[24:25], v[24:25], v[250:251]
	v_add_f64 v[20:21], v[24:25], v[20:21]
	;; [unrolled: 1-line block ×12, first 2 shown]
	v_accvgpr_read_b32 v6, a134
	v_accvgpr_read_b32 v8, a136
	;; [unrolled: 1-line block ×3, first 2 shown]
	v_add_f64 v[252:253], v[4:5], v[34:35]
	v_accvgpr_read_b32 v7, a135
	v_mul_f64 v[4:5], v[82:83], v[8:9]
	v_add_f64 v[0:1], v[252:253], v[0:1]
	v_fma_f64 v[4:5], v[80:81], v[6:7], -v[4:5]
	v_accvgpr_read_b32 v6, a138
	v_add_f64 v[0:1], v[0:1], v[10:11]
	v_accvgpr_read_b32 v8, a140
	v_accvgpr_read_b32 v9, a141
	v_add_f64 v[0:1], v[0:1], v[4:5]
	v_accvgpr_read_b32 v7, a139
	v_mul_f64 v[4:5], v[102:103], v[8:9]
	v_fma_f64 v[4:5], v[100:101], v[6:7], -v[4:5]
	v_accvgpr_read_b32 v6, a142
	v_accvgpr_read_b32 v8, a144
	v_accvgpr_read_b32 v9, a145
	v_add_f64 v[0:1], v[0:1], v[4:5]
	v_accvgpr_read_b32 v7, a143
	v_mul_f64 v[4:5], v[106:107], v[8:9]
	v_fma_f64 v[4:5], v[104:105], v[6:7], -v[4:5]
	v_accvgpr_read_b32 v6, a146
	;; [unrolled: 7-line block ×6, first 2 shown]
	v_accvgpr_read_b32 v8, a132
	v_accvgpr_read_b32 v9, a133
	v_add_f64 v[0:1], v[0:1], v[4:5]
	v_accvgpr_read_b32 v7, a131
	v_mul_f64 v[4:5], v[126:127], v[8:9]
	v_fma_f64 v[4:5], v[124:125], v[6:7], -v[4:5]
	v_add_f64 v[0:1], v[0:1], v[4:5]
	v_mul_f64 v[4:5], v[130:131], v[38:39]
	v_fma_f64 v[4:5], v[128:129], v[36:37], -v[4:5]
	v_add_f64 v[0:1], v[0:1], v[4:5]
	;; [unrolled: 3-line block ×22, first 2 shown]
	s_waitcnt vmcnt(0)
	v_add_f64 v[4:5], v[236:237], -v[0:1]
	v_accvgpr_read_b32 v0, a120
	v_add_f64 v[6:7], v[238:239], -v[2:3]
	v_cmp_lt_u32_e32 vcc, 4, v0
	scratch_store_dwordx4 off, v[4:7], off offset:96
	s_and_saveexec_b64 s[0:1], vcc
	s_cbranch_execz .LBB59_365
; %bb.364:
	scratch_load_dwordx4 v[2:5], off, s13
	v_mov_b32_e32 v6, 0
	v_mov_b32_e32 v7, v6
	;; [unrolled: 1-line block ×4, first 2 shown]
	v_accvgpr_read_b32 v0, a121
	scratch_store_dwordx4 off, v[6:9], off offset:80
	s_waitcnt vmcnt(1)
	ds_write_b128 v0, v[2:5]
.LBB59_365:
	s_or_b64 exec, exec, s[0:1]
	s_waitcnt lgkmcnt(0)
	; wave barrier
	scratch_load_dwordx4 v[16:19], off, off offset:96
	scratch_load_dwordx4 v[20:23], off, off offset:112
	scratch_load_dwordx4 v[24:27], off, off offset:128
	scratch_load_dwordx4 v[28:31], off, off offset:144
	scratch_load_dwordx4 v[32:35], off, off offset:160
	scratch_load_dwordx4 v[36:39], off, off offset:176
	scratch_load_dwordx4 v[44:47], off, off offset:192
	scratch_load_dwordx4 v[52:55], off, off offset:208
	scratch_load_dwordx4 v[60:63], off, off offset:224
	scratch_load_dwordx4 v[64:67], off, off offset:240
	scratch_load_dwordx4 v[68:71], off, off offset:256
	scratch_load_dwordx4 v[72:75], off, off offset:272
	scratch_load_dwordx4 v[76:79], off, off offset:288
	scratch_load_dwordx4 v[80:83], off, off offset:304
	scratch_load_dwordx4 v[88:91], off, off offset:320
	scratch_load_dwordx4 v[92:95], off, off offset:336
	scratch_load_dwordx4 v[100:103], off, off offset:352
	scratch_load_dwordx4 v[128:131], off, off offset:368
	scratch_load_dwordx4 v[132:135], off, off offset:384
	scratch_load_dwordx4 v[136:139], off, off offset:400
	scratch_load_dwordx4 v[144:147], off, off offset:416
	scratch_load_dwordx4 v[148:151], off, off offset:432
	scratch_load_dwordx4 v[156:159], off, off offset:448
	scratch_load_dwordx4 v[160:163], off, off offset:464
	scratch_load_dwordx4 v[168:171], off, off offset:480
	scratch_load_dwordx4 v[172:175], off, off offset:496
	scratch_load_dwordx4 v[180:183], off, off offset:512
	scratch_load_dwordx4 v[4:7], off, off offset:528
	scratch_load_dwordx4 v[8:11], off, off offset:544
	scratch_load_dwordx4 v[12:15], off, off offset:560
	v_mov_b32_e32 v2, 0
	ds_read_b128 v[84:87], v2 offset:1040
	ds_read_b128 v[96:99], v2 offset:1056
	;; [unrolled: 1-line block ×17, first 2 shown]
	scratch_load_dwordx4 a[122:125], off, off offset:576
	scratch_load_dwordx4 a[126:129], off, off offset:592
	;; [unrolled: 1-line block ×4, first 2 shown]
	ds_read_b128 v[228:231], v2 offset:1408
	ds_read_b128 v[236:239], v2 offset:1424
	scratch_load_dwordx4 a[138:141], off, off offset:640
	ds_read_b128 v[248:251], v2 offset:1440
	ds_read_b128 v[252:255], v2 offset:1456
	;; [unrolled: 1-line block ×3, first 2 shown]
	s_waitcnt vmcnt(34) lgkmcnt(14)
	v_mul_f64 v[0:1], v[84:85], v[18:19]
	s_waitcnt vmcnt(33)
	v_mul_f64 v[40:41], v[96:97], v[22:23]
	v_fmac_f64_e32 v[0:1], v[86:87], v[16:17]
	s_waitcnt vmcnt(32)
	v_mul_f64 v[42:43], v[104:105], v[26:27]
	v_fmac_f64_e32 v[40:41], v[98:99], v[20:21]
	v_add_f64 v[0:1], v[0:1], 0
	s_waitcnt vmcnt(31)
	v_mul_f64 v[48:49], v[108:109], v[30:31]
	v_fmac_f64_e32 v[42:43], v[106:107], v[24:25]
	v_add_f64 v[0:1], v[0:1], v[40:41]
	;; [unrolled: 4-line block ×6, first 2 shown]
	s_waitcnt vmcnt(26) lgkmcnt(13)
	v_mul_f64 v[206:207], v[140:141], v[62:63]
	v_fmac_f64_e32 v[204:205], v[126:127], v[52:53]
	v_add_f64 v[0:1], v[0:1], v[58:59]
	s_waitcnt vmcnt(25) lgkmcnt(12)
	v_mul_f64 v[208:209], v[152:153], v[66:67]
	v_fmac_f64_e32 v[206:207], v[142:143], v[60:61]
	v_add_f64 v[0:1], v[0:1], v[204:205]
	;; [unrolled: 4-line block ×6, first 2 shown]
	ds_read_b128 v[204:207], v2 offset:1312
	ds_read_b128 v[208:211], v2 offset:1328
	s_waitcnt vmcnt(20) lgkmcnt(9)
	v_mul_f64 v[218:219], v[192:193], v[90:91]
	v_fmac_f64_e32 v[216:217], v[190:191], v[80:81]
	v_add_f64 v[0:1], v[0:1], v[214:215]
	s_waitcnt vmcnt(19) lgkmcnt(8)
	v_mul_f64 v[220:221], v[196:197], v[94:95]
	v_fmac_f64_e32 v[218:219], v[194:195], v[88:89]
	v_add_f64 v[0:1], v[0:1], v[216:217]
	v_fmac_f64_e32 v[220:221], v[198:199], v[92:93]
	v_add_f64 v[0:1], v[0:1], v[218:219]
	s_waitcnt vmcnt(18) lgkmcnt(7)
	v_mul_f64 v[40:41], v[200:201], v[102:103]
	ds_read_b128 v[212:215], v2 offset:1344
	ds_read_b128 v[216:219], v2 offset:1360
	v_add_f64 v[0:1], v[0:1], v[220:221]
	v_fmac_f64_e32 v[40:41], v[202:203], v[100:101]
	v_add_f64 v[0:1], v[0:1], v[40:41]
	s_waitcnt vmcnt(17) lgkmcnt(3)
	v_mul_f64 v[40:41], v[204:205], v[130:131]
	v_fmac_f64_e32 v[40:41], v[206:207], v[128:129]
	ds_read_b128 v[220:223], v2 offset:1376
	v_add_f64 v[0:1], v[0:1], v[40:41]
	s_waitcnt vmcnt(16) lgkmcnt(3)
	v_mul_f64 v[40:41], v[208:209], v[134:135]
	v_fmac_f64_e32 v[40:41], v[210:211], v[132:133]
	s_waitcnt vmcnt(15) lgkmcnt(2)
	v_mul_f64 v[48:49], v[212:213], v[138:139]
	v_add_f64 v[0:1], v[0:1], v[40:41]
	v_fmac_f64_e32 v[48:49], v[214:215], v[136:137]
	s_waitcnt vmcnt(14) lgkmcnt(1)
	v_mul_f64 v[56:57], v[216:217], v[146:147]
	v_add_f64 v[0:1], v[0:1], v[48:49]
	v_fmac_f64_e32 v[56:57], v[218:219], v[144:145]
	v_add_f64 v[0:1], v[0:1], v[56:57]
	s_waitcnt vmcnt(13) lgkmcnt(0)
	v_mul_f64 v[56:57], v[220:221], v[150:151]
	v_fmac_f64_e32 v[56:57], v[222:223], v[148:149]
	v_add_f64 v[0:1], v[0:1], v[56:57]
	s_waitcnt vmcnt(12)
	v_mul_f64 v[56:57], v[224:225], v[158:159]
	v_fmac_f64_e32 v[56:57], v[226:227], v[156:157]
	s_waitcnt vmcnt(11)
	v_mul_f64 v[232:233], v[228:229], v[162:163]
	v_add_f64 v[0:1], v[0:1], v[56:57]
	v_fmac_f64_e32 v[232:233], v[230:231], v[160:161]
	v_add_f64 v[0:1], v[0:1], v[232:233]
	s_waitcnt vmcnt(10)
	v_mul_f64 v[232:233], v[236:237], v[170:171]
	v_mul_f64 v[18:19], v[86:87], v[18:19]
	v_fmac_f64_e32 v[232:233], v[238:239], v[168:169]
	v_fma_f64 v[240:241], v[84:85], v[16:17], -v[18:19]
	s_waitcnt vmcnt(9)
	v_mul_f64 v[84:85], v[248:249], v[174:175]
	v_add_f64 v[0:1], v[0:1], v[232:233]
	v_fmac_f64_e32 v[84:85], v[250:251], v[172:173]
	v_add_f64 v[0:1], v[0:1], v[84:85]
	ds_read_b128 v[84:87], v2 offset:1472
	scratch_load_dwordx4 v[56:59], off, off offset:656
	scratch_load_dwordx4 v[40:43], off, off offset:672
	;; [unrolled: 1-line block ×3, first 2 shown]
	v_mul_f64 v[30:31], v[110:111], v[30:31]
	v_mul_f64 v[22:23], v[98:99], v[22:23]
	;; [unrolled: 1-line block ×3, first 2 shown]
	v_fma_f64 v[246:247], v[108:109], v[28:29], -v[30:31]
	s_waitcnt vmcnt(11)
	v_mul_f64 v[28:29], v[252:253], v[182:183]
	v_fma_f64 v[242:243], v[96:97], v[20:21], -v[22:23]
	v_fma_f64 v[244:245], v[104:105], v[24:25], -v[26:27]
	v_fmac_f64_e32 v[28:29], v[254:255], v[180:181]
	ds_read_b128 v[104:107], v2 offset:1504
	s_waitcnt vmcnt(10) lgkmcnt(1)
	v_mul_f64 v[96:97], v[84:85], v[6:7]
	v_add_f64 v[0:1], v[0:1], v[28:29]
	v_fmac_f64_e32 v[96:97], v[86:87], v[4:5]
	v_add_f64 v[0:1], v[0:1], v[96:97]
	ds_read_b128 v[96:99], v2 offset:1488
	v_mul_f64 v[34:35], v[114:115], v[34:35]
	v_accvgpr_write_b32 a145, v7
	v_mul_f64 v[38:39], v[118:119], v[38:39]
	v_fma_f64 v[232:233], v[112:113], v[32:33], -v[34:35]
	v_accvgpr_write_b32 a144, v6
	v_accvgpr_write_b32 a143, v5
	;; [unrolled: 1-line block ×3, first 2 shown]
	v_fma_f64 v[32:33], v[116:117], v[36:37], -v[38:39]
	scratch_load_dwordx4 v[36:39], off, off offset:704
	v_mul_f64 v[6:7], v[122:123], v[46:47]
	v_mul_f64 v[46:47], v[126:127], v[54:55]
	v_fma_f64 v[28:29], v[120:121], v[44:45], -v[6:7]
	v_fma_f64 v[24:25], v[124:125], v[52:53], -v[46:47]
	scratch_load_dwordx4 v[52:55], off, off offset:720
	ds_read_b128 v[112:115], v2 offset:1536
	s_waitcnt vmcnt(11) lgkmcnt(1)
	v_mul_f64 v[44:45], v[96:97], v[10:11]
	v_fmac_f64_e32 v[44:45], v[98:99], v[8:9]
	v_add_f64 v[0:1], v[0:1], v[44:45]
	scratch_load_dwordx4 v[44:47], off, off offset:736
	s_waitcnt vmcnt(11)
	v_mov_b64_e32 v[4:5], v[12:13]
	v_mov_b64_e32 v[6:7], v[14:15]
	v_accvgpr_write_b32 a149, v11
	v_mul_f64 v[108:109], v[104:105], v[6:7]
	v_accvgpr_write_b32 a148, v10
	v_accvgpr_write_b32 a147, v9
	;; [unrolled: 1-line block ×3, first 2 shown]
	v_mul_f64 v[10:11], v[142:143], v[62:63]
	v_fmac_f64_e32 v[108:109], v[106:107], v[4:5]
	v_fma_f64 v[20:21], v[140:141], v[60:61], -v[10:11]
	scratch_load_dwordx4 v[60:63], off, off offset:752
	v_add_f64 v[0:1], v[0:1], v[108:109]
	ds_read_b128 v[108:111], v2 offset:1520
	v_mul_f64 v[66:67], v[154:155], v[66:67]
	v_fma_f64 v[16:17], v[152:153], v[64:65], -v[66:67]
	scratch_load_dwordx4 v[64:67], off, off offset:768
	s_waitcnt vmcnt(12)
	v_accvgpr_read_b32 v4, a122
	v_accvgpr_write_b32 a153, v15
	v_accvgpr_read_b32 v6, a124
	v_accvgpr_read_b32 v7, a125
	v_accvgpr_write_b32 a152, v14
	v_accvgpr_write_b32 a151, v13
	;; [unrolled: 1-line block ×3, first 2 shown]
	v_mul_f64 v[14:15], v[166:167], v[70:71]
	v_accvgpr_read_b32 v5, a123
	s_waitcnt lgkmcnt(0)
	v_mul_f64 v[116:117], v[108:109], v[6:7]
	v_fma_f64 v[14:15], v[164:165], v[68:69], -v[14:15]
	v_mul_f64 v[68:69], v[178:179], v[74:75]
	v_fmac_f64_e32 v[116:117], v[110:111], v[4:5]
	s_waitcnt vmcnt(11)
	v_accvgpr_read_b32 v4, a126
	v_fma_f64 v[12:13], v[176:177], v[72:73], -v[68:69]
	scratch_load_dwordx4 v[68:71], off, off offset:784
	v_accvgpr_read_b32 v6, a128
	v_accvgpr_read_b32 v7, a129
	;; [unrolled: 1-line block ×3, first 2 shown]
	v_mul_f64 v[18:19], v[112:113], v[6:7]
	v_add_f64 v[0:1], v[0:1], v[116:117]
	v_fmac_f64_e32 v[18:19], v[114:115], v[4:5]
	scratch_load_dwordx4 v[72:75], off, off offset:800
	v_add_f64 v[0:1], v[0:1], v[18:19]
	v_mul_f64 v[18:19], v[186:187], v[78:79]
	v_fma_f64 v[18:19], v[184:185], v[76:77], -v[18:19]
	ds_read_b128 v[116:119], v2 offset:1552
	v_mul_f64 v[76:77], v[190:191], v[82:83]
	v_fma_f64 v[184:185], v[188:189], v[80:81], -v[76:77]
	scratch_load_dwordx4 v[80:83], off, off offset:816
	scratch_load_dwordx4 v[76:79], off, off offset:832
	ds_read_b128 v[120:123], v2 offset:1568
	s_waitcnt vmcnt(14)
	v_accvgpr_read_b32 v4, a130
	v_mul_f64 v[90:91], v[194:195], v[90:91]
	v_accvgpr_read_b32 v6, a132
	v_accvgpr_read_b32 v7, a133
	v_fma_f64 v[186:187], v[192:193], v[88:89], -v[90:91]
	v_accvgpr_read_b32 v5, a131
	s_waitcnt lgkmcnt(1)
	v_mul_f64 v[88:89], v[116:117], v[6:7]
	v_fmac_f64_e32 v[88:89], v[118:119], v[4:5]
	s_waitcnt vmcnt(13)
	v_accvgpr_read_b32 v4, a134
	v_add_f64 v[0:1], v[0:1], v[88:89]
	v_mul_f64 v[88:89], v[198:199], v[94:95]
	v_mul_f64 v[22:23], v[202:203], v[102:103]
	v_accvgpr_read_b32 v6, a136
	v_accvgpr_read_b32 v7, a137
	v_fma_f64 v[10:11], v[196:197], v[92:93], -v[88:89]
	scratch_load_dwordx4 v[92:95], off, off offset:848
	scratch_load_dwordx4 v[88:91], off, off offset:864
	v_fma_f64 v[22:23], v[200:201], v[100:101], -v[22:23]
	v_accvgpr_read_b32 v5, a135
	s_waitcnt lgkmcnt(0)
	v_mul_f64 v[100:101], v[120:121], v[6:7]
	v_fmac_f64_e32 v[100:101], v[122:123], v[4:5]
	v_add_f64 v[0:1], v[0:1], v[100:101]
	v_mul_f64 v[100:101], v[206:207], v[130:131]
	v_fma_f64 v[8:9], v[204:205], v[128:129], -v[100:101]
	scratch_load_dwordx4 v[100:103], off, off offset:880
	ds_read_b128 v[124:127], v2 offset:1584
	ds_read_b128 v[128:131], v2 offset:1600
	s_waitcnt vmcnt(15)
	v_accvgpr_read_b32 v4, a138
	v_accvgpr_read_b32 v6, a140
	v_accvgpr_read_b32 v7, a141
	v_accvgpr_read_b32 v5, a139
	s_waitcnt lgkmcnt(1)
	v_mul_f64 v[26:27], v[124:125], v[6:7]
	v_fmac_f64_e32 v[26:27], v[126:127], v[4:5]
	v_add_f64 v[0:1], v[0:1], v[26:27]
	v_mul_f64 v[26:27], v[210:211], v[134:135]
	v_fma_f64 v[26:27], v[208:209], v[132:133], -v[26:27]
	ds_read_b128 v[132:135], v2 offset:1616
	v_mul_f64 v[138:139], v[214:215], v[138:139]
	v_fma_f64 v[6:7], v[212:213], v[136:137], -v[138:139]
	ds_read_b128 v[136:139], v2 offset:1632
	s_waitcnt vmcnt(14) lgkmcnt(2)
	v_mul_f64 v[140:141], v[128:129], v[58:59]
	v_fmac_f64_e32 v[140:141], v[130:131], v[56:57]
	s_waitcnt vmcnt(13) lgkmcnt(1)
	v_mul_f64 v[30:31], v[132:133], v[42:43]
	v_add_f64 v[0:1], v[0:1], v[140:141]
	v_fmac_f64_e32 v[30:31], v[134:135], v[40:41]
	v_add_f64 v[0:1], v[0:1], v[30:31]
	s_waitcnt vmcnt(12) lgkmcnt(0)
	v_mul_f64 v[30:31], v[136:137], v[50:51]
	v_fmac_f64_e32 v[30:31], v[138:139], v[48:49]
	ds_read_b128 v[140:143], v2 offset:1648
	v_add_f64 v[0:1], v[0:1], v[30:31]
	v_mul_f64 v[30:31], v[218:219], v[146:147]
	v_fma_f64 v[30:31], v[216:217], v[144:145], -v[30:31]
	ds_read_b128 v[144:147], v2 offset:1664
	v_mul_f64 v[150:151], v[222:223], v[150:151]
	v_fma_f64 v[4:5], v[220:221], v[148:149], -v[150:151]
	ds_read_b128 v[148:151], v2 offset:1680
	s_waitcnt vmcnt(11) lgkmcnt(2)
	v_mul_f64 v[152:153], v[140:141], v[38:39]
	v_fmac_f64_e32 v[152:153], v[142:143], v[36:37]
	s_waitcnt vmcnt(10) lgkmcnt(1)
	v_mul_f64 v[34:35], v[144:145], v[54:55]
	v_add_f64 v[0:1], v[0:1], v[152:153]
	v_fmac_f64_e32 v[34:35], v[146:147], v[52:53]
	v_add_f64 v[0:1], v[0:1], v[34:35]
	ds_read_b128 v[152:155], v2 offset:1696
	s_waitcnt vmcnt(9) lgkmcnt(1)
	v_mul_f64 v[34:35], v[148:149], v[46:47]
	v_fmac_f64_e32 v[34:35], v[150:151], v[44:45]
	v_add_f64 v[0:1], v[0:1], v[34:35]
	v_mul_f64 v[34:35], v[226:227], v[158:159]
	v_fma_f64 v[34:35], v[224:225], v[156:157], -v[34:35]
	ds_read_b128 v[156:159], v2 offset:1712
	s_waitcnt vmcnt(8) lgkmcnt(1)
	v_mul_f64 v[164:165], v[152:153], v[62:63]
	v_fmac_f64_e32 v[164:165], v[154:155], v[60:61]
	v_mul_f64 v[162:163], v[230:231], v[162:163]
	v_fma_f64 v[234:235], v[228:229], v[160:161], -v[162:163]
	ds_read_b128 v[160:163], v2 offset:1728
	v_add_f64 v[0:1], v[0:1], v[164:165]
	s_waitcnt vmcnt(7) lgkmcnt(1)
	v_mul_f64 v[164:165], v[156:157], v[66:67]
	v_fmac_f64_e32 v[164:165], v[158:159], v[64:65]
	v_add_f64 v[0:1], v[0:1], v[164:165]
	ds_read_b128 v[164:167], v2 offset:1744
	v_mul_f64 v[170:171], v[238:239], v[170:171]
	v_fma_f64 v[236:237], v[236:237], v[168:169], -v[170:171]
	ds_read_b128 v[168:171], v2 offset:1760
	s_waitcnt vmcnt(6) lgkmcnt(2)
	v_mul_f64 v[176:177], v[160:161], v[70:71]
	v_fmac_f64_e32 v[176:177], v[162:163], v[68:69]
	v_add_f64 v[0:1], v[0:1], v[176:177]
	s_waitcnt vmcnt(5) lgkmcnt(1)
	v_mul_f64 v[176:177], v[164:165], v[74:75]
	v_fmac_f64_e32 v[176:177], v[166:167], v[72:73]
	v_mul_f64 v[174:175], v[250:251], v[174:175]
	v_add_f64 v[0:1], v[0:1], v[176:177]
	v_fma_f64 v[238:239], v[248:249], v[172:173], -v[174:175]
	ds_read_b128 v[172:175], v2 offset:1776
	s_waitcnt vmcnt(4) lgkmcnt(1)
	v_mul_f64 v[176:177], v[168:169], v[82:83]
	v_fmac_f64_e32 v[176:177], v[170:171], v[80:81]
	v_add_f64 v[0:1], v[0:1], v[176:177]
	ds_read_b128 v[176:179], v2 offset:1792
	v_mul_f64 v[182:183], v[254:255], v[182:183]
	v_fma_f64 v[248:249], v[252:253], v[180:181], -v[182:183]
	ds_read_b128 v[180:183], v2 offset:1808
	ds_read_b128 v[252:255], v2 offset:1824
	s_waitcnt vmcnt(3) lgkmcnt(3)
	v_mul_f64 v[188:189], v[172:173], v[78:79]
	v_fmac_f64_e32 v[188:189], v[174:175], v[76:77]
	v_add_f64 v[0:1], v[0:1], v[188:189]
	s_waitcnt vmcnt(2) lgkmcnt(2)
	v_mul_f64 v[188:189], v[176:177], v[94:95]
	v_fmac_f64_e32 v[188:189], v[178:179], v[92:93]
	v_add_f64 v[0:1], v[0:1], v[188:189]
	;; [unrolled: 4-line block ×4, first 2 shown]
	scratch_load_dwordx4 v[188:191], off, off offset:896
	ds_read_b128 v[192:195], v2 offset:1840
	ds_read_b128 v[200:203], v2 offset:1856
	;; [unrolled: 1-line block ×5, first 2 shown]
	s_waitcnt vmcnt(0) lgkmcnt(4)
	v_mul_f64 v[196:197], v[192:193], v[190:191]
	v_fmac_f64_e32 v[196:197], v[194:195], v[188:189]
	v_add_f64 v[0:1], v[0:1], v[196:197]
	scratch_load_dwordx4 v[196:199], off, off offset:912
	s_waitcnt vmcnt(0) lgkmcnt(3)
	v_mul_f64 v[204:205], v[200:201], v[198:199]
	v_fmac_f64_e32 v[204:205], v[202:203], v[196:197]
	v_add_f64 v[0:1], v[0:1], v[204:205]
	scratch_load_dwordx4 v[204:207], off, off offset:928
	;; [unrolled: 5-line block ×4, first 2 shown]
	s_waitcnt vmcnt(0) lgkmcnt(0)
	v_mul_f64 v[228:229], v[224:225], v[222:223]
	v_fmac_f64_e32 v[228:229], v[226:227], v[220:221]
	v_add_f64 v[0:1], v[0:1], v[228:229]
	v_add_f64 v[228:229], v[240:241], 0
	;; [unrolled: 1-line block ×9, first 2 shown]
	scratch_load_dwordx4 v[228:231], off, off offset:80
	v_add_f64 v[20:21], v[24:25], v[20:21]
	v_add_f64 v[16:17], v[20:21], v[16:17]
	;; [unrolled: 1-line block ×15, first 2 shown]
	v_accvgpr_read_b32 v8, a142
	v_add_f64 v[4:5], v[250:251], v[234:235]
	v_accvgpr_read_b32 v10, a144
	v_accvgpr_read_b32 v11, a145
	v_add_f64 v[4:5], v[4:5], v[236:237]
	v_accvgpr_read_b32 v9, a143
	v_mul_f64 v[6:7], v[86:87], v[10:11]
	v_add_f64 v[4:5], v[4:5], v[238:239]
	v_fma_f64 v[6:7], v[84:85], v[8:9], -v[6:7]
	v_accvgpr_read_b32 v8, a146
	v_add_f64 v[4:5], v[4:5], v[248:249]
	v_accvgpr_read_b32 v10, a148
	v_accvgpr_read_b32 v11, a149
	v_add_f64 v[4:5], v[4:5], v[6:7]
	v_accvgpr_read_b32 v9, a147
	v_mul_f64 v[6:7], v[98:99], v[10:11]
	v_fma_f64 v[6:7], v[96:97], v[8:9], -v[6:7]
	v_accvgpr_read_b32 v8, a150
	v_accvgpr_read_b32 v10, a152
	v_accvgpr_read_b32 v11, a153
	v_add_f64 v[4:5], v[4:5], v[6:7]
	v_accvgpr_read_b32 v9, a151
	v_mul_f64 v[6:7], v[106:107], v[10:11]
	v_fma_f64 v[6:7], v[104:105], v[8:9], -v[6:7]
	v_accvgpr_read_b32 v8, a122
	;; [unrolled: 7-line block ×6, first 2 shown]
	v_accvgpr_read_b32 v10, a140
	v_accvgpr_read_b32 v11, a141
	v_add_f64 v[4:5], v[4:5], v[6:7]
	v_accvgpr_read_b32 v9, a139
	v_mul_f64 v[6:7], v[126:127], v[10:11]
	v_fma_f64 v[6:7], v[124:125], v[8:9], -v[6:7]
	v_add_f64 v[4:5], v[4:5], v[6:7]
	v_mul_f64 v[6:7], v[130:131], v[58:59]
	v_fma_f64 v[6:7], v[128:129], v[56:57], -v[6:7]
	v_add_f64 v[4:5], v[4:5], v[6:7]
	v_mul_f64 v[6:7], v[134:135], v[42:43]
	v_fma_f64 v[6:7], v[132:133], v[40:41], -v[6:7]
	v_add_f64 v[4:5], v[4:5], v[6:7]
	v_mul_f64 v[6:7], v[138:139], v[50:51]
	v_fma_f64 v[6:7], v[136:137], v[48:49], -v[6:7]
	v_add_f64 v[4:5], v[4:5], v[6:7]
	v_mul_f64 v[6:7], v[142:143], v[38:39]
	v_fma_f64 v[6:7], v[140:141], v[36:37], -v[6:7]
	v_add_f64 v[4:5], v[4:5], v[6:7]
	v_mul_f64 v[6:7], v[146:147], v[54:55]
	v_fma_f64 v[6:7], v[144:145], v[52:53], -v[6:7]
	v_add_f64 v[4:5], v[4:5], v[6:7]
	v_mul_f64 v[6:7], v[150:151], v[46:47]
	v_fma_f64 v[6:7], v[148:149], v[44:45], -v[6:7]
	v_add_f64 v[4:5], v[4:5], v[6:7]
	v_mul_f64 v[6:7], v[154:155], v[62:63]
	v_fma_f64 v[6:7], v[152:153], v[60:61], -v[6:7]
	v_add_f64 v[4:5], v[4:5], v[6:7]
	v_mul_f64 v[6:7], v[158:159], v[66:67]
	v_fma_f64 v[6:7], v[156:157], v[64:65], -v[6:7]
	v_add_f64 v[4:5], v[4:5], v[6:7]
	v_mul_f64 v[6:7], v[162:163], v[70:71]
	v_fma_f64 v[6:7], v[160:161], v[68:69], -v[6:7]
	v_add_f64 v[4:5], v[4:5], v[6:7]
	v_mul_f64 v[6:7], v[166:167], v[74:75]
	v_fma_f64 v[6:7], v[164:165], v[72:73], -v[6:7]
	v_add_f64 v[4:5], v[4:5], v[6:7]
	v_mul_f64 v[6:7], v[170:171], v[82:83]
	v_fma_f64 v[6:7], v[168:169], v[80:81], -v[6:7]
	v_add_f64 v[4:5], v[4:5], v[6:7]
	v_mul_f64 v[6:7], v[174:175], v[78:79]
	v_fma_f64 v[6:7], v[172:173], v[76:77], -v[6:7]
	v_add_f64 v[4:5], v[4:5], v[6:7]
	v_mul_f64 v[6:7], v[178:179], v[94:95]
	v_fma_f64 v[6:7], v[176:177], v[92:93], -v[6:7]
	v_add_f64 v[4:5], v[4:5], v[6:7]
	v_mul_f64 v[6:7], v[182:183], v[90:91]
	v_fma_f64 v[6:7], v[180:181], v[88:89], -v[6:7]
	v_add_f64 v[4:5], v[4:5], v[6:7]
	v_mul_f64 v[6:7], v[254:255], v[102:103]
	v_fma_f64 v[6:7], v[252:253], v[100:101], -v[6:7]
	v_add_f64 v[4:5], v[4:5], v[6:7]
	v_mul_f64 v[6:7], v[194:195], v[190:191]
	v_fma_f64 v[6:7], v[192:193], v[188:189], -v[6:7]
	v_add_f64 v[4:5], v[4:5], v[6:7]
	v_mul_f64 v[6:7], v[202:203], v[198:199]
	v_fma_f64 v[6:7], v[200:201], v[196:197], -v[6:7]
	v_add_f64 v[4:5], v[4:5], v[6:7]
	v_mul_f64 v[6:7], v[210:211], v[206:207]
	v_fma_f64 v[6:7], v[208:209], v[204:205], -v[6:7]
	v_add_f64 v[4:5], v[4:5], v[6:7]
	v_mul_f64 v[6:7], v[218:219], v[214:215]
	v_fma_f64 v[6:7], v[216:217], v[212:213], -v[6:7]
	v_add_f64 v[4:5], v[4:5], v[6:7]
	v_mul_f64 v[6:7], v[226:227], v[222:223]
	v_fma_f64 v[6:7], v[224:225], v[220:221], -v[6:7]
	v_add_f64 v[4:5], v[4:5], v[6:7]
	s_waitcnt vmcnt(0)
	v_add_f64 v[6:7], v[230:231], -v[0:1]
	v_accvgpr_read_b32 v0, a120
	v_add_f64 v[4:5], v[228:229], -v[4:5]
	v_cmp_lt_u32_e32 vcc, 3, v0
	scratch_store_dwordx4 off, v[4:7], off offset:80
	s_and_saveexec_b64 s[0:1], vcc
	s_cbranch_execz .LBB59_367
; %bb.366:
	scratch_load_dwordx4 v[6:9], off, s14
	v_mov_b32_e32 v3, v2
	v_mov_b32_e32 v4, v2
	;; [unrolled: 1-line block ×3, first 2 shown]
	v_accvgpr_read_b32 v0, a121
	scratch_store_dwordx4 off, v[2:5], off offset:64
	s_waitcnt vmcnt(1)
	ds_write_b128 v0, v[6:9]
.LBB59_367:
	s_or_b64 exec, exec, s[0:1]
	s_waitcnt lgkmcnt(0)
	; wave barrier
	scratch_load_dwordx4 v[16:19], off, off offset:80
	scratch_load_dwordx4 v[20:23], off, off offset:96
	;; [unrolled: 1-line block ×17, first 2 shown]
	ds_read_b128 v[112:115], v2 offset:1024
	ds_read_b128 v[96:99], v2 offset:1040
	ds_read_b128 v[84:87], v2 offset:1056
	scratch_load_dwordx4 v[120:123], off, off offset:352
	ds_read_b128 v[184:187], v2 offset:1072
	ds_read_b128 v[140:143], v2 offset:1088
	ds_read_b128 v[104:107], v2 offset:1104
	scratch_load_dwordx4 v[132:135], off, off offset:368
	;; [unrolled: 4-line block ×3, first 2 shown]
	ds_read_b128 v[200:203], v2 offset:1168
	ds_read_b128 v[192:195], v2 offset:1184
	;; [unrolled: 1-line block ×5, first 2 shown]
	scratch_load_dwordx4 v[144:147], off, off offset:400
	ds_read_b128 v[180:183], v2 offset:1248
	ds_read_b128 v[152:155], v2 offset:1264
	ds_read_b128 v[128:131], v2 offset:1280
	scratch_load_dwordx4 v[148:151], off, off offset:416
	scratch_load_dwordx4 v[156:159], off, off offset:432
	;; [unrolled: 1-line block ×13, first 2 shown]
	ds_read_b128 v[204:207], v2 offset:1296
	scratch_load_dwordx4 a[138:141], off, off offset:624
	scratch_load_dwordx4 a[142:145], off, off offset:640
	ds_read_b128 v[228:231], v2 offset:1392
	ds_read_b128 v[232:235], v2 offset:1408
	;; [unrolled: 1-line block ×4, first 2 shown]
	s_waitcnt vmcnt(35) lgkmcnt(14)
	v_mul_f64 v[0:1], v[112:113], v[18:19]
	s_waitcnt vmcnt(34)
	v_mul_f64 v[48:49], v[96:97], v[22:23]
	v_fmac_f64_e32 v[0:1], v[114:115], v[16:17]
	s_waitcnt vmcnt(33)
	v_mul_f64 v[50:51], v[84:85], v[26:27]
	v_fmac_f64_e32 v[48:49], v[98:99], v[20:21]
	v_add_f64 v[0:1], v[0:1], 0
	s_waitcnt vmcnt(32)
	v_mul_f64 v[56:57], v[184:185], v[30:31]
	v_fmac_f64_e32 v[50:51], v[86:87], v[24:25]
	v_add_f64 v[0:1], v[0:1], v[48:49]
	;; [unrolled: 4-line block ×6, first 2 shown]
	s_waitcnt vmcnt(27) lgkmcnt(13)
	v_mul_f64 v[210:211], v[108:109], v[54:55]
	v_fmac_f64_e32 v[208:209], v[166:167], v[44:45]
	v_add_f64 v[0:1], v[0:1], v[66:67]
	s_waitcnt vmcnt(26) lgkmcnt(12)
	v_mul_f64 v[212:213], v[200:201], v[62:63]
	v_fmac_f64_e32 v[210:211], v[110:111], v[52:53]
	v_add_f64 v[0:1], v[0:1], v[208:209]
	;; [unrolled: 4-line block ×8, first 2 shown]
	ds_read_b128 v[208:211], v2 offset:1312
	v_fmac_f64_e32 v[224:225], v[154:155], v[92:93]
	v_add_f64 v[0:1], v[0:1], v[222:223]
	s_waitcnt vmcnt(19) lgkmcnt(6)
	v_mul_f64 v[48:49], v[128:129], v[102:103]
	ds_read_b128 v[212:215], v2 offset:1328
	ds_read_b128 v[216:219], v2 offset:1344
	v_add_f64 v[0:1], v[0:1], v[224:225]
	v_fmac_f64_e32 v[48:49], v[130:131], v[100:101]
	v_add_f64 v[0:1], v[0:1], v[48:49]
	s_waitcnt vmcnt(18) lgkmcnt(7)
	v_mul_f64 v[48:49], v[204:205], v[122:123]
	v_fmac_f64_e32 v[48:49], v[206:207], v[120:121]
	ds_read_b128 v[220:223], v2 offset:1360
	ds_read_b128 v[224:227], v2 offset:1376
	v_add_f64 v[0:1], v[0:1], v[48:49]
	s_waitcnt vmcnt(17) lgkmcnt(4)
	v_mul_f64 v[48:49], v[208:209], v[134:135]
	v_fmac_f64_e32 v[48:49], v[210:211], v[132:133]
	s_waitcnt vmcnt(16) lgkmcnt(3)
	v_mul_f64 v[56:57], v[212:213], v[138:139]
	v_add_f64 v[0:1], v[0:1], v[48:49]
	v_fmac_f64_e32 v[56:57], v[214:215], v[136:137]
	s_waitcnt vmcnt(15) lgkmcnt(2)
	v_mul_f64 v[64:65], v[216:217], v[146:147]
	v_add_f64 v[0:1], v[0:1], v[56:57]
	v_fmac_f64_e32 v[64:65], v[218:219], v[144:145]
	v_add_f64 v[0:1], v[0:1], v[64:65]
	s_waitcnt vmcnt(14) lgkmcnt(1)
	v_mul_f64 v[64:65], v[220:221], v[150:151]
	v_fmac_f64_e32 v[64:65], v[222:223], v[148:149]
	v_add_f64 v[0:1], v[0:1], v[64:65]
	s_waitcnt vmcnt(13) lgkmcnt(0)
	v_mul_f64 v[64:65], v[224:225], v[158:159]
	v_fmac_f64_e32 v[64:65], v[226:227], v[156:157]
	v_mul_f64 v[30:31], v[186:187], v[30:31]
	v_add_f64 v[0:1], v[0:1], v[64:65]
	v_fma_f64 v[246:247], v[184:185], v[28:29], -v[30:31]
	scratch_load_dwordx4 v[64:67], off, off offset:656
	scratch_load_dwordx4 v[184:187], off, off offset:672
	s_waitcnt vmcnt(14)
	v_mul_f64 v[240:241], v[228:229], v[162:163]
	v_mul_f64 v[26:27], v[86:87], v[26:27]
	v_fmac_f64_e32 v[240:241], v[230:231], v[160:161]
	v_fma_f64 v[244:245], v[84:85], v[24:25], -v[26:27]
	ds_read_b128 v[84:87], v2 offset:1456
	v_add_f64 v[0:1], v[0:1], v[240:241]
	s_waitcnt vmcnt(13)
	v_mul_f64 v[240:241], v[232:233], v[170:171]
	v_fmac_f64_e32 v[240:241], v[234:235], v[168:169]
	v_mul_f64 v[18:19], v[114:115], v[18:19]
	v_add_f64 v[0:1], v[0:1], v[240:241]
	v_fma_f64 v[240:241], v[112:113], v[16:17], -v[18:19]
	s_waitcnt vmcnt(12)
	v_mul_f64 v[112:113], v[236:237], v[174:175]
	v_fmac_f64_e32 v[112:113], v[238:239], v[172:173]
	v_mul_f64 v[22:23], v[98:99], v[22:23]
	s_waitcnt vmcnt(11)
	v_mul_f64 v[28:29], v[250:251], v[198:199]
	v_mul_f64 v[38:39], v[106:107], v[38:39]
	v_add_f64 v[0:1], v[0:1], v[112:113]
	v_fma_f64 v[242:243], v[96:97], v[20:21], -v[22:23]
	v_fmac_f64_e32 v[28:29], v[252:253], v[196:197]
	v_fma_f64 v[248:249], v[104:105], v[36:37], -v[38:39]
	ds_read_b128 v[104:107], v2 offset:1488
	s_waitcnt vmcnt(10) lgkmcnt(1)
	v_mul_f64 v[96:97], v[84:85], v[6:7]
	v_add_f64 v[0:1], v[0:1], v[28:29]
	v_fmac_f64_e32 v[96:97], v[86:87], v[4:5]
	scratch_load_dwordx4 v[56:59], off, off offset:688
	v_mul_f64 v[42:43], v[190:191], v[42:43]
	v_add_f64 v[0:1], v[0:1], v[96:97]
	ds_read_b128 v[96:99], v2 offset:1472
	ds_read_b128 v[112:115], v2 offset:1520
	v_fma_f64 v[42:43], v[188:189], v[40:41], -v[42:43]
	v_mul_f64 v[40:41], v[166:167], v[46:47]
	v_fma_f64 v[36:37], v[164:165], v[44:45], -v[40:41]
	scratch_load_dwordx4 v[44:47], off, off offset:704
	v_accvgpr_write_b32 a149, v7
	v_accvgpr_write_b32 a148, v6
	;; [unrolled: 1-line block ×4, first 2 shown]
	s_waitcnt vmcnt(11) lgkmcnt(1)
	v_mul_f64 v[6:7], v[96:97], v[10:11]
	v_fmac_f64_e32 v[6:7], v[98:99], v[8:9]
	v_accvgpr_write_b32 a153, v11
	v_mul_f64 v[34:35], v[142:143], v[34:35]
	v_accvgpr_write_b32 a152, v10
	v_accvgpr_write_b32 a151, v9
	;; [unrolled: 1-line block ×3, first 2 shown]
	v_add_f64 v[0:1], v[0:1], v[6:7]
	scratch_load_dwordx4 v[48:51], off, off offset:720
	v_mul_f64 v[6:7], v[110:111], v[54:55]
	s_waitcnt vmcnt(11)
	v_mul_f64 v[10:11], v[104:105], v[14:15]
	v_fma_f64 v[254:255], v[140:141], v[32:33], -v[34:35]
	v_fma_f64 v[32:33], v[108:109], v[52:53], -v[6:7]
	v_fmac_f64_e32 v[10:11], v[106:107], v[12:13]
	scratch_load_dwordx4 v[52:55], off, off offset:736
	v_add_f64 v[0:1], v[0:1], v[10:11]
	v_mul_f64 v[10:11], v[202:203], v[62:63]
	ds_read_b128 v[108:111], v2 offset:1504
	v_fma_f64 v[28:29], v[200:201], v[60:61], -v[10:11]
	scratch_load_dwordx4 v[60:63], off, off offset:752
	v_mul_f64 v[70:71], v[194:195], v[70:71]
	v_fma_f64 v[24:25], v[192:193], v[68:69], -v[70:71]
	v_mul_f64 v[68:69], v[178:179], v[74:75]
	s_waitcnt vmcnt(12)
	v_accvgpr_read_b32 v4, a122
	v_fma_f64 v[20:21], v[176:177], v[72:73], -v[68:69]
	scratch_load_dwordx4 v[68:71], off, off offset:768
	v_accvgpr_write_b32 a157, v15
	v_accvgpr_read_b32 v6, a124
	v_accvgpr_read_b32 v7, a125
	v_accvgpr_write_b32 a156, v14
	v_accvgpr_write_b32 a155, v13
	;; [unrolled: 1-line block ×3, first 2 shown]
	v_accvgpr_read_b32 v5, a123
	s_waitcnt lgkmcnt(0)
	v_mul_f64 v[14:15], v[108:109], v[6:7]
	v_fmac_f64_e32 v[14:15], v[110:111], v[4:5]
	s_waitcnt vmcnt(12)
	v_accvgpr_read_b32 v4, a126
	v_accvgpr_read_b32 v6, a128
	;; [unrolled: 1-line block ×3, first 2 shown]
	v_add_f64 v[0:1], v[0:1], v[14:15]
	v_accvgpr_read_b32 v5, a127
	v_mul_f64 v[14:15], v[112:113], v[6:7]
	scratch_load_dwordx4 v[72:75], off, off offset:784
	v_fmac_f64_e32 v[14:15], v[114:115], v[4:5]
	v_add_f64 v[0:1], v[0:1], v[14:15]
	v_mul_f64 v[14:15], v[118:119], v[78:79]
	v_fma_f64 v[16:17], v[116:117], v[76:77], -v[14:15]
	ds_read_b128 v[116:119], v2 offset:1536
	v_mul_f64 v[18:19], v[126:127], v[82:83]
	v_fma_f64 v[18:19], v[124:125], v[80:81], -v[18:19]
	scratch_load_dwordx4 v[80:83], off, off offset:800
	scratch_load_dwordx4 v[76:79], off, off offset:816
	s_waitcnt vmcnt(14)
	v_accvgpr_read_b32 v4, a130
	v_accvgpr_read_b32 v6, a132
	;; [unrolled: 1-line block ×4, first 2 shown]
	s_waitcnt lgkmcnt(0)
	v_mul_f64 v[22:23], v[116:117], v[6:7]
	v_fmac_f64_e32 v[22:23], v[118:119], v[4:5]
	v_mul_f64 v[90:91], v[182:183], v[90:91]
	v_add_f64 v[0:1], v[0:1], v[22:23]
	v_mul_f64 v[22:23], v[154:155], v[94:95]
	v_fma_f64 v[14:15], v[180:181], v[88:89], -v[90:91]
	ds_read_b128 v[124:127], v2 offset:1552
	v_fma_f64 v[22:23], v[152:153], v[92:93], -v[22:23]
	scratch_load_dwordx4 v[92:95], off, off offset:832
	scratch_load_dwordx4 v[88:91], off, off offset:848
	v_mul_f64 v[102:103], v[130:131], v[102:103]
	v_fma_f64 v[12:13], v[128:129], v[100:101], -v[102:103]
	scratch_load_dwordx4 v[100:103], off, off offset:864
	s_waitcnt vmcnt(16)
	v_accvgpr_read_b32 v4, a134
	v_accvgpr_read_b32 v6, a136
	;; [unrolled: 1-line block ×3, first 2 shown]
	ds_read_b128 v[128:131], v2 offset:1568
	v_accvgpr_read_b32 v5, a135
	s_waitcnt lgkmcnt(1)
	v_mul_f64 v[26:27], v[124:125], v[6:7]
	v_fmac_f64_e32 v[26:27], v[126:127], v[4:5]
	v_add_f64 v[0:1], v[0:1], v[26:27]
	v_mul_f64 v[26:27], v[206:207], v[122:123]
	v_fma_f64 v[26:27], v[204:205], v[120:121], -v[26:27]
	ds_read_b128 v[120:123], v2 offset:1584
	s_waitcnt vmcnt(15)
	v_accvgpr_read_b32 v4, a138
	v_accvgpr_read_b32 v6, a140
	;; [unrolled: 1-line block ×3, first 2 shown]
	v_mul_f64 v[134:135], v[210:211], v[134:135]
	v_accvgpr_read_b32 v5, a139
	s_waitcnt lgkmcnt(1)
	v_mul_f64 v[140:141], v[128:129], v[6:7]
	v_fma_f64 v[10:11], v[208:209], v[132:133], -v[134:135]
	ds_read_b128 v[132:135], v2 offset:1600
	v_fmac_f64_e32 v[140:141], v[130:131], v[4:5]
	s_waitcnt vmcnt(14)
	v_accvgpr_read_b32 v4, a142
	v_mul_f64 v[138:139], v[214:215], v[138:139]
	v_accvgpr_read_b32 v6, a144
	v_accvgpr_read_b32 v7, a145
	v_fma_f64 v[8:9], v[212:213], v[136:137], -v[138:139]
	ds_read_b128 v[136:139], v2 offset:1616
	v_accvgpr_read_b32 v5, a143
	s_waitcnt lgkmcnt(2)
	v_mul_f64 v[30:31], v[120:121], v[6:7]
	v_add_f64 v[0:1], v[0:1], v[140:141]
	v_fmac_f64_e32 v[30:31], v[122:123], v[4:5]
	v_add_f64 v[0:1], v[0:1], v[30:31]
	s_waitcnt vmcnt(13) lgkmcnt(1)
	v_mul_f64 v[30:31], v[132:133], v[66:67]
	s_waitcnt vmcnt(12)
	v_mov_b64_e32 v[4:5], v[184:185]
	v_fmac_f64_e32 v[30:31], v[134:135], v[64:65]
	v_mov_b64_e32 v[6:7], v[186:187]
	v_add_f64 v[0:1], v[0:1], v[30:31]
	s_waitcnt lgkmcnt(0)
	v_mul_f64 v[30:31], v[136:137], v[6:7]
	v_fmac_f64_e32 v[30:31], v[138:139], v[4:5]
	ds_read_b128 v[140:143], v2 offset:1632
	v_add_f64 v[0:1], v[0:1], v[30:31]
	v_mul_f64 v[30:31], v[218:219], v[146:147]
	v_fma_f64 v[30:31], v[216:217], v[144:145], -v[30:31]
	ds_read_b128 v[144:147], v2 offset:1648
	s_waitcnt vmcnt(11) lgkmcnt(1)
	v_mul_f64 v[34:35], v[140:141], v[58:59]
	v_fmac_f64_e32 v[34:35], v[142:143], v[56:57]
	v_add_f64 v[0:1], v[0:1], v[34:35]
	v_mul_f64 v[34:35], v[222:223], v[150:151]
	s_waitcnt vmcnt(10) lgkmcnt(0)
	v_mul_f64 v[152:153], v[144:145], v[46:47]
	v_fma_f64 v[34:35], v[220:221], v[148:149], -v[34:35]
	ds_read_b128 v[148:151], v2 offset:1664
	v_fmac_f64_e32 v[152:153], v[146:147], v[44:45]
	v_add_f64 v[0:1], v[0:1], v[152:153]
	ds_read_b128 v[152:155], v2 offset:1680
	v_mul_f64 v[158:159], v[226:227], v[158:159]
	v_fma_f64 v[6:7], v[224:225], v[156:157], -v[158:159]
	ds_read_b128 v[156:159], v2 offset:1696
	v_mul_f64 v[162:163], v[230:231], v[162:163]
	s_waitcnt vmcnt(9) lgkmcnt(2)
	v_mul_f64 v[164:165], v[148:149], v[50:51]
	v_fma_f64 v[4:5], v[228:229], v[160:161], -v[162:163]
	ds_read_b128 v[160:163], v2 offset:1712
	v_fmac_f64_e32 v[164:165], v[150:151], v[48:49]
	s_waitcnt vmcnt(8) lgkmcnt(2)
	v_mul_f64 v[38:39], v[152:153], v[54:55]
	v_add_f64 v[0:1], v[0:1], v[164:165]
	v_fmac_f64_e32 v[38:39], v[154:155], v[52:53]
	v_add_f64 v[0:1], v[0:1], v[38:39]
	s_waitcnt vmcnt(7) lgkmcnt(1)
	v_mul_f64 v[38:39], v[156:157], v[62:63]
	v_fmac_f64_e32 v[38:39], v[158:159], v[60:61]
	v_add_f64 v[0:1], v[0:1], v[38:39]
	s_waitcnt vmcnt(6) lgkmcnt(0)
	v_mul_f64 v[38:39], v[160:161], v[70:71]
	ds_read_b128 v[164:167], v2 offset:1728
	v_fmac_f64_e32 v[38:39], v[162:163], v[68:69]
	v_add_f64 v[0:1], v[0:1], v[38:39]
	v_mul_f64 v[38:39], v[234:235], v[170:171]
	v_fma_f64 v[38:39], v[232:233], v[168:169], -v[38:39]
	ds_read_b128 v[168:171], v2 offset:1744
	s_waitcnt vmcnt(5) lgkmcnt(1)
	v_mul_f64 v[40:41], v[164:165], v[74:75]
	v_fmac_f64_e32 v[40:41], v[166:167], v[72:73]
	v_add_f64 v[40:41], v[0:1], v[40:41]
	v_mul_f64 v[0:1], v[238:239], v[174:175]
	v_fma_f64 v[0:1], v[236:237], v[172:173], -v[0:1]
	ds_read_b128 v[172:175], v2 offset:1760
	s_waitcnt vmcnt(4) lgkmcnt(1)
	v_mul_f64 v[176:177], v[168:169], v[82:83]
	v_fmac_f64_e32 v[176:177], v[170:171], v[80:81]
	v_add_f64 v[40:41], v[40:41], v[176:177]
	ds_read_b128 v[176:179], v2 offset:1776
	v_mul_f64 v[180:181], v[252:253], v[198:199]
	v_accvgpr_write_b32 a158, v184
	v_fma_f64 v[250:251], v[250:251], v[196:197], -v[180:181]
	ds_read_b128 v[180:183], v2 offset:1792
	ds_read_b128 v[192:195], v2 offset:1824
	v_accvgpr_write_b32 a159, v185
	v_accvgpr_write_b32 a160, v186
	;; [unrolled: 1-line block ×3, first 2 shown]
	s_waitcnt vmcnt(3) lgkmcnt(3)
	v_mul_f64 v[184:185], v[172:173], v[78:79]
	v_fmac_f64_e32 v[184:185], v[174:175], v[76:77]
	v_add_f64 v[40:41], v[40:41], v[184:185]
	s_waitcnt vmcnt(2) lgkmcnt(2)
	v_mul_f64 v[184:185], v[176:177], v[94:95]
	v_fmac_f64_e32 v[184:185], v[178:179], v[92:93]
	v_add_f64 v[40:41], v[40:41], v[184:185]
	;; [unrolled: 4-line block ×3, first 2 shown]
	ds_read_b128 v[184:187], v2 offset:1808
	ds_read_b128 v[200:203], v2 offset:1840
	scratch_load_dwordx4 v[236:239], off, off offset:64
	scratch_load_dwordx4 v[232:235], off, off offset:960
	ds_read_b128 v[208:211], v2 offset:1856
	ds_read_b128 v[216:219], v2 offset:1872
	s_waitcnt vmcnt(2) lgkmcnt(3)
	v_mul_f64 v[188:189], v[184:185], v[102:103]
	v_fmac_f64_e32 v[188:189], v[186:187], v[100:101]
	v_add_f64 v[40:41], v[40:41], v[188:189]
	scratch_load_dwordx4 v[188:191], off, off offset:880
	ds_read_b128 v[224:227], v2 offset:1888
	s_waitcnt vmcnt(0)
	v_mul_f64 v[196:197], v[192:193], v[190:191]
	v_fmac_f64_e32 v[196:197], v[194:195], v[188:189]
	v_add_f64 v[40:41], v[40:41], v[196:197]
	scratch_load_dwordx4 v[196:199], off, off offset:896
	s_waitcnt vmcnt(0) lgkmcnt(3)
	v_mul_f64 v[204:205], v[200:201], v[198:199]
	v_fmac_f64_e32 v[204:205], v[202:203], v[196:197]
	v_add_f64 v[40:41], v[40:41], v[204:205]
	scratch_load_dwordx4 v[204:207], off, off offset:912
	s_waitcnt vmcnt(0) lgkmcnt(2)
	;; [unrolled: 5-line block ×4, first 2 shown]
	v_mul_f64 v[228:229], v[224:225], v[222:223]
	v_fmac_f64_e32 v[228:229], v[226:227], v[220:221]
	v_add_f64 v[40:41], v[40:41], v[228:229]
	ds_read_b128 v[228:231], v2 offset:1904
	s_waitcnt lgkmcnt(0)
	v_mul_f64 v[2:3], v[228:229], v[234:235]
	v_fmac_f64_e32 v[2:3], v[230:231], v[232:233]
	v_add_f64 v[2:3], v[40:41], v[2:3]
	v_add_f64 v[40:41], v[240:241], 0
	;; [unrolled: 1-line block ×25, first 2 shown]
	v_accvgpr_read_b32 v6, a146
	v_accvgpr_read_b32 v8, a148
	;; [unrolled: 1-line block ×3, first 2 shown]
	v_add_f64 v[252:253], v[4:5], v[38:39]
	v_accvgpr_read_b32 v7, a147
	v_mul_f64 v[4:5], v[86:87], v[8:9]
	v_add_f64 v[0:1], v[252:253], v[0:1]
	v_fma_f64 v[4:5], v[84:85], v[6:7], -v[4:5]
	v_accvgpr_read_b32 v6, a150
	v_add_f64 v[0:1], v[0:1], v[250:251]
	v_accvgpr_read_b32 v8, a152
	v_accvgpr_read_b32 v9, a153
	v_add_f64 v[0:1], v[0:1], v[4:5]
	v_accvgpr_read_b32 v7, a151
	v_mul_f64 v[4:5], v[98:99], v[8:9]
	v_fma_f64 v[4:5], v[96:97], v[6:7], -v[4:5]
	v_accvgpr_read_b32 v6, a154
	v_accvgpr_read_b32 v8, a156
	v_accvgpr_read_b32 v9, a157
	v_add_f64 v[0:1], v[0:1], v[4:5]
	v_accvgpr_read_b32 v7, a155
	v_mul_f64 v[4:5], v[106:107], v[8:9]
	v_fma_f64 v[4:5], v[104:105], v[6:7], -v[4:5]
	v_accvgpr_read_b32 v6, a122
	;; [unrolled: 7-line block ×7, first 2 shown]
	v_accvgpr_read_b32 v8, a144
	v_accvgpr_read_b32 v9, a145
	v_add_f64 v[0:1], v[0:1], v[4:5]
	v_accvgpr_read_b32 v7, a143
	v_mul_f64 v[4:5], v[122:123], v[8:9]
	v_fma_f64 v[4:5], v[120:121], v[6:7], -v[4:5]
	v_add_f64 v[0:1], v[0:1], v[4:5]
	v_mul_f64 v[4:5], v[134:135], v[66:67]
	v_accvgpr_read_b32 v6, a158
	v_fma_f64 v[4:5], v[132:133], v[64:65], -v[4:5]
	v_accvgpr_read_b32 v8, a160
	v_accvgpr_read_b32 v9, a161
	v_add_f64 v[0:1], v[0:1], v[4:5]
	v_accvgpr_read_b32 v7, a159
	v_mul_f64 v[4:5], v[138:139], v[8:9]
	v_fma_f64 v[4:5], v[136:137], v[6:7], -v[4:5]
	v_add_f64 v[0:1], v[0:1], v[4:5]
	v_mul_f64 v[4:5], v[142:143], v[58:59]
	v_fma_f64 v[4:5], v[140:141], v[56:57], -v[4:5]
	v_add_f64 v[0:1], v[0:1], v[4:5]
	;; [unrolled: 3-line block ×19, first 2 shown]
	v_add_f64 v[4:5], v[236:237], -v[0:1]
	v_accvgpr_read_b32 v0, a120
	v_add_f64 v[6:7], v[238:239], -v[2:3]
	v_cmp_lt_u32_e32 vcc, 2, v0
	scratch_store_dwordx4 off, v[4:7], off offset:64
	s_and_saveexec_b64 s[0:1], vcc
	s_cbranch_execz .LBB59_369
; %bb.368:
	scratch_load_dwordx4 v[2:5], off, s15
	v_mov_b32_e32 v6, 0
	v_mov_b32_e32 v7, v6
	;; [unrolled: 1-line block ×4, first 2 shown]
	v_accvgpr_read_b32 v0, a121
	scratch_store_dwordx4 off, v[6:9], off offset:48
	s_waitcnt vmcnt(1)
	ds_write_b128 v0, v[2:5]
.LBB59_369:
	s_or_b64 exec, exec, s[0:1]
	s_waitcnt lgkmcnt(0)
	; wave barrier
	scratch_load_dwordx4 v[24:27], off, off offset:64
	scratch_load_dwordx4 v[28:31], off, off offset:80
	scratch_load_dwordx4 v[32:35], off, off offset:96
	scratch_load_dwordx4 v[36:39], off, off offset:112
	scratch_load_dwordx4 v[40:43], off, off offset:128
	scratch_load_dwordx4 v[44:47], off, off offset:144
	scratch_load_dwordx4 v[48:51], off, off offset:160
	scratch_load_dwordx4 v[52:55], off, off offset:176
	scratch_load_dwordx4 v[56:59], off, off offset:192
	scratch_load_dwordx4 v[60:63], off, off offset:208
	scratch_load_dwordx4 v[64:67], off, off offset:224
	scratch_load_dwordx4 v[68:71], off, off offset:240
	scratch_load_dwordx4 v[72:75], off, off offset:256
	scratch_load_dwordx4 v[76:79], off, off offset:272
	scratch_load_dwordx4 v[84:87], off, off offset:288
	scratch_load_dwordx4 v[88:91], off, off offset:304
	scratch_load_dwordx4 v[92:95], off, off offset:320
	scratch_load_dwordx4 v[120:123], off, off offset:336
	scratch_load_dwordx4 v[124:127], off, off offset:352
	scratch_load_dwordx4 v[128:131], off, off offset:368
	scratch_load_dwordx4 v[132:135], off, off offset:384
	scratch_load_dwordx4 v[136:139], off, off offset:400
	scratch_load_dwordx4 v[140:143], off, off offset:416
	scratch_load_dwordx4 v[144:147], off, off offset:432
	scratch_load_dwordx4 v[152:155], off, off offset:448
	scratch_load_dwordx4 v[156:159], off, off offset:464
	scratch_load_dwordx4 v[164:167], off, off offset:480
	scratch_load_dwordx4 v[168:171], off, off offset:496
	scratch_load_dwordx4 v[176:179], off, off offset:512
	scratch_load_dwordx4 a[122:125], off, off offset:528
	v_mov_b32_e32 v2, 0
	ds_read_b128 v[80:83], v2 offset:1008
	ds_read_b128 v[96:99], v2 offset:1024
	;; [unrolled: 1-line block ×17, first 2 shown]
	scratch_load_dwordx4 a[126:129], off, off offset:544
	scratch_load_dwordx4 a[130:133], off, off offset:560
	;; [unrolled: 1-line block ×6, first 2 shown]
	ds_read_b128 v[224:227], v2 offset:1344
	ds_read_b128 v[228:231], v2 offset:1360
	;; [unrolled: 1-line block ×6, first 2 shown]
	scratch_load_dwordx4 a[150:153], off, off offset:640
	ds_read_b128 v[240:243], v2 offset:1440
	ds_read_b128 v[244:247], v2 offset:1456
	s_waitcnt vmcnt(36) lgkmcnt(14)
	v_mul_f64 v[0:1], v[80:81], v[26:27]
	s_waitcnt vmcnt(35)
	v_mul_f64 v[8:9], v[96:97], v[30:31]
	v_fmac_f64_e32 v[0:1], v[82:83], v[24:25]
	s_waitcnt vmcnt(34)
	v_mul_f64 v[10:11], v[100:101], v[34:35]
	v_fmac_f64_e32 v[8:9], v[98:99], v[28:29]
	v_add_f64 v[0:1], v[0:1], 0
	s_waitcnt vmcnt(33)
	v_mul_f64 v[12:13], v[104:105], v[38:39]
	v_fmac_f64_e32 v[10:11], v[102:103], v[32:33]
	v_add_f64 v[0:1], v[0:1], v[8:9]
	;; [unrolled: 4-line block ×9, first 2 shown]
	s_waitcnt vmcnt(25) lgkmcnt(13)
	v_mul_f64 v[212:213], v[184:185], v[70:71]
	v_fmac_f64_e32 v[210:211], v[182:183], v[64:65]
	v_add_f64 v[0:1], v[0:1], v[208:209]
	s_waitcnt vmcnt(24) lgkmcnt(12)
	v_mul_f64 v[214:215], v[188:189], v[74:75]
	v_fmac_f64_e32 v[212:213], v[186:187], v[68:69]
	v_add_f64 v[0:1], v[0:1], v[210:211]
	;; [unrolled: 4-line block ×4, first 2 shown]
	ds_read_b128 v[208:211], v2 offset:1280
	ds_read_b128 v[212:215], v2 offset:1296
	v_fmac_f64_e32 v[218:219], v[198:199], v[84:85]
	v_add_f64 v[0:1], v[0:1], v[216:217]
	s_waitcnt vmcnt(21) lgkmcnt(11)
	v_mul_f64 v[220:221], v[200:201], v[90:91]
	v_add_f64 v[0:1], v[0:1], v[218:219]
	ds_read_b128 v[216:219], v2 offset:1312
	v_fmac_f64_e32 v[220:221], v[202:203], v[88:89]
	s_waitcnt vmcnt(20) lgkmcnt(11)
	v_mul_f64 v[8:9], v[204:205], v[94:95]
	v_add_f64 v[0:1], v[0:1], v[220:221]
	v_fmac_f64_e32 v[8:9], v[206:207], v[92:93]
	ds_read_b128 v[220:223], v2 offset:1328
	v_add_f64 v[0:1], v[0:1], v[8:9]
	s_waitcnt vmcnt(19) lgkmcnt(3)
	v_mul_f64 v[8:9], v[208:209], v[122:123]
	v_fmac_f64_e32 v[8:9], v[210:211], v[120:121]
	s_waitcnt vmcnt(18) lgkmcnt(2)
	v_mul_f64 v[12:13], v[212:213], v[126:127]
	v_add_f64 v[0:1], v[0:1], v[8:9]
	v_fmac_f64_e32 v[12:13], v[214:215], v[124:125]
	s_waitcnt vmcnt(17) lgkmcnt(1)
	v_mul_f64 v[16:17], v[216:217], v[130:131]
	v_add_f64 v[0:1], v[0:1], v[12:13]
	v_fmac_f64_e32 v[16:17], v[218:219], v[128:129]
	v_add_f64 v[0:1], v[0:1], v[16:17]
	s_waitcnt vmcnt(16) lgkmcnt(0)
	v_mul_f64 v[16:17], v[220:221], v[134:135]
	v_fmac_f64_e32 v[16:17], v[222:223], v[132:133]
	v_add_f64 v[0:1], v[0:1], v[16:17]
	s_waitcnt vmcnt(15)
	v_mul_f64 v[16:17], v[224:225], v[138:139]
	v_fmac_f64_e32 v[16:17], v[226:227], v[136:137]
	s_waitcnt vmcnt(14)
	v_mul_f64 v[20:21], v[228:229], v[142:143]
	v_add_f64 v[0:1], v[0:1], v[16:17]
	v_fmac_f64_e32 v[20:21], v[230:231], v[140:141]
	s_waitcnt vmcnt(13)
	v_mul_f64 v[6:7], v[232:233], v[146:147]
	v_add_f64 v[0:1], v[0:1], v[20:21]
	v_fmac_f64_e32 v[6:7], v[234:235], v[144:145]
	v_add_f64 v[0:1], v[0:1], v[6:7]
	s_waitcnt vmcnt(12)
	v_mul_f64 v[6:7], v[236:237], v[154:155]
	v_fmac_f64_e32 v[6:7], v[238:239], v[152:153]
	v_add_f64 v[0:1], v[0:1], v[6:7]
	s_waitcnt vmcnt(11)
	v_mul_f64 v[6:7], v[248:249], v[158:159]
	v_fmac_f64_e32 v[6:7], v[250:251], v[156:157]
	v_mul_f64 v[10:11], v[106:107], v[38:39]
	v_add_f64 v[0:1], v[0:1], v[6:7]
	v_mul_f64 v[6:7], v[98:99], v[30:31]
	v_fma_f64 v[20:21], v[104:105], v[36:37], -v[10:11]
	v_mul_f64 v[36:37], v[110:111], v[42:43]
	v_mul_f64 v[26:27], v[82:83], v[26:27]
	v_fma_f64 v[30:31], v[96:97], v[28:29], -v[6:7]
	v_mul_f64 v[28:29], v[102:103], v[34:35]
	v_fma_f64 v[16:17], v[108:109], v[40:41], -v[36:37]
	scratch_load_dwordx4 v[36:39], off, off offset:656
	v_fma_f64 v[80:81], v[80:81], v[24:25], -v[26:27]
	v_fma_f64 v[24:25], v[100:101], v[32:33], -v[28:29]
	s_waitcnt vmcnt(11)
	v_mul_f64 v[32:33], v[252:253], v[166:167]
	v_fmac_f64_e32 v[32:33], v[254:255], v[164:165]
	v_mul_f64 v[40:41], v[118:119], v[50:51]
	v_add_f64 v[0:1], v[0:1], v[32:33]
	s_waitcnt vmcnt(10)
	v_mul_f64 v[32:33], v[240:241], v[170:171]
	v_fma_f64 v[12:13], v[116:117], v[48:49], -v[40:41]
	scratch_load_dwordx4 v[40:43], off, off offset:672
	v_fmac_f64_e32 v[32:33], v[242:243], v[168:169]
	v_add_f64 v[0:1], v[0:1], v[32:33]
	ds_read_b128 v[32:35], v2 offset:1472
	ds_read_b128 v[96:99], v2 offset:1488
	v_mul_f64 v[14:15], v[114:115], v[46:47]
	v_fma_f64 v[14:15], v[112:113], v[44:45], -v[14:15]
	v_mul_f64 v[44:45], v[150:151], v[54:55]
	s_waitcnt vmcnt(10)
	v_mul_f64 v[18:19], v[244:245], v[178:179]
	s_waitcnt vmcnt(9)
	v_accvgpr_read_b32 v4, a122
	v_fma_f64 v[10:11], v[148:149], v[52:53], -v[44:45]
	scratch_load_dwordx4 v[44:47], off, off offset:688
	v_fmac_f64_e32 v[18:19], v[246:247], v[176:177]
	v_accvgpr_read_b32 v6, a124
	v_accvgpr_read_b32 v7, a125
	v_add_f64 v[0:1], v[0:1], v[18:19]
	v_accvgpr_read_b32 v5, a123
	s_waitcnt lgkmcnt(1)
	v_mul_f64 v[18:19], v[32:33], v[6:7]
	scratch_load_dwordx4 v[48:51], off, off offset:704
	scratch_load_dwordx4 v[52:55], off, off offset:720
	v_fmac_f64_e32 v[18:19], v[34:35], v[4:5]
	ds_read_b128 v[100:103], v2 offset:1504
	ds_read_b128 v[104:107], v2 offset:1520
	s_waitcnt vmcnt(11)
	v_accvgpr_read_b32 v4, a126
	v_add_f64 v[0:1], v[0:1], v[18:19]
	v_mul_f64 v[18:19], v[162:163], v[58:59]
	v_accvgpr_read_b32 v6, a128
	v_accvgpr_read_b32 v7, a129
	v_fma_f64 v[18:19], v[160:161], v[56:57], -v[18:19]
	v_accvgpr_read_b32 v5, a127
	s_waitcnt lgkmcnt(2)
	v_mul_f64 v[56:57], v[96:97], v[6:7]
	v_fmac_f64_e32 v[56:57], v[98:99], v[4:5]
	s_waitcnt vmcnt(10)
	v_accvgpr_read_b32 v4, a130
	v_mul_f64 v[22:23], v[174:175], v[62:63]
	v_accvgpr_read_b32 v6, a132
	v_accvgpr_read_b32 v7, a133
	v_fma_f64 v[22:23], v[172:173], v[60:61], -v[22:23]
	v_add_f64 v[0:1], v[0:1], v[56:57]
	v_mul_f64 v[56:57], v[182:183], v[66:67]
	v_accvgpr_read_b32 v5, a131
	s_waitcnt lgkmcnt(1)
	v_mul_f64 v[60:61], v[100:101], v[6:7]
	v_fma_f64 v[172:173], v[180:181], v[64:65], -v[56:57]
	scratch_load_dwordx4 v[56:59], off, off offset:736
	v_fmac_f64_e32 v[60:61], v[102:103], v[4:5]
	v_add_f64 v[0:1], v[0:1], v[60:61]
	v_mul_f64 v[60:61], v[186:187], v[70:71]
	v_fma_f64 v[174:175], v[184:185], v[68:69], -v[60:61]
	scratch_load_dwordx4 v[60:63], off, off offset:752
	v_mul_f64 v[64:65], v[190:191], v[74:75]
	v_fma_f64 v[180:181], v[188:189], v[72:73], -v[64:65]
	scratch_load_dwordx4 v[64:67], off, off offset:768
	ds_read_b128 v[108:111], v2 offset:1536
	s_waitcnt vmcnt(12)
	v_accvgpr_read_b32 v4, a134
	v_accvgpr_read_b32 v6, a136
	;; [unrolled: 1-line block ×4, first 2 shown]
	s_waitcnt lgkmcnt(1)
	v_mul_f64 v[72:73], v[104:105], v[6:7]
	v_fmac_f64_e32 v[72:73], v[106:107], v[4:5]
	s_waitcnt vmcnt(11)
	v_accvgpr_read_b32 v4, a138
	v_mul_f64 v[68:69], v[194:195], v[78:79]
	v_accvgpr_read_b32 v6, a140
	v_accvgpr_read_b32 v7, a141
	v_fma_f64 v[182:183], v[192:193], v[76:77], -v[68:69]
	scratch_load_dwordx4 v[68:71], off, off offset:784
	v_accvgpr_read_b32 v5, a139
	s_waitcnt lgkmcnt(0)
	v_mul_f64 v[76:77], v[108:109], v[6:7]
	v_add_f64 v[0:1], v[0:1], v[72:73]
	v_mul_f64 v[72:73], v[198:199], v[86:87]
	v_fmac_f64_e32 v[76:77], v[110:111], v[4:5]
	v_fma_f64 v[184:185], v[196:197], v[84:85], -v[72:73]
	scratch_load_dwordx4 v[72:75], off, off offset:800
	v_add_f64 v[0:1], v[0:1], v[76:77]
	v_mul_f64 v[76:77], v[202:203], v[90:91]
	v_fma_f64 v[186:187], v[200:201], v[88:89], -v[76:77]
	scratch_load_dwordx4 v[76:79], off, off offset:816
	ds_read_b128 v[116:119], v2 offset:1552
	ds_read_b128 v[112:115], v2 offset:1568
	s_waitcnt vmcnt(13)
	v_accvgpr_read_b32 v4, a142
	v_mul_f64 v[84:85], v[206:207], v[94:95]
	scratch_load_dwordx4 v[88:91], off, off offset:832
	v_accvgpr_read_b32 v6, a144
	v_accvgpr_read_b32 v7, a145
	v_fma_f64 v[8:9], v[204:205], v[92:93], -v[84:85]
	v_accvgpr_read_b32 v5, a143
	s_waitcnt lgkmcnt(1)
	v_mul_f64 v[92:93], v[116:117], v[6:7]
	scratch_load_dwordx4 v[84:87], off, off offset:848
	v_fmac_f64_e32 v[92:93], v[118:119], v[4:5]
	v_add_f64 v[0:1], v[0:1], v[92:93]
	v_mul_f64 v[92:93], v[214:215], v[126:127]
	v_fma_f64 v[6:7], v[212:213], v[124:125], -v[92:93]
	scratch_load_dwordx4 v[92:95], off, off offset:864
	v_mul_f64 v[158:159], v[250:251], v[158:159]
	v_mul_f64 v[178:179], v[246:247], v[178:179]
	;; [unrolled: 1-line block ×3, first 2 shown]
	v_fma_f64 v[234:235], v[248:249], v[156:157], -v[158:159]
	v_fma_f64 v[248:249], v[244:245], v[176:177], -v[178:179]
	scratch_load_dwordx4 v[244:247], off, off offset:880
	v_mul_f64 v[26:27], v[210:211], v[122:123]
	v_fma_f64 v[26:27], v[208:209], v[120:121], -v[26:27]
	v_mul_f64 v[82:83], v[218:219], v[130:131]
	ds_read_b128 v[120:123], v2 offset:1584
	v_fma_f64 v[82:83], v[216:217], v[128:129], -v[82:83]
	s_waitcnt vmcnt(16)
	v_accvgpr_read_b32 v126, a146
	v_accvgpr_read_b32 v128, a148
	;; [unrolled: 1-line block ×4, first 2 shown]
	s_waitcnt lgkmcnt(1)
	v_mul_f64 v[124:125], v[112:113], v[128:129]
	s_waitcnt vmcnt(15)
	v_accvgpr_read_b32 v148, a150
	v_fmac_f64_e32 v[124:125], v[114:115], v[126:127]
	v_accvgpr_read_b32 v150, a152
	v_accvgpr_read_b32 v151, a153
	v_add_f64 v[0:1], v[0:1], v[124:125]
	ds_read_b128 v[124:127], v2 offset:1600
	v_accvgpr_read_b32 v149, a151
	s_waitcnt lgkmcnt(1)
	v_mul_f64 v[128:129], v[120:121], v[150:151]
	v_fmac_f64_e32 v[128:129], v[122:123], v[148:149]
	v_add_f64 v[0:1], v[0:1], v[128:129]
	v_mul_f64 v[128:129], v[222:223], v[134:135]
	v_fma_f64 v[4:5], v[220:221], v[132:133], -v[128:129]
	ds_read_b128 v[128:131], v2 offset:1616
	ds_read_b128 v[132:135], v2 offset:1632
	s_waitcnt vmcnt(14) lgkmcnt(2)
	v_mul_f64 v[28:29], v[124:125], v[38:39]
	v_fmac_f64_e32 v[28:29], v[126:127], v[36:37]
	v_add_f64 v[0:1], v[0:1], v[28:29]
	v_mul_f64 v[28:29], v[226:227], v[138:139]
	v_fma_f64 v[28:29], v[224:225], v[136:137], -v[28:29]
	s_waitcnt vmcnt(13) lgkmcnt(1)
	v_mul_f64 v[136:137], v[128:129], v[42:43]
	v_fmac_f64_e32 v[136:137], v[130:131], v[40:41]
	v_add_f64 v[0:1], v[0:1], v[136:137]
	ds_read_b128 v[136:139], v2 offset:1648
	v_mul_f64 v[142:143], v[230:231], v[142:143]
	v_fma_f64 v[228:229], v[228:229], v[140:141], -v[142:143]
	ds_read_b128 v[140:143], v2 offset:1664
	s_waitcnt vmcnt(12) lgkmcnt(2)
	v_mul_f64 v[148:149], v[132:133], v[46:47]
	v_fmac_f64_e32 v[148:149], v[134:135], v[44:45]
	v_add_f64 v[80:81], v[80:81], 0
	v_add_f64 v[0:1], v[0:1], v[148:149]
	s_waitcnt vmcnt(11) lgkmcnt(1)
	v_mul_f64 v[148:149], v[136:137], v[50:51]
	v_add_f64 v[30:31], v[80:81], v[30:31]
	v_fmac_f64_e32 v[148:149], v[138:139], v[48:49]
	v_add_f64 v[24:25], v[30:31], v[24:25]
	v_add_f64 v[0:1], v[0:1], v[148:149]
	v_fma_f64 v[230:231], v[232:233], v[144:145], -v[146:147]
	ds_read_b128 v[144:147], v2 offset:1680
	s_waitcnt vmcnt(10) lgkmcnt(1)
	v_mul_f64 v[148:149], v[140:141], v[54:55]
	v_add_f64 v[20:21], v[24:25], v[20:21]
	v_fmac_f64_e32 v[148:149], v[142:143], v[52:53]
	v_add_f64 v[16:17], v[20:21], v[16:17]
	v_add_f64 v[0:1], v[0:1], v[148:149]
	ds_read_b128 v[148:151], v2 offset:1696
	v_add_f64 v[14:15], v[16:17], v[14:15]
	v_mul_f64 v[154:155], v[238:239], v[154:155]
	v_add_f64 v[12:13], v[14:15], v[12:13]
	v_fma_f64 v[232:233], v[236:237], v[152:153], -v[154:155]
	ds_read_b128 v[152:155], v2 offset:1712
	ds_read_b128 v[156:159], v2 offset:1728
	v_add_f64 v[10:11], v[12:13], v[10:11]
	s_waitcnt vmcnt(9) lgkmcnt(3)
	v_mul_f64 v[160:161], v[144:145], v[58:59]
	v_add_f64 v[10:11], v[10:11], v[18:19]
	v_fmac_f64_e32 v[160:161], v[146:147], v[56:57]
	v_add_f64 v[10:11], v[10:11], v[22:23]
	v_add_f64 v[0:1], v[0:1], v[160:161]
	s_waitcnt vmcnt(8) lgkmcnt(2)
	v_mul_f64 v[160:161], v[148:149], v[62:63]
	v_add_f64 v[10:11], v[10:11], v[172:173]
	v_fmac_f64_e32 v[160:161], v[150:151], v[60:61]
	v_add_f64 v[10:11], v[10:11], v[174:175]
	;; [unrolled: 6-line block ×3, first 2 shown]
	v_add_f64 v[0:1], v[0:1], v[160:161]
	ds_read_b128 v[160:163], v2 offset:1744
	v_add_f64 v[10:11], v[10:11], v[184:185]
	v_mul_f64 v[166:167], v[254:255], v[166:167]
	v_add_f64 v[10:11], v[10:11], v[186:187]
	v_fma_f64 v[236:237], v[252:253], v[164:165], -v[166:167]
	ds_read_b128 v[164:167], v2 offset:1760
	v_add_f64 v[8:9], v[10:11], v[8:9]
	s_waitcnt vmcnt(6) lgkmcnt(2)
	v_mul_f64 v[188:189], v[156:157], v[70:71]
	v_mul_f64 v[170:171], v[242:243], v[170:171]
	v_add_f64 v[8:9], v[8:9], v[26:27]
	v_fmac_f64_e32 v[188:189], v[158:159], v[68:69]
	v_fma_f64 v[238:239], v[240:241], v[168:169], -v[170:171]
	ds_read_b128 v[168:171], v2 offset:1776
	ds_read_b128 v[240:243], v2 offset:1792
	v_add_f64 v[6:7], v[8:9], v[6:7]
	v_add_f64 v[0:1], v[0:1], v[188:189]
	s_waitcnt vmcnt(5) lgkmcnt(3)
	v_mul_f64 v[188:189], v[160:161], v[74:75]
	v_add_f64 v[6:7], v[6:7], v[82:83]
	v_fmac_f64_e32 v[188:189], v[162:163], v[72:73]
	v_add_f64 v[4:5], v[6:7], v[4:5]
	v_add_f64 v[0:1], v[0:1], v[188:189]
	s_waitcnt vmcnt(4) lgkmcnt(2)
	v_mul_f64 v[188:189], v[164:165], v[78:79]
	v_add_f64 v[4:5], v[4:5], v[28:29]
	v_fmac_f64_e32 v[188:189], v[166:167], v[76:77]
	ds_read_b128 v[176:179], v2 offset:1808
	ds_read_b128 v[252:255], v2 offset:1824
	v_add_f64 v[4:5], v[4:5], v[228:229]
	v_add_f64 v[0:1], v[0:1], v[188:189]
	;; [unrolled: 1-line block ×3, first 2 shown]
	scratch_load_dwordx4 v[228:231], off, off offset:48
	s_waitcnt vmcnt(4) lgkmcnt(3)
	v_mul_f64 v[188:189], v[168:169], v[90:91]
	v_fmac_f64_e32 v[188:189], v[170:171], v[88:89]
	v_add_f64 v[0:1], v[0:1], v[188:189]
	s_waitcnt vmcnt(3) lgkmcnt(2)
	v_mul_f64 v[188:189], v[240:241], v[86:87]
	v_fmac_f64_e32 v[188:189], v[242:243], v[84:85]
	v_add_f64 v[0:1], v[0:1], v[188:189]
	;; [unrolled: 4-line block ×4, first 2 shown]
	scratch_load_dwordx4 v[188:191], off, off offset:896
	ds_read_b128 v[192:195], v2 offset:1840
	ds_read_b128 v[200:203], v2 offset:1856
	;; [unrolled: 1-line block ×5, first 2 shown]
	v_accvgpr_read_b32 v8, a122
	v_accvgpr_read_b32 v10, a124
	;; [unrolled: 1-line block ×4, first 2 shown]
	v_mul_f64 v[6:7], v[34:35], v[10:11]
	v_fma_f64 v[6:7], v[32:33], v[8:9], -v[6:7]
	v_accvgpr_read_b32 v8, a126
	v_accvgpr_read_b32 v10, a128
	;; [unrolled: 1-line block ×4, first 2 shown]
	s_waitcnt vmcnt(0) lgkmcnt(4)
	v_mul_f64 v[196:197], v[192:193], v[190:191]
	v_fmac_f64_e32 v[196:197], v[194:195], v[188:189]
	v_add_f64 v[0:1], v[0:1], v[196:197]
	scratch_load_dwordx4 v[196:199], off, off offset:912
	s_waitcnt vmcnt(0) lgkmcnt(3)
	v_mul_f64 v[204:205], v[200:201], v[198:199]
	v_fmac_f64_e32 v[204:205], v[202:203], v[196:197]
	v_add_f64 v[0:1], v[0:1], v[204:205]
	scratch_load_dwordx4 v[204:207], off, off offset:928
	;; [unrolled: 5-line block ×4, first 2 shown]
	s_waitcnt vmcnt(0) lgkmcnt(0)
	v_mul_f64 v[250:251], v[224:225], v[222:223]
	v_fmac_f64_e32 v[250:251], v[226:227], v[220:221]
	v_add_f64 v[0:1], v[0:1], v[250:251]
	v_add_f64 v[250:251], v[4:5], v[232:233]
	;; [unrolled: 1-line block ×7, first 2 shown]
	v_mul_f64 v[6:7], v[98:99], v[10:11]
	v_fma_f64 v[6:7], v[96:97], v[8:9], -v[6:7]
	v_accvgpr_read_b32 v8, a130
	v_accvgpr_read_b32 v10, a132
	v_accvgpr_read_b32 v11, a133
	v_add_f64 v[4:5], v[4:5], v[6:7]
	v_accvgpr_read_b32 v9, a131
	v_mul_f64 v[6:7], v[102:103], v[10:11]
	v_fma_f64 v[6:7], v[100:101], v[8:9], -v[6:7]
	v_accvgpr_read_b32 v8, a134
	v_accvgpr_read_b32 v10, a136
	v_accvgpr_read_b32 v11, a137
	v_add_f64 v[4:5], v[4:5], v[6:7]
	v_accvgpr_read_b32 v9, a135
	;; [unrolled: 7-line block ×6, first 2 shown]
	v_mul_f64 v[6:7], v[122:123], v[10:11]
	v_fma_f64 v[6:7], v[120:121], v[8:9], -v[6:7]
	v_add_f64 v[4:5], v[4:5], v[6:7]
	v_mul_f64 v[6:7], v[126:127], v[38:39]
	v_fma_f64 v[6:7], v[124:125], v[36:37], -v[6:7]
	v_add_f64 v[4:5], v[4:5], v[6:7]
	;; [unrolled: 3-line block ×21, first 2 shown]
	v_add_f64 v[6:7], v[230:231], -v[0:1]
	v_accvgpr_read_b32 v0, a120
	v_add_f64 v[4:5], v[228:229], -v[4:5]
	v_cmp_lt_u32_e32 vcc, 1, v0
	scratch_store_dwordx4 off, v[4:7], off offset:48
	s_and_saveexec_b64 s[0:1], vcc
	s_cbranch_execz .LBB59_371
; %bb.370:
	scratch_load_dwordx4 v[6:9], off, s20
	v_mov_b32_e32 v3, v2
	v_mov_b32_e32 v4, v2
	;; [unrolled: 1-line block ×3, first 2 shown]
	v_accvgpr_read_b32 v0, a121
	scratch_store_dwordx4 off, v[2:5], off offset:32
	s_waitcnt vmcnt(1)
	ds_write_b128 v0, v[6:9]
.LBB59_371:
	s_or_b64 exec, exec, s[0:1]
	s_waitcnt lgkmcnt(0)
	; wave barrier
	scratch_load_dwordx4 v[8:11], off, off offset:48
	scratch_load_dwordx4 v[12:15], off, off offset:64
	scratch_load_dwordx4 v[16:19], off, off offset:80
	scratch_load_dwordx4 v[20:23], off, off offset:96
	scratch_load_dwordx4 v[30:33], off, off offset:112
	scratch_load_dwordx4 v[4:7], off, off offset:128
	scratch_load_dwordx4 v[26:29], off, off offset:144
	scratch_load_dwordx4 v[34:37], off, off offset:160
	scratch_load_dwordx4 v[40:43], off, off offset:176
	scratch_load_dwordx4 v[44:47], off, off offset:192
	scratch_load_dwordx4 v[48:51], off, off offset:208
	scratch_load_dwordx4 v[52:55], off, off offset:224
	scratch_load_dwordx4 v[64:67], off, off offset:240
	scratch_load_dwordx4 v[76:79], off, off offset:256
	scratch_load_dwordx4 v[80:83], off, off offset:272
	scratch_load_dwordx4 v[84:87], off, off offset:288
	scratch_load_dwordx4 v[88:91], off, off offset:304
	ds_read_b128 v[180:183], v2 offset:992
	ds_read_b128 v[108:111], v2 offset:1008
	scratch_load_dwordx4 v[92:95], off, off offset:320
	ds_read_b128 v[184:187], v2 offset:1024
	ds_read_b128 v[172:175], v2 offset:1040
	;; [unrolled: 1-line block ×5, first 2 shown]
	scratch_load_dwordx4 v[100:103], off, off offset:336
	ds_read_b128 v[160:163], v2 offset:1104
	ds_read_b128 v[128:131], v2 offset:1120
	scratch_load_dwordx4 v[116:119], off, off offset:352
	ds_read_b128 v[196:199], v2 offset:1136
	ds_read_b128 v[176:179], v2 offset:1152
	ds_read_b128 v[164:167], v2 offset:1168
	ds_read_b128 v[148:151], v2 offset:1184
	ds_read_b128 v[120:123], v2 offset:1200
	scratch_load_dwordx4 v[124:127], off, off offset:368
	ds_read_b128 v[168:171], v2 offset:1216
	ds_read_b128 v[156:159], v2 offset:1232
	;; [unrolled: 1-line block ×3, first 2 shown]
	scratch_load_dwordx4 v[136:139], off, off offset:384
	scratch_load_dwordx4 v[140:143], off, off offset:400
	;; [unrolled: 1-line block ×14, first 2 shown]
	ds_read_b128 v[208:211], v2 offset:1264
	ds_read_b128 v[232:235], v2 offset:1360
	;; [unrolled: 1-line block ×3, first 2 shown]
	scratch_load_dwordx4 a[150:153], off, off offset:624
	scratch_load_dwordx4 a[154:157], off, off offset:640
	ds_read_b128 v[240:243], v2 offset:1408
	ds_read_b128 v[228:231], v2 offset:1344
	;; [unrolled: 1-line block ×3, first 2 shown]
	s_waitcnt vmcnt(36) lgkmcnt(14)
	v_mul_f64 v[0:1], v[180:181], v[10:11]
	s_waitcnt vmcnt(35)
	v_mul_f64 v[56:57], v[108:109], v[14:15]
	v_fmac_f64_e32 v[0:1], v[182:183], v[8:9]
	s_waitcnt vmcnt(34)
	v_mul_f64 v[58:59], v[184:185], v[18:19]
	v_fmac_f64_e32 v[56:57], v[110:111], v[12:13]
	v_add_f64 v[0:1], v[0:1], 0
	s_waitcnt vmcnt(33)
	v_mul_f64 v[60:61], v[172:173], v[22:23]
	v_fmac_f64_e32 v[58:59], v[186:187], v[16:17]
	v_add_f64 v[0:1], v[0:1], v[56:57]
	s_waitcnt vmcnt(32)
	v_mul_f64 v[62:63], v[112:113], v[32:33]
	v_fmac_f64_e32 v[60:61], v[174:175], v[20:21]
	v_add_f64 v[0:1], v[0:1], v[58:59]
	s_waitcnt vmcnt(31)
	v_mul_f64 v[68:69], v[96:97], v[6:7]
	v_fmac_f64_e32 v[62:63], v[114:115], v[30:31]
	v_add_f64 v[0:1], v[0:1], v[60:61]
	s_waitcnt vmcnt(30)
	v_mul_f64 v[70:71], v[104:105], v[28:29]
	v_fmac_f64_e32 v[68:69], v[98:99], v[4:5]
	v_add_f64 v[0:1], v[0:1], v[62:63]
	s_waitcnt vmcnt(29)
	v_mul_f64 v[72:73], v[160:161], v[36:37]
	v_fmac_f64_e32 v[70:71], v[106:107], v[26:27]
	v_add_f64 v[0:1], v[0:1], v[68:69]
	s_waitcnt vmcnt(28)
	v_mul_f64 v[74:75], v[128:129], v[42:43]
	v_fmac_f64_e32 v[72:73], v[162:163], v[34:35]
	v_add_f64 v[0:1], v[0:1], v[70:71]
	s_waitcnt vmcnt(27) lgkmcnt(13)
	v_mul_f64 v[212:213], v[196:197], v[46:47]
	v_fmac_f64_e32 v[74:75], v[130:131], v[40:41]
	v_add_f64 v[0:1], v[0:1], v[72:73]
	s_waitcnt vmcnt(26) lgkmcnt(12)
	v_mul_f64 v[214:215], v[176:177], v[50:51]
	v_fmac_f64_e32 v[212:213], v[198:199], v[44:45]
	v_add_f64 v[0:1], v[0:1], v[74:75]
	;; [unrolled: 4-line block ×6, first 2 shown]
	ds_read_b128 v[212:215], v2 offset:1280
	s_waitcnt vmcnt(21) lgkmcnt(8)
	v_mul_f64 v[224:225], v[156:157], v[86:87]
	v_fmac_f64_e32 v[222:223], v[170:171], v[80:81]
	v_add_f64 v[0:1], v[0:1], v[220:221]
	ds_read_b128 v[216:219], v2 offset:1296
	v_fmac_f64_e32 v[224:225], v[158:159], v[84:85]
	v_add_f64 v[0:1], v[0:1], v[222:223]
	s_waitcnt vmcnt(20) lgkmcnt(8)
	v_mul_f64 v[56:57], v[132:133], v[90:91]
	v_add_f64 v[0:1], v[0:1], v[224:225]
	v_fmac_f64_e32 v[56:57], v[134:135], v[88:89]
	ds_read_b128 v[220:223], v2 offset:1312
	v_add_f64 v[0:1], v[0:1], v[56:57]
	s_waitcnt vmcnt(19) lgkmcnt(8)
	v_mul_f64 v[56:57], v[208:209], v[94:95]
	v_fmac_f64_e32 v[56:57], v[210:211], v[92:93]
	s_waitcnt vmcnt(18) lgkmcnt(2)
	v_mul_f64 v[60:61], v[212:213], v[102:103]
	ds_read_b128 v[224:227], v2 offset:1328
	v_add_f64 v[0:1], v[0:1], v[56:57]
	v_fmac_f64_e32 v[60:61], v[214:215], v[100:101]
	s_waitcnt vmcnt(17) lgkmcnt(2)
	v_mul_f64 v[68:69], v[216:217], v[118:119]
	v_add_f64 v[0:1], v[0:1], v[60:61]
	v_fmac_f64_e32 v[68:69], v[218:219], v[116:117]
	v_add_f64 v[0:1], v[0:1], v[68:69]
	s_waitcnt vmcnt(16) lgkmcnt(1)
	v_mul_f64 v[68:69], v[220:221], v[126:127]
	v_fmac_f64_e32 v[68:69], v[222:223], v[124:125]
	v_add_f64 v[0:1], v[0:1], v[68:69]
	s_waitcnt vmcnt(15) lgkmcnt(0)
	v_mul_f64 v[68:69], v[224:225], v[138:139]
	v_mul_f64 v[10:11], v[182:183], v[10:11]
	v_fmac_f64_e32 v[68:69], v[226:227], v[136:137]
	s_waitcnt vmcnt(14)
	v_mul_f64 v[72:73], v[228:229], v[142:143]
	v_fma_f64 v[252:253], v[180:181], v[8:9], -v[10:11]
	ds_read_b128 v[180:183], v2 offset:1392
	v_add_f64 v[0:1], v[0:1], v[68:69]
	v_fmac_f64_e32 v[72:73], v[230:231], v[140:141]
	s_waitcnt vmcnt(13)
	v_mul_f64 v[8:9], v[232:233], v[146:147]
	v_add_f64 v[0:1], v[0:1], v[72:73]
	v_fmac_f64_e32 v[8:9], v[234:235], v[144:145]
	v_add_f64 v[0:1], v[0:1], v[8:9]
	s_waitcnt vmcnt(12)
	v_mul_f64 v[8:9], v[236:237], v[154:155]
	v_fmac_f64_e32 v[8:9], v[238:239], v[152:153]
	v_add_f64 v[0:1], v[0:1], v[8:9]
	s_waitcnt vmcnt(11) lgkmcnt(0)
	v_mul_f64 v[8:9], v[180:181], v[190:191]
	v_fmac_f64_e32 v[8:9], v[182:183], v[188:189]
	v_add_f64 v[0:1], v[0:1], v[8:9]
	v_mul_f64 v[8:9], v[110:111], v[14:15]
	v_fma_f64 v[254:255], v[108:109], v[12:13], -v[8:9]
	v_mul_f64 v[12:13], v[186:187], v[18:19]
	v_fma_f64 v[248:249], v[184:185], v[16:17], -v[12:13]
	;; [unrolled: 2-line block ×3, first 2 shown]
	scratch_load_dwordx4 v[172:175], off, off offset:608
	ds_read_b128 v[184:187], v2 offset:1424
	v_mul_f64 v[6:7], v[98:99], v[6:7]
	scratch_load_dwordx4 v[72:75], off, off offset:656
	scratch_load_dwordx4 v[68:71], off, off offset:672
	s_waitcnt vmcnt(13)
	v_mul_f64 v[16:17], v[240:241], v[194:195]
	v_mul_f64 v[20:21], v[114:115], v[32:33]
	v_fma_f64 v[32:33], v[96:97], v[4:5], -v[6:7]
	ds_read_b128 v[96:99], v2 offset:1456
	v_fmac_f64_e32 v[16:17], v[242:243], v[192:193]
	v_add_f64 v[0:1], v[0:1], v[16:17]
	s_waitcnt vmcnt(12) lgkmcnt(1)
	v_mul_f64 v[16:17], v[184:185], v[202:203]
	v_fmac_f64_e32 v[16:17], v[186:187], v[200:201]
	s_waitcnt vmcnt(11)
	v_mul_f64 v[10:11], v[244:245], v[206:207]
	s_waitcnt vmcnt(10)
	v_accvgpr_read_b32 v4, a122
	v_accvgpr_write_b32 a129, v37
	v_add_f64 v[0:1], v[0:1], v[16:17]
	v_mul_f64 v[24:25], v[106:107], v[28:29]
	v_fmac_f64_e32 v[10:11], v[246:247], v[204:205]
	v_accvgpr_read_b32 v6, a124
	v_accvgpr_read_b32 v7, a125
	v_accvgpr_write_b32 a128, v36
	v_accvgpr_write_b32 a127, v35
	;; [unrolled: 1-line block ×3, first 2 shown]
	v_fma_f64 v[36:37], v[112:113], v[30:31], -v[20:21]
	v_fma_f64 v[30:31], v[104:105], v[26:27], -v[24:25]
	v_add_f64 v[0:1], v[0:1], v[10:11]
	v_accvgpr_read_b32 v5, a123
	ds_read_b128 v[104:107], v2 offset:1472
	s_waitcnt lgkmcnt(1)
	v_mul_f64 v[10:11], v[96:97], v[6:7]
	v_fmac_f64_e32 v[10:11], v[98:99], v[4:5]
	v_accvgpr_read_b32 v4, a126
	scratch_load_dwordx4 v[56:59], off, off offset:688
	scratch_load_dwordx4 v[60:63], off, off offset:704
	v_accvgpr_read_b32 v6, a128
	v_accvgpr_read_b32 v7, a129
	v_accvgpr_read_b32 v5, a127
	v_mul_f64 v[28:29], v[162:163], v[6:7]
	v_fma_f64 v[26:27], v[160:161], v[4:5], -v[28:29]
	s_waitcnt vmcnt(11)
	v_accvgpr_read_b32 v4, a130
	v_add_f64 v[0:1], v[0:1], v[10:11]
	v_mul_f64 v[10:11], v[130:131], v[42:43]
	ds_read_b128 v[108:111], v2 offset:1488
	ds_read_b128 v[112:115], v2 offset:1504
	v_accvgpr_read_b32 v6, a132
	v_accvgpr_read_b32 v7, a133
	v_fma_f64 v[20:21], v[128:129], v[40:41], -v[10:11]
	v_accvgpr_read_b32 v5, a131
	s_waitcnt lgkmcnt(2)
	v_mul_f64 v[40:41], v[104:105], v[6:7]
	v_fmac_f64_e32 v[40:41], v[106:107], v[4:5]
	v_add_f64 v[0:1], v[0:1], v[40:41]
	v_mul_f64 v[40:41], v[178:179], v[50:51]
	s_waitcnt vmcnt(10)
	v_accvgpr_read_b32 v4, a134
	v_mul_f64 v[14:15], v[198:199], v[46:47]
	v_fma_f64 v[176:177], v[176:177], v[48:49], -v[40:41]
	scratch_load_dwordx4 v[40:43], off, off offset:720
	v_accvgpr_read_b32 v6, a136
	v_accvgpr_read_b32 v7, a137
	v_fma_f64 v[16:17], v[196:197], v[44:45], -v[14:15]
	v_accvgpr_read_b32 v5, a135
	s_waitcnt lgkmcnt(1)
	v_mul_f64 v[44:45], v[108:109], v[6:7]
	v_fmac_f64_e32 v[44:45], v[110:111], v[4:5]
	v_add_f64 v[0:1], v[0:1], v[44:45]
	v_mul_f64 v[44:45], v[166:167], v[54:55]
	v_fma_f64 v[178:179], v[164:165], v[52:53], -v[44:45]
	scratch_load_dwordx4 v[44:47], off, off offset:736
	v_mul_f64 v[48:49], v[150:151], v[66:67]
	v_fma_f64 v[14:15], v[148:149], v[64:65], -v[48:49]
	scratch_load_dwordx4 v[48:51], off, off offset:752
	scratch_load_dwordx4 v[52:55], off, off offset:768
	s_waitcnt vmcnt(13)
	v_accvgpr_read_b32 v4, a138
	v_accvgpr_read_b32 v6, a140
	;; [unrolled: 1-line block ×4, first 2 shown]
	s_waitcnt lgkmcnt(0)
	v_mul_f64 v[64:65], v[112:113], v[6:7]
	v_mul_f64 v[18:19], v[122:123], v[78:79]
	v_fmac_f64_e32 v[64:65], v[114:115], v[4:5]
	v_fma_f64 v[18:19], v[120:121], v[76:77], -v[18:19]
	ds_read_b128 v[120:123], v2 offset:1520
	v_add_f64 v[0:1], v[0:1], v[64:65]
	v_mul_f64 v[64:65], v[170:171], v[82:83]
	v_fma_f64 v[12:13], v[168:169], v[80:81], -v[64:65]
	scratch_load_dwordx4 v[64:67], off, off offset:784
	scratch_load_dwordx4 v[76:79], off, off offset:800
	s_waitcnt vmcnt(14)
	v_accvgpr_read_b32 v4, a142
	v_accvgpr_read_b32 v6, a144
	;; [unrolled: 1-line block ×3, first 2 shown]
	v_mul_f64 v[80:81], v[134:135], v[90:91]
	v_accvgpr_read_b32 v5, a143
	s_waitcnt lgkmcnt(0)
	v_mul_f64 v[22:23], v[120:121], v[6:7]
	v_fma_f64 v[10:11], v[132:133], v[88:89], -v[80:81]
	ds_read_b128 v[132:135], v2 offset:1536
	ds_read_b128 v[128:131], v2 offset:1552
	v_fmac_f64_e32 v[22:23], v[122:123], v[4:5]
	v_add_f64 v[0:1], v[0:1], v[22:23]
	v_mul_f64 v[22:23], v[158:159], v[86:87]
	s_waitcnt vmcnt(13)
	v_accvgpr_read_b32 v4, a146
	v_fma_f64 v[22:23], v[156:157], v[84:85], -v[22:23]
	scratch_load_dwordx4 v[84:87], off, off offset:816
	scratch_load_dwordx4 v[80:83], off, off offset:832
	v_accvgpr_read_b32 v6, a148
	v_accvgpr_read_b32 v7, a149
	v_accvgpr_read_b32 v5, a147
	s_waitcnt lgkmcnt(1)
	v_mul_f64 v[88:89], v[132:133], v[6:7]
	v_fmac_f64_e32 v[88:89], v[134:135], v[4:5]
	v_add_f64 v[0:1], v[0:1], v[88:89]
	v_mul_f64 v[88:89], v[214:215], v[102:103]
	v_fma_f64 v[8:9], v[212:213], v[100:101], -v[88:89]
	scratch_load_dwordx4 v[88:91], off, off offset:848
	v_mul_f64 v[24:25], v[210:211], v[94:95]
	v_fma_f64 v[24:25], v[208:209], v[92:93], -v[24:25]
	ds_read_b128 v[92:95], v2 offset:1568
	s_waitcnt vmcnt(13)
	v_mov_b64_e32 v[4:5], v[172:173]
	v_mov_b64_e32 v[6:7], v[174:175]
	s_waitcnt lgkmcnt(1)
	v_mul_f64 v[100:101], v[128:129], v[6:7]
	v_fmac_f64_e32 v[100:101], v[130:131], v[4:5]
	v_accvgpr_read_b32 v4, a150
	v_mul_f64 v[28:29], v[218:219], v[118:119]
	v_accvgpr_read_b32 v6, a152
	v_accvgpr_read_b32 v7, a153
	v_fma_f64 v[28:29], v[216:217], v[116:117], -v[28:29]
	v_add_f64 v[0:1], v[0:1], v[100:101]
	ds_read_b128 v[100:103], v2 offset:1584
	v_accvgpr_read_b32 v5, a151
	s_waitcnt lgkmcnt(1)
	v_mul_f64 v[116:117], v[92:93], v[6:7]
	v_fmac_f64_e32 v[116:117], v[94:95], v[4:5]
	v_add_f64 v[0:1], v[0:1], v[116:117]
	v_mul_f64 v[116:117], v[222:223], v[126:127]
	v_fma_f64 v[6:7], v[220:221], v[124:125], -v[116:117]
	ds_read_b128 v[116:119], v2 offset:1600
	v_accvgpr_read_b32 v124, a154
	v_accvgpr_read_b32 v126, a156
	;; [unrolled: 1-line block ×4, first 2 shown]
	s_waitcnt lgkmcnt(1)
	v_mul_f64 v[34:35], v[100:101], v[126:127]
	v_fmac_f64_e32 v[34:35], v[102:103], v[124:125]
	v_add_f64 v[0:1], v[0:1], v[34:35]
	v_mul_f64 v[34:35], v[226:227], v[138:139]
	v_fma_f64 v[34:35], v[224:225], v[136:137], -v[34:35]
	ds_read_b128 v[124:127], v2 offset:1616
	s_waitcnt vmcnt(12) lgkmcnt(1)
	v_mul_f64 v[136:137], v[116:117], v[74:75]
	v_fmac_f64_e32 v[136:137], v[118:119], v[72:73]
	v_add_f64 v[0:1], v[0:1], v[136:137]
	ds_read_b128 v[136:139], v2 offset:1632
	s_waitcnt vmcnt(11) lgkmcnt(1)
	v_mul_f64 v[38:39], v[124:125], v[70:71]
	v_mul_f64 v[142:143], v[230:231], v[142:143]
	v_fmac_f64_e32 v[38:39], v[126:127], v[68:69]
	v_fma_f64 v[4:5], v[228:229], v[140:141], -v[142:143]
	ds_read_b128 v[140:143], v2 offset:1648
	v_add_f64 v[0:1], v[0:1], v[38:39]
	s_waitcnt vmcnt(10) lgkmcnt(1)
	v_mul_f64 v[38:39], v[136:137], v[58:59]
	v_fmac_f64_e32 v[38:39], v[138:139], v[56:57]
	v_add_f64 v[0:1], v[0:1], v[38:39]
	v_mul_f64 v[38:39], v[234:235], v[146:147]
	v_fma_f64 v[38:39], v[232:233], v[144:145], -v[38:39]
	ds_read_b128 v[144:147], v2 offset:1664
	s_waitcnt vmcnt(9) lgkmcnt(1)
	v_mul_f64 v[148:149], v[140:141], v[62:63]
	v_fmac_f64_e32 v[148:149], v[142:143], v[60:61]
	v_add_f64 v[0:1], v[0:1], v[148:149]
	ds_read_b128 v[148:151], v2 offset:1680
	s_waitcnt vmcnt(8) lgkmcnt(1)
	v_mul_f64 v[156:157], v[144:145], v[42:43]
	v_mul_f64 v[154:155], v[238:239], v[154:155]
	v_fmac_f64_e32 v[156:157], v[146:147], v[40:41]
	v_fma_f64 v[236:237], v[236:237], v[152:153], -v[154:155]
	ds_read_b128 v[152:155], v2 offset:1696
	v_add_f64 v[0:1], v[0:1], v[156:157]
	v_mul_f64 v[156:157], v[182:183], v[190:191]
	v_fma_f64 v[238:239], v[180:181], v[188:189], -v[156:157]
	ds_read_b128 v[156:159], v2 offset:1712
	s_waitcnt vmcnt(7) lgkmcnt(2)
	v_mul_f64 v[160:161], v[148:149], v[46:47]
	v_fmac_f64_e32 v[160:161], v[150:151], v[44:45]
	v_add_f64 v[0:1], v[0:1], v[160:161]
	s_waitcnt vmcnt(6) lgkmcnt(1)
	v_mul_f64 v[160:161], v[152:153], v[50:51]
	v_fmac_f64_e32 v[160:161], v[154:155], v[48:49]
	v_add_f64 v[0:1], v[0:1], v[160:161]
	s_waitcnt vmcnt(5) lgkmcnt(0)
	v_mul_f64 v[164:165], v[156:157], v[54:55]
	ds_read_b128 v[160:163], v2 offset:1728
	v_fmac_f64_e32 v[164:165], v[158:159], v[52:53]
	v_add_f64 v[0:1], v[0:1], v[164:165]
	v_mul_f64 v[164:165], v[242:243], v[194:195]
	v_accvgpr_mov_b32 a126, a130
	v_fma_f64 v[240:241], v[240:241], v[192:193], -v[164:165]
	ds_read_b128 v[164:167], v2 offset:1744
	v_accvgpr_mov_b32 a127, a131
	v_accvgpr_mov_b32 a128, a132
	;; [unrolled: 1-line block ×8, first 2 shown]
	s_waitcnt vmcnt(4) lgkmcnt(1)
	v_mul_f64 v[168:169], v[160:161], v[66:67]
	v_accvgpr_mov_b32 a135, a139
	v_accvgpr_mov_b32 a136, a140
	;; [unrolled: 1-line block ×4, first 2 shown]
	v_fmac_f64_e32 v[168:169], v[162:163], v[64:65]
	v_accvgpr_mov_b32 a139, a143
	v_accvgpr_mov_b32 a140, a144
	;; [unrolled: 1-line block ×4, first 2 shown]
	v_add_f64 v[180:181], v[0:1], v[168:169]
	ds_read_b128 v[168:171], v2 offset:1760
	v_accvgpr_mov_b32 a143, a147
	v_accvgpr_mov_b32 a144, a148
	;; [unrolled: 1-line block ×3, first 2 shown]
	v_accvgpr_write_b32 a146, v172
	s_waitcnt vmcnt(3) lgkmcnt(1)
	v_mul_f64 v[182:183], v[164:165], v[78:79]
	v_accvgpr_write_b32 a147, v173
	v_accvgpr_write_b32 a148, v174
	;; [unrolled: 1-line block ×3, first 2 shown]
	v_fmac_f64_e32 v[182:183], v[166:167], v[76:77]
	ds_read_b128 v[172:175], v2 offset:1776
	v_add_f64 v[180:181], v[180:181], v[182:183]
	v_mul_f64 v[182:183], v[246:247], v[206:207]
	v_fma_f64 v[246:247], v[244:245], v[204:205], -v[182:183]
	ds_read_b128 v[242:245], v2 offset:1792
	s_waitcnt vmcnt(2) lgkmcnt(2)
	v_mul_f64 v[182:183], v[168:169], v[86:87]
	v_fmac_f64_e32 v[182:183], v[170:171], v[84:85]
	v_add_f64 v[180:181], v[180:181], v[182:183]
	s_waitcnt vmcnt(1) lgkmcnt(1)
	v_mul_f64 v[182:183], v[172:173], v[82:83]
	v_mul_f64 v[0:1], v[186:187], v[202:203]
	v_fmac_f64_e32 v[182:183], v[174:175], v[80:81]
	v_fma_f64 v[0:1], v[184:185], v[200:201], -v[0:1]
	v_add_f64 v[180:181], v[180:181], v[182:183]
	ds_read_b128 v[184:187], v2 offset:1808
	scratch_load_dwordx4 v[232:235], off, off offset:960
	s_waitcnt vmcnt(1) lgkmcnt(1)
	v_mul_f64 v[182:183], v[242:243], v[90:91]
	v_fmac_f64_e32 v[182:183], v[244:245], v[88:89]
	v_add_f64 v[188:189], v[180:181], v[182:183]
	scratch_load_dwordx4 v[180:183], off, off offset:864
	ds_read_b128 v[192:195], v2 offset:1824
	ds_read_b128 v[200:203], v2 offset:1840
	;; [unrolled: 1-line block ×5, first 2 shown]
	v_accvgpr_write_b32 a159, v1
	v_accvgpr_write_b32 a158, v0
	s_waitcnt vmcnt(0) lgkmcnt(5)
	v_mul_f64 v[190:191], v[184:185], v[182:183]
	v_fmac_f64_e32 v[190:191], v[186:187], v[180:181]
	v_add_f64 v[196:197], v[188:189], v[190:191]
	scratch_load_dwordx4 v[188:191], off, off offset:880
	s_waitcnt vmcnt(0) lgkmcnt(4)
	v_mul_f64 v[198:199], v[192:193], v[190:191]
	v_fmac_f64_e32 v[198:199], v[194:195], v[188:189]
	v_add_f64 v[204:205], v[196:197], v[198:199]
	scratch_load_dwordx4 v[196:199], off, off offset:896
	;; [unrolled: 5-line block ×5, first 2 shown]
	s_waitcnt vmcnt(0) lgkmcnt(0)
	v_mul_f64 v[230:231], v[224:225], v[222:223]
	v_fmac_f64_e32 v[230:231], v[226:227], v[220:221]
	v_add_f64 v[0:1], v[228:229], v[230:231]
	ds_read_b128 v[228:231], v2 offset:1904
	s_waitcnt lgkmcnt(0)
	v_mul_f64 v[2:3], v[228:229], v[234:235]
	v_fmac_f64_e32 v[2:3], v[230:231], v[232:233]
	v_add_f64 v[2:3], v[0:1], v[2:3]
	v_add_f64 v[0:1], v[252:253], 0
	;; [unrolled: 1-line block ×27, first 2 shown]
	scratch_load_dwordx4 v[236:239], off, off offset:32
	v_accvgpr_read_b32 v6, a122
	v_add_f64 v[252:253], v[0:1], v[240:241]
	v_accvgpr_read_b32 v0, a158
	v_accvgpr_read_b32 v8, a124
	v_accvgpr_read_b32 v9, a125
	v_accvgpr_read_b32 v1, a159
	v_accvgpr_read_b32 v7, a123
	v_mul_f64 v[4:5], v[98:99], v[8:9]
	v_add_f64 v[0:1], v[252:253], v[0:1]
	v_fma_f64 v[4:5], v[96:97], v[6:7], -v[4:5]
	v_accvgpr_read_b32 v6, a126
	v_add_f64 v[0:1], v[0:1], v[246:247]
	v_accvgpr_read_b32 v8, a128
	v_accvgpr_read_b32 v9, a129
	v_add_f64 v[0:1], v[0:1], v[4:5]
	v_accvgpr_read_b32 v7, a127
	v_mul_f64 v[4:5], v[106:107], v[8:9]
	v_fma_f64 v[4:5], v[104:105], v[6:7], -v[4:5]
	v_accvgpr_read_b32 v6, a130
	v_accvgpr_read_b32 v8, a132
	v_accvgpr_read_b32 v9, a133
	v_add_f64 v[0:1], v[0:1], v[4:5]
	v_accvgpr_read_b32 v7, a131
	v_mul_f64 v[4:5], v[110:111], v[8:9]
	v_fma_f64 v[4:5], v[108:109], v[6:7], -v[4:5]
	v_accvgpr_read_b32 v6, a134
	;; [unrolled: 7-line block ×7, first 2 shown]
	v_accvgpr_read_b32 v8, a156
	v_accvgpr_read_b32 v9, a157
	v_add_f64 v[0:1], v[0:1], v[4:5]
	v_accvgpr_read_b32 v7, a155
	v_mul_f64 v[4:5], v[102:103], v[8:9]
	v_fma_f64 v[4:5], v[100:101], v[6:7], -v[4:5]
	v_add_f64 v[0:1], v[0:1], v[4:5]
	v_mul_f64 v[4:5], v[118:119], v[74:75]
	v_fma_f64 v[4:5], v[116:117], v[72:73], -v[4:5]
	v_add_f64 v[0:1], v[0:1], v[4:5]
	;; [unrolled: 3-line block ×21, first 2 shown]
	s_waitcnt vmcnt(0)
	v_add_f64 v[4:5], v[236:237], -v[0:1]
	v_accvgpr_read_b32 v0, a120
	v_add_f64 v[6:7], v[238:239], -v[2:3]
	v_cmp_ne_u32_e32 vcc, 0, v0
	scratch_store_dwordx4 off, v[4:7], off offset:32
	s_and_saveexec_b64 s[0:1], vcc
	s_cbranch_execz .LBB59_373
; %bb.372:
	scratch_load_dwordx4 v[2:5], off, off offset:16
	v_mov_b32_e32 v6, 0
	v_mov_b32_e32 v7, v6
	;; [unrolled: 1-line block ×4, first 2 shown]
	v_accvgpr_read_b32 v0, a121
	scratch_store_dwordx4 off, v[6:9], off offset:16
	s_waitcnt vmcnt(1)
	ds_write_b128 v0, v[2:5]
.LBB59_373:
	s_or_b64 exec, exec, s[0:1]
	s_waitcnt lgkmcnt(0)
	; wave barrier
	scratch_load_dwordx4 v[16:19], off, off offset:32
	scratch_load_dwordx4 v[20:23], off, off offset:48
	;; [unrolled: 1-line block ×30, first 2 shown]
	v_mov_b32_e32 v252, 0
	ds_read_b128 v[88:91], v252 offset:976
	ds_read_b128 v[92:95], v252 offset:992
	;; [unrolled: 1-line block ×17, first 2 shown]
	scratch_load_dwordx4 a[124:127], off, off offset:544
	scratch_load_dwordx4 a[128:131], off, off offset:560
	;; [unrolled: 1-line block ×6, first 2 shown]
	ds_read_b128 v[220:223], v252 offset:1312
	ds_read_b128 v[224:227], v252 offset:1328
	;; [unrolled: 1-line block ×8, first 2 shown]
	scratch_load_dwordx4 a[148:151], off, off offset:640
	scratch_load_dwordx4 a[152:155], off, off offset:656
	s_and_b64 vcc, exec, s[18:19]
	scratch_load_dwordx4 a[120:123], off, off offset:528
	s_waitcnt vmcnt(38) lgkmcnt(14)
	v_mul_f64 v[0:1], v[88:89], v[18:19]
	s_waitcnt vmcnt(37)
	v_mul_f64 v[2:3], v[92:93], v[22:23]
	v_fmac_f64_e32 v[0:1], v[90:91], v[16:17]
	s_waitcnt vmcnt(36)
	v_mul_f64 v[4:5], v[100:101], v[26:27]
	v_fmac_f64_e32 v[2:3], v[94:95], v[20:21]
	v_add_f64 v[0:1], v[0:1], 0
	s_waitcnt vmcnt(35)
	v_mul_f64 v[6:7], v[104:105], v[30:31]
	v_fmac_f64_e32 v[4:5], v[102:103], v[24:25]
	v_add_f64 v[0:1], v[0:1], v[2:3]
	;; [unrolled: 4-line block ×4, first 2 shown]
	v_fmac_f64_e32 v[10:11], v[114:115], v[36:37]
	v_add_f64 v[0:1], v[0:1], v[8:9]
	v_add_f64 v[0:1], v[0:1], v[10:11]
	scratch_load_dwordx4 v[8:11], off, off offset:512
	s_waitcnt vmcnt(33)
	v_mul_f64 v[12:13], v[116:117], v[42:43]
	s_waitcnt vmcnt(32)
	v_mul_f64 v[14:15], v[140:141], v[46:47]
	v_fmac_f64_e32 v[12:13], v[118:119], v[40:41]
	s_waitcnt vmcnt(31)
	v_mul_f64 v[204:205], v[152:153], v[50:51]
	v_fmac_f64_e32 v[14:15], v[142:143], v[44:45]
	v_add_f64 v[0:1], v[0:1], v[12:13]
	s_waitcnt vmcnt(30)
	v_mul_f64 v[206:207], v[164:165], v[54:55]
	v_fmac_f64_e32 v[204:205], v[154:155], v[48:49]
	v_add_f64 v[0:1], v[0:1], v[14:15]
	;; [unrolled: 4-line block ×3, first 2 shown]
	s_waitcnt vmcnt(28) lgkmcnt(13)
	v_mul_f64 v[210:211], v[180:181], v[62:63]
	v_fmac_f64_e32 v[208:209], v[178:179], v[56:57]
	v_add_f64 v[0:1], v[0:1], v[206:207]
	s_waitcnt vmcnt(27) lgkmcnt(12)
	v_mul_f64 v[212:213], v[184:185], v[66:67]
	v_fmac_f64_e32 v[210:211], v[182:183], v[60:61]
	v_add_f64 v[0:1], v[0:1], v[208:209]
	;; [unrolled: 4-line block ×3, first 2 shown]
	ds_read_b128 v[204:207], v252 offset:1248
	ds_read_b128 v[208:211], v252 offset:1264
	s_waitcnt vmcnt(25) lgkmcnt(12)
	v_mul_f64 v[216:217], v[192:193], v[74:75]
	v_fmac_f64_e32 v[214:215], v[190:191], v[68:69]
	v_add_f64 v[0:1], v[0:1], v[212:213]
	s_waitcnt vmcnt(24) lgkmcnt(11)
	v_mul_f64 v[218:219], v[196:197], v[78:79]
	v_fmac_f64_e32 v[216:217], v[194:195], v[72:73]
	v_add_f64 v[0:1], v[0:1], v[214:215]
	v_fmac_f64_e32 v[218:219], v[198:199], v[76:77]
	v_add_f64 v[0:1], v[0:1], v[216:217]
	s_waitcnt vmcnt(23) lgkmcnt(10)
	v_mul_f64 v[2:3], v[200:201], v[82:83]
	v_add_f64 v[0:1], v[0:1], v[218:219]
	v_fmac_f64_e32 v[2:3], v[202:203], v[80:81]
	ds_read_b128 v[212:215], v252 offset:1280
	ds_read_b128 v[216:219], v252 offset:1296
	v_add_f64 v[0:1], v[0:1], v[2:3]
	s_waitcnt vmcnt(22) lgkmcnt(3)
	v_mul_f64 v[2:3], v[204:205], v[86:87]
	v_fmac_f64_e32 v[2:3], v[206:207], v[84:85]
	v_add_f64 v[0:1], v[0:1], v[2:3]
	s_waitcnt vmcnt(21) lgkmcnt(2)
	v_mul_f64 v[2:3], v[208:209], v[98:99]
	v_fmac_f64_e32 v[2:3], v[210:211], v[96:97]
	;; [unrolled: 4-line block ×4, first 2 shown]
	v_add_f64 v[0:1], v[0:1], v[2:3]
	s_waitcnt vmcnt(18)
	v_mul_f64 v[2:3], v[220:221], v[130:131]
	v_fmac_f64_e32 v[2:3], v[222:223], v[128:129]
	v_add_f64 v[0:1], v[0:1], v[2:3]
	s_waitcnt vmcnt(17)
	v_mul_f64 v[2:3], v[224:225], v[134:135]
	v_fmac_f64_e32 v[2:3], v[226:227], v[132:133]
	;; [unrolled: 4-line block ×4, first 2 shown]
	v_add_f64 v[0:1], v[0:1], v[2:3]
	v_mul_f64 v[2:3], v[90:91], v[18:19]
	v_fma_f64 v[2:3], v[88:89], v[16:17], -v[2:3]
	v_accvgpr_write_b32 a161, v3
	v_accvgpr_write_b32 a160, v2
	s_waitcnt vmcnt(14)
	v_mul_f64 v[2:3], v[236:237], v[150:151]
	v_fmac_f64_e32 v[2:3], v[238:239], v[148:149]
	v_add_f64 v[0:1], v[0:1], v[2:3]
	s_waitcnt vmcnt(13)
	v_mul_f64 v[2:3], v[240:241], v[158:159]
	v_fmac_f64_e32 v[2:3], v[242:243], v[156:157]
	v_add_f64 v[0:1], v[0:1], v[2:3]
	s_waitcnt vmcnt(12)
	v_mul_f64 v[2:3], v[244:245], v[162:163]
	v_fmac_f64_e32 v[2:3], v[246:247], v[160:161]
	v_add_f64 v[88:89], v[0:1], v[2:3]
	v_mul_f64 v[0:1], v[106:107], v[30:31]
	v_fma_f64 v[90:91], v[104:105], v[28:29], -v[0:1]
	v_mul_f64 v[0:1], v[110:111], v[34:35]
	v_mul_f64 v[22:23], v[94:95], v[22:23]
	;; [unrolled: 1-line block ×3, first 2 shown]
	v_fma_f64 v[26:27], v[108:109], v[32:33], -v[0:1]
	v_mul_f64 v[0:1], v[114:115], v[38:39]
	v_fma_f64 v[254:255], v[92:93], v[20:21], -v[22:23]
	v_fma_f64 v[92:93], v[100:101], v[24:25], -v[6:7]
	;; [unrolled: 1-line block ×3, first 2 shown]
	ds_read_b128 v[0:3], v252 offset:1440
	v_mul_f64 v[36:37], v[118:119], v[42:43]
	v_fma_f64 v[20:21], v[116:117], v[40:41], -v[36:37]
	ds_read_b128 v[36:39], v252 offset:1456
	s_waitcnt vmcnt(11)
	v_mul_f64 v[14:15], v[248:249], v[170:171]
	scratch_load_dwordx4 v[40:43], off, off offset:672
	v_fmac_f64_e32 v[14:15], v[250:251], v[168:169]
	s_waitcnt vmcnt(11) lgkmcnt(1)
	v_mul_f64 v[18:19], v[0:1], v[174:175]
	v_add_f64 v[14:15], v[88:89], v[14:15]
	v_fmac_f64_e32 v[18:19], v[2:3], v[172:173]
	ds_read_b128 v[32:35], v252 offset:1472
	ds_read_b128 v[100:103], v252 offset:1488
	s_waitcnt vmcnt(1)
	v_mov_b64_e32 v[4:5], v[8:9]
	v_add_f64 v[14:15], v[14:15], v[18:19]
	v_mul_f64 v[18:19], v[142:143], v[46:47]
	v_mov_b64_e32 v[6:7], v[10:11]
	v_fma_f64 v[18:19], v[140:141], v[44:45], -v[18:19]
	v_mul_f64 v[44:45], v[154:155], v[50:51]
	s_waitcnt lgkmcnt(2)
	v_mul_f64 v[22:23], v[36:37], v[6:7]
	v_fma_f64 v[16:17], v[152:153], v[48:49], -v[44:45]
	v_fmac_f64_e32 v[22:23], v[38:39], v[4:5]
	scratch_load_dwordx4 v[48:51], off, off offset:688
	v_accvgpr_read_b32 v4, a120
	v_mul_f64 v[44:45], v[166:167], v[54:55]
	v_add_f64 v[14:15], v[14:15], v[22:23]
	v_mul_f64 v[22:23], v[178:179], v[58:59]
	v_accvgpr_read_b32 v6, a122
	v_accvgpr_read_b32 v7, a123
	v_fma_f64 v[164:165], v[164:165], v[52:53], -v[44:45]
	scratch_load_dwordx4 v[44:47], off, off offset:704
	scratch_load_dwordx4 v[52:55], off, off offset:720
	v_fma_f64 v[22:23], v[176:177], v[56:57], -v[22:23]
	v_accvgpr_read_b32 v5, a121
	s_waitcnt lgkmcnt(1)
	v_mul_f64 v[56:57], v[32:33], v[6:7]
	v_fmac_f64_e32 v[56:57], v[34:35], v[4:5]
	v_add_f64 v[14:15], v[14:15], v[56:57]
	v_mul_f64 v[56:57], v[182:183], v[62:63]
	v_accvgpr_read_b32 v4, a124
	v_fma_f64 v[166:167], v[180:181], v[60:61], -v[56:57]
	v_mul_f64 v[60:61], v[186:187], v[66:67]
	v_accvgpr_read_b32 v6, a126
	v_accvgpr_read_b32 v7, a127
	v_fma_f64 v[176:177], v[184:185], v[64:65], -v[60:61]
	ds_read_b128 v[104:107], v252 offset:1504
	v_accvgpr_read_b32 v5, a125
	s_waitcnt lgkmcnt(1)
	v_mul_f64 v[64:65], v[100:101], v[6:7]
	scratch_load_dwordx4 v[56:59], off, off offset:736
	v_fmac_f64_e32 v[64:65], v[102:103], v[4:5]
	v_mul_f64 v[60:61], v[190:191], v[70:71]
	v_add_f64 v[14:15], v[14:15], v[64:65]
	v_mul_f64 v[64:65], v[194:195], v[74:75]
	v_fma_f64 v[178:179], v[188:189], v[68:69], -v[60:61]
	scratch_load_dwordx4 v[60:63], off, off offset:752
	v_accvgpr_read_b32 v4, a128
	v_fma_f64 v[180:181], v[192:193], v[72:73], -v[64:65]
	scratch_load_dwordx4 v[68:71], off, off offset:768
	scratch_load_dwordx4 v[64:67], off, off offset:784
	ds_read_b128 v[108:111], v252 offset:1520
	ds_read_b128 v[112:115], v252 offset:1536
	v_accvgpr_read_b32 v6, a130
	v_accvgpr_read_b32 v7, a131
	;; [unrolled: 1-line block ×3, first 2 shown]
	s_waitcnt lgkmcnt(2)
	v_mul_f64 v[116:117], v[104:105], v[6:7]
	v_fmac_f64_e32 v[116:117], v[106:107], v[4:5]
	v_accvgpr_read_b32 v4, a132
	v_mul_f64 v[72:73], v[198:199], v[78:79]
	v_accvgpr_read_b32 v6, a134
	v_accvgpr_read_b32 v7, a135
	v_fma_f64 v[182:183], v[196:197], v[76:77], -v[72:73]
	v_mul_f64 v[72:73], v[202:203], v[82:83]
	v_accvgpr_read_b32 v5, a133
	s_waitcnt lgkmcnt(1)
	v_mul_f64 v[76:77], v[108:109], v[6:7]
	v_fma_f64 v[12:13], v[200:201], v[80:81], -v[72:73]
	scratch_load_dwordx4 v[72:75], off, off offset:800
	v_add_f64 v[14:15], v[14:15], v[116:117]
	v_fmac_f64_e32 v[76:77], v[110:111], v[4:5]
	v_accvgpr_read_b32 v4, a136
	ds_read_b128 v[116:119], v252 offset:1552
	v_accvgpr_write_b32 a159, v11
	v_add_f64 v[14:15], v[14:15], v[76:77]
	v_accvgpr_read_b32 v6, a138
	v_accvgpr_read_b32 v7, a139
	v_mul_f64 v[76:77], v[206:207], v[86:87]
	v_accvgpr_write_b32 a158, v10
	v_accvgpr_write_b32 a157, v9
	;; [unrolled: 1-line block ×3, first 2 shown]
	v_accvgpr_read_b32 v5, a137
	s_waitcnt lgkmcnt(1)
	v_mul_f64 v[88:89], v[112:113], v[6:7]
	v_fma_f64 v[10:11], v[204:205], v[84:85], -v[76:77]
	scratch_load_dwordx4 v[76:79], off, off offset:816
	v_fmac_f64_e32 v[88:89], v[114:115], v[4:5]
	v_accvgpr_read_b32 v4, a140
	v_mul_f64 v[30:31], v[210:211], v[98:99]
	scratch_load_dwordx4 v[80:83], off, off offset:832
	v_mul_f64 v[84:85], v[214:215], v[122:123]
	v_accvgpr_read_b32 v6, a142
	v_accvgpr_read_b32 v7, a143
	v_fma_f64 v[30:31], v[208:209], v[96:97], -v[30:31]
	v_add_f64 v[14:15], v[14:15], v[88:89]
	v_fma_f64 v[88:89], v[212:213], v[120:121], -v[84:85]
	ds_read_b128 v[120:123], v252 offset:1568
	v_accvgpr_read_b32 v5, a141
	s_waitcnt lgkmcnt(1)
	v_mul_f64 v[96:97], v[116:117], v[6:7]
	scratch_load_dwordx4 v[84:87], off, off offset:848
	v_fmac_f64_e32 v[96:97], v[118:119], v[4:5]
	v_add_f64 v[14:15], v[14:15], v[96:97]
	v_mul_f64 v[96:97], v[218:219], v[126:127]
	v_fma_f64 v[8:9], v[216:217], v[124:125], -v[96:97]
	scratch_load_dwordx4 v[96:99], off, off offset:864
	ds_read_b128 v[124:127], v252 offset:1584
	v_accvgpr_read_b32 v4, a144
	v_mul_f64 v[28:29], v[222:223], v[130:131]
	v_accvgpr_read_b32 v6, a146
	v_accvgpr_read_b32 v7, a147
	v_fma_f64 v[28:29], v[220:221], v[128:129], -v[28:29]
	v_accvgpr_read_b32 v5, a145
	s_waitcnt lgkmcnt(1)
	v_mul_f64 v[140:141], v[120:121], v[6:7]
	ds_read_b128 v[128:131], v252 offset:1600
	v_fmac_f64_e32 v[140:141], v[122:123], v[4:5]
	v_accvgpr_read_b32 v4, a148
	v_accvgpr_read_b32 v6, a150
	;; [unrolled: 1-line block ×3, first 2 shown]
	v_mul_f64 v[134:135], v[226:227], v[134:135]
	v_add_f64 v[14:15], v[14:15], v[140:141]
	s_waitcnt lgkmcnt(1)
	v_mul_f64 v[140:141], v[124:125], v[6:7]
	v_fma_f64 v[6:7], v[224:225], v[132:133], -v[134:135]
	v_accvgpr_read_b32 v132, a152
	v_accvgpr_read_b32 v134, a154
	;; [unrolled: 1-line block ×4, first 2 shown]
	s_waitcnt lgkmcnt(0)
	v_mul_f64 v[94:95], v[128:129], v[134:135]
	v_fmac_f64_e32 v[94:95], v[130:131], v[132:133]
	ds_read_b128 v[132:135], v252 offset:1616
	v_accvgpr_read_b32 v5, a149
	v_fmac_f64_e32 v[140:141], v[126:127], v[4:5]
	v_add_f64 v[14:15], v[14:15], v[140:141]
	v_add_f64 v[14:15], v[14:15], v[94:95]
	v_mul_f64 v[94:95], v[230:231], v[138:139]
	v_fma_f64 v[94:95], v[228:229], v[136:137], -v[94:95]
	ds_read_b128 v[136:139], v252 offset:1632
	s_waitcnt vmcnt(12) lgkmcnt(1)
	v_mul_f64 v[140:141], v[132:133], v[42:43]
	v_fmac_f64_e32 v[140:141], v[134:135], v[40:41]
	v_add_f64 v[14:15], v[14:15], v[140:141]
	ds_read_b128 v[140:143], v252 offset:1648
	v_mul_f64 v[146:147], v[234:235], v[146:147]
	s_waitcnt vmcnt(11) lgkmcnt(1)
	v_mul_f64 v[152:153], v[136:137], v[50:51]
	v_fma_f64 v[232:233], v[232:233], v[144:145], -v[146:147]
	ds_read_b128 v[144:147], v252 offset:1664
	v_fmac_f64_e32 v[152:153], v[138:139], v[48:49]
	v_mul_f64 v[150:151], v[238:239], v[150:151]
	v_add_f64 v[14:15], v[14:15], v[152:153]
	s_waitcnt vmcnt(10) lgkmcnt(1)
	v_mul_f64 v[152:153], v[140:141], v[46:47]
	v_fma_f64 v[234:235], v[236:237], v[148:149], -v[150:151]
	ds_read_b128 v[148:151], v252 offset:1680
	v_fmac_f64_e32 v[152:153], v[142:143], v[44:45]
	v_add_f64 v[14:15], v[14:15], v[152:153]
	ds_read_b128 v[152:155], v252 offset:1696
	s_waitcnt vmcnt(9) lgkmcnt(2)
	v_mul_f64 v[184:185], v[144:145], v[54:55]
	v_mul_f64 v[158:159], v[242:243], v[158:159]
	v_fmac_f64_e32 v[184:185], v[146:147], v[52:53]
	v_fma_f64 v[236:237], v[240:241], v[156:157], -v[158:159]
	ds_read_b128 v[156:159], v252 offset:1712
	v_add_f64 v[14:15], v[14:15], v[184:185]
	s_waitcnt vmcnt(8) lgkmcnt(2)
	v_mul_f64 v[184:185], v[148:149], v[58:59]
	v_mul_f64 v[162:163], v[246:247], v[162:163]
	v_fmac_f64_e32 v[184:185], v[150:151], v[56:57]
	v_fma_f64 v[4:5], v[244:245], v[160:161], -v[162:163]
	ds_read_b128 v[160:163], v252 offset:1728
	v_add_f64 v[14:15], v[14:15], v[184:185]
	s_waitcnt vmcnt(7) lgkmcnt(2)
	v_mul_f64 v[184:185], v[152:153], v[62:63]
	v_fmac_f64_e32 v[184:185], v[154:155], v[60:61]
	ds_read_b128 v[240:243], v252 offset:1744
	v_add_f64 v[14:15], v[14:15], v[184:185]
	s_waitcnt vmcnt(6) lgkmcnt(2)
	v_mul_f64 v[184:185], v[156:157], v[70:71]
	v_mul_f64 v[170:171], v[250:251], v[170:171]
	v_fmac_f64_e32 v[184:185], v[158:159], v[68:69]
	v_fma_f64 v[238:239], v[248:249], v[168:169], -v[170:171]
	ds_read_b128 v[168:171], v252 offset:1760
	v_add_f64 v[14:15], v[14:15], v[184:185]
	s_waitcnt vmcnt(5) lgkmcnt(2)
	v_mul_f64 v[184:185], v[160:161], v[66:67]
	v_mul_f64 v[2:3], v[2:3], v[174:175]
	v_fmac_f64_e32 v[184:185], v[162:163], v[64:65]
	v_fma_f64 v[248:249], v[0:1], v[172:173], -v[2:3]
	ds_read_b128 v[172:175], v252 offset:1776
	ds_read_b128 v[0:3], v252 offset:1792
	v_add_f64 v[14:15], v[14:15], v[184:185]
	s_waitcnt vmcnt(4) lgkmcnt(3)
	v_mul_f64 v[184:185], v[240:241], v[74:75]
	v_fmac_f64_e32 v[184:185], v[242:243], v[72:73]
	v_add_f64 v[14:15], v[14:15], v[184:185]
	s_waitcnt vmcnt(3) lgkmcnt(2)
	v_mul_f64 v[184:185], v[168:169], v[78:79]
	v_fmac_f64_e32 v[184:185], v[170:171], v[76:77]
	ds_read_b128 v[244:247], v252 offset:1808
	ds_read_b128 v[188:191], v252 offset:1824
	v_add_f64 v[14:15], v[14:15], v[184:185]
	s_waitcnt vmcnt(2) lgkmcnt(3)
	v_mul_f64 v[184:185], v[172:173], v[82:83]
	v_fmac_f64_e32 v[184:185], v[174:175], v[80:81]
	v_add_f64 v[14:15], v[14:15], v[184:185]
	s_waitcnt vmcnt(1) lgkmcnt(2)
	v_mul_f64 v[184:185], v[0:1], v[86:87]
	v_fmac_f64_e32 v[184:185], v[2:3], v[84:85]
	;; [unrolled: 4-line block ×3, first 2 shown]
	v_add_f64 v[14:15], v[14:15], v[184:185]
	scratch_load_dwordx4 v[184:187], off, off offset:880
	ds_read_b128 v[196:199], v252 offset:1840
	ds_read_b128 v[204:207], v252 offset:1856
	;; [unrolled: 1-line block ×5, first 2 shown]
	v_mul_f64 v[2:3], v[2:3], v[86:87]
	v_fma_f64 v[0:1], v[0:1], v[84:85], -v[2:3]
	v_mul_f64 v[2:3], v[246:247], v[98:99]
	v_fma_f64 v[2:3], v[244:245], v[96:97], -v[2:3]
	s_waitcnt vmcnt(0) lgkmcnt(5)
	v_mul_f64 v[192:193], v[188:189], v[186:187]
	v_fmac_f64_e32 v[192:193], v[190:191], v[184:185]
	v_add_f64 v[14:15], v[14:15], v[192:193]
	scratch_load_dwordx4 v[192:195], off, off offset:896
	s_waitcnt vmcnt(0) lgkmcnt(4)
	v_mul_f64 v[200:201], v[196:197], v[194:195]
	v_fmac_f64_e32 v[200:201], v[198:199], v[192:193]
	v_add_f64 v[14:15], v[14:15], v[200:201]
	scratch_load_dwordx4 v[200:203], off, off offset:912
	;; [unrolled: 5-line block ×5, first 2 shown]
	s_waitcnt vmcnt(0) lgkmcnt(0)
	v_mul_f64 v[250:251], v[228:229], v[226:227]
	v_fmac_f64_e32 v[250:251], v[230:231], v[224:225]
	v_add_f64 v[14:15], v[14:15], v[250:251]
	v_accvgpr_read_b32 v251, a161
	v_accvgpr_read_b32 v250, a160
	v_add_f64 v[250:251], v[250:251], 0
	v_add_f64 v[250:251], v[250:251], v[254:255]
	;; [unrolled: 1-line block ×26, first 2 shown]
	scratch_load_dwordx4 v[232:235], off, off offset:16
	v_accvgpr_read_b32 v8, a156
	v_add_f64 v[6:7], v[6:7], v[236:237]
	v_accvgpr_read_b32 v10, a158
	v_accvgpr_read_b32 v11, a159
	v_add_f64 v[250:251], v[6:7], v[4:5]
	v_accvgpr_read_b32 v9, a157
	v_mul_f64 v[6:7], v[38:39], v[10:11]
	v_add_f64 v[4:5], v[250:251], v[238:239]
	v_fma_f64 v[6:7], v[36:37], v[8:9], -v[6:7]
	v_accvgpr_read_b32 v8, a120
	v_add_f64 v[4:5], v[4:5], v[248:249]
	v_accvgpr_read_b32 v10, a122
	v_accvgpr_read_b32 v11, a123
	v_add_f64 v[4:5], v[4:5], v[6:7]
	v_accvgpr_read_b32 v9, a121
	v_mul_f64 v[6:7], v[34:35], v[10:11]
	v_fma_f64 v[6:7], v[32:33], v[8:9], -v[6:7]
	v_accvgpr_read_b32 v8, a124
	v_accvgpr_read_b32 v10, a126
	v_accvgpr_read_b32 v11, a127
	v_add_f64 v[4:5], v[4:5], v[6:7]
	v_accvgpr_read_b32 v9, a125
	v_mul_f64 v[6:7], v[102:103], v[10:11]
	v_fma_f64 v[6:7], v[100:101], v[8:9], -v[6:7]
	v_accvgpr_read_b32 v8, a128
	v_accvgpr_read_b32 v10, a130
	v_accvgpr_read_b32 v11, a131
	v_add_f64 v[4:5], v[4:5], v[6:7]
	v_accvgpr_read_b32 v9, a129
	v_mul_f64 v[6:7], v[106:107], v[10:11]
	v_fma_f64 v[6:7], v[104:105], v[8:9], -v[6:7]
	v_accvgpr_read_b32 v8, a132
	v_accvgpr_read_b32 v10, a134
	v_accvgpr_read_b32 v11, a135
	v_add_f64 v[4:5], v[4:5], v[6:7]
	v_accvgpr_read_b32 v9, a133
	v_mul_f64 v[6:7], v[110:111], v[10:11]
	v_fma_f64 v[6:7], v[108:109], v[8:9], -v[6:7]
	v_accvgpr_read_b32 v8, a136
	v_accvgpr_read_b32 v10, a138
	v_accvgpr_read_b32 v11, a139
	v_add_f64 v[4:5], v[4:5], v[6:7]
	v_accvgpr_read_b32 v9, a137
	v_mul_f64 v[6:7], v[114:115], v[10:11]
	v_fma_f64 v[6:7], v[112:113], v[8:9], -v[6:7]
	v_accvgpr_read_b32 v8, a140
	v_accvgpr_read_b32 v10, a142
	v_accvgpr_read_b32 v11, a143
	v_add_f64 v[4:5], v[4:5], v[6:7]
	v_accvgpr_read_b32 v9, a141
	v_mul_f64 v[6:7], v[118:119], v[10:11]
	v_fma_f64 v[6:7], v[116:117], v[8:9], -v[6:7]
	v_accvgpr_read_b32 v8, a144
	v_accvgpr_read_b32 v10, a146
	v_accvgpr_read_b32 v11, a147
	v_add_f64 v[4:5], v[4:5], v[6:7]
	v_accvgpr_read_b32 v9, a145
	v_mul_f64 v[6:7], v[122:123], v[10:11]
	v_fma_f64 v[6:7], v[120:121], v[8:9], -v[6:7]
	v_accvgpr_read_b32 v8, a148
	v_accvgpr_read_b32 v10, a150
	v_accvgpr_read_b32 v11, a151
	v_add_f64 v[4:5], v[4:5], v[6:7]
	v_accvgpr_read_b32 v9, a149
	v_mul_f64 v[6:7], v[126:127], v[10:11]
	v_fma_f64 v[6:7], v[124:125], v[8:9], -v[6:7]
	v_accvgpr_read_b32 v8, a152
	v_accvgpr_read_b32 v10, a154
	v_accvgpr_read_b32 v11, a155
	v_add_f64 v[4:5], v[4:5], v[6:7]
	v_accvgpr_read_b32 v9, a153
	v_mul_f64 v[6:7], v[130:131], v[10:11]
	v_fma_f64 v[6:7], v[128:129], v[8:9], -v[6:7]
	v_add_f64 v[4:5], v[4:5], v[6:7]
	v_mul_f64 v[6:7], v[134:135], v[42:43]
	v_fma_f64 v[6:7], v[132:133], v[40:41], -v[6:7]
	v_add_f64 v[4:5], v[4:5], v[6:7]
	;; [unrolled: 3-line block ×12, first 2 shown]
	v_add_f64 v[0:1], v[4:5], v[0:1]
	v_add_f64 v[0:1], v[0:1], v[2:3]
	v_mul_f64 v[2:3], v[190:191], v[186:187]
	v_fma_f64 v[2:3], v[188:189], v[184:185], -v[2:3]
	v_add_f64 v[0:1], v[0:1], v[2:3]
	v_mul_f64 v[2:3], v[198:199], v[194:195]
	v_fma_f64 v[2:3], v[196:197], v[192:193], -v[2:3]
	v_add_f64 v[0:1], v[0:1], v[2:3]
	v_mul_f64 v[2:3], v[206:207], v[202:203]
	v_fma_f64 v[2:3], v[204:205], v[200:201], -v[2:3]
	v_add_f64 v[0:1], v[0:1], v[2:3]
	v_mul_f64 v[2:3], v[214:215], v[210:211]
	v_fma_f64 v[2:3], v[212:213], v[208:209], -v[2:3]
	v_add_f64 v[0:1], v[0:1], v[2:3]
	v_mul_f64 v[2:3], v[222:223], v[218:219]
	v_fma_f64 v[2:3], v[220:221], v[216:217], -v[2:3]
	v_add_f64 v[0:1], v[0:1], v[2:3]
	v_mul_f64 v[2:3], v[230:231], v[226:227]
	v_fma_f64 v[2:3], v[228:229], v[224:225], -v[2:3]
	v_add_f64 v[0:1], v[0:1], v[2:3]
	s_waitcnt vmcnt(0)
	v_add_f64 v[0:1], v[232:233], -v[0:1]
	v_add_f64 v[2:3], v[234:235], -v[14:15]
	scratch_store_dwordx4 off, v[0:3], off offset:16
	s_cbranch_vccz .LBB59_492
; %bb.374:
	global_load_dword v0, v252, s[16:17] offset:232
	s_waitcnt vmcnt(0)
	v_readfirstlane_b32 s0, v0
	s_add_i32 s0, s0, -1
	s_cmp_lg_u32 s0, 58
	s_cbranch_scc0 .LBB59_376
; %bb.375:
	s_lshl_b32 s0, s0, 4
	s_add_i32 s0, s0, 16
	scratch_load_dwordx4 v[0:3], off, s0
	scratch_load_dwordx4 v[4:7], off, s74
	s_waitcnt vmcnt(1)
	scratch_store_dwordx4 off, v[0:3], s74
	s_waitcnt vmcnt(1)
	scratch_store_dwordx4 off, v[4:7], s0
.LBB59_376:
	v_mov_b32_e32 v0, 0
	global_load_dword v1, v0, s[16:17] offset:228
	s_waitcnt vmcnt(0)
	v_readfirstlane_b32 s0, v1
	s_add_i32 s0, s0, -1
	s_cmp_eq_u32 s0, 57
	s_cbranch_scc1 .LBB59_378
; %bb.377:
	s_lshl_b32 s0, s0, 4
	s_add_i32 s0, s0, 16
	scratch_load_dwordx4 v[2:5], off, s0
	scratch_load_dwordx4 v[6:9], off, s73
	s_waitcnt vmcnt(1)
	scratch_store_dwordx4 off, v[2:5], s73
	s_waitcnt vmcnt(1)
	scratch_store_dwordx4 off, v[6:9], s0
.LBB59_378:
	global_load_dword v0, v0, s[16:17] offset:224
	s_waitcnt vmcnt(0)
	v_readfirstlane_b32 s0, v0
	s_add_i32 s0, s0, -1
	s_cmp_eq_u32 s0, 56
	s_cbranch_scc1 .LBB59_380
; %bb.379:
	s_lshl_b32 s0, s0, 4
	s_add_i32 s0, s0, 16
	scratch_load_dwordx4 v[0:3], off, s0
	scratch_load_dwordx4 v[4:7], off, s72
	s_waitcnt vmcnt(1)
	scratch_store_dwordx4 off, v[0:3], s72
	s_waitcnt vmcnt(1)
	scratch_store_dwordx4 off, v[4:7], s0
.LBB59_380:
	v_mov_b32_e32 v0, 0
	global_load_dword v1, v0, s[16:17] offset:220
	s_waitcnt vmcnt(0)
	v_readfirstlane_b32 s0, v1
	s_add_i32 s0, s0, -1
	s_cmp_eq_u32 s0, 55
	s_cbranch_scc1 .LBB59_382
; %bb.381:
	s_lshl_b32 s0, s0, 4
	s_add_i32 s0, s0, 16
	scratch_load_dwordx4 v[2:5], off, s0
	scratch_load_dwordx4 v[6:9], off, s71
	s_waitcnt vmcnt(1)
	scratch_store_dwordx4 off, v[2:5], s71
	s_waitcnt vmcnt(1)
	scratch_store_dwordx4 off, v[6:9], s0
.LBB59_382:
	global_load_dword v0, v0, s[16:17] offset:216
	s_waitcnt vmcnt(0)
	v_readfirstlane_b32 s0, v0
	s_add_i32 s0, s0, -1
	s_cmp_eq_u32 s0, 54
	s_cbranch_scc1 .LBB59_384
; %bb.383:
	s_lshl_b32 s0, s0, 4
	s_add_i32 s0, s0, 16
	scratch_load_dwordx4 v[0:3], off, s0
	scratch_load_dwordx4 v[4:7], off, s70
	s_waitcnt vmcnt(1)
	scratch_store_dwordx4 off, v[0:3], s70
	s_waitcnt vmcnt(1)
	scratch_store_dwordx4 off, v[4:7], s0
.LBB59_384:
	;; [unrolled: 33-line block ×28, first 2 shown]
	v_mov_b32_e32 v0, 0
	global_load_dword v1, v0, s[16:17] offset:4
	s_waitcnt vmcnt(0)
	v_readfirstlane_b32 s0, v1
	s_add_i32 s0, s0, -1
	s_cmp_eq_u32 s0, 1
	s_cbranch_scc1 .LBB59_490
; %bb.489:
	s_lshl_b32 s0, s0, 4
	s_add_i32 s0, s0, 16
	scratch_load_dwordx4 v[2:5], off, s0
	scratch_load_dwordx4 v[6:9], off, s20
	s_waitcnt vmcnt(1)
	scratch_store_dwordx4 off, v[2:5], s20
	s_waitcnt vmcnt(1)
	scratch_store_dwordx4 off, v[6:9], s0
.LBB59_490:
	global_load_dword v0, v0, s[16:17]
	s_waitcnt vmcnt(0)
	v_readfirstlane_b32 s0, v0
	s_add_i32 s0, s0, -1
	s_cmp_eq_u32 s0, 0
	s_cbranch_scc1 .LBB59_492
; %bb.491:
	s_lshl_b32 s0, s0, 4
	s_add_i32 s0, s0, 16
	scratch_load_dwordx4 v[0:3], off, s0
	scratch_load_dwordx4 v[4:7], off, off offset:16
	s_waitcnt vmcnt(1)
	scratch_store_dwordx4 off, v[0:3], off offset:16
	s_waitcnt vmcnt(1)
	scratch_store_dwordx4 off, v[4:7], s0
.LBB59_492:
	scratch_load_dwordx4 v[0:3], off, off offset:16
	s_nop 0
	scratch_load_dwordx4 v[4:7], off, s20
	scratch_load_dwordx4 v[8:11], off, s15
	;; [unrolled: 1-line block ×31, first 2 shown]
	v_accvgpr_read_b32 v129, a1
	v_accvgpr_read_b32 v128, a0
	;; [unrolled: 1-line block ×22, first 2 shown]
	s_waitcnt vmcnt(31)
	global_store_dwordx4 v[128:129], v[0:3], off
	scratch_load_dwordx4 v[0:3], off, s21
	s_nop 0
	scratch_load_dwordx4 v[128:131], off, s22
	s_waitcnt vmcnt(33)
	global_store_dwordx4 v[132:133], v[4:7], off
	scratch_load_dwordx4 v[4:7], off, s49
	s_nop 0
	scratch_load_dwordx4 v[132:135], off, s50
	s_waitcnt vmcnt(35)
	global_store_dwordx4 v[136:137], v[8:11], off
	v_accvgpr_read_b32 v137, a9
	v_accvgpr_read_b32 v136, a8
	v_accvgpr_read_b32 v9, a7
	v_accvgpr_read_b32 v8, a6
	s_waitcnt vmcnt(35)
	global_store_dwordx4 v[8:9], v[12:15], off
	scratch_load_dwordx4 v[8:11], off, s51
	s_nop 0
	scratch_load_dwordx4 v[12:15], off, s52
	s_waitcnt vmcnt(37)
	global_store_dwordx4 v[136:137], v[16:19], off
	scratch_load_dwordx4 v[16:19], off, s53
	s_nop 0
	scratch_load_dwordx4 v[136:139], off, s54
	s_waitcnt vmcnt(39)
	global_store_dwordx4 v[140:141], v[20:23], off
	scratch_load_dwordx4 v[20:23], off, s55
	s_nop 0
	scratch_load_dwordx4 v[140:143], off, s56
	s_waitcnt vmcnt(41)
	global_store_dwordx4 v[144:145], v[24:27], off
	v_accvgpr_read_b32 v145, a17
	v_accvgpr_read_b32 v144, a16
	v_accvgpr_read_b32 v25, a15
	v_accvgpr_read_b32 v24, a14
	s_waitcnt vmcnt(41)
	global_store_dwordx4 v[24:25], v[28:31], off
	scratch_load_dwordx4 v[24:27], off, s57
	s_nop 0
	scratch_load_dwordx4 v[28:31], off, s58
	s_waitcnt vmcnt(43)
	global_store_dwordx4 v[144:145], v[32:35], off
	scratch_load_dwordx4 v[32:35], off, s59
	s_nop 0
	scratch_load_dwordx4 v[144:147], off, s60
	s_waitcnt vmcnt(45)
	global_store_dwordx4 v[148:149], v[36:39], off
	scratch_load_dwordx4 v[36:39], off, s61
	s_nop 0
	scratch_load_dwordx4 v[148:151], off, s62
	s_waitcnt vmcnt(47)
	global_store_dwordx4 v[152:153], v[40:43], off
	v_accvgpr_read_b32 v153, a25
	v_accvgpr_read_b32 v152, a24
	v_accvgpr_read_b32 v41, a23
	v_accvgpr_read_b32 v40, a22
	s_waitcnt vmcnt(47)
	global_store_dwordx4 v[40:41], v[44:47], off
	scratch_load_dwordx4 v[40:43], off, s63
	s_nop 0
	scratch_load_dwordx4 v[44:47], off, s64
	s_waitcnt vmcnt(49)
	global_store_dwordx4 v[152:153], v[48:51], off
	scratch_load_dwordx4 v[48:51], off, s65
	s_nop 0
	scratch_load_dwordx4 v[152:155], off, s66
	s_waitcnt vmcnt(51)
	global_store_dwordx4 v[156:157], v[52:55], off
	scratch_load_dwordx4 v[52:55], off, s67
	s_nop 0
	scratch_load_dwordx4 v[156:159], off, s68
	s_waitcnt vmcnt(53)
	global_store_dwordx4 v[160:161], v[56:59], off
	v_accvgpr_read_b32 v161, a33
	v_accvgpr_read_b32 v160, a32
	v_accvgpr_read_b32 v57, a31
	v_accvgpr_read_b32 v56, a30
	s_waitcnt vmcnt(53)
	global_store_dwordx4 v[56:57], v[60:63], off
	scratch_load_dwordx4 v[56:59], off, s69
	s_nop 0
	scratch_load_dwordx4 v[60:63], off, s70
	s_waitcnt vmcnt(55)
	global_store_dwordx4 v[160:161], v[64:67], off
	scratch_load_dwordx4 v[64:67], off, s71
	s_nop 0
	scratch_load_dwordx4 v[160:163], off, s72
	s_waitcnt vmcnt(57)
	global_store_dwordx4 v[164:165], v[68:71], off
	scratch_load_dwordx4 v[68:71], off, s73
	s_nop 0
	scratch_load_dwordx4 v[164:167], off, s74
	s_waitcnt vmcnt(59)
	global_store_dwordx4 v[168:169], v[72:75], off
	s_nop 1
	v_accvgpr_read_b32 v73, a39
	v_accvgpr_read_b32 v72, a38
	s_waitcnt vmcnt(59)
	global_store_dwordx4 v[72:73], v[76:79], off
	v_accvgpr_read_b32 v73, a41
	v_accvgpr_read_b32 v72, a40
	s_waitcnt vmcnt(59)
	global_store_dwordx4 v[72:73], v[80:83], off
	;; [unrolled: 4-line block ×13, first 2 shown]
	s_nop 1
	v_accvgpr_read_b32 v0, a64
	v_accvgpr_read_b32 v1, a65
	s_waitcnt vmcnt(57)
	global_store_dwordx4 v[0:1], v[128:131], off
	v_accvgpr_read_b32 v0, a66
	v_accvgpr_read_b32 v1, a67
	s_waitcnt vmcnt(56)
	global_store_dwordx4 v[0:1], v[4:7], off
	;; [unrolled: 4-line block ×27, first 2 shown]
	v_accvgpr_read_b32 v0, a118
	v_accvgpr_read_b32 v1, a119
	global_store_dwordx4 v[0:1], v[124:127], off
	s_endpgm
	.section	.rodata,"a",@progbits
	.p2align	6, 0x0
	.amdhsa_kernel _ZN9rocsolver6v33100L18getri_kernel_smallILi60E19rocblas_complex_numIdEPS3_EEvT1_iilPiilS6_bb
		.amdhsa_group_segment_fixed_size 1928
		.amdhsa_private_segment_fixed_size 992
		.amdhsa_kernarg_size 60
		.amdhsa_user_sgpr_count 2
		.amdhsa_user_sgpr_dispatch_ptr 0
		.amdhsa_user_sgpr_queue_ptr 0
		.amdhsa_user_sgpr_kernarg_segment_ptr 1
		.amdhsa_user_sgpr_dispatch_id 0
		.amdhsa_user_sgpr_kernarg_preload_length 0
		.amdhsa_user_sgpr_kernarg_preload_offset 0
		.amdhsa_user_sgpr_private_segment_size 0
		.amdhsa_uses_dynamic_stack 0
		.amdhsa_enable_private_segment 1
		.amdhsa_system_sgpr_workgroup_id_x 1
		.amdhsa_system_sgpr_workgroup_id_y 0
		.amdhsa_system_sgpr_workgroup_id_z 0
		.amdhsa_system_sgpr_workgroup_info 0
		.amdhsa_system_vgpr_workitem_id 0
		.amdhsa_next_free_vgpr 418
		.amdhsa_next_free_sgpr 76
		.amdhsa_accum_offset 256
		.amdhsa_reserve_vcc 1
		.amdhsa_float_round_mode_32 0
		.amdhsa_float_round_mode_16_64 0
		.amdhsa_float_denorm_mode_32 3
		.amdhsa_float_denorm_mode_16_64 3
		.amdhsa_dx10_clamp 1
		.amdhsa_ieee_mode 1
		.amdhsa_fp16_overflow 0
		.amdhsa_tg_split 0
		.amdhsa_exception_fp_ieee_invalid_op 0
		.amdhsa_exception_fp_denorm_src 0
		.amdhsa_exception_fp_ieee_div_zero 0
		.amdhsa_exception_fp_ieee_overflow 0
		.amdhsa_exception_fp_ieee_underflow 0
		.amdhsa_exception_fp_ieee_inexact 0
		.amdhsa_exception_int_div_zero 0
	.end_amdhsa_kernel
	.section	.text._ZN9rocsolver6v33100L18getri_kernel_smallILi60E19rocblas_complex_numIdEPS3_EEvT1_iilPiilS6_bb,"axG",@progbits,_ZN9rocsolver6v33100L18getri_kernel_smallILi60E19rocblas_complex_numIdEPS3_EEvT1_iilPiilS6_bb,comdat
.Lfunc_end59:
	.size	_ZN9rocsolver6v33100L18getri_kernel_smallILi60E19rocblas_complex_numIdEPS3_EEvT1_iilPiilS6_bb, .Lfunc_end59-_ZN9rocsolver6v33100L18getri_kernel_smallILi60E19rocblas_complex_numIdEPS3_EEvT1_iilPiilS6_bb
                                        ; -- End function
	.set _ZN9rocsolver6v33100L18getri_kernel_smallILi60E19rocblas_complex_numIdEPS3_EEvT1_iilPiilS6_bb.num_vgpr, 256
	.set _ZN9rocsolver6v33100L18getri_kernel_smallILi60E19rocblas_complex_numIdEPS3_EEvT1_iilPiilS6_bb.num_agpr, 162
	.set _ZN9rocsolver6v33100L18getri_kernel_smallILi60E19rocblas_complex_numIdEPS3_EEvT1_iilPiilS6_bb.numbered_sgpr, 76
	.set _ZN9rocsolver6v33100L18getri_kernel_smallILi60E19rocblas_complex_numIdEPS3_EEvT1_iilPiilS6_bb.num_named_barrier, 0
	.set _ZN9rocsolver6v33100L18getri_kernel_smallILi60E19rocblas_complex_numIdEPS3_EEvT1_iilPiilS6_bb.private_seg_size, 992
	.set _ZN9rocsolver6v33100L18getri_kernel_smallILi60E19rocblas_complex_numIdEPS3_EEvT1_iilPiilS6_bb.uses_vcc, 1
	.set _ZN9rocsolver6v33100L18getri_kernel_smallILi60E19rocblas_complex_numIdEPS3_EEvT1_iilPiilS6_bb.uses_flat_scratch, 0
	.set _ZN9rocsolver6v33100L18getri_kernel_smallILi60E19rocblas_complex_numIdEPS3_EEvT1_iilPiilS6_bb.has_dyn_sized_stack, 0
	.set _ZN9rocsolver6v33100L18getri_kernel_smallILi60E19rocblas_complex_numIdEPS3_EEvT1_iilPiilS6_bb.has_recursion, 0
	.set _ZN9rocsolver6v33100L18getri_kernel_smallILi60E19rocblas_complex_numIdEPS3_EEvT1_iilPiilS6_bb.has_indirect_call, 0
	.section	.AMDGPU.csdata,"",@progbits
; Kernel info:
; codeLenInByte = 152028
; TotalNumSgprs: 82
; NumVgprs: 256
; NumAgprs: 162
; TotalNumVgprs: 418
; ScratchSize: 992
; MemoryBound: 0
; FloatMode: 240
; IeeeMode: 1
; LDSByteSize: 1928 bytes/workgroup (compile time only)
; SGPRBlocks: 10
; VGPRBlocks: 52
; NumSGPRsForWavesPerEU: 82
; NumVGPRsForWavesPerEU: 418
; AccumOffset: 256
; Occupancy: 1
; WaveLimiterHint : 1
; COMPUTE_PGM_RSRC2:SCRATCH_EN: 1
; COMPUTE_PGM_RSRC2:USER_SGPR: 2
; COMPUTE_PGM_RSRC2:TRAP_HANDLER: 0
; COMPUTE_PGM_RSRC2:TGID_X_EN: 1
; COMPUTE_PGM_RSRC2:TGID_Y_EN: 0
; COMPUTE_PGM_RSRC2:TGID_Z_EN: 0
; COMPUTE_PGM_RSRC2:TIDIG_COMP_CNT: 0
; COMPUTE_PGM_RSRC3_GFX90A:ACCUM_OFFSET: 63
; COMPUTE_PGM_RSRC3_GFX90A:TG_SPLIT: 0
	.section	.text._ZN9rocsolver6v33100L18getri_kernel_smallILi61E19rocblas_complex_numIdEPS3_EEvT1_iilPiilS6_bb,"axG",@progbits,_ZN9rocsolver6v33100L18getri_kernel_smallILi61E19rocblas_complex_numIdEPS3_EEvT1_iilPiilS6_bb,comdat
	.globl	_ZN9rocsolver6v33100L18getri_kernel_smallILi61E19rocblas_complex_numIdEPS3_EEvT1_iilPiilS6_bb ; -- Begin function _ZN9rocsolver6v33100L18getri_kernel_smallILi61E19rocblas_complex_numIdEPS3_EEvT1_iilPiilS6_bb
	.p2align	8
	.type	_ZN9rocsolver6v33100L18getri_kernel_smallILi61E19rocblas_complex_numIdEPS3_EEvT1_iilPiilS6_bb,@function
_ZN9rocsolver6v33100L18getri_kernel_smallILi61E19rocblas_complex_numIdEPS3_EEvT1_iilPiilS6_bb: ; @_ZN9rocsolver6v33100L18getri_kernel_smallILi61E19rocblas_complex_numIdEPS3_EEvT1_iilPiilS6_bb
; %bb.0:
	v_mov_b32_e32 v248, v0
	v_cmp_gt_u32_e32 vcc, 61, v248
	s_and_saveexec_b64 s[4:5], vcc
	s_cbranch_execz .LBB60_270
; %bb.1:
	s_load_dword s4, s[0:1], 0x38
	s_load_dwordx4 s[12:15], s[0:1], 0x10
	s_load_dwordx4 s[8:11], s[0:1], 0x28
                                        ; implicit-def: $sgpr16_sgpr17
	s_waitcnt lgkmcnt(0)
	s_bitcmp1_b32 s4, 8
	s_cselect_b64 s[18:19], -1, 0
	s_ashr_i32 s3, s2, 31
	s_bfe_u32 s4, s4, 0x10008
	s_cmp_eq_u32 s4, 0
	s_cbranch_scc1 .LBB60_3
; %bb.2:
	s_load_dword s4, s[0:1], 0x20
	s_mul_i32 s5, s8, s3
	s_mul_hi_u32 s6, s8, s2
	s_mul_i32 s7, s9, s2
	s_add_i32 s6, s6, s5
	s_add_i32 s7, s6, s7
	s_mul_i32 s6, s8, s2
	s_waitcnt lgkmcnt(0)
	s_ashr_i32 s5, s4, 31
	s_lshl_b64 s[6:7], s[6:7], 2
	s_add_u32 s6, s14, s6
	s_addc_u32 s7, s15, s7
	s_lshl_b64 s[4:5], s[4:5], 2
	s_add_u32 s16, s6, s4
	s_addc_u32 s17, s7, s5
.LBB60_3:
	s_load_dwordx4 s[4:7], s[0:1], 0x0
	s_load_dword s8, s[0:1], 0x38
	s_mul_i32 s9, s12, s3
	s_mul_hi_u32 s14, s12, s2
	s_mul_i32 s12, s12, s2
	s_waitcnt lgkmcnt(0)
	s_ashr_i32 s1, s6, 31
	s_mov_b32 s0, s6
	s_add_i32 s6, s14, s9
	s_mul_i32 s9, s13, s2
	s_add_i32 s13, s6, s9
	s_lshl_b64 s[12:13], s[12:13], 4
	s_add_u32 s4, s4, s12
	s_addc_u32 s5, s5, s13
	s_lshl_b64 s[0:1], s[0:1], 4
	s_add_u32 s0, s4, s0
	s_addc_u32 s1, s5, s1
	v_lshlrev_b32_e32 v42, 4, v248
	v_mov_b32_e32 v43, 0
	v_lshl_add_u64 v[0:1], s[0:1], 0, v[42:43]
	s_ashr_i32 s5, s7, 31
	s_mov_b32 s4, s7
	v_accvgpr_write_b32 a0, v0
	v_accvgpr_write_b32 a1, v1
	v_lshl_add_u64 v[0:1], s[4:5], 4, v[0:1]
	s_add_i32 s4, s7, s7
	v_add_u32_e32 v2, s4, v248
	v_ashrrev_i32_e32 v3, 31, v2
	v_lshl_add_u64 v[4:5], v[2:3], 4, s[0:1]
	v_add_u32_e32 v2, s7, v2
	v_accvgpr_write_b32 a3, v1
	v_ashrrev_i32_e32 v3, 31, v2
	global_load_dwordx4 v[34:37], v42, s[0:1]
	global_load_dwordx4 v[38:41], v[0:1], off
	v_accvgpr_write_b32 a2, v0
	v_lshl_add_u64 v[0:1], v[2:3], 4, s[0:1]
	v_add_u32_e32 v2, s7, v2
	v_accvgpr_write_b32 a4, v4
	v_ashrrev_i32_e32 v3, 31, v2
	v_accvgpr_write_b32 a5, v5
	global_load_dwordx4 v[44:47], v[4:5], off
	global_load_dwordx4 v[48:51], v[0:1], off
	v_lshl_add_u64 v[4:5], v[2:3], 4, s[0:1]
	v_add_u32_e32 v2, s7, v2
	v_accvgpr_write_b32 a7, v1
	v_ashrrev_i32_e32 v3, 31, v2
	v_accvgpr_write_b32 a6, v0
	v_lshl_add_u64 v[0:1], v[2:3], 4, s[0:1]
	v_add_u32_e32 v2, s7, v2
	v_accvgpr_write_b32 a9, v5
	global_load_dwordx4 v[52:55], v[4:5], off
	global_load_dwordx4 v[56:59], v[0:1], off
	v_ashrrev_i32_e32 v3, 31, v2
	v_accvgpr_write_b32 a8, v4
	v_lshl_add_u64 v[4:5], v[2:3], 4, s[0:1]
	global_load_dwordx4 v[60:63], v[4:5], off
	v_add_u32_e32 v2, s7, v2
	v_accvgpr_write_b32 a11, v1
	v_ashrrev_i32_e32 v3, 31, v2
	v_accvgpr_write_b32 a10, v0
	v_lshl_add_u64 v[0:1], v[2:3], 4, s[0:1]
	global_load_dwordx4 v[6:9], v[0:1], off
	v_accvgpr_write_b32 a13, v5
	v_accvgpr_write_b32 a12, v4
	v_add_u32_e32 v4, s7, v2
	v_ashrrev_i32_e32 v5, 31, v4
	v_add_u32_e32 v10, s7, v4
	v_lshl_add_u64 v[2:3], v[4:5], 4, s[0:1]
	v_add_u32_e32 v12, s7, v10
	v_ashrrev_i32_e32 v11, 31, v10
	v_accvgpr_write_b32 a15, v1
	v_accvgpr_write_b32 a17, v3
	v_ashrrev_i32_e32 v13, 31, v12
	v_add_u32_e32 v18, s7, v12
	v_accvgpr_write_b32 a14, v0
	v_accvgpr_write_b32 a16, v2
	global_load_dwordx4 v[2:5], v[2:3], off
	v_lshl_add_u64 v[0:1], v[10:11], 4, s[0:1]
	v_lshl_add_u64 v[10:11], v[12:13], 4, s[0:1]
	v_add_u32_e32 v20, s7, v18
	v_ashrrev_i32_e32 v19, 31, v18
	v_accvgpr_write_b32 a19, v1
	v_accvgpr_write_b32 a21, v11
	v_ashrrev_i32_e32 v21, 31, v20
	v_add_u32_e32 v26, s7, v20
	v_accvgpr_write_b32 a18, v0
	global_load_dwordx4 v[14:17], v[0:1], off
	v_accvgpr_write_b32 a20, v10
	global_load_dwordx4 v[10:13], v[10:11], off
	v_lshl_add_u64 v[0:1], v[18:19], 4, s[0:1]
	v_lshl_add_u64 v[18:19], v[20:21], 4, s[0:1]
	v_add_u32_e32 v28, s7, v26
	v_ashrrev_i32_e32 v27, 31, v26
	v_accvgpr_write_b32 a23, v1
	v_accvgpr_write_b32 a25, v19
	v_ashrrev_i32_e32 v29, 31, v28
	v_accvgpr_write_b32 a22, v0
	global_load_dwordx4 v[22:25], v[0:1], off
	v_accvgpr_write_b32 a24, v18
	global_load_dwordx4 v[18:21], v[18:19], off
	v_lshl_add_u64 v[0:1], v[26:27], 4, s[0:1]
	v_add_u32_e32 v64, s7, v28
	v_lshl_add_u64 v[26:27], v[28:29], 4, s[0:1]
	v_add_u32_e32 v66, s7, v64
	v_accvgpr_write_b32 a29, v27
	global_load_dwordx4 v[30:33], v[0:1], off
	v_accvgpr_write_b32 a28, v26
	global_load_dwordx4 v[26:29], v[26:27], off
	s_waitcnt vmcnt(14)
	scratch_store_dwordx4 off, v[34:37], off offset:16
	s_waitcnt vmcnt(14)
	scratch_store_dwordx4 off, v[38:41], off offset:32
	;; [unrolled: 2-line block ×7, first 2 shown]
	v_add_u32_e32 v44, s7, v66
	v_add_u32_e32 v52, s7, v44
	v_ashrrev_i32_e32 v53, 31, v52
	v_lshl_add_u64 v[48:49], v[52:53], 4, s[0:1]
	v_add_u32_e32 v52, s7, v52
	v_add_u32_e32 v60, s7, v52
	v_ashrrev_i32_e32 v61, 31, v60
	v_ashrrev_i32_e32 v65, 31, v64
	v_accvgpr_write_b32 a27, v1
	v_ashrrev_i32_e32 v67, 31, v66
	v_lshl_add_u64 v[56:57], v[60:61], 4, s[0:1]
	v_add_u32_e32 v60, s7, v60
	v_accvgpr_write_b32 a26, v0
	v_lshl_add_u64 v[0:1], v[64:65], 4, s[0:1]
	v_lshl_add_u64 v[38:39], v[66:67], 4, s[0:1]
	v_add_u32_e32 v68, s7, v60
	v_accvgpr_write_b32 a31, v1
	v_accvgpr_write_b32 a32, v38
	v_ashrrev_i32_e32 v45, 31, v44
	v_ashrrev_i32_e32 v69, 31, v68
	v_accvgpr_write_b32 a30, v0
	global_load_dwordx4 v[34:37], v[0:1], off
	v_accvgpr_write_b32 a33, v39
	global_load_dwordx4 v[38:41], v[38:39], off
	v_lshl_add_u64 v[0:1], v[44:45], 4, s[0:1]
	v_lshl_add_u64 v[64:65], v[68:69], 4, s[0:1]
	v_add_u32_e32 v68, s7, v68
	v_accvgpr_write_b32 a35, v1
	v_accvgpr_write_b32 a36, v48
	v_ashrrev_i32_e32 v53, 31, v52
	v_add_u32_e32 v76, s7, v68
	v_accvgpr_write_b32 a34, v0
	global_load_dwordx4 v[44:47], v[0:1], off
	v_accvgpr_write_b32 a37, v49
	global_load_dwordx4 v[48:51], v[48:49], off
	v_lshl_add_u64 v[0:1], v[52:53], 4, s[0:1]
	v_ashrrev_i32_e32 v77, 31, v76
	v_accvgpr_write_b32 a39, v1
	v_accvgpr_write_b32 a40, v56
	v_ashrrev_i32_e32 v61, 31, v60
	v_lshl_add_u64 v[72:73], v[76:77], 4, s[0:1]
	v_add_u32_e32 v76, s7, v76
	v_accvgpr_write_b32 a38, v0
	global_load_dwordx4 v[52:55], v[0:1], off
	v_accvgpr_write_b32 a41, v57
	global_load_dwordx4 v[56:59], v[56:57], off
	v_lshl_add_u64 v[0:1], v[60:61], 4, s[0:1]
	v_add_u32_e32 v84, s7, v76
	v_accvgpr_write_b32 a43, v1
	v_accvgpr_write_b32 a44, v64
	v_ashrrev_i32_e32 v69, 31, v68
	v_ashrrev_i32_e32 v85, 31, v84
	v_accvgpr_write_b32 a42, v0
	global_load_dwordx4 v[60:63], v[0:1], off
	v_accvgpr_write_b32 a45, v65
	global_load_dwordx4 v[64:67], v[64:65], off
	v_lshl_add_u64 v[0:1], v[68:69], 4, s[0:1]
	v_lshl_add_u64 v[80:81], v[84:85], 4, s[0:1]
	v_add_u32_e32 v84, s7, v84
	v_accvgpr_write_b32 a47, v1
	v_accvgpr_write_b32 a48, v72
	v_ashrrev_i32_e32 v77, 31, v76
	v_add_u32_e32 v92, s7, v84
	v_accvgpr_write_b32 a46, v0
	global_load_dwordx4 v[68:71], v[0:1], off
	v_accvgpr_write_b32 a49, v73
	global_load_dwordx4 v[72:75], v[72:73], off
	v_lshl_add_u64 v[0:1], v[76:77], 4, s[0:1]
	v_ashrrev_i32_e32 v93, 31, v92
	v_accvgpr_write_b32 a51, v1
	v_accvgpr_write_b32 a52, v80
	v_ashrrev_i32_e32 v85, 31, v84
	v_lshl_add_u64 v[88:89], v[92:93], 4, s[0:1]
	v_add_u32_e32 v92, s7, v92
	v_accvgpr_write_b32 a50, v0
	global_load_dwordx4 v[76:79], v[0:1], off
	v_accvgpr_write_b32 a53, v81
	global_load_dwordx4 v[80:83], v[80:81], off
	v_lshl_add_u64 v[0:1], v[84:85], 4, s[0:1]
	v_add_u32_e32 v100, s7, v92
	v_accvgpr_write_b32 a55, v1
	v_accvgpr_write_b32 a56, v88
	v_ashrrev_i32_e32 v93, 31, v92
	v_ashrrev_i32_e32 v101, 31, v100
	v_accvgpr_write_b32 a54, v0
	global_load_dwordx4 v[84:87], v[0:1], off
	v_accvgpr_write_b32 a57, v89
	global_load_dwordx4 v[88:91], v[88:89], off
	v_lshl_add_u64 v[0:1], v[92:93], 4, s[0:1]
	v_lshl_add_u64 v[96:97], v[100:101], 4, s[0:1]
	v_add_u32_e32 v104, s7, v100
	v_accvgpr_write_b32 a59, v1
	v_accvgpr_write_b32 a60, v96
	v_ashrrev_i32_e32 v105, 31, v104
	v_accvgpr_write_b32 a58, v0
	global_load_dwordx4 v[92:95], v[0:1], off
	v_accvgpr_write_b32 a61, v97
	global_load_dwordx4 v[96:99], v[96:97], off
	v_lshl_add_u64 v[0:1], v[104:105], 4, s[0:1]
	v_add_u32_e32 v108, s7, v104
	v_accvgpr_write_b32 a63, v1
	v_ashrrev_i32_e32 v109, 31, v108
	v_accvgpr_write_b32 a62, v0
	global_load_dwordx4 v[100:103], v[0:1], off
	v_lshl_add_u64 v[0:1], v[108:109], 4, s[0:1]
	v_add_u32_e32 v108, s7, v108
	v_accvgpr_write_b32 a65, v1
	v_ashrrev_i32_e32 v109, 31, v108
	v_accvgpr_write_b32 a64, v0
	global_load_dwordx4 v[104:107], v[0:1], off
	v_lshl_add_u64 v[0:1], v[108:109], 4, s[0:1]
	s_waitcnt vmcnt(32)
	scratch_store_dwordx4 off, v[6:9], off offset:128
	global_load_dwordx4 v[6:9], v[0:1], off
	v_accvgpr_write_b32 a67, v1
	s_waitcnt vmcnt(31)
	scratch_store_dwordx4 off, v[10:13], off offset:176
	scratch_store_dwordx4 off, v[14:17], off offset:160
	v_accvgpr_write_b32 a66, v0
	v_add_u32_e32 v10, s7, v108
	v_ashrrev_i32_e32 v11, 31, v10
	v_lshl_add_u64 v[0:1], v[10:11], 4, s[0:1]
	s_waitcnt vmcnt(32)
	scratch_store_dwordx4 off, v[22:25], off offset:192
	s_waitcnt vmcnt(32)
	scratch_store_dwordx4 off, v[18:21], off offset:208
	;; [unrolled: 2-line block ×5, first 2 shown]
	scratch_store_dwordx4 off, v[34:37], off offset:256
	s_waitcnt vmcnt(24)
	scratch_store_dwordx4 off, v[48:51], off offset:304
	scratch_store_dwordx4 off, v[44:47], off offset:288
	v_accvgpr_write_b32 a69, v1
	scratch_store_dwordx4 off, v[2:5], off offset:144
	s_waitcnt vmcnt(25)
	scratch_store_dwordx4 off, v[56:59], off offset:336
	v_accvgpr_write_b32 a68, v0
	global_load_dwordx4 v[2:5], v[0:1], off
	s_movk_i32 s4, 0x50
	scratch_store_dwordx4 off, v[52:55], off offset:320
	s_waitcnt vmcnt(26)
	scratch_store_dwordx4 off, v[64:67], off offset:368
	scratch_store_dwordx4 off, v[60:63], off offset:352
	s_add_i32 s28, s4, 16
	s_movk_i32 s4, 0x80
	s_add_i32 s34, s4, 16
	s_movk_i32 s4, 0x90
	;; [unrolled: 2-line block ×3, first 2 shown]
	s_add_i32 s36, s4, 16
	s_waitcnt vmcnt(27)
	scratch_store_dwordx4 off, v[68:71], off offset:384
	s_movk_i32 s4, 0xb0
	s_waitcnt vmcnt(27)
	scratch_store_dwordx4 off, v[72:75], off offset:400
	s_add_i32 s37, s4, 16
	s_movk_i32 s4, 0xc0
	s_add_i32 s38, s4, 16
	s_movk_i32 s4, 0xd0
	;; [unrolled: 2-line block ×4, first 2 shown]
	s_waitcnt vmcnt(27)
	scratch_store_dwordx4 off, v[76:79], off offset:416
	s_add_i32 s41, s4, 16
	s_waitcnt vmcnt(27)
	scratch_store_dwordx4 off, v[80:83], off offset:432
	s_movk_i32 s4, 0x100
	s_add_i32 s42, s4, 16
	s_movk_i32 s4, 0x110
	s_add_i32 s43, s4, 16
	;; [unrolled: 2-line block ×3, first 2 shown]
	s_movk_i32 s4, 0x130
	s_waitcnt vmcnt(27)
	scratch_store_dwordx4 off, v[84:87], off offset:448
	s_add_i32 s45, s4, 16
	s_waitcnt vmcnt(27)
	scratch_store_dwordx4 off, v[88:91], off offset:464
	s_movk_i32 s4, 0x140
	s_add_i32 s46, s4, 16
	s_movk_i32 s4, 0x150
	s_add_i32 s47, s4, 16
	;; [unrolled: 2-line block ×3, first 2 shown]
	s_movk_i32 s4, 0x170
	s_waitcnt vmcnt(27)
	scratch_store_dwordx4 off, v[92:95], off offset:480
	s_add_i32 s49, s4, 16
	s_waitcnt vmcnt(27)
	scratch_store_dwordx4 off, v[96:99], off offset:496
	s_movk_i32 s4, 0x180
	s_add_i32 s50, s4, 16
	s_movk_i32 s4, 0x190
	s_add_i32 s51, s4, 16
	s_movk_i32 s4, 0x1a0
	s_waitcnt vmcnt(27)
	scratch_store_dwordx4 off, v[100:103], off offset:512
	s_add_i32 s52, s4, 16
	s_movk_i32 s4, 0x1b0
	s_add_i32 s53, s4, 16
	s_movk_i32 s4, 0x1c0
	s_add_i32 s54, s4, 16
	s_waitcnt vmcnt(27)
	scratch_store_dwordx4 off, v[104:107], off offset:528
	s_movk_i32 s4, 0x1d0
	s_add_i32 s55, s4, 16
	s_waitcnt vmcnt(26)
	scratch_store_dwordx4 off, v[6:9], off offset:544
	s_movk_i32 s4, 0x1e0
	s_add_i32 s56, s4, 16
	v_add_u32_e32 v6, s7, v10
	v_add_u32_e32 v14, s7, v6
	v_ashrrev_i32_e32 v15, 31, v14
	v_lshl_add_u64 v[10:11], v[14:15], 4, s[0:1]
	v_add_u32_e32 v14, s7, v14
	v_add_u32_e32 v22, s7, v14
	v_ashrrev_i32_e32 v23, 31, v22
	v_lshl_add_u64 v[18:19], v[22:23], 4, s[0:1]
	;; [unrolled: 4-line block ×4, first 2 shown]
	v_add_u32_e32 v38, s7, v38
	v_add_u32_e32 v48, s7, v38
	v_ashrrev_i32_e32 v49, 31, v48
	v_ashrrev_i32_e32 v7, 31, v6
	v_accvgpr_write_b32 a73, v11
	v_lshl_add_u64 v[44:45], v[48:49], 4, s[0:1]
	v_add_u32_e32 v48, s7, v48
	v_accvgpr_write_b32 a72, v10
	global_load_dwordx4 v[10:13], v[10:11], off
	v_lshl_add_u64 v[0:1], v[6:7], 4, s[0:1]
	v_add_u32_e32 v56, s7, v48
	v_accvgpr_write_b32 a71, v1
	v_ashrrev_i32_e32 v15, 31, v14
	v_accvgpr_write_b32 a77, v19
	v_ashrrev_i32_e32 v57, 31, v56
	v_accvgpr_write_b32 a70, v0
	global_load_dwordx4 v[6:9], v[0:1], off
	v_accvgpr_write_b32 a76, v18
	global_load_dwordx4 v[18:21], v[18:19], off
	v_lshl_add_u64 v[0:1], v[14:15], 4, s[0:1]
	v_lshl_add_u64 v[52:53], v[56:57], 4, s[0:1]
	v_add_u32_e32 v56, s7, v56
	v_accvgpr_write_b32 a75, v1
	v_ashrrev_i32_e32 v23, 31, v22
	v_accvgpr_write_b32 a81, v27
	v_add_u32_e32 v64, s7, v56
	v_accvgpr_write_b32 a74, v0
	global_load_dwordx4 v[14:17], v[0:1], off
	v_accvgpr_write_b32 a80, v26
	global_load_dwordx4 v[26:29], v[26:27], off
	v_lshl_add_u64 v[0:1], v[22:23], 4, s[0:1]
	v_ashrrev_i32_e32 v65, 31, v64
	v_accvgpr_write_b32 a79, v1
	v_ashrrev_i32_e32 v31, 31, v30
	v_accvgpr_write_b32 a85, v35
	v_lshl_add_u64 v[60:61], v[64:65], 4, s[0:1]
	v_add_u32_e32 v64, s7, v64
	v_accvgpr_write_b32 a78, v0
	global_load_dwordx4 v[22:25], v[0:1], off
	v_accvgpr_write_b32 a84, v34
	global_load_dwordx4 v[34:37], v[34:35], off
	v_lshl_add_u64 v[0:1], v[30:31], 4, s[0:1]
	v_add_u32_e32 v72, s7, v64
	v_accvgpr_write_b32 a83, v1
	v_ashrrev_i32_e32 v39, 31, v38
	v_accvgpr_write_b32 a89, v45
	v_ashrrev_i32_e32 v73, 31, v72
	v_accvgpr_write_b32 a82, v0
	global_load_dwordx4 v[30:33], v[0:1], off
	v_accvgpr_write_b32 a88, v44
	global_load_dwordx4 v[44:47], v[44:45], off
	v_lshl_add_u64 v[0:1], v[38:39], 4, s[0:1]
	v_lshl_add_u64 v[68:69], v[72:73], 4, s[0:1]
	v_add_u32_e32 v72, s7, v72
	v_accvgpr_write_b32 a87, v1
	v_ashrrev_i32_e32 v49, 31, v48
	v_accvgpr_write_b32 a93, v53
	v_add_u32_e32 v80, s7, v72
	v_accvgpr_write_b32 a86, v0
	global_load_dwordx4 v[38:41], v[0:1], off
	v_accvgpr_write_b32 a92, v52
	global_load_dwordx4 v[52:55], v[52:53], off
	v_lshl_add_u64 v[0:1], v[48:49], 4, s[0:1]
	v_ashrrev_i32_e32 v81, 31, v80
	v_accvgpr_write_b32 a91, v1
	v_ashrrev_i32_e32 v57, 31, v56
	v_accvgpr_write_b32 a97, v61
	v_lshl_add_u64 v[76:77], v[80:81], 4, s[0:1]
	v_add_u32_e32 v80, s7, v80
	v_accvgpr_write_b32 a90, v0
	global_load_dwordx4 v[48:51], v[0:1], off
	;; [unrolled: 32-line block ×3, first 2 shown]
	v_accvgpr_write_b32 a108, v84
	global_load_dwordx4 v[84:87], v[84:85], off
	v_lshl_add_u64 v[0:1], v[80:81], 4, s[0:1]
	v_add_u32_e32 v104, s7, v96
	v_accvgpr_write_b32 a107, v1
	v_ashrrev_i32_e32 v89, 31, v88
	v_accvgpr_write_b32 a113, v93
	v_ashrrev_i32_e32 v105, 31, v104
	v_accvgpr_write_b32 a106, v0
	global_load_dwordx4 v[80:83], v[0:1], off
	v_accvgpr_write_b32 a112, v92
	global_load_dwordx4 v[92:95], v[92:93], off
	v_lshl_add_u64 v[0:1], v[88:89], 4, s[0:1]
	v_lshl_add_u64 v[100:101], v[104:105], 4, s[0:1]
	v_accvgpr_write_b32 a111, v1
	v_ashrrev_i32_e32 v97, 31, v96
	v_accvgpr_write_b32 a117, v101
	v_accvgpr_write_b32 a110, v0
	global_load_dwordx4 v[88:91], v[0:1], off
	v_accvgpr_write_b32 a116, v100
	global_load_dwordx4 v[100:103], v[100:101], off
	v_lshl_add_u64 v[0:1], v[96:97], 4, s[0:1]
	v_add_u32_e32 v108, s7, v104
	v_accvgpr_write_b32 a115, v1
	v_ashrrev_i32_e32 v109, 31, v108
	v_accvgpr_write_b32 a114, v0
	global_load_dwordx4 v[96:99], v[0:1], off
	v_lshl_add_u64 v[0:1], v[108:109], 4, s[0:1]
	v_add_u32_e32 v108, s7, v108
	v_accvgpr_write_b32 a119, v1
	v_ashrrev_i32_e32 v109, 31, v108
	v_accvgpr_write_b32 a118, v0
	global_load_dwordx4 v[104:107], v[0:1], off
	v_lshl_add_u64 v[0:1], v[108:109], 4, s[0:1]
	global_load_dwordx4 v[108:111], v[0:1], off
	s_movk_i32 s0, 0x230
	s_add_i32 s61, s0, 16
	s_movk_i32 s0, 0x240
	s_add_i32 s63, s0, 16
	;; [unrolled: 2-line block ×21, first 2 shown]
	s_movk_i32 s0, 0x380
	s_movk_i32 s4, 0x1f0
	s_add_i32 s82, s0, 16
	s_movk_i32 s0, 0x390
	s_add_i32 s57, s4, 16
	;; [unrolled: 2-line block ×5, first 2 shown]
	s_movk_i32 s0, 0x3b0
	s_movk_i32 s5, 0x60
	;; [unrolled: 1-line block ×3, first 2 shown]
	s_add_i32 s59, s4, 16
	s_movk_i32 s4, 0x220
	s_add_i32 s85, s0, 16
	s_movk_i32 s0, 0x3c0
	s_add_i32 s27, s5, 16
	s_add_i32 s26, s6, 16
	v_accvgpr_write_b32 a121, v1
	s_add_i32 s60, s4, 16
	s_add_i32 s86, s0, 16
	s_mov_b32 s33, 32
	s_mov_b32 s31, 48
	s_mov_b32 s30, 64
	s_movk_i32 s29, 0x50
	v_accvgpr_write_b32 a120, v0
	s_bitcmp0_b32 s8, 0
	s_mov_b64 s[4:5], -1
	s_waitcnt vmcnt(40)
	scratch_store_dwordx4 off, v[2:5], off offset:560
	s_waitcnt vmcnt(25)
	scratch_store_dwordx4 off, v[6:9], off offset:576
	scratch_store_dwordx4 off, v[10:13], off offset:592
	s_waitcnt vmcnt(25)
	scratch_store_dwordx4 off, v[14:17], off offset:608
	;; [unrolled: 3-line block ×13, first 2 shown]
	s_waitcnt vmcnt(26)
	scratch_store_dwordx4 off, v[108:111], off offset:976
	s_cbranch_scc1 .LBB60_268
; %bb.4:
	v_cmp_eq_u32_e64 s[0:1], 0, v248
	s_and_saveexec_b64 s[4:5], s[0:1]
; %bb.5:
	v_mov_b32_e32 v0, 0
	ds_write_b32 v0, v0 offset:1952
; %bb.6:
	s_or_b64 exec, exec, s[4:5]
	s_waitcnt lgkmcnt(0)
	; wave barrier
	scratch_load_dwordx4 v[2:5], v42, off offset:16
	s_waitcnt vmcnt(0)
	v_cmp_eq_f64_e32 vcc, 0, v[2:3]
	v_cmp_eq_f64_e64 s[4:5], 0, v[4:5]
	s_and_b64 s[4:5], vcc, s[4:5]
	s_and_saveexec_b64 s[6:7], s[4:5]
	s_cbranch_execz .LBB60_10
; %bb.7:
	v_mov_b32_e32 v1, 0
	ds_read_b32 v0, v1 offset:1952
	v_add_u32_e32 v2, 1, v248
	s_waitcnt lgkmcnt(0)
	v_readfirstlane_b32 s4, v0
	s_cmp_eq_u32 s4, 0
	s_cselect_b64 s[8:9], -1, 0
	v_cmp_gt_i32_e32 vcc, s4, v2
	s_or_b64 s[8:9], s[8:9], vcc
	s_and_b64 exec, exec, s[8:9]
	s_cbranch_execz .LBB60_10
; %bb.8:
	s_mov_b64 s[8:9], 0
	v_mov_b32_e32 v3, s4
.LBB60_9:                               ; =>This Inner Loop Header: Depth=1
	ds_cmpst_rtn_b32 v3, v1, v3, v2 offset:1952
	s_waitcnt lgkmcnt(0)
	v_cmp_ne_u32_e32 vcc, 0, v3
	v_cmp_le_i32_e64 s[4:5], v3, v2
	s_and_b64 s[4:5], vcc, s[4:5]
	s_and_b64 s[4:5], exec, s[4:5]
	s_or_b64 s[8:9], s[4:5], s[8:9]
	s_andn2_b64 exec, exec, s[8:9]
	s_cbranch_execnz .LBB60_9
.LBB60_10:
	s_or_b64 exec, exec, s[6:7]
	v_mov_b32_e32 v2, 0
	; wave barrier
	ds_read_b32 v1, v2 offset:1952
	s_and_saveexec_b64 s[4:5], s[0:1]
	s_cbranch_execz .LBB60_12
; %bb.11:
	s_lshl_b64 s[6:7], s[2:3], 2
	s_add_u32 s6, s10, s6
	s_addc_u32 s7, s11, s7
	s_waitcnt lgkmcnt(0)
	global_store_dword v2, v1, s[6:7]
.LBB60_12:
	s_or_b64 exec, exec, s[4:5]
	s_waitcnt lgkmcnt(0)
	v_cmp_ne_u32_e32 vcc, 0, v1
	s_mov_b64 s[4:5], 0
	s_cbranch_vccnz .LBB60_268
; %bb.13:
	v_add_u32_e32 v14, 16, v42
	scratch_load_dwordx4 v[2:5], v14, off
                                        ; implicit-def: $vgpr6_vgpr7
                                        ; implicit-def: $vgpr10_vgpr11
	s_waitcnt vmcnt(0)
	v_cmp_ngt_f64_e64 s[4:5], |v[2:3]|, |v[4:5]|
	s_and_saveexec_b64 s[6:7], s[4:5]
	s_xor_b64 s[4:5], exec, s[6:7]
	s_cbranch_execz .LBB60_15
; %bb.14:
	v_div_scale_f64 v[6:7], s[6:7], v[4:5], v[4:5], v[2:3]
	v_rcp_f64_e32 v[8:9], v[6:7]
	v_div_scale_f64 v[10:11], vcc, v[2:3], v[4:5], v[2:3]
	v_fma_f64 v[12:13], -v[6:7], v[8:9], 1.0
	v_fmac_f64_e32 v[8:9], v[8:9], v[12:13]
	v_fma_f64 v[12:13], -v[6:7], v[8:9], 1.0
	v_fmac_f64_e32 v[8:9], v[8:9], v[12:13]
	v_mul_f64 v[12:13], v[10:11], v[8:9]
	v_fma_f64 v[6:7], -v[6:7], v[12:13], v[10:11]
	v_div_fmas_f64 v[6:7], v[6:7], v[8:9], v[12:13]
	v_div_fixup_f64 v[6:7], v[6:7], v[4:5], v[2:3]
	v_fmac_f64_e32 v[4:5], v[2:3], v[6:7]
	v_div_scale_f64 v[2:3], s[6:7], v[4:5], v[4:5], 1.0
	v_rcp_f64_e32 v[8:9], v[2:3]
	s_nop 0
	v_fma_f64 v[10:11], -v[2:3], v[8:9], 1.0
	v_fmac_f64_e32 v[8:9], v[8:9], v[10:11]
	v_fma_f64 v[10:11], -v[2:3], v[8:9], 1.0
	v_fmac_f64_e32 v[8:9], v[8:9], v[10:11]
	v_div_scale_f64 v[10:11], vcc, 1.0, v[4:5], 1.0
	v_mul_f64 v[12:13], v[10:11], v[8:9]
	v_fma_f64 v[2:3], -v[2:3], v[12:13], v[10:11]
	s_nop 1
	v_div_fmas_f64 v[2:3], v[2:3], v[8:9], v[12:13]
	v_div_fixup_f64 v[8:9], v[2:3], v[4:5], 1.0
	v_mul_f64 v[6:7], v[6:7], v[8:9]
	v_xor_b32_e32 v9, 0x80000000, v9
	v_xor_b32_e32 v11, 0x80000000, v7
	v_mov_b32_e32 v10, v6
                                        ; implicit-def: $vgpr2_vgpr3
.LBB60_15:
	s_andn2_saveexec_b64 s[4:5], s[4:5]
	s_cbranch_execz .LBB60_17
; %bb.16:
	v_div_scale_f64 v[6:7], s[6:7], v[2:3], v[2:3], v[4:5]
	v_rcp_f64_e32 v[8:9], v[6:7]
	v_div_scale_f64 v[10:11], vcc, v[4:5], v[2:3], v[4:5]
	v_fma_f64 v[12:13], -v[6:7], v[8:9], 1.0
	v_fmac_f64_e32 v[8:9], v[8:9], v[12:13]
	v_fma_f64 v[12:13], -v[6:7], v[8:9], 1.0
	v_fmac_f64_e32 v[8:9], v[8:9], v[12:13]
	v_mul_f64 v[12:13], v[10:11], v[8:9]
	v_fma_f64 v[6:7], -v[6:7], v[12:13], v[10:11]
	v_div_fmas_f64 v[6:7], v[6:7], v[8:9], v[12:13]
	v_div_fixup_f64 v[8:9], v[6:7], v[2:3], v[4:5]
	v_fmac_f64_e32 v[2:3], v[4:5], v[8:9]
	v_div_scale_f64 v[4:5], s[6:7], v[2:3], v[2:3], 1.0
	v_rcp_f64_e32 v[6:7], v[4:5]
	s_nop 0
	v_fma_f64 v[10:11], -v[4:5], v[6:7], 1.0
	v_fmac_f64_e32 v[6:7], v[6:7], v[10:11]
	v_fma_f64 v[10:11], -v[4:5], v[6:7], 1.0
	v_fmac_f64_e32 v[6:7], v[6:7], v[10:11]
	v_div_scale_f64 v[10:11], vcc, 1.0, v[2:3], 1.0
	v_mul_f64 v[12:13], v[10:11], v[6:7]
	v_fma_f64 v[4:5], -v[4:5], v[12:13], v[10:11]
	s_nop 1
	v_div_fmas_f64 v[4:5], v[4:5], v[6:7], v[12:13]
	v_div_fixup_f64 v[6:7], v[4:5], v[2:3], 1.0
	v_xor_b32_e32 v11, 0x80000000, v7
	v_mov_b32_e32 v10, v6
	v_mul_f64 v[8:9], v[8:9], -v[6:7]
.LBB60_17:
	s_or_b64 exec, exec, s[4:5]
	scratch_store_dwordx4 v14, v[6:9], off
	scratch_load_dwordx4 v[2:5], off, s33
	v_xor_b32_e32 v13, 0x80000000, v9
	v_mov_b32_e32 v12, v8
	v_add_u32_e32 v1, 0x3d0, v42
	ds_write_b128 v42, v[10:13]
	s_waitcnt vmcnt(0)
	ds_write_b128 v42, v[2:5] offset:976
	s_waitcnt lgkmcnt(0)
	; wave barrier
	s_and_saveexec_b64 s[4:5], s[0:1]
	s_cbranch_execz .LBB60_19
; %bb.18:
	scratch_load_dwordx4 v[2:5], v14, off
	ds_read_b128 v[6:9], v1
	v_mov_b32_e32 v0, 0
	ds_read_b128 v[10:13], v0 offset:16
	s_waitcnt vmcnt(0) lgkmcnt(1)
	v_mul_f64 v[16:17], v[8:9], v[4:5]
	v_mul_f64 v[4:5], v[6:7], v[4:5]
	v_fma_f64 v[6:7], v[6:7], v[2:3], -v[16:17]
	v_fmac_f64_e32 v[4:5], v[8:9], v[2:3]
	v_add_f64 v[2:3], v[6:7], 0
	v_add_f64 v[6:7], v[4:5], 0
	s_waitcnt lgkmcnt(0)
	v_mul_f64 v[8:9], v[6:7], v[12:13]
	v_mul_f64 v[4:5], v[2:3], v[12:13]
	v_fma_f64 v[2:3], v[2:3], v[10:11], -v[8:9]
	v_fmac_f64_e32 v[4:5], v[6:7], v[10:11]
	scratch_store_dwordx4 off, v[2:5], off offset:32
.LBB60_19:
	s_or_b64 exec, exec, s[4:5]
	; wave barrier
	scratch_load_dwordx4 v[2:5], off, s31
	v_cmp_gt_u32_e32 vcc, 2, v248
	s_waitcnt vmcnt(0)
	ds_write_b128 v1, v[2:5]
	s_waitcnt lgkmcnt(0)
	; wave barrier
	s_and_saveexec_b64 s[4:5], vcc
	s_cbranch_execz .LBB60_23
; %bb.20:
	scratch_load_dwordx4 v[2:5], v14, off
	ds_read_b128 v[6:9], v1
	s_waitcnt vmcnt(0) lgkmcnt(0)
	v_mul_f64 v[10:11], v[8:9], v[4:5]
	v_mul_f64 v[12:13], v[6:7], v[4:5]
	v_fma_f64 v[4:5], v[6:7], v[2:3], -v[10:11]
	v_fmac_f64_e32 v[12:13], v[8:9], v[2:3]
	v_add_f64 v[4:5], v[4:5], 0
	v_add_f64 v[2:3], v[12:13], 0
	s_and_saveexec_b64 s[6:7], s[0:1]
	s_cbranch_execz .LBB60_22
; %bb.21:
	scratch_load_dwordx4 v[6:9], off, off offset:32
	v_mov_b32_e32 v0, 0
	ds_read_b128 v[10:13], v0 offset:992
	s_waitcnt vmcnt(0) lgkmcnt(0)
	v_mul_f64 v[16:17], v[10:11], v[8:9]
	v_mul_f64 v[8:9], v[12:13], v[8:9]
	v_fmac_f64_e32 v[16:17], v[12:13], v[6:7]
	v_fma_f64 v[6:7], v[10:11], v[6:7], -v[8:9]
	v_add_f64 v[2:3], v[2:3], v[16:17]
	v_add_f64 v[4:5], v[4:5], v[6:7]
.LBB60_22:
	s_or_b64 exec, exec, s[6:7]
	v_mov_b32_e32 v0, 0
	ds_read_b128 v[6:9], v0 offset:32
	s_waitcnt lgkmcnt(0)
	v_mul_f64 v[12:13], v[2:3], v[8:9]
	v_mul_f64 v[10:11], v[4:5], v[8:9]
	v_fma_f64 v[8:9], v[4:5], v[6:7], -v[12:13]
	v_fmac_f64_e32 v[10:11], v[2:3], v[6:7]
	scratch_store_dwordx4 off, v[8:11], off offset:48
.LBB60_23:
	s_or_b64 exec, exec, s[4:5]
	; wave barrier
	scratch_load_dwordx4 v[2:5], off, s30
	v_cmp_gt_u32_e64 s[4:5], 3, v248
	v_add_u32_e32 v6, -1, v248
	s_waitcnt vmcnt(0)
	ds_write_b128 v1, v[2:5]
	s_waitcnt lgkmcnt(0)
	; wave barrier
	s_and_saveexec_b64 s[6:7], s[4:5]
	s_cbranch_execz .LBB60_27
; %bb.24:
	v_add_u32_e32 v7, -1, v248
	v_add_u32_e32 v8, 0x3d0, v42
	v_add_u32_e32 v9, 16, v42
	v_mov_b64_e32 v[2:3], 0
	s_mov_b64 s[8:9], 0
	v_mov_b64_e32 v[4:5], 0
.LBB60_25:                              ; =>This Inner Loop Header: Depth=1
	scratch_load_dwordx4 v[10:13], v9, off
	ds_read_b128 v[16:19], v8
	v_add_u32_e32 v7, 1, v7
	v_cmp_lt_u32_e64 s[4:5], 1, v7
	v_add_u32_e32 v8, 16, v8
	v_add_u32_e32 v9, 16, v9
	s_or_b64 s[8:9], s[4:5], s[8:9]
	s_waitcnt vmcnt(0) lgkmcnt(0)
	v_mul_f64 v[20:21], v[18:19], v[12:13]
	v_mul_f64 v[12:13], v[16:17], v[12:13]
	v_fma_f64 v[16:17], v[16:17], v[10:11], -v[20:21]
	v_fmac_f64_e32 v[12:13], v[18:19], v[10:11]
	v_add_f64 v[4:5], v[4:5], v[16:17]
	v_add_f64 v[2:3], v[2:3], v[12:13]
	s_andn2_b64 exec, exec, s[8:9]
	s_cbranch_execnz .LBB60_25
; %bb.26:
	s_or_b64 exec, exec, s[8:9]
	v_mov_b32_e32 v0, 0
	ds_read_b128 v[8:11], v0 offset:48
	s_waitcnt lgkmcnt(0)
	v_mul_f64 v[16:17], v[2:3], v[10:11]
	v_mul_f64 v[12:13], v[4:5], v[10:11]
	v_fma_f64 v[10:11], v[4:5], v[8:9], -v[16:17]
	v_fmac_f64_e32 v[12:13], v[2:3], v[8:9]
	scratch_store_dwordx4 off, v[10:13], off offset:64
.LBB60_27:
	s_or_b64 exec, exec, s[6:7]
	; wave barrier
	scratch_load_dwordx4 v[2:5], off, s29
	v_cmp_gt_u32_e64 s[4:5], 4, v248
	s_waitcnt vmcnt(0)
	ds_write_b128 v1, v[2:5]
	s_waitcnt lgkmcnt(0)
	; wave barrier
	s_and_saveexec_b64 s[8:9], s[4:5]
	s_cbranch_execz .LBB60_31
; %bb.28:
	v_add_u32_e32 v7, -1, v248
	v_add_u32_e32 v8, 0x3d0, v42
	v_add_u32_e32 v9, 16, v42
	v_mov_b64_e32 v[2:3], 0
	s_mov_b64 s[12:13], 0
	v_mov_b64_e32 v[4:5], 0
.LBB60_29:                              ; =>This Inner Loop Header: Depth=1
	scratch_load_dwordx4 v[10:13], v9, off
	ds_read_b128 v[16:19], v8
	v_add_u32_e32 v7, 1, v7
	v_cmp_lt_u32_e64 s[6:7], 2, v7
	v_add_u32_e32 v8, 16, v8
	v_add_u32_e32 v9, 16, v9
	s_or_b64 s[12:13], s[6:7], s[12:13]
	s_waitcnt vmcnt(0) lgkmcnt(0)
	v_mul_f64 v[20:21], v[18:19], v[12:13]
	v_mul_f64 v[12:13], v[16:17], v[12:13]
	v_fma_f64 v[16:17], v[16:17], v[10:11], -v[20:21]
	v_fmac_f64_e32 v[12:13], v[18:19], v[10:11]
	v_add_f64 v[4:5], v[4:5], v[16:17]
	v_add_f64 v[2:3], v[2:3], v[12:13]
	s_andn2_b64 exec, exec, s[12:13]
	s_cbranch_execnz .LBB60_29
; %bb.30:
	s_or_b64 exec, exec, s[12:13]
	v_mov_b32_e32 v0, 0
	ds_read_b128 v[8:11], v0 offset:64
	s_waitcnt lgkmcnt(0)
	v_mul_f64 v[16:17], v[2:3], v[10:11]
	v_mul_f64 v[12:13], v[4:5], v[10:11]
	v_fma_f64 v[10:11], v[4:5], v[8:9], -v[16:17]
	v_fmac_f64_e32 v[12:13], v[2:3], v[8:9]
	scratch_store_dwordx4 off, v[10:13], off offset:80
.LBB60_31:
	s_or_b64 exec, exec, s[8:9]
	; wave barrier
	scratch_load_dwordx4 v[2:5], off, s28
	v_cmp_gt_u32_e64 s[6:7], 5, v248
	;; [unrolled: 45-line block ×5, first 2 shown]
	s_waitcnt vmcnt(0)
	ds_write_b128 v1, v[2:5]
	s_waitcnt lgkmcnt(0)
	; wave barrier
	s_and_saveexec_b64 s[12:13], s[8:9]
	s_cbranch_execz .LBB60_59
; %bb.44:
	scratch_load_dwordx4 v[2:5], v14, off
	ds_read_b128 v[8:11], v1
	v_cmp_ne_u32_e64 s[8:9], 7, v248
	s_waitcnt vmcnt(0) lgkmcnt(0)
	v_mul_f64 v[12:13], v[10:11], v[4:5]
	v_mul_f64 v[16:17], v[8:9], v[4:5]
	v_fma_f64 v[4:5], v[8:9], v[2:3], -v[12:13]
	v_fmac_f64_e32 v[16:17], v[10:11], v[2:3]
	v_add_f64 v[4:5], v[4:5], 0
	v_add_f64 v[2:3], v[16:17], 0
	s_and_saveexec_b64 s[14:15], s[8:9]
	s_cbranch_execz .LBB60_58
; %bb.45:
	scratch_load_dwordx4 v[8:11], v14, off offset:16
	ds_read_b128 v[16:19], v1 offset:16
	s_waitcnt vmcnt(0) lgkmcnt(0)
	v_mul_f64 v[12:13], v[18:19], v[10:11]
	v_mul_f64 v[10:11], v[16:17], v[10:11]
	v_fma_f64 v[12:13], v[16:17], v[8:9], -v[12:13]
	v_fmac_f64_e32 v[10:11], v[18:19], v[8:9]
	v_add_f64 v[4:5], v[4:5], v[12:13]
	v_add_f64 v[2:3], v[2:3], v[10:11]
	s_and_saveexec_b64 s[8:9], s[6:7]
	s_cbranch_execz .LBB60_57
; %bb.46:
	scratch_load_dwordx4 v[8:11], v14, off offset:32
	ds_read_b128 v[16:19], v1 offset:32
	v_cmp_ne_u32_e64 s[6:7], 5, v248
	s_waitcnt vmcnt(0) lgkmcnt(0)
	v_mul_f64 v[12:13], v[18:19], v[10:11]
	v_mul_f64 v[10:11], v[16:17], v[10:11]
	v_fma_f64 v[12:13], v[16:17], v[8:9], -v[12:13]
	v_fmac_f64_e32 v[10:11], v[18:19], v[8:9]
	v_add_f64 v[4:5], v[4:5], v[12:13]
	v_add_f64 v[2:3], v[2:3], v[10:11]
	s_and_saveexec_b64 s[20:21], s[6:7]
	s_cbranch_execz .LBB60_56
; %bb.47:
	scratch_load_dwordx4 v[8:11], v14, off offset:48
	ds_read_b128 v[16:19], v1 offset:48
	s_waitcnt vmcnt(0) lgkmcnt(0)
	v_mul_f64 v[12:13], v[18:19], v[10:11]
	v_mul_f64 v[10:11], v[16:17], v[10:11]
	v_fma_f64 v[12:13], v[16:17], v[8:9], -v[12:13]
	v_fmac_f64_e32 v[10:11], v[18:19], v[8:9]
	v_add_f64 v[4:5], v[4:5], v[12:13]
	v_add_f64 v[2:3], v[2:3], v[10:11]
	s_and_saveexec_b64 s[6:7], s[4:5]
	s_cbranch_execz .LBB60_55
; %bb.48:
	scratch_load_dwordx4 v[8:11], v14, off offset:64
	ds_read_b128 v[16:19], v1 offset:64
	v_cmp_ne_u32_e64 s[4:5], 3, v248
	s_waitcnt vmcnt(0) lgkmcnt(0)
	v_mul_f64 v[12:13], v[18:19], v[10:11]
	v_mul_f64 v[10:11], v[16:17], v[10:11]
	v_fma_f64 v[12:13], v[16:17], v[8:9], -v[12:13]
	v_fmac_f64_e32 v[10:11], v[18:19], v[8:9]
	v_add_f64 v[4:5], v[4:5], v[12:13]
	v_add_f64 v[2:3], v[2:3], v[10:11]
	s_and_saveexec_b64 s[22:23], s[4:5]
	s_cbranch_execz .LBB60_54
; %bb.49:
	scratch_load_dwordx4 v[8:11], v14, off offset:80
	ds_read_b128 v[16:19], v1 offset:80
	s_waitcnt vmcnt(0) lgkmcnt(0)
	v_mul_f64 v[12:13], v[18:19], v[10:11]
	v_mul_f64 v[10:11], v[16:17], v[10:11]
	v_fma_f64 v[12:13], v[16:17], v[8:9], -v[12:13]
	v_fmac_f64_e32 v[10:11], v[18:19], v[8:9]
	v_add_f64 v[4:5], v[4:5], v[12:13]
	v_add_f64 v[2:3], v[2:3], v[10:11]
	s_and_saveexec_b64 s[4:5], vcc
	s_cbranch_execz .LBB60_53
; %bb.50:
	scratch_load_dwordx4 v[8:11], v14, off offset:96
	ds_read_b128 v[16:19], v1 offset:96
	s_waitcnt vmcnt(0) lgkmcnt(0)
	v_mul_f64 v[12:13], v[18:19], v[10:11]
	v_mul_f64 v[10:11], v[16:17], v[10:11]
	v_fma_f64 v[12:13], v[16:17], v[8:9], -v[12:13]
	v_fmac_f64_e32 v[10:11], v[18:19], v[8:9]
	v_add_f64 v[4:5], v[4:5], v[12:13]
	v_add_f64 v[2:3], v[2:3], v[10:11]
	s_and_saveexec_b64 s[24:25], s[0:1]
	s_cbranch_execz .LBB60_52
; %bb.51:
	scratch_load_dwordx4 v[8:11], v14, off offset:112
	ds_read_b128 v[12:15], v1 offset:112
	s_waitcnt vmcnt(0) lgkmcnt(0)
	v_mul_f64 v[16:17], v[14:15], v[10:11]
	v_mul_f64 v[10:11], v[12:13], v[10:11]
	v_fma_f64 v[12:13], v[12:13], v[8:9], -v[16:17]
	v_fmac_f64_e32 v[10:11], v[14:15], v[8:9]
	v_add_f64 v[4:5], v[4:5], v[12:13]
	v_add_f64 v[2:3], v[2:3], v[10:11]
.LBB60_52:
	s_or_b64 exec, exec, s[24:25]
.LBB60_53:
	s_or_b64 exec, exec, s[4:5]
.LBB60_54:
	s_or_b64 exec, exec, s[22:23]
.LBB60_55:
	s_or_b64 exec, exec, s[6:7]
.LBB60_56:
	s_or_b64 exec, exec, s[20:21]
.LBB60_57:
	s_or_b64 exec, exec, s[8:9]
.LBB60_58:
	s_or_b64 exec, exec, s[14:15]
	v_mov_b32_e32 v0, 0
	ds_read_b128 v[8:11], v0 offset:128
	s_waitcnt lgkmcnt(0)
	v_mul_f64 v[14:15], v[2:3], v[10:11]
	v_mul_f64 v[12:13], v[4:5], v[10:11]
	v_fma_f64 v[10:11], v[4:5], v[8:9], -v[14:15]
	v_fmac_f64_e32 v[12:13], v[2:3], v[8:9]
	scratch_store_dwordx4 off, v[10:13], off offset:144
.LBB60_59:
	s_or_b64 exec, exec, s[12:13]
	; wave barrier
	scratch_load_dwordx4 v[2:5], off, s35
	v_cmp_gt_u32_e32 vcc, 9, v248
	s_waitcnt vmcnt(0)
	ds_write_b128 v1, v[2:5]
	s_waitcnt lgkmcnt(0)
	; wave barrier
	s_and_saveexec_b64 s[0:1], vcc
	s_cbranch_execz .LBB60_63
; %bb.60:
	v_add_u32_e32 v7, -1, v248
	v_add_u32_e32 v8, 0x3d0, v42
	v_add_u32_e32 v9, 16, v42
	v_mov_b64_e32 v[2:3], 0
	s_mov_b64 s[4:5], 0
	v_mov_b64_e32 v[4:5], 0
.LBB60_61:                              ; =>This Inner Loop Header: Depth=1
	scratch_load_dwordx4 v[10:13], v9, off
	ds_read_b128 v[14:17], v8
	v_add_u32_e32 v7, 1, v7
	v_cmp_lt_u32_e32 vcc, 7, v7
	v_add_u32_e32 v8, 16, v8
	v_add_u32_e32 v9, 16, v9
	s_or_b64 s[4:5], vcc, s[4:5]
	s_waitcnt vmcnt(0) lgkmcnt(0)
	v_mul_f64 v[18:19], v[16:17], v[12:13]
	v_mul_f64 v[12:13], v[14:15], v[12:13]
	v_fma_f64 v[14:15], v[14:15], v[10:11], -v[18:19]
	v_fmac_f64_e32 v[12:13], v[16:17], v[10:11]
	v_add_f64 v[4:5], v[4:5], v[14:15]
	v_add_f64 v[2:3], v[2:3], v[12:13]
	s_andn2_b64 exec, exec, s[4:5]
	s_cbranch_execnz .LBB60_61
; %bb.62:
	s_or_b64 exec, exec, s[4:5]
	v_mov_b32_e32 v0, 0
	ds_read_b128 v[8:11], v0 offset:144
	s_waitcnt lgkmcnt(0)
	v_mul_f64 v[14:15], v[2:3], v[10:11]
	v_mul_f64 v[12:13], v[4:5], v[10:11]
	v_fma_f64 v[10:11], v[4:5], v[8:9], -v[14:15]
	v_fmac_f64_e32 v[12:13], v[2:3], v[8:9]
	scratch_store_dwordx4 off, v[10:13], off offset:160
.LBB60_63:
	s_or_b64 exec, exec, s[0:1]
	; wave barrier
	scratch_load_dwordx4 v[2:5], off, s36
	v_cmp_gt_u32_e32 vcc, 10, v248
	s_waitcnt vmcnt(0)
	ds_write_b128 v1, v[2:5]
	s_waitcnt lgkmcnt(0)
	; wave barrier
	s_and_saveexec_b64 s[0:1], vcc
	s_cbranch_execz .LBB60_67
; %bb.64:
	v_add_u32_e32 v7, -1, v248
	v_add_u32_e32 v8, 0x3d0, v42
	v_add_u32_e32 v9, 16, v42
	v_mov_b64_e32 v[2:3], 0
	s_mov_b64 s[4:5], 0
	v_mov_b64_e32 v[4:5], 0
.LBB60_65:                              ; =>This Inner Loop Header: Depth=1
	scratch_load_dwordx4 v[10:13], v9, off
	ds_read_b128 v[14:17], v8
	v_add_u32_e32 v7, 1, v7
	v_cmp_lt_u32_e32 vcc, 8, v7
	v_add_u32_e32 v8, 16, v8
	v_add_u32_e32 v9, 16, v9
	s_or_b64 s[4:5], vcc, s[4:5]
	s_waitcnt vmcnt(0) lgkmcnt(0)
	v_mul_f64 v[18:19], v[16:17], v[12:13]
	v_mul_f64 v[12:13], v[14:15], v[12:13]
	v_fma_f64 v[14:15], v[14:15], v[10:11], -v[18:19]
	v_fmac_f64_e32 v[12:13], v[16:17], v[10:11]
	v_add_f64 v[4:5], v[4:5], v[14:15]
	v_add_f64 v[2:3], v[2:3], v[12:13]
	s_andn2_b64 exec, exec, s[4:5]
	s_cbranch_execnz .LBB60_65
; %bb.66:
	s_or_b64 exec, exec, s[4:5]
	v_mov_b32_e32 v0, 0
	ds_read_b128 v[8:11], v0 offset:160
	s_waitcnt lgkmcnt(0)
	v_mul_f64 v[14:15], v[2:3], v[10:11]
	v_mul_f64 v[12:13], v[4:5], v[10:11]
	v_fma_f64 v[10:11], v[4:5], v[8:9], -v[14:15]
	v_fmac_f64_e32 v[12:13], v[2:3], v[8:9]
	scratch_store_dwordx4 off, v[10:13], off offset:176
.LBB60_67:
	;; [unrolled: 45-line block ×10, first 2 shown]
	s_or_b64 exec, exec, s[0:1]
	; wave barrier
	scratch_load_dwordx4 v[2:5], off, s45
	v_cmp_gt_u32_e32 vcc, 19, v248
	s_waitcnt vmcnt(0)
	ds_write_b128 v1, v[2:5]
	s_waitcnt lgkmcnt(0)
	; wave barrier
	s_and_saveexec_b64 s[0:1], vcc
	s_cbranch_execz .LBB60_103
; %bb.100:
	v_add_u32_e32 v7, -1, v248
	v_add_u32_e32 v8, 0x3d0, v42
	v_add_u32_e32 v9, 16, v42
	v_mov_b64_e32 v[2:3], 0
	s_mov_b64 s[4:5], 0
	v_mov_b64_e32 v[4:5], 0
.LBB60_101:                             ; =>This Inner Loop Header: Depth=1
	scratch_load_dwordx4 v[10:13], v9, off
	ds_read_b128 v[14:17], v8
	v_add_u32_e32 v7, 1, v7
	v_cmp_lt_u32_e32 vcc, 17, v7
	v_add_u32_e32 v8, 16, v8
	v_add_u32_e32 v9, 16, v9
	s_or_b64 s[4:5], vcc, s[4:5]
	s_waitcnt vmcnt(0) lgkmcnt(0)
	v_mul_f64 v[18:19], v[16:17], v[12:13]
	v_mul_f64 v[12:13], v[14:15], v[12:13]
	v_fma_f64 v[14:15], v[14:15], v[10:11], -v[18:19]
	v_fmac_f64_e32 v[12:13], v[16:17], v[10:11]
	v_add_f64 v[4:5], v[4:5], v[14:15]
	v_add_f64 v[2:3], v[2:3], v[12:13]
	s_andn2_b64 exec, exec, s[4:5]
	s_cbranch_execnz .LBB60_101
; %bb.102:
	s_or_b64 exec, exec, s[4:5]
	v_mov_b32_e32 v0, 0
	ds_read_b128 v[8:11], v0 offset:304
	s_waitcnt lgkmcnt(0)
	v_mul_f64 v[14:15], v[2:3], v[10:11]
	v_mul_f64 v[12:13], v[4:5], v[10:11]
	v_fma_f64 v[10:11], v[4:5], v[8:9], -v[14:15]
	v_fmac_f64_e32 v[12:13], v[2:3], v[8:9]
	scratch_store_dwordx4 off, v[10:13], off offset:320
.LBB60_103:
	s_or_b64 exec, exec, s[0:1]
	; wave barrier
	scratch_load_dwordx4 v[2:5], off, s46
	v_cmp_gt_u32_e32 vcc, 20, v248
	s_waitcnt vmcnt(0)
	ds_write_b128 v1, v[2:5]
	s_waitcnt lgkmcnt(0)
	; wave barrier
	s_and_saveexec_b64 s[0:1], vcc
	s_cbranch_execz .LBB60_107
; %bb.104:
	v_add_u32_e32 v7, -1, v248
	v_add_u32_e32 v8, 0x3d0, v42
	v_add_u32_e32 v9, 16, v42
	v_mov_b64_e32 v[2:3], 0
	s_mov_b64 s[4:5], 0
	v_mov_b64_e32 v[4:5], 0
.LBB60_105:                             ; =>This Inner Loop Header: Depth=1
	scratch_load_dwordx4 v[10:13], v9, off
	ds_read_b128 v[14:17], v8
	v_add_u32_e32 v7, 1, v7
	v_cmp_lt_u32_e32 vcc, 18, v7
	v_add_u32_e32 v8, 16, v8
	v_add_u32_e32 v9, 16, v9
	s_or_b64 s[4:5], vcc, s[4:5]
	s_waitcnt vmcnt(0) lgkmcnt(0)
	v_mul_f64 v[18:19], v[16:17], v[12:13]
	v_mul_f64 v[12:13], v[14:15], v[12:13]
	v_fma_f64 v[14:15], v[14:15], v[10:11], -v[18:19]
	v_fmac_f64_e32 v[12:13], v[16:17], v[10:11]
	v_add_f64 v[4:5], v[4:5], v[14:15]
	v_add_f64 v[2:3], v[2:3], v[12:13]
	s_andn2_b64 exec, exec, s[4:5]
	s_cbranch_execnz .LBB60_105
; %bb.106:
	s_or_b64 exec, exec, s[4:5]
	v_mov_b32_e32 v0, 0
	ds_read_b128 v[8:11], v0 offset:320
	s_waitcnt lgkmcnt(0)
	v_mul_f64 v[14:15], v[2:3], v[10:11]
	v_mul_f64 v[12:13], v[4:5], v[10:11]
	v_fma_f64 v[10:11], v[4:5], v[8:9], -v[14:15]
	v_fmac_f64_e32 v[12:13], v[2:3], v[8:9]
	scratch_store_dwordx4 off, v[10:13], off offset:336
.LBB60_107:
	;; [unrolled: 45-line block ×41, first 2 shown]
	s_or_b64 exec, exec, s[0:1]
	; wave barrier
	scratch_load_dwordx4 v[2:5], off, s86
	v_cmp_ne_u32_e32 vcc, 60, v248
	s_waitcnt vmcnt(0)
	ds_write_b128 v1, v[2:5]
	s_waitcnt lgkmcnt(0)
	; wave barrier
	s_and_saveexec_b64 s[0:1], vcc
	s_cbranch_execz .LBB60_267
; %bb.264:
	v_add_u32_e32 v1, 0x3d0, v42
	v_add_u32_e32 v7, 16, v42
	v_mov_b64_e32 v[2:3], 0
	s_mov_b64 s[4:5], 0
	v_mov_b64_e32 v[4:5], 0
.LBB60_265:                             ; =>This Inner Loop Header: Depth=1
	scratch_load_dwordx4 v[8:11], v7, off
	ds_read_b128 v[12:15], v1
	v_add_u32_e32 v6, 1, v6
	v_cmp_lt_u32_e32 vcc, 58, v6
	v_add_u32_e32 v1, 16, v1
	v_add_u32_e32 v7, 16, v7
	s_or_b64 s[4:5], vcc, s[4:5]
	s_waitcnt vmcnt(0) lgkmcnt(0)
	v_mul_f64 v[16:17], v[14:15], v[10:11]
	v_mul_f64 v[10:11], v[12:13], v[10:11]
	v_fma_f64 v[12:13], v[12:13], v[8:9], -v[16:17]
	v_fmac_f64_e32 v[10:11], v[14:15], v[8:9]
	v_add_f64 v[4:5], v[4:5], v[12:13]
	v_add_f64 v[2:3], v[2:3], v[10:11]
	s_andn2_b64 exec, exec, s[4:5]
	s_cbranch_execnz .LBB60_265
; %bb.266:
	s_or_b64 exec, exec, s[4:5]
	v_mov_b32_e32 v0, 0
	ds_read_b128 v[6:9], v0 offset:960
	s_waitcnt lgkmcnt(0)
	v_mul_f64 v[12:13], v[2:3], v[8:9]
	v_mul_f64 v[10:11], v[4:5], v[8:9]
	v_fma_f64 v[8:9], v[4:5], v[6:7], -v[12:13]
	v_fmac_f64_e32 v[10:11], v[2:3], v[6:7]
	scratch_store_dwordx4 off, v[8:11], off offset:976
.LBB60_267:
	s_or_b64 exec, exec, s[0:1]
	s_mov_b64 s[4:5], -1
	; wave barrier
.LBB60_268:
	s_and_b64 vcc, exec, s[4:5]
	s_cbranch_vccz .LBB60_270
; %bb.269:
	s_lshl_b64 s[0:1], s[2:3], 2
	s_add_u32 s0, s10, s0
	s_addc_u32 s1, s11, s1
	v_mov_b32_e32 v0, 0
	global_load_dword v0, v0, s[0:1]
	s_waitcnt vmcnt(0)
	v_cmp_ne_u32_e32 vcc, 0, v0
	s_cbranch_vccz .LBB60_271
.LBB60_270:
	s_endpgm
.LBB60_271:
	v_mov_b32_e32 v0, 0x3d0
	v_lshl_add_u32 v0, v248, 4, v0
	v_accvgpr_write_b32 a123, v0
	v_cmp_eq_u32_e32 vcc, 60, v248
	s_and_saveexec_b64 s[0:1], vcc
	s_cbranch_execz .LBB60_273
; %bb.272:
	scratch_load_dwordx4 v[2:5], off, s85
	v_mov_b32_e32 v6, 0
	v_mov_b32_e32 v7, v6
	;; [unrolled: 1-line block ×4, first 2 shown]
	v_accvgpr_read_b32 v0, a123
	scratch_store_dwordx4 off, v[6:9], off offset:960
	s_waitcnt vmcnt(1)
	ds_write_b128 v0, v[2:5]
.LBB60_273:
	s_or_b64 exec, exec, s[0:1]
	s_waitcnt lgkmcnt(0)
	; wave barrier
	scratch_load_dwordx4 v[4:7], off, off offset:976
	scratch_load_dwordx4 v[8:11], off, off offset:960
	v_mov_b32_e32 v2, 0
	ds_read_b128 v[12:15], v2 offset:1936
	v_cmp_lt_u32_e32 vcc, 58, v248
	s_waitcnt vmcnt(1) lgkmcnt(0)
	v_mul_f64 v[16:17], v[12:13], v[6:7]
	v_mul_f64 v[6:7], v[14:15], v[6:7]
	v_fmac_f64_e32 v[16:17], v[14:15], v[4:5]
	v_fma_f64 v[4:5], v[12:13], v[4:5], -v[6:7]
	v_add_f64 v[6:7], v[16:17], 0
	v_add_f64 v[4:5], v[4:5], 0
	s_waitcnt vmcnt(0)
	v_add_f64 v[4:5], v[8:9], -v[4:5]
	v_add_f64 v[6:7], v[10:11], -v[6:7]
	scratch_store_dwordx4 off, v[4:7], off offset:960
	s_and_saveexec_b64 s[0:1], vcc
	s_cbranch_execz .LBB60_275
; %bb.274:
	scratch_load_dwordx4 v[6:9], off, s84
	v_mov_b32_e32 v3, v2
	v_mov_b32_e32 v4, v2
	;; [unrolled: 1-line block ×3, first 2 shown]
	v_accvgpr_read_b32 v0, a123
	scratch_store_dwordx4 off, v[2:5], off offset:944
	s_waitcnt vmcnt(1)
	ds_write_b128 v0, v[6:9]
.LBB60_275:
	s_or_b64 exec, exec, s[0:1]
	s_waitcnt lgkmcnt(0)
	; wave barrier
	scratch_load_dwordx4 v[4:7], off, off offset:960
	scratch_load_dwordx4 v[8:11], off, off offset:976
	;; [unrolled: 1-line block ×3, first 2 shown]
	ds_read_b128 v[16:19], v2 offset:1920
	ds_read_b128 v[20:23], v2 offset:1936
	v_cmp_lt_u32_e32 vcc, 57, v248
	s_waitcnt vmcnt(2) lgkmcnt(1)
	v_mul_f64 v[2:3], v[16:17], v[6:7]
	v_mul_f64 v[6:7], v[18:19], v[6:7]
	s_waitcnt vmcnt(1) lgkmcnt(0)
	v_mul_f64 v[24:25], v[20:21], v[10:11]
	v_mul_f64 v[10:11], v[22:23], v[10:11]
	v_fmac_f64_e32 v[2:3], v[18:19], v[4:5]
	v_fma_f64 v[4:5], v[16:17], v[4:5], -v[6:7]
	v_fmac_f64_e32 v[24:25], v[22:23], v[8:9]
	v_fma_f64 v[6:7], v[20:21], v[8:9], -v[10:11]
	v_add_f64 v[2:3], v[2:3], 0
	v_add_f64 v[4:5], v[4:5], 0
	;; [unrolled: 1-line block ×4, first 2 shown]
	s_waitcnt vmcnt(0)
	v_add_f64 v[2:3], v[12:13], -v[2:3]
	v_add_f64 v[4:5], v[14:15], -v[8:9]
	scratch_store_dwordx4 off, v[2:5], off offset:944
	s_and_saveexec_b64 s[0:1], vcc
	s_cbranch_execz .LBB60_277
; %bb.276:
	scratch_load_dwordx4 v[2:5], off, s83
	v_mov_b32_e32 v6, 0
	v_mov_b32_e32 v7, v6
	v_mov_b32_e32 v8, v6
	v_mov_b32_e32 v9, v6
	v_accvgpr_read_b32 v0, a123
	scratch_store_dwordx4 off, v[6:9], off offset:928
	s_waitcnt vmcnt(1)
	ds_write_b128 v0, v[2:5]
.LBB60_277:
	s_or_b64 exec, exec, s[0:1]
	s_waitcnt lgkmcnt(0)
	; wave barrier
	scratch_load_dwordx4 v[4:7], off, off offset:944
	scratch_load_dwordx4 v[8:11], off, off offset:960
	;; [unrolled: 1-line block ×4, first 2 shown]
	v_mov_b32_e32 v2, 0
	ds_read_b128 v[20:23], v2 offset:1904
	ds_read_b128 v[24:27], v2 offset:1920
	;; [unrolled: 1-line block ×3, first 2 shown]
	v_cmp_lt_u32_e32 vcc, 56, v248
	s_waitcnt vmcnt(3) lgkmcnt(2)
	v_mul_f64 v[32:33], v[20:21], v[6:7]
	v_mul_f64 v[6:7], v[22:23], v[6:7]
	s_waitcnt vmcnt(2) lgkmcnt(1)
	v_mul_f64 v[34:35], v[24:25], v[10:11]
	v_mul_f64 v[10:11], v[26:27], v[10:11]
	v_fmac_f64_e32 v[32:33], v[22:23], v[4:5]
	v_fma_f64 v[4:5], v[20:21], v[4:5], -v[6:7]
	s_waitcnt vmcnt(1) lgkmcnt(0)
	v_mul_f64 v[36:37], v[28:29], v[14:15]
	v_mul_f64 v[14:15], v[30:31], v[14:15]
	v_fmac_f64_e32 v[34:35], v[26:27], v[8:9]
	v_fma_f64 v[6:7], v[24:25], v[8:9], -v[10:11]
	v_add_f64 v[10:11], v[32:33], 0
	v_add_f64 v[4:5], v[4:5], 0
	v_fmac_f64_e32 v[36:37], v[30:31], v[12:13]
	v_fma_f64 v[8:9], v[28:29], v[12:13], -v[14:15]
	v_add_f64 v[10:11], v[10:11], v[34:35]
	v_add_f64 v[4:5], v[4:5], v[6:7]
	;; [unrolled: 1-line block ×4, first 2 shown]
	s_waitcnt vmcnt(0)
	v_add_f64 v[4:5], v[16:17], -v[4:5]
	v_add_f64 v[6:7], v[18:19], -v[6:7]
	scratch_store_dwordx4 off, v[4:7], off offset:928
	s_and_saveexec_b64 s[0:1], vcc
	s_cbranch_execz .LBB60_279
; %bb.278:
	scratch_load_dwordx4 v[6:9], off, s82
	v_mov_b32_e32 v3, v2
	v_mov_b32_e32 v4, v2
	;; [unrolled: 1-line block ×3, first 2 shown]
	v_accvgpr_read_b32 v0, a123
	scratch_store_dwordx4 off, v[2:5], off offset:912
	s_waitcnt vmcnt(1)
	ds_write_b128 v0, v[6:9]
.LBB60_279:
	s_or_b64 exec, exec, s[0:1]
	s_waitcnt lgkmcnt(0)
	; wave barrier
	ds_read_b128 v[4:7], v2 offset:1888
	ds_read_b128 v[8:11], v2 offset:1904
	;; [unrolled: 1-line block ×4, first 2 shown]
	scratch_load_dwordx4 v[20:23], off, off offset:928
	scratch_load_dwordx4 v[24:27], off, off offset:944
	v_cmp_lt_u32_e32 vcc, 55, v248
	s_waitcnt vmcnt(1) lgkmcnt(3)
	v_mul_f64 v[2:3], v[4:5], v[22:23]
	v_fmac_f64_e32 v[2:3], v[6:7], v[20:21]
	s_waitcnt vmcnt(0) lgkmcnt(2)
	v_mul_f64 v[28:29], v[8:9], v[26:27]
	v_add_f64 v[2:3], v[2:3], 0
	v_fmac_f64_e32 v[28:29], v[10:11], v[24:25]
	v_add_f64 v[2:3], v[2:3], v[28:29]
	scratch_load_dwordx4 v[28:31], off, off offset:960
	s_waitcnt vmcnt(0) lgkmcnt(1)
	v_mul_f64 v[32:33], v[12:13], v[30:31]
	v_fmac_f64_e32 v[32:33], v[14:15], v[28:29]
	v_add_f64 v[2:3], v[2:3], v[32:33]
	scratch_load_dwordx4 v[32:35], off, off offset:976
	s_waitcnt vmcnt(0) lgkmcnt(0)
	v_mul_f64 v[36:37], v[16:17], v[34:35]
	v_fmac_f64_e32 v[36:37], v[18:19], v[32:33]
	v_add_f64 v[36:37], v[2:3], v[36:37]
	v_mul_f64 v[2:3], v[6:7], v[22:23]
	v_fma_f64 v[2:3], v[4:5], v[20:21], -v[2:3]
	v_mul_f64 v[4:5], v[10:11], v[26:27]
	v_add_f64 v[2:3], v[2:3], 0
	v_fma_f64 v[4:5], v[8:9], v[24:25], -v[4:5]
	v_add_f64 v[2:3], v[2:3], v[4:5]
	v_mul_f64 v[4:5], v[14:15], v[30:31]
	v_fma_f64 v[4:5], v[12:13], v[28:29], -v[4:5]
	v_add_f64 v[2:3], v[2:3], v[4:5]
	v_mul_f64 v[4:5], v[18:19], v[34:35]
	v_fma_f64 v[4:5], v[16:17], v[32:33], -v[4:5]
	v_add_f64 v[6:7], v[2:3], v[4:5]
	scratch_load_dwordx4 v[2:5], off, off offset:912
	s_waitcnt vmcnt(0)
	v_add_f64 v[2:3], v[2:3], -v[6:7]
	v_add_f64 v[4:5], v[4:5], -v[36:37]
	scratch_store_dwordx4 off, v[2:5], off offset:912
	s_and_saveexec_b64 s[0:1], vcc
	s_cbranch_execz .LBB60_281
; %bb.280:
	scratch_load_dwordx4 v[2:5], off, s80
	v_mov_b32_e32 v6, 0
	v_mov_b32_e32 v7, v6
	v_mov_b32_e32 v8, v6
	v_mov_b32_e32 v9, v6
	v_accvgpr_read_b32 v0, a123
	scratch_store_dwordx4 off, v[6:9], off offset:896
	s_waitcnt vmcnt(1)
	ds_write_b128 v0, v[2:5]
.LBB60_281:
	s_or_b64 exec, exec, s[0:1]
	s_waitcnt lgkmcnt(0)
	; wave barrier
	scratch_load_dwordx4 v[4:7], off, off offset:912
	scratch_load_dwordx4 v[8:11], off, off offset:928
	;; [unrolled: 1-line block ×6, first 2 shown]
	v_mov_b32_e32 v2, 0
	ds_read_b128 v[28:31], v2 offset:1872
	ds_read_b128 v[32:35], v2 offset:1888
	;; [unrolled: 1-line block ×5, first 2 shown]
	v_cmp_lt_u32_e32 vcc, 54, v248
	s_waitcnt vmcnt(5) lgkmcnt(4)
	v_mul_f64 v[48:49], v[28:29], v[6:7]
	v_mul_f64 v[6:7], v[30:31], v[6:7]
	s_waitcnt vmcnt(4) lgkmcnt(3)
	v_mul_f64 v[50:51], v[32:33], v[10:11]
	s_waitcnt vmcnt(3) lgkmcnt(2)
	v_mul_f64 v[52:53], v[36:37], v[14:15]
	v_mul_f64 v[10:11], v[34:35], v[10:11]
	;; [unrolled: 1-line block ×3, first 2 shown]
	v_fmac_f64_e32 v[48:49], v[30:31], v[4:5]
	v_fma_f64 v[4:5], v[28:29], v[4:5], -v[6:7]
	v_fmac_f64_e32 v[50:51], v[34:35], v[8:9]
	v_fma_f64 v[6:7], v[32:33], v[8:9], -v[10:11]
	v_fma_f64 v[8:9], v[36:37], v[12:13], -v[14:15]
	v_add_f64 v[14:15], v[48:49], 0
	v_add_f64 v[4:5], v[4:5], 0
	s_waitcnt vmcnt(2) lgkmcnt(1)
	v_mul_f64 v[54:55], v[40:41], v[18:19]
	v_mul_f64 v[18:19], v[42:43], v[18:19]
	v_fmac_f64_e32 v[52:53], v[38:39], v[12:13]
	v_add_f64 v[14:15], v[14:15], v[50:51]
	v_add_f64 v[4:5], v[4:5], v[6:7]
	s_waitcnt vmcnt(1) lgkmcnt(0)
	v_mul_f64 v[56:57], v[44:45], v[22:23]
	v_mul_f64 v[22:23], v[46:47], v[22:23]
	v_fmac_f64_e32 v[54:55], v[42:43], v[16:17]
	v_fma_f64 v[10:11], v[40:41], v[16:17], -v[18:19]
	v_add_f64 v[6:7], v[14:15], v[52:53]
	v_add_f64 v[4:5], v[4:5], v[8:9]
	v_fmac_f64_e32 v[56:57], v[46:47], v[20:21]
	v_fma_f64 v[12:13], v[44:45], v[20:21], -v[22:23]
	v_add_f64 v[6:7], v[6:7], v[54:55]
	v_add_f64 v[4:5], v[4:5], v[10:11]
	v_add_f64 v[6:7], v[6:7], v[56:57]
	v_add_f64 v[4:5], v[4:5], v[12:13]
	s_waitcnt vmcnt(0)
	v_add_f64 v[4:5], v[24:25], -v[4:5]
	v_add_f64 v[6:7], v[26:27], -v[6:7]
	scratch_store_dwordx4 off, v[4:7], off offset:896
	s_and_saveexec_b64 s[0:1], vcc
	s_cbranch_execz .LBB60_283
; %bb.282:
	scratch_load_dwordx4 v[6:9], off, s81
	v_mov_b32_e32 v3, v2
	v_mov_b32_e32 v4, v2
	v_mov_b32_e32 v5, v2
	v_accvgpr_read_b32 v0, a123
	scratch_store_dwordx4 off, v[2:5], off offset:880
	s_waitcnt vmcnt(1)
	ds_write_b128 v0, v[6:9]
.LBB60_283:
	s_or_b64 exec, exec, s[0:1]
	s_waitcnt lgkmcnt(0)
	; wave barrier
	scratch_load_dwordx4 v[4:7], off, off offset:896
	scratch_load_dwordx4 v[8:11], off, off offset:912
	;; [unrolled: 1-line block ×7, first 2 shown]
	ds_read_b128 v[32:35], v2 offset:1856
	ds_read_b128 v[36:39], v2 offset:1872
	;; [unrolled: 1-line block ×6, first 2 shown]
	v_cmp_lt_u32_e32 vcc, 53, v248
	s_waitcnt vmcnt(6) lgkmcnt(5)
	v_mul_f64 v[2:3], v[32:33], v[6:7]
	v_mul_f64 v[6:7], v[34:35], v[6:7]
	s_waitcnt vmcnt(5) lgkmcnt(4)
	v_mul_f64 v[56:57], v[36:37], v[10:11]
	v_mul_f64 v[10:11], v[38:39], v[10:11]
	v_fmac_f64_e32 v[2:3], v[34:35], v[4:5]
	v_fma_f64 v[4:5], v[32:33], v[4:5], -v[6:7]
	s_waitcnt vmcnt(4) lgkmcnt(3)
	v_mul_f64 v[58:59], v[40:41], v[14:15]
	v_mul_f64 v[14:15], v[42:43], v[14:15]
	v_fmac_f64_e32 v[56:57], v[38:39], v[8:9]
	v_fma_f64 v[6:7], v[36:37], v[8:9], -v[10:11]
	v_add_f64 v[2:3], v[2:3], 0
	v_add_f64 v[4:5], v[4:5], 0
	s_waitcnt vmcnt(3) lgkmcnt(2)
	v_mul_f64 v[60:61], v[44:45], v[18:19]
	v_mul_f64 v[18:19], v[46:47], v[18:19]
	v_fmac_f64_e32 v[58:59], v[42:43], v[12:13]
	v_fma_f64 v[8:9], v[40:41], v[12:13], -v[14:15]
	v_add_f64 v[2:3], v[2:3], v[56:57]
	v_add_f64 v[4:5], v[4:5], v[6:7]
	;; [unrolled: 7-line block ×4, first 2 shown]
	v_fmac_f64_e32 v[64:65], v[54:55], v[24:25]
	v_fma_f64 v[14:15], v[52:53], v[24:25], -v[26:27]
	v_add_f64 v[2:3], v[2:3], v[62:63]
	v_add_f64 v[4:5], v[4:5], v[12:13]
	;; [unrolled: 1-line block ×4, first 2 shown]
	s_waitcnt vmcnt(0)
	v_add_f64 v[2:3], v[28:29], -v[2:3]
	v_add_f64 v[4:5], v[30:31], -v[6:7]
	scratch_store_dwordx4 off, v[2:5], off offset:880
	s_and_saveexec_b64 s[0:1], vcc
	s_cbranch_execz .LBB60_285
; %bb.284:
	scratch_load_dwordx4 v[2:5], off, s79
	v_mov_b32_e32 v6, 0
	v_mov_b32_e32 v7, v6
	;; [unrolled: 1-line block ×4, first 2 shown]
	v_accvgpr_read_b32 v0, a123
	scratch_store_dwordx4 off, v[6:9], off offset:864
	s_waitcnt vmcnt(1)
	ds_write_b128 v0, v[2:5]
.LBB60_285:
	s_or_b64 exec, exec, s[0:1]
	s_waitcnt lgkmcnt(0)
	; wave barrier
	scratch_load_dwordx4 v[4:7], off, off offset:880
	scratch_load_dwordx4 v[8:11], off, off offset:896
	;; [unrolled: 1-line block ×8, first 2 shown]
	v_mov_b32_e32 v2, 0
	ds_read_b128 v[36:39], v2 offset:1840
	ds_read_b128 v[40:43], v2 offset:1856
	;; [unrolled: 1-line block ×7, first 2 shown]
	v_cmp_lt_u32_e32 vcc, 52, v248
	s_waitcnt vmcnt(7) lgkmcnt(6)
	v_mul_f64 v[64:65], v[36:37], v[6:7]
	v_mul_f64 v[6:7], v[38:39], v[6:7]
	s_waitcnt vmcnt(6) lgkmcnt(5)
	v_mul_f64 v[66:67], v[40:41], v[10:11]
	s_waitcnt vmcnt(4) lgkmcnt(3)
	v_mul_f64 v[70:71], v[48:49], v[18:19]
	v_mul_f64 v[10:11], v[42:43], v[10:11]
	;; [unrolled: 1-line block ×3, first 2 shown]
	v_fmac_f64_e32 v[64:65], v[38:39], v[4:5]
	v_fma_f64 v[4:5], v[36:37], v[4:5], -v[6:7]
	v_mul_f64 v[68:69], v[44:45], v[14:15]
	v_mul_f64 v[14:15], v[46:47], v[14:15]
	v_fmac_f64_e32 v[66:67], v[42:43], v[8:9]
	v_fma_f64 v[6:7], v[40:41], v[8:9], -v[10:11]
	v_fma_f64 v[10:11], v[48:49], v[16:17], -v[18:19]
	v_add_f64 v[18:19], v[64:65], 0
	v_add_f64 v[4:5], v[4:5], 0
	v_fmac_f64_e32 v[68:69], v[46:47], v[12:13]
	v_fma_f64 v[8:9], v[44:45], v[12:13], -v[14:15]
	v_add_f64 v[18:19], v[18:19], v[66:67]
	v_add_f64 v[4:5], v[4:5], v[6:7]
	s_waitcnt vmcnt(3) lgkmcnt(2)
	v_mul_f64 v[72:73], v[52:53], v[22:23]
	v_mul_f64 v[22:23], v[54:55], v[22:23]
	v_fmac_f64_e32 v[70:71], v[50:51], v[16:17]
	v_add_f64 v[6:7], v[18:19], v[68:69]
	v_add_f64 v[4:5], v[4:5], v[8:9]
	s_waitcnt vmcnt(2) lgkmcnt(1)
	v_mul_f64 v[74:75], v[56:57], v[26:27]
	v_mul_f64 v[26:27], v[58:59], v[26:27]
	v_fmac_f64_e32 v[72:73], v[54:55], v[20:21]
	v_fma_f64 v[12:13], v[52:53], v[20:21], -v[22:23]
	v_add_f64 v[6:7], v[6:7], v[70:71]
	v_add_f64 v[4:5], v[4:5], v[10:11]
	s_waitcnt vmcnt(1) lgkmcnt(0)
	v_mul_f64 v[76:77], v[60:61], v[30:31]
	v_mul_f64 v[30:31], v[62:63], v[30:31]
	v_fmac_f64_e32 v[74:75], v[58:59], v[24:25]
	v_fma_f64 v[14:15], v[56:57], v[24:25], -v[26:27]
	v_add_f64 v[6:7], v[6:7], v[72:73]
	v_add_f64 v[4:5], v[4:5], v[12:13]
	v_fmac_f64_e32 v[76:77], v[62:63], v[28:29]
	v_fma_f64 v[16:17], v[60:61], v[28:29], -v[30:31]
	v_add_f64 v[6:7], v[6:7], v[74:75]
	v_add_f64 v[4:5], v[4:5], v[14:15]
	;; [unrolled: 1-line block ×4, first 2 shown]
	s_waitcnt vmcnt(0)
	v_add_f64 v[4:5], v[32:33], -v[4:5]
	v_add_f64 v[6:7], v[34:35], -v[6:7]
	scratch_store_dwordx4 off, v[4:7], off offset:864
	s_and_saveexec_b64 s[0:1], vcc
	s_cbranch_execz .LBB60_287
; %bb.286:
	scratch_load_dwordx4 v[6:9], off, s78
	v_mov_b32_e32 v3, v2
	v_mov_b32_e32 v4, v2
	;; [unrolled: 1-line block ×3, first 2 shown]
	v_accvgpr_read_b32 v0, a123
	scratch_store_dwordx4 off, v[2:5], off offset:848
	s_waitcnt vmcnt(1)
	ds_write_b128 v0, v[6:9]
.LBB60_287:
	s_or_b64 exec, exec, s[0:1]
	s_waitcnt lgkmcnt(0)
	; wave barrier
	scratch_load_dwordx4 v[4:7], off, off offset:864
	scratch_load_dwordx4 v[8:11], off, off offset:880
	;; [unrolled: 1-line block ×9, first 2 shown]
	ds_read_b128 v[40:43], v2 offset:1824
	ds_read_b128 v[44:47], v2 offset:1840
	;; [unrolled: 1-line block ×8, first 2 shown]
	v_cmp_lt_u32_e32 vcc, 51, v248
	s_waitcnt vmcnt(8) lgkmcnt(7)
	v_mul_f64 v[2:3], v[40:41], v[6:7]
	v_mul_f64 v[6:7], v[42:43], v[6:7]
	s_waitcnt vmcnt(7) lgkmcnt(6)
	v_mul_f64 v[72:73], v[44:45], v[10:11]
	v_mul_f64 v[10:11], v[46:47], v[10:11]
	v_fmac_f64_e32 v[2:3], v[42:43], v[4:5]
	v_fma_f64 v[4:5], v[40:41], v[4:5], -v[6:7]
	s_waitcnt vmcnt(6) lgkmcnt(5)
	v_mul_f64 v[74:75], v[48:49], v[14:15]
	v_mul_f64 v[14:15], v[50:51], v[14:15]
	v_fmac_f64_e32 v[72:73], v[46:47], v[8:9]
	v_fma_f64 v[6:7], v[44:45], v[8:9], -v[10:11]
	v_add_f64 v[2:3], v[2:3], 0
	v_add_f64 v[4:5], v[4:5], 0
	s_waitcnt vmcnt(5) lgkmcnt(4)
	v_mul_f64 v[76:77], v[52:53], v[18:19]
	v_mul_f64 v[18:19], v[54:55], v[18:19]
	v_fmac_f64_e32 v[74:75], v[50:51], v[12:13]
	v_fma_f64 v[8:9], v[48:49], v[12:13], -v[14:15]
	v_add_f64 v[2:3], v[2:3], v[72:73]
	v_add_f64 v[4:5], v[4:5], v[6:7]
	;; [unrolled: 7-line block ×6, first 2 shown]
	v_fmac_f64_e32 v[84:85], v[70:71], v[32:33]
	v_fma_f64 v[18:19], v[68:69], v[32:33], -v[34:35]
	v_add_f64 v[2:3], v[2:3], v[82:83]
	v_add_f64 v[4:5], v[4:5], v[16:17]
	;; [unrolled: 1-line block ×4, first 2 shown]
	s_waitcnt vmcnt(0)
	v_add_f64 v[2:3], v[36:37], -v[2:3]
	v_add_f64 v[4:5], v[38:39], -v[6:7]
	scratch_store_dwordx4 off, v[2:5], off offset:848
	s_and_saveexec_b64 s[0:1], vcc
	s_cbranch_execz .LBB60_289
; %bb.288:
	scratch_load_dwordx4 v[2:5], off, s77
	v_mov_b32_e32 v6, 0
	v_mov_b32_e32 v7, v6
	;; [unrolled: 1-line block ×4, first 2 shown]
	v_accvgpr_read_b32 v0, a123
	scratch_store_dwordx4 off, v[6:9], off offset:832
	s_waitcnt vmcnt(1)
	ds_write_b128 v0, v[2:5]
.LBB60_289:
	s_or_b64 exec, exec, s[0:1]
	s_waitcnt lgkmcnt(0)
	; wave barrier
	scratch_load_dwordx4 v[4:7], off, off offset:848
	scratch_load_dwordx4 v[8:11], off, off offset:864
	;; [unrolled: 1-line block ×10, first 2 shown]
	v_mov_b32_e32 v2, 0
	ds_read_b128 v[44:47], v2 offset:1808
	ds_read_b128 v[48:51], v2 offset:1824
	;; [unrolled: 1-line block ×9, first 2 shown]
	v_cmp_lt_u32_e32 vcc, 50, v248
	s_waitcnt vmcnt(9) lgkmcnt(8)
	v_mul_f64 v[80:81], v[44:45], v[6:7]
	v_mul_f64 v[6:7], v[46:47], v[6:7]
	s_waitcnt vmcnt(8) lgkmcnt(7)
	v_mul_f64 v[82:83], v[48:49], v[10:11]
	s_waitcnt vmcnt(7) lgkmcnt(6)
	;; [unrolled: 2-line block ×3, first 2 shown]
	v_mul_f64 v[88:89], v[60:61], v[22:23]
	v_mul_f64 v[10:11], v[50:51], v[10:11]
	;; [unrolled: 1-line block ×4, first 2 shown]
	v_fmac_f64_e32 v[80:81], v[46:47], v[4:5]
	v_fma_f64 v[4:5], v[44:45], v[4:5], -v[6:7]
	v_fmac_f64_e32 v[82:83], v[50:51], v[8:9]
	v_fmac_f64_e32 v[84:85], v[54:55], v[12:13]
	v_fma_f64 v[6:7], v[48:49], v[8:9], -v[10:11]
	v_fma_f64 v[8:9], v[52:53], v[12:13], -v[14:15]
	;; [unrolled: 1-line block ×3, first 2 shown]
	v_add_f64 v[22:23], v[80:81], 0
	v_add_f64 v[4:5], v[4:5], 0
	v_mul_f64 v[86:87], v[56:57], v[18:19]
	v_mul_f64 v[18:19], v[58:59], v[18:19]
	v_add_f64 v[22:23], v[22:23], v[82:83]
	v_add_f64 v[4:5], v[4:5], v[6:7]
	v_fmac_f64_e32 v[86:87], v[58:59], v[16:17]
	v_fma_f64 v[10:11], v[56:57], v[16:17], -v[18:19]
	v_add_f64 v[6:7], v[22:23], v[84:85]
	v_add_f64 v[4:5], v[4:5], v[8:9]
	s_waitcnt vmcnt(4) lgkmcnt(3)
	v_mul_f64 v[90:91], v[64:65], v[26:27]
	v_mul_f64 v[26:27], v[66:67], v[26:27]
	v_fmac_f64_e32 v[88:89], v[62:63], v[20:21]
	v_add_f64 v[6:7], v[6:7], v[86:87]
	v_add_f64 v[4:5], v[4:5], v[10:11]
	s_waitcnt vmcnt(3) lgkmcnt(2)
	v_mul_f64 v[92:93], v[68:69], v[30:31]
	v_mul_f64 v[30:31], v[70:71], v[30:31]
	v_fmac_f64_e32 v[90:91], v[66:67], v[24:25]
	v_fma_f64 v[14:15], v[64:65], v[24:25], -v[26:27]
	v_add_f64 v[6:7], v[6:7], v[88:89]
	v_add_f64 v[4:5], v[4:5], v[12:13]
	s_waitcnt vmcnt(2) lgkmcnt(1)
	v_mul_f64 v[94:95], v[72:73], v[34:35]
	v_mul_f64 v[34:35], v[74:75], v[34:35]
	v_fmac_f64_e32 v[92:93], v[70:71], v[28:29]
	v_fma_f64 v[16:17], v[68:69], v[28:29], -v[30:31]
	v_add_f64 v[6:7], v[6:7], v[90:91]
	v_add_f64 v[4:5], v[4:5], v[14:15]
	s_waitcnt vmcnt(1) lgkmcnt(0)
	v_mul_f64 v[96:97], v[76:77], v[38:39]
	v_mul_f64 v[38:39], v[78:79], v[38:39]
	v_fmac_f64_e32 v[94:95], v[74:75], v[32:33]
	v_fma_f64 v[18:19], v[72:73], v[32:33], -v[34:35]
	v_add_f64 v[6:7], v[6:7], v[92:93]
	v_add_f64 v[4:5], v[4:5], v[16:17]
	v_fmac_f64_e32 v[96:97], v[78:79], v[36:37]
	v_fma_f64 v[20:21], v[76:77], v[36:37], -v[38:39]
	v_add_f64 v[6:7], v[6:7], v[94:95]
	v_add_f64 v[4:5], v[4:5], v[18:19]
	;; [unrolled: 1-line block ×4, first 2 shown]
	s_waitcnt vmcnt(0)
	v_add_f64 v[4:5], v[40:41], -v[4:5]
	v_add_f64 v[6:7], v[42:43], -v[6:7]
	scratch_store_dwordx4 off, v[4:7], off offset:832
	s_and_saveexec_b64 s[0:1], vcc
	s_cbranch_execz .LBB60_291
; %bb.290:
	scratch_load_dwordx4 v[6:9], off, s76
	v_mov_b32_e32 v3, v2
	v_mov_b32_e32 v4, v2
	;; [unrolled: 1-line block ×3, first 2 shown]
	v_accvgpr_read_b32 v0, a123
	scratch_store_dwordx4 off, v[2:5], off offset:816
	s_waitcnt vmcnt(1)
	ds_write_b128 v0, v[6:9]
.LBB60_291:
	s_or_b64 exec, exec, s[0:1]
	s_waitcnt lgkmcnt(0)
	; wave barrier
	scratch_load_dwordx4 v[4:7], off, off offset:832
	scratch_load_dwordx4 v[8:11], off, off offset:848
	scratch_load_dwordx4 v[12:15], off, off offset:864
	scratch_load_dwordx4 v[16:19], off, off offset:880
	scratch_load_dwordx4 v[20:23], off, off offset:896
	scratch_load_dwordx4 v[24:27], off, off offset:912
	scratch_load_dwordx4 v[28:31], off, off offset:928
	scratch_load_dwordx4 v[32:35], off, off offset:944
	scratch_load_dwordx4 v[36:39], off, off offset:960
	scratch_load_dwordx4 v[40:43], off, off offset:976
	scratch_load_dwordx4 v[44:47], off, off offset:816
	ds_read_b128 v[48:51], v2 offset:1792
	ds_read_b128 v[52:55], v2 offset:1808
	;; [unrolled: 1-line block ×10, first 2 shown]
	v_cmp_lt_u32_e32 vcc, 49, v248
	s_waitcnt vmcnt(10) lgkmcnt(9)
	v_mul_f64 v[2:3], v[48:49], v[6:7]
	v_mul_f64 v[6:7], v[50:51], v[6:7]
	s_waitcnt vmcnt(9) lgkmcnt(8)
	v_mul_f64 v[88:89], v[52:53], v[10:11]
	v_mul_f64 v[10:11], v[54:55], v[10:11]
	v_fmac_f64_e32 v[2:3], v[50:51], v[4:5]
	v_fma_f64 v[4:5], v[48:49], v[4:5], -v[6:7]
	s_waitcnt vmcnt(8) lgkmcnt(7)
	v_mul_f64 v[90:91], v[56:57], v[14:15]
	v_mul_f64 v[14:15], v[58:59], v[14:15]
	v_fmac_f64_e32 v[88:89], v[54:55], v[8:9]
	v_fma_f64 v[6:7], v[52:53], v[8:9], -v[10:11]
	v_add_f64 v[2:3], v[2:3], 0
	v_add_f64 v[4:5], v[4:5], 0
	s_waitcnt vmcnt(7) lgkmcnt(6)
	v_mul_f64 v[92:93], v[60:61], v[18:19]
	v_mul_f64 v[18:19], v[62:63], v[18:19]
	v_fmac_f64_e32 v[90:91], v[58:59], v[12:13]
	v_fma_f64 v[8:9], v[56:57], v[12:13], -v[14:15]
	v_add_f64 v[2:3], v[2:3], v[88:89]
	v_add_f64 v[4:5], v[4:5], v[6:7]
	s_waitcnt vmcnt(6) lgkmcnt(5)
	v_mul_f64 v[94:95], v[64:65], v[22:23]
	v_mul_f64 v[22:23], v[66:67], v[22:23]
	v_fmac_f64_e32 v[92:93], v[62:63], v[16:17]
	v_fma_f64 v[10:11], v[60:61], v[16:17], -v[18:19]
	v_add_f64 v[2:3], v[2:3], v[90:91]
	v_add_f64 v[4:5], v[4:5], v[8:9]
	s_waitcnt vmcnt(5) lgkmcnt(4)
	v_mul_f64 v[96:97], v[68:69], v[26:27]
	v_mul_f64 v[26:27], v[70:71], v[26:27]
	v_fmac_f64_e32 v[94:95], v[66:67], v[20:21]
	v_fma_f64 v[12:13], v[64:65], v[20:21], -v[22:23]
	v_add_f64 v[2:3], v[2:3], v[92:93]
	v_add_f64 v[4:5], v[4:5], v[10:11]
	s_waitcnt vmcnt(4) lgkmcnt(3)
	v_mul_f64 v[98:99], v[72:73], v[30:31]
	v_mul_f64 v[30:31], v[74:75], v[30:31]
	v_fmac_f64_e32 v[96:97], v[70:71], v[24:25]
	v_fma_f64 v[14:15], v[68:69], v[24:25], -v[26:27]
	v_add_f64 v[2:3], v[2:3], v[94:95]
	v_add_f64 v[4:5], v[4:5], v[12:13]
	s_waitcnt vmcnt(3) lgkmcnt(2)
	v_mul_f64 v[100:101], v[76:77], v[34:35]
	v_mul_f64 v[34:35], v[78:79], v[34:35]
	v_fmac_f64_e32 v[98:99], v[74:75], v[28:29]
	v_fma_f64 v[16:17], v[72:73], v[28:29], -v[30:31]
	v_add_f64 v[2:3], v[2:3], v[96:97]
	v_add_f64 v[4:5], v[4:5], v[14:15]
	s_waitcnt vmcnt(2) lgkmcnt(1)
	v_mul_f64 v[102:103], v[80:81], v[38:39]
	v_mul_f64 v[38:39], v[82:83], v[38:39]
	v_fmac_f64_e32 v[100:101], v[78:79], v[32:33]
	v_fma_f64 v[18:19], v[76:77], v[32:33], -v[34:35]
	v_add_f64 v[2:3], v[2:3], v[98:99]
	v_add_f64 v[4:5], v[4:5], v[16:17]
	s_waitcnt vmcnt(1) lgkmcnt(0)
	v_mul_f64 v[104:105], v[84:85], v[42:43]
	v_mul_f64 v[42:43], v[86:87], v[42:43]
	v_fmac_f64_e32 v[102:103], v[82:83], v[36:37]
	v_fma_f64 v[20:21], v[80:81], v[36:37], -v[38:39]
	v_add_f64 v[2:3], v[2:3], v[100:101]
	v_add_f64 v[4:5], v[4:5], v[18:19]
	v_fmac_f64_e32 v[104:105], v[86:87], v[40:41]
	v_fma_f64 v[22:23], v[84:85], v[40:41], -v[42:43]
	v_add_f64 v[2:3], v[2:3], v[102:103]
	v_add_f64 v[4:5], v[4:5], v[20:21]
	;; [unrolled: 1-line block ×4, first 2 shown]
	s_waitcnt vmcnt(0)
	v_add_f64 v[2:3], v[44:45], -v[2:3]
	v_add_f64 v[4:5], v[46:47], -v[6:7]
	scratch_store_dwordx4 off, v[2:5], off offset:816
	s_and_saveexec_b64 s[0:1], vcc
	s_cbranch_execz .LBB60_293
; %bb.292:
	scratch_load_dwordx4 v[2:5], off, s74
	v_mov_b32_e32 v6, 0
	v_mov_b32_e32 v7, v6
	;; [unrolled: 1-line block ×4, first 2 shown]
	v_accvgpr_read_b32 v0, a123
	scratch_store_dwordx4 off, v[6:9], off offset:800
	s_waitcnt vmcnt(1)
	ds_write_b128 v0, v[2:5]
.LBB60_293:
	s_or_b64 exec, exec, s[0:1]
	s_waitcnt lgkmcnt(0)
	; wave barrier
	scratch_load_dwordx4 v[4:7], off, off offset:816
	scratch_load_dwordx4 v[8:11], off, off offset:832
	scratch_load_dwordx4 v[12:15], off, off offset:848
	scratch_load_dwordx4 v[16:19], off, off offset:864
	scratch_load_dwordx4 v[20:23], off, off offset:880
	scratch_load_dwordx4 v[24:27], off, off offset:896
	scratch_load_dwordx4 v[28:31], off, off offset:912
	scratch_load_dwordx4 v[32:35], off, off offset:928
	scratch_load_dwordx4 v[36:39], off, off offset:944
	scratch_load_dwordx4 v[40:43], off, off offset:960
	scratch_load_dwordx4 v[44:47], off, off offset:976
	scratch_load_dwordx4 v[48:51], off, off offset:800
	v_mov_b32_e32 v2, 0
	ds_read_b128 v[52:55], v2 offset:1776
	ds_read_b128 v[56:59], v2 offset:1792
	ds_read_b128 v[60:63], v2 offset:1808
	ds_read_b128 v[64:67], v2 offset:1824
	ds_read_b128 v[68:71], v2 offset:1840
	ds_read_b128 v[72:75], v2 offset:1856
	ds_read_b128 v[76:79], v2 offset:1872
	ds_read_b128 v[80:83], v2 offset:1888
	ds_read_b128 v[84:87], v2 offset:1904
	ds_read_b128 v[88:91], v2 offset:1920
	ds_read_b128 v[92:95], v2 offset:1936
	v_cmp_lt_u32_e32 vcc, 48, v248
	s_waitcnt vmcnt(11) lgkmcnt(10)
	v_mul_f64 v[96:97], v[52:53], v[6:7]
	v_mul_f64 v[6:7], v[54:55], v[6:7]
	s_waitcnt vmcnt(10) lgkmcnt(9)
	v_mul_f64 v[98:99], v[56:57], v[10:11]
	s_waitcnt vmcnt(9) lgkmcnt(8)
	v_mul_f64 v[100:101], v[60:61], v[14:15]
	v_mul_f64 v[10:11], v[58:59], v[10:11]
	s_waitcnt vmcnt(6) lgkmcnt(5)
	v_mul_f64 v[106:107], v[72:73], v[26:27]
	v_mul_f64 v[14:15], v[62:63], v[14:15]
	;; [unrolled: 1-line block ×3, first 2 shown]
	v_fmac_f64_e32 v[96:97], v[54:55], v[4:5]
	v_fma_f64 v[4:5], v[52:53], v[4:5], -v[6:7]
	v_fmac_f64_e32 v[98:99], v[58:59], v[8:9]
	v_fma_f64 v[6:7], v[56:57], v[8:9], -v[10:11]
	v_fma_f64 v[8:9], v[60:61], v[12:13], -v[14:15]
	;; [unrolled: 1-line block ×3, first 2 shown]
	v_add_f64 v[26:27], v[96:97], 0
	v_add_f64 v[4:5], v[4:5], 0
	v_mul_f64 v[102:103], v[64:65], v[18:19]
	v_mul_f64 v[18:19], v[66:67], v[18:19]
	v_fmac_f64_e32 v[100:101], v[62:63], v[12:13]
	v_add_f64 v[26:27], v[26:27], v[98:99]
	v_add_f64 v[4:5], v[4:5], v[6:7]
	v_mul_f64 v[104:105], v[68:69], v[22:23]
	v_mul_f64 v[22:23], v[70:71], v[22:23]
	v_fmac_f64_e32 v[102:103], v[66:67], v[16:17]
	v_fma_f64 v[10:11], v[64:65], v[16:17], -v[18:19]
	v_add_f64 v[6:7], v[26:27], v[100:101]
	v_add_f64 v[4:5], v[4:5], v[8:9]
	v_fmac_f64_e32 v[104:105], v[70:71], v[20:21]
	v_fma_f64 v[12:13], v[68:69], v[20:21], -v[22:23]
	v_add_f64 v[6:7], v[6:7], v[102:103]
	v_add_f64 v[4:5], v[4:5], v[10:11]
	s_waitcnt vmcnt(5) lgkmcnt(4)
	v_mul_f64 v[108:109], v[76:77], v[30:31]
	v_mul_f64 v[30:31], v[78:79], v[30:31]
	v_fmac_f64_e32 v[106:107], v[74:75], v[24:25]
	v_add_f64 v[6:7], v[6:7], v[104:105]
	v_add_f64 v[4:5], v[4:5], v[12:13]
	s_waitcnt vmcnt(4) lgkmcnt(3)
	v_mul_f64 v[110:111], v[80:81], v[34:35]
	v_mul_f64 v[34:35], v[82:83], v[34:35]
	v_fmac_f64_e32 v[108:109], v[78:79], v[28:29]
	v_fma_f64 v[16:17], v[76:77], v[28:29], -v[30:31]
	v_add_f64 v[6:7], v[6:7], v[106:107]
	v_add_f64 v[4:5], v[4:5], v[14:15]
	s_waitcnt vmcnt(3) lgkmcnt(2)
	v_mul_f64 v[112:113], v[84:85], v[38:39]
	v_mul_f64 v[38:39], v[86:87], v[38:39]
	v_fmac_f64_e32 v[110:111], v[82:83], v[32:33]
	v_fma_f64 v[18:19], v[80:81], v[32:33], -v[34:35]
	;; [unrolled: 7-line block ×4, first 2 shown]
	v_add_f64 v[6:7], v[6:7], v[112:113]
	v_add_f64 v[4:5], v[4:5], v[20:21]
	v_fmac_f64_e32 v[116:117], v[94:95], v[44:45]
	v_fma_f64 v[24:25], v[92:93], v[44:45], -v[46:47]
	v_add_f64 v[6:7], v[6:7], v[114:115]
	v_add_f64 v[4:5], v[4:5], v[22:23]
	;; [unrolled: 1-line block ×4, first 2 shown]
	s_waitcnt vmcnt(0)
	v_add_f64 v[4:5], v[48:49], -v[4:5]
	v_add_f64 v[6:7], v[50:51], -v[6:7]
	scratch_store_dwordx4 off, v[4:7], off offset:800
	s_and_saveexec_b64 s[0:1], vcc
	s_cbranch_execz .LBB60_295
; %bb.294:
	scratch_load_dwordx4 v[6:9], off, s75
	v_mov_b32_e32 v3, v2
	v_mov_b32_e32 v4, v2
	;; [unrolled: 1-line block ×3, first 2 shown]
	v_accvgpr_read_b32 v0, a123
	scratch_store_dwordx4 off, v[2:5], off offset:784
	s_waitcnt vmcnt(1)
	ds_write_b128 v0, v[6:9]
.LBB60_295:
	s_or_b64 exec, exec, s[0:1]
	s_waitcnt lgkmcnt(0)
	; wave barrier
	scratch_load_dwordx4 v[4:7], off, off offset:800
	scratch_load_dwordx4 v[8:11], off, off offset:816
	;; [unrolled: 1-line block ×12, first 2 shown]
	ds_read_b128 v[52:55], v2 offset:1760
	ds_read_b128 v[56:59], v2 offset:1776
	;; [unrolled: 1-line block ×4, first 2 shown]
	scratch_load_dwordx4 v[68:71], off, off offset:784
	ds_read_b128 v[72:75], v2 offset:1824
	ds_read_b128 v[76:79], v2 offset:1840
	;; [unrolled: 1-line block ×8, first 2 shown]
	v_cmp_lt_u32_e32 vcc, 47, v248
	s_waitcnt vmcnt(12) lgkmcnt(11)
	v_mul_f64 v[2:3], v[52:53], v[6:7]
	s_waitcnt vmcnt(11) lgkmcnt(10)
	v_mul_f64 v[104:105], v[56:57], v[10:11]
	v_fmac_f64_e32 v[2:3], v[54:55], v[4:5]
	s_waitcnt vmcnt(10) lgkmcnt(9)
	v_mul_f64 v[106:107], v[60:61], v[14:15]
	v_mul_f64 v[6:7], v[54:55], v[6:7]
	v_fmac_f64_e32 v[104:105], v[58:59], v[8:9]
	v_add_f64 v[2:3], v[2:3], 0
	s_waitcnt vmcnt(9) lgkmcnt(8)
	v_mul_f64 v[108:109], v[64:65], v[18:19]
	v_mul_f64 v[10:11], v[58:59], v[10:11]
	v_fmac_f64_e32 v[106:107], v[62:63], v[12:13]
	v_fma_f64 v[4:5], v[52:53], v[4:5], -v[6:7]
	v_add_f64 v[2:3], v[2:3], v[104:105]
	s_waitcnt vmcnt(8) lgkmcnt(7)
	v_mul_f64 v[110:111], v[72:73], v[22:23]
	v_mul_f64 v[14:15], v[62:63], v[14:15]
	v_fmac_f64_e32 v[108:109], v[66:67], v[16:17]
	v_fma_f64 v[6:7], v[56:57], v[8:9], -v[10:11]
	v_add_f64 v[4:5], v[4:5], 0
	v_add_f64 v[2:3], v[2:3], v[106:107]
	s_waitcnt vmcnt(7) lgkmcnt(6)
	v_mul_f64 v[112:113], v[76:77], v[26:27]
	v_mul_f64 v[18:19], v[66:67], v[18:19]
	v_fmac_f64_e32 v[110:111], v[74:75], v[20:21]
	v_fma_f64 v[8:9], v[60:61], v[12:13], -v[14:15]
	v_add_f64 v[4:5], v[4:5], v[6:7]
	;; [unrolled: 7-line block ×8, first 2 shown]
	v_add_f64 v[2:3], v[2:3], v[120:121]
	v_mul_f64 v[46:47], v[98:99], v[46:47]
	v_fmac_f64_e32 v[124:125], v[102:103], v[48:49]
	v_fma_f64 v[22:23], v[92:93], v[40:41], -v[42:43]
	v_add_f64 v[4:5], v[4:5], v[20:21]
	v_add_f64 v[2:3], v[2:3], v[122:123]
	;; [unrolled: 1-line block ×4, first 2 shown]
	v_fma_f64 v[2:3], v[96:97], v[44:45], -v[46:47]
	v_add_f64 v[2:3], v[4:5], v[2:3]
	v_mul_f64 v[4:5], v[102:103], v[50:51]
	v_fma_f64 v[4:5], v[100:101], v[48:49], -v[4:5]
	v_add_f64 v[2:3], v[2:3], v[4:5]
	s_waitcnt vmcnt(0)
	v_add_f64 v[2:3], v[68:69], -v[2:3]
	v_add_f64 v[4:5], v[70:71], -v[6:7]
	scratch_store_dwordx4 off, v[2:5], off offset:784
	s_and_saveexec_b64 s[0:1], vcc
	s_cbranch_execz .LBB60_297
; %bb.296:
	scratch_load_dwordx4 v[2:5], off, s73
	v_mov_b32_e32 v6, 0
	v_mov_b32_e32 v7, v6
	;; [unrolled: 1-line block ×4, first 2 shown]
	v_accvgpr_read_b32 v0, a123
	scratch_store_dwordx4 off, v[6:9], off offset:768
	s_waitcnt vmcnt(1)
	ds_write_b128 v0, v[2:5]
.LBB60_297:
	s_or_b64 exec, exec, s[0:1]
	v_mov_b32_e32 v2, 0
	s_waitcnt lgkmcnt(0)
	; wave barrier
	ds_read_b128 v[16:19], v2 offset:1744
	ds_read_b128 v[12:15], v2 offset:1760
	;; [unrolled: 1-line block ×4, first 2 shown]
	scratch_load_dwordx4 v[20:23], off, off offset:784
	scratch_load_dwordx4 v[42:45], off, off offset:848
	;; [unrolled: 1-line block ×7, first 2 shown]
	v_cmp_lt_u32_e32 vcc, 46, v248
	scratch_load_dwordx4 v[50:53], off, off offset:864
	scratch_load_dwordx4 v[58:61], off, off offset:880
	;; [unrolled: 1-line block ×3, first 2 shown]
	s_waitcnt vmcnt(9) lgkmcnt(3)
	v_mul_f64 v[24:25], v[16:17], v[22:23]
	v_fmac_f64_e32 v[24:25], v[18:19], v[20:21]
	v_add_f64 v[28:29], v[24:25], 0
	scratch_load_dwordx4 v[24:27], off, off offset:800
	v_mul_f64 v[18:19], v[18:19], v[22:23]
	v_fma_f64 v[16:17], v[16:17], v[20:21], -v[18:19]
	v_add_f64 v[16:17], v[16:17], 0
	s_waitcnt vmcnt(0) lgkmcnt(2)
	v_mul_f64 v[30:31], v[12:13], v[26:27]
	v_fmac_f64_e32 v[30:31], v[14:15], v[24:25]
	v_add_f64 v[32:33], v[28:29], v[30:31]
	scratch_load_dwordx4 v[28:31], off, off offset:816
	v_mul_f64 v[14:15], v[14:15], v[26:27]
	v_fma_f64 v[12:13], v[12:13], v[24:25], -v[14:15]
	v_add_f64 v[12:13], v[16:17], v[12:13]
	;; [unrolled: 8-line block ×3, first 2 shown]
	s_waitcnt vmcnt(0) lgkmcnt(0)
	v_mul_f64 v[38:39], v[4:5], v[36:37]
	v_fmac_f64_e32 v[38:39], v[6:7], v[34:35]
	v_add_f64 v[32:33], v[32:33], v[38:39]
	ds_read_b128 v[38:41], v2 offset:1808
	v_mul_f64 v[6:7], v[6:7], v[36:37]
	v_fma_f64 v[4:5], v[4:5], v[34:35], -v[6:7]
	v_add_f64 v[4:5], v[8:9], v[4:5]
	s_waitcnt lgkmcnt(0)
	v_mul_f64 v[46:47], v[38:39], v[44:45]
	v_fmac_f64_e32 v[46:47], v[40:41], v[42:43]
	v_add_f64 v[32:33], v[32:33], v[46:47]
	ds_read_b128 v[46:49], v2 offset:1824
	v_mul_f64 v[6:7], v[40:41], v[44:45]
	v_fma_f64 v[6:7], v[38:39], v[42:43], -v[6:7]
	v_add_f64 v[4:5], v[4:5], v[6:7]
	s_waitcnt lgkmcnt(0)
	;; [unrolled: 8-line block ×9, first 2 shown]
	v_mul_f64 v[6:7], v[104:105], v[108:109]
	v_fma_f64 v[6:7], v[102:103], v[106:107], -v[6:7]
	v_add_f64 v[8:9], v[4:5], v[6:7]
	scratch_load_dwordx4 v[4:7], off, off offset:768
	v_mul_f64 v[110:111], v[102:103], v[108:109]
	v_fmac_f64_e32 v[110:111], v[104:105], v[106:107]
	v_add_f64 v[32:33], v[32:33], v[110:111]
	s_waitcnt vmcnt(0)
	v_add_f64 v[4:5], v[4:5], -v[8:9]
	v_add_f64 v[6:7], v[6:7], -v[32:33]
	scratch_store_dwordx4 off, v[4:7], off offset:768
	s_and_saveexec_b64 s[0:1], vcc
	s_cbranch_execz .LBB60_299
; %bb.298:
	scratch_load_dwordx4 v[6:9], off, s72
	v_mov_b32_e32 v3, v2
	v_mov_b32_e32 v4, v2
	;; [unrolled: 1-line block ×3, first 2 shown]
	v_accvgpr_read_b32 v0, a123
	scratch_store_dwordx4 off, v[2:5], off offset:752
	s_waitcnt vmcnt(1)
	ds_write_b128 v0, v[6:9]
.LBB60_299:
	s_or_b64 exec, exec, s[0:1]
	s_waitcnt lgkmcnt(0)
	; wave barrier
	ds_read_b128 v[16:19], v2 offset:1728
	ds_read_b128 v[12:15], v2 offset:1744
	;; [unrolled: 1-line block ×4, first 2 shown]
	scratch_load_dwordx4 v[20:23], off, off offset:768
	scratch_load_dwordx4 v[42:45], off, off offset:832
	;; [unrolled: 1-line block ×8, first 2 shown]
	v_cmp_lt_u32_e32 vcc, 45, v248
	scratch_load_dwordx4 v[50:53], off, off offset:848
	scratch_load_dwordx4 v[58:61], off, off offset:864
	;; [unrolled: 1-line block ×3, first 2 shown]
	s_waitcnt vmcnt(10) lgkmcnt(3)
	v_mul_f64 v[24:25], v[16:17], v[22:23]
	v_fmac_f64_e32 v[24:25], v[18:19], v[20:21]
	v_add_f64 v[28:29], v[24:25], 0
	scratch_load_dwordx4 v[24:27], off, off offset:784
	s_waitcnt vmcnt(0) lgkmcnt(2)
	v_mul_f64 v[30:31], v[12:13], v[26:27]
	v_fmac_f64_e32 v[30:31], v[14:15], v[24:25]
	v_add_f64 v[32:33], v[28:29], v[30:31]
	scratch_load_dwordx4 v[28:31], off, off offset:800
	v_mul_f64 v[14:15], v[14:15], v[26:27]
	v_fma_f64 v[12:13], v[12:13], v[24:25], -v[14:15]
	s_waitcnt vmcnt(0) lgkmcnt(1)
	v_mul_f64 v[34:35], v[8:9], v[30:31]
	v_fmac_f64_e32 v[34:35], v[10:11], v[28:29]
	v_add_f64 v[36:37], v[32:33], v[34:35]
	scratch_load_dwordx4 v[32:35], off, off offset:816
	v_mul_f64 v[10:11], v[10:11], v[30:31]
	v_fma_f64 v[8:9], v[8:9], v[28:29], -v[10:11]
	s_waitcnt vmcnt(0) lgkmcnt(0)
	v_mul_f64 v[38:39], v[4:5], v[34:35]
	v_fmac_f64_e32 v[38:39], v[6:7], v[32:33]
	v_add_f64 v[40:41], v[36:37], v[38:39]
	ds_read_b128 v[36:39], v2 offset:1792
	v_mul_f64 v[6:7], v[6:7], v[34:35]
	v_fma_f64 v[4:5], v[4:5], v[32:33], -v[6:7]
	s_waitcnt lgkmcnt(0)
	v_mul_f64 v[46:47], v[36:37], v[44:45]
	v_fmac_f64_e32 v[46:47], v[38:39], v[42:43]
	v_add_f64 v[40:41], v[40:41], v[46:47]
	ds_read_b128 v[46:49], v2 offset:1808
	s_waitcnt lgkmcnt(0)
	v_mul_f64 v[54:55], v[46:47], v[52:53]
	v_fmac_f64_e32 v[54:55], v[48:49], v[50:51]
	v_add_f64 v[40:41], v[40:41], v[54:55]
	ds_read_b128 v[54:57], v2 offset:1824
	s_waitcnt lgkmcnt(0)
	v_mul_f64 v[62:63], v[54:55], v[60:61]
	v_fmac_f64_e32 v[62:63], v[56:57], v[58:59]
	v_add_f64 v[40:41], v[40:41], v[62:63]
	ds_read_b128 v[62:65], v2 offset:1840
	s_waitcnt lgkmcnt(0)
	v_mul_f64 v[70:71], v[62:63], v[68:69]
	v_fmac_f64_e32 v[70:71], v[64:65], v[66:67]
	v_add_f64 v[40:41], v[40:41], v[70:71]
	ds_read_b128 v[70:73], v2 offset:1856
	s_waitcnt lgkmcnt(0)
	v_mul_f64 v[78:79], v[70:71], v[76:77]
	v_fmac_f64_e32 v[78:79], v[72:73], v[74:75]
	v_add_f64 v[40:41], v[40:41], v[78:79]
	ds_read_b128 v[78:81], v2 offset:1872
	s_waitcnt lgkmcnt(0)
	v_mul_f64 v[86:87], v[78:79], v[84:85]
	v_fmac_f64_e32 v[86:87], v[80:81], v[82:83]
	v_add_f64 v[40:41], v[40:41], v[86:87]
	ds_read_b128 v[86:89], v2 offset:1888
	s_waitcnt lgkmcnt(0)
	v_mul_f64 v[94:95], v[86:87], v[92:93]
	v_fmac_f64_e32 v[94:95], v[88:89], v[90:91]
	v_add_f64 v[40:41], v[40:41], v[94:95]
	ds_read_b128 v[94:97], v2 offset:1904
	s_waitcnt lgkmcnt(0)
	v_mul_f64 v[102:103], v[94:95], v[100:101]
	v_fmac_f64_e32 v[102:103], v[96:97], v[98:99]
	v_add_f64 v[40:41], v[40:41], v[102:103]
	ds_read_b128 v[102:105], v2 offset:1920
	s_waitcnt lgkmcnt(0)
	v_mul_f64 v[110:111], v[102:103], v[108:109]
	v_fmac_f64_e32 v[110:111], v[104:105], v[106:107]
	v_add_f64 v[40:41], v[40:41], v[110:111]
	ds_read_b128 v[110:113], v2 offset:1936
	s_waitcnt lgkmcnt(0)
	v_mul_f64 v[2:3], v[110:111], v[116:117]
	v_fmac_f64_e32 v[2:3], v[112:113], v[114:115]
	v_add_f64 v[40:41], v[40:41], v[2:3]
	v_mul_f64 v[2:3], v[18:19], v[22:23]
	v_fma_f64 v[2:3], v[16:17], v[20:21], -v[2:3]
	v_add_f64 v[2:3], v[2:3], 0
	v_add_f64 v[2:3], v[2:3], v[12:13]
	v_add_f64 v[2:3], v[2:3], v[8:9]
	v_add_f64 v[2:3], v[2:3], v[4:5]
	v_mul_f64 v[4:5], v[38:39], v[44:45]
	v_fma_f64 v[4:5], v[36:37], v[42:43], -v[4:5]
	v_add_f64 v[2:3], v[2:3], v[4:5]
	v_mul_f64 v[4:5], v[48:49], v[52:53]
	v_fma_f64 v[4:5], v[46:47], v[50:51], -v[4:5]
	v_add_f64 v[2:3], v[2:3], v[4:5]
	;; [unrolled: 3-line block ×10, first 2 shown]
	scratch_load_dwordx4 v[2:5], off, off offset:752
	s_waitcnt vmcnt(0)
	v_add_f64 v[2:3], v[2:3], -v[6:7]
	v_add_f64 v[4:5], v[4:5], -v[40:41]
	scratch_store_dwordx4 off, v[2:5], off offset:752
	s_and_saveexec_b64 s[0:1], vcc
	s_cbranch_execz .LBB60_301
; %bb.300:
	scratch_load_dwordx4 v[2:5], off, s71
	v_mov_b32_e32 v6, 0
	v_mov_b32_e32 v7, v6
	;; [unrolled: 1-line block ×4, first 2 shown]
	v_accvgpr_read_b32 v0, a123
	scratch_store_dwordx4 off, v[6:9], off offset:736
	s_waitcnt vmcnt(1)
	ds_write_b128 v0, v[2:5]
.LBB60_301:
	s_or_b64 exec, exec, s[0:1]
	v_mov_b32_e32 v2, 0
	s_waitcnt lgkmcnt(0)
	; wave barrier
	ds_read_b128 v[16:19], v2 offset:1712
	ds_read_b128 v[12:15], v2 offset:1728
	;; [unrolled: 1-line block ×4, first 2 shown]
	scratch_load_dwordx4 v[20:23], off, off offset:752
	scratch_load_dwordx4 v[40:43], off, off offset:816
	;; [unrolled: 1-line block ×9, first 2 shown]
	v_cmp_lt_u32_e32 vcc, 44, v248
	scratch_load_dwordx4 v[50:53], off, off offset:832
	scratch_load_dwordx4 v[58:61], off, off offset:848
	;; [unrolled: 1-line block ×3, first 2 shown]
	s_waitcnt vmcnt(11) lgkmcnt(3)
	v_mul_f64 v[24:25], v[16:17], v[22:23]
	v_fmac_f64_e32 v[24:25], v[18:19], v[20:21]
	v_add_f64 v[28:29], v[24:25], 0
	scratch_load_dwordx4 v[24:27], off, off offset:768
	v_mul_f64 v[18:19], v[18:19], v[22:23]
	v_fma_f64 v[16:17], v[16:17], v[20:21], -v[18:19]
	v_add_f64 v[16:17], v[16:17], 0
	s_waitcnt vmcnt(0) lgkmcnt(2)
	v_mul_f64 v[30:31], v[12:13], v[26:27]
	v_fmac_f64_e32 v[30:31], v[14:15], v[24:25]
	v_add_f64 v[32:33], v[28:29], v[30:31]
	scratch_load_dwordx4 v[28:31], off, off offset:784
	v_mul_f64 v[14:15], v[14:15], v[26:27]
	v_fma_f64 v[12:13], v[12:13], v[24:25], -v[14:15]
	v_add_f64 v[12:13], v[16:17], v[12:13]
	;; [unrolled: 8-line block ×3, first 2 shown]
	s_waitcnt vmcnt(0) lgkmcnt(0)
	v_mul_f64 v[38:39], v[4:5], v[34:35]
	v_fmac_f64_e32 v[38:39], v[6:7], v[32:33]
	v_add_f64 v[44:45], v[36:37], v[38:39]
	ds_read_b128 v[36:39], v2 offset:1776
	v_mul_f64 v[6:7], v[6:7], v[34:35]
	v_fma_f64 v[4:5], v[4:5], v[32:33], -v[6:7]
	v_add_f64 v[4:5], v[8:9], v[4:5]
	s_waitcnt lgkmcnt(0)
	v_mul_f64 v[46:47], v[36:37], v[42:43]
	v_fmac_f64_e32 v[46:47], v[38:39], v[40:41]
	v_add_f64 v[48:49], v[44:45], v[46:47]
	ds_read_b128 v[44:47], v2 offset:1792
	v_mul_f64 v[6:7], v[38:39], v[42:43]
	v_fma_f64 v[6:7], v[36:37], v[40:41], -v[6:7]
	v_add_f64 v[4:5], v[4:5], v[6:7]
	s_waitcnt lgkmcnt(0)
	;; [unrolled: 8-line block ×11, first 2 shown]
	v_mul_f64 v[6:7], v[120:121], v[124:125]
	v_fma_f64 v[6:7], v[118:119], v[122:123], -v[6:7]
	v_add_f64 v[8:9], v[4:5], v[6:7]
	scratch_load_dwordx4 v[4:7], off, off offset:736
	v_mul_f64 v[126:127], v[118:119], v[124:125]
	v_fmac_f64_e32 v[126:127], v[120:121], v[122:123]
	v_add_f64 v[48:49], v[48:49], v[126:127]
	s_waitcnt vmcnt(0)
	v_add_f64 v[4:5], v[4:5], -v[8:9]
	v_add_f64 v[6:7], v[6:7], -v[48:49]
	scratch_store_dwordx4 off, v[4:7], off offset:736
	s_and_saveexec_b64 s[0:1], vcc
	s_cbranch_execz .LBB60_303
; %bb.302:
	scratch_load_dwordx4 v[6:9], off, s70
	v_mov_b32_e32 v3, v2
	v_mov_b32_e32 v4, v2
	;; [unrolled: 1-line block ×3, first 2 shown]
	v_accvgpr_read_b32 v0, a123
	scratch_store_dwordx4 off, v[2:5], off offset:720
	s_waitcnt vmcnt(1)
	ds_write_b128 v0, v[6:9]
.LBB60_303:
	s_or_b64 exec, exec, s[0:1]
	s_waitcnt lgkmcnt(0)
	; wave barrier
	ds_read_b128 v[16:19], v2 offset:1696
	ds_read_b128 v[12:15], v2 offset:1712
	;; [unrolled: 1-line block ×4, first 2 shown]
	scratch_load_dwordx4 v[20:23], off, off offset:736
	scratch_load_dwordx4 v[40:43], off, off offset:800
	;; [unrolled: 1-line block ×10, first 2 shown]
	v_cmp_lt_u32_e32 vcc, 43, v248
	scratch_load_dwordx4 v[48:51], off, off offset:816
	scratch_load_dwordx4 v[56:59], off, off offset:832
	;; [unrolled: 1-line block ×3, first 2 shown]
	s_waitcnt vmcnt(12) lgkmcnt(3)
	v_mul_f64 v[24:25], v[16:17], v[22:23]
	v_fmac_f64_e32 v[24:25], v[18:19], v[20:21]
	v_add_f64 v[28:29], v[24:25], 0
	scratch_load_dwordx4 v[24:27], off, off offset:752
	s_waitcnt vmcnt(0) lgkmcnt(2)
	v_mul_f64 v[30:31], v[12:13], v[26:27]
	v_fmac_f64_e32 v[30:31], v[14:15], v[24:25]
	v_add_f64 v[32:33], v[28:29], v[30:31]
	scratch_load_dwordx4 v[28:31], off, off offset:768
	v_mul_f64 v[14:15], v[14:15], v[26:27]
	v_fma_f64 v[12:13], v[12:13], v[24:25], -v[14:15]
	s_waitcnt vmcnt(0) lgkmcnt(1)
	v_mul_f64 v[34:35], v[8:9], v[30:31]
	v_fmac_f64_e32 v[34:35], v[10:11], v[28:29]
	v_add_f64 v[36:37], v[32:33], v[34:35]
	scratch_load_dwordx4 v[32:35], off, off offset:784
	v_mul_f64 v[10:11], v[10:11], v[30:31]
	v_fma_f64 v[8:9], v[8:9], v[28:29], -v[10:11]
	s_waitcnt vmcnt(0) lgkmcnt(0)
	v_mul_f64 v[38:39], v[4:5], v[34:35]
	v_fmac_f64_e32 v[38:39], v[6:7], v[32:33]
	v_add_f64 v[44:45], v[36:37], v[38:39]
	ds_read_b128 v[36:39], v2 offset:1760
	v_mul_f64 v[6:7], v[6:7], v[34:35]
	v_fma_f64 v[4:5], v[4:5], v[32:33], -v[6:7]
	s_waitcnt lgkmcnt(0)
	v_mul_f64 v[46:47], v[36:37], v[42:43]
	v_fmac_f64_e32 v[46:47], v[38:39], v[40:41]
	v_add_f64 v[52:53], v[44:45], v[46:47]
	ds_read_b128 v[44:47], v2 offset:1776
	s_waitcnt lgkmcnt(0)
	v_mul_f64 v[54:55], v[44:45], v[50:51]
	v_fmac_f64_e32 v[54:55], v[46:47], v[48:49]
	v_add_f64 v[60:61], v[52:53], v[54:55]
	ds_read_b128 v[52:55], v2 offset:1792
	;; [unrolled: 5-line block ×11, first 2 shown]
	s_waitcnt lgkmcnt(0)
	v_mul_f64 v[2:3], v[126:127], v[132:133]
	v_fmac_f64_e32 v[2:3], v[128:129], v[130:131]
	v_add_f64 v[64:65], v[64:65], v[2:3]
	v_mul_f64 v[2:3], v[18:19], v[22:23]
	v_fma_f64 v[2:3], v[16:17], v[20:21], -v[2:3]
	v_add_f64 v[2:3], v[2:3], 0
	v_add_f64 v[2:3], v[2:3], v[12:13]
	;; [unrolled: 1-line block ×4, first 2 shown]
	v_mul_f64 v[4:5], v[38:39], v[42:43]
	v_fma_f64 v[4:5], v[36:37], v[40:41], -v[4:5]
	v_add_f64 v[2:3], v[2:3], v[4:5]
	v_mul_f64 v[4:5], v[46:47], v[50:51]
	v_fma_f64 v[4:5], v[44:45], v[48:49], -v[4:5]
	v_add_f64 v[2:3], v[2:3], v[4:5]
	;; [unrolled: 3-line block ×12, first 2 shown]
	scratch_load_dwordx4 v[2:5], off, off offset:720
	s_waitcnt vmcnt(0)
	v_add_f64 v[2:3], v[2:3], -v[6:7]
	v_add_f64 v[4:5], v[4:5], -v[64:65]
	scratch_store_dwordx4 off, v[2:5], off offset:720
	s_and_saveexec_b64 s[0:1], vcc
	s_cbranch_execz .LBB60_305
; %bb.304:
	scratch_load_dwordx4 v[2:5], off, s68
	v_mov_b32_e32 v6, 0
	v_mov_b32_e32 v7, v6
	v_mov_b32_e32 v8, v6
	v_mov_b32_e32 v9, v6
	v_accvgpr_read_b32 v0, a123
	scratch_store_dwordx4 off, v[6:9], off offset:704
	s_waitcnt vmcnt(1)
	ds_write_b128 v0, v[2:5]
.LBB60_305:
	s_or_b64 exec, exec, s[0:1]
	v_mov_b32_e32 v2, 0
	s_waitcnt lgkmcnt(0)
	; wave barrier
	ds_read_b128 v[16:19], v2 offset:1680
	ds_read_b128 v[12:15], v2 offset:1696
	;; [unrolled: 1-line block ×4, first 2 shown]
	scratch_load_dwordx4 v[20:23], off, off offset:720
	scratch_load_dwordx4 v[40:43], off, off offset:784
	;; [unrolled: 1-line block ×11, first 2 shown]
	v_cmp_lt_u32_e32 vcc, 42, v248
	scratch_load_dwordx4 v[48:51], off, off offset:800
	scratch_load_dwordx4 v[56:59], off, off offset:816
	;; [unrolled: 1-line block ×3, first 2 shown]
	s_waitcnt vmcnt(13) lgkmcnt(3)
	v_mul_f64 v[24:25], v[16:17], v[22:23]
	v_fmac_f64_e32 v[24:25], v[18:19], v[20:21]
	v_add_f64 v[28:29], v[24:25], 0
	scratch_load_dwordx4 v[24:27], off, off offset:736
	v_mul_f64 v[18:19], v[18:19], v[22:23]
	v_fma_f64 v[16:17], v[16:17], v[20:21], -v[18:19]
	v_add_f64 v[16:17], v[16:17], 0
	s_waitcnt vmcnt(0) lgkmcnt(2)
	v_mul_f64 v[30:31], v[12:13], v[26:27]
	v_fmac_f64_e32 v[30:31], v[14:15], v[24:25]
	v_add_f64 v[32:33], v[28:29], v[30:31]
	scratch_load_dwordx4 v[28:31], off, off offset:752
	v_mul_f64 v[14:15], v[14:15], v[26:27]
	v_fma_f64 v[12:13], v[12:13], v[24:25], -v[14:15]
	v_add_f64 v[12:13], v[16:17], v[12:13]
	;; [unrolled: 8-line block ×3, first 2 shown]
	s_waitcnt vmcnt(0) lgkmcnt(0)
	v_mul_f64 v[38:39], v[4:5], v[34:35]
	v_fmac_f64_e32 v[38:39], v[6:7], v[32:33]
	v_add_f64 v[44:45], v[36:37], v[38:39]
	ds_read_b128 v[36:39], v2 offset:1744
	v_mul_f64 v[6:7], v[6:7], v[34:35]
	v_fma_f64 v[4:5], v[4:5], v[32:33], -v[6:7]
	v_add_f64 v[4:5], v[8:9], v[4:5]
	s_waitcnt lgkmcnt(0)
	v_mul_f64 v[46:47], v[36:37], v[42:43]
	v_fmac_f64_e32 v[46:47], v[38:39], v[40:41]
	v_add_f64 v[52:53], v[44:45], v[46:47]
	ds_read_b128 v[44:47], v2 offset:1760
	v_mul_f64 v[6:7], v[38:39], v[42:43]
	v_fma_f64 v[6:7], v[36:37], v[40:41], -v[6:7]
	v_add_f64 v[4:5], v[4:5], v[6:7]
	s_waitcnt lgkmcnt(0)
	;; [unrolled: 8-line block ×13, first 2 shown]
	v_mul_f64 v[6:7], v[136:137], v[140:141]
	v_fma_f64 v[6:7], v[134:135], v[138:139], -v[6:7]
	v_add_f64 v[8:9], v[4:5], v[6:7]
	scratch_load_dwordx4 v[4:7], off, off offset:704
	v_mul_f64 v[142:143], v[134:135], v[140:141]
	v_fmac_f64_e32 v[142:143], v[136:137], v[138:139]
	v_add_f64 v[72:73], v[72:73], v[142:143]
	s_waitcnt vmcnt(0)
	v_add_f64 v[4:5], v[4:5], -v[8:9]
	v_add_f64 v[6:7], v[6:7], -v[72:73]
	scratch_store_dwordx4 off, v[4:7], off offset:704
	s_and_saveexec_b64 s[0:1], vcc
	s_cbranch_execz .LBB60_307
; %bb.306:
	scratch_load_dwordx4 v[6:9], off, s69
	v_mov_b32_e32 v3, v2
	v_mov_b32_e32 v4, v2
	;; [unrolled: 1-line block ×3, first 2 shown]
	v_accvgpr_read_b32 v0, a123
	scratch_store_dwordx4 off, v[2:5], off offset:688
	s_waitcnt vmcnt(1)
	ds_write_b128 v0, v[6:9]
.LBB60_307:
	s_or_b64 exec, exec, s[0:1]
	s_waitcnt lgkmcnt(0)
	; wave barrier
	ds_read_b128 v[16:19], v2 offset:1664
	ds_read_b128 v[12:15], v2 offset:1680
	;; [unrolled: 1-line block ×4, first 2 shown]
	scratch_load_dwordx4 v[20:23], off, off offset:704
	scratch_load_dwordx4 v[40:43], off, off offset:768
	;; [unrolled: 1-line block ×12, first 2 shown]
	v_cmp_lt_u32_e32 vcc, 41, v248
	scratch_load_dwordx4 v[48:51], off, off offset:784
	scratch_load_dwordx4 v[56:59], off, off offset:800
	;; [unrolled: 1-line block ×3, first 2 shown]
	s_waitcnt vmcnt(14) lgkmcnt(3)
	v_mul_f64 v[24:25], v[16:17], v[22:23]
	v_fmac_f64_e32 v[24:25], v[18:19], v[20:21]
	v_add_f64 v[28:29], v[24:25], 0
	scratch_load_dwordx4 v[24:27], off, off offset:720
	s_waitcnt vmcnt(0) lgkmcnt(2)
	v_mul_f64 v[30:31], v[12:13], v[26:27]
	v_fmac_f64_e32 v[30:31], v[14:15], v[24:25]
	v_add_f64 v[32:33], v[28:29], v[30:31]
	scratch_load_dwordx4 v[28:31], off, off offset:736
	v_mul_f64 v[14:15], v[14:15], v[26:27]
	v_fma_f64 v[12:13], v[12:13], v[24:25], -v[14:15]
	s_waitcnt vmcnt(0) lgkmcnt(1)
	v_mul_f64 v[34:35], v[8:9], v[30:31]
	v_fmac_f64_e32 v[34:35], v[10:11], v[28:29]
	v_add_f64 v[36:37], v[32:33], v[34:35]
	scratch_load_dwordx4 v[32:35], off, off offset:752
	v_mul_f64 v[10:11], v[10:11], v[30:31]
	v_fma_f64 v[8:9], v[8:9], v[28:29], -v[10:11]
	s_waitcnt vmcnt(0) lgkmcnt(0)
	v_mul_f64 v[38:39], v[4:5], v[34:35]
	v_fmac_f64_e32 v[38:39], v[6:7], v[32:33]
	v_add_f64 v[44:45], v[36:37], v[38:39]
	ds_read_b128 v[36:39], v2 offset:1728
	v_mul_f64 v[6:7], v[6:7], v[34:35]
	v_fma_f64 v[4:5], v[4:5], v[32:33], -v[6:7]
	s_waitcnt lgkmcnt(0)
	v_mul_f64 v[46:47], v[36:37], v[42:43]
	v_fmac_f64_e32 v[46:47], v[38:39], v[40:41]
	v_add_f64 v[52:53], v[44:45], v[46:47]
	ds_read_b128 v[44:47], v2 offset:1744
	s_waitcnt lgkmcnt(0)
	v_mul_f64 v[54:55], v[44:45], v[50:51]
	v_fmac_f64_e32 v[54:55], v[46:47], v[48:49]
	v_add_f64 v[60:61], v[52:53], v[54:55]
	ds_read_b128 v[52:55], v2 offset:1760
	;; [unrolled: 5-line block ×13, first 2 shown]
	s_waitcnt lgkmcnt(0)
	v_mul_f64 v[2:3], v[142:143], v[148:149]
	v_fmac_f64_e32 v[2:3], v[144:145], v[146:147]
	v_add_f64 v[80:81], v[80:81], v[2:3]
	v_mul_f64 v[2:3], v[18:19], v[22:23]
	v_fma_f64 v[2:3], v[16:17], v[20:21], -v[2:3]
	v_add_f64 v[2:3], v[2:3], 0
	v_add_f64 v[2:3], v[2:3], v[12:13]
	;; [unrolled: 1-line block ×4, first 2 shown]
	v_mul_f64 v[4:5], v[38:39], v[42:43]
	v_fma_f64 v[4:5], v[36:37], v[40:41], -v[4:5]
	v_add_f64 v[2:3], v[2:3], v[4:5]
	v_mul_f64 v[4:5], v[46:47], v[50:51]
	v_fma_f64 v[4:5], v[44:45], v[48:49], -v[4:5]
	v_add_f64 v[2:3], v[2:3], v[4:5]
	v_mul_f64 v[4:5], v[54:55], v[58:59]
	v_fma_f64 v[4:5], v[52:53], v[56:57], -v[4:5]
	v_add_f64 v[2:3], v[2:3], v[4:5]
	v_mul_f64 v[4:5], v[62:63], v[66:67]
	v_fma_f64 v[4:5], v[60:61], v[64:65], -v[4:5]
	v_add_f64 v[2:3], v[2:3], v[4:5]
	v_mul_f64 v[4:5], v[70:71], v[74:75]
	v_fma_f64 v[4:5], v[68:69], v[72:73], -v[4:5]
	v_add_f64 v[2:3], v[2:3], v[4:5]
	v_mul_f64 v[4:5], v[78:79], v[84:85]
	v_fma_f64 v[4:5], v[76:77], v[82:83], -v[4:5]
	v_add_f64 v[2:3], v[2:3], v[4:5]
	v_mul_f64 v[4:5], v[88:89], v[92:93]
	v_fma_f64 v[4:5], v[86:87], v[90:91], -v[4:5]
	v_add_f64 v[2:3], v[2:3], v[4:5]
	v_mul_f64 v[4:5], v[96:97], v[100:101]
	v_fma_f64 v[4:5], v[94:95], v[98:99], -v[4:5]
	v_add_f64 v[2:3], v[2:3], v[4:5]
	v_mul_f64 v[4:5], v[104:105], v[108:109]
	v_fma_f64 v[4:5], v[102:103], v[106:107], -v[4:5]
	v_add_f64 v[2:3], v[2:3], v[4:5]
	v_mul_f64 v[4:5], v[112:113], v[116:117]
	v_fma_f64 v[4:5], v[110:111], v[114:115], -v[4:5]
	v_add_f64 v[2:3], v[2:3], v[4:5]
	v_mul_f64 v[4:5], v[120:121], v[124:125]
	v_fma_f64 v[4:5], v[118:119], v[122:123], -v[4:5]
	v_add_f64 v[2:3], v[2:3], v[4:5]
	v_mul_f64 v[4:5], v[128:129], v[132:133]
	v_fma_f64 v[4:5], v[126:127], v[130:131], -v[4:5]
	v_add_f64 v[2:3], v[2:3], v[4:5]
	v_mul_f64 v[4:5], v[136:137], v[140:141]
	v_fma_f64 v[4:5], v[134:135], v[138:139], -v[4:5]
	v_add_f64 v[2:3], v[2:3], v[4:5]
	v_mul_f64 v[4:5], v[144:145], v[148:149]
	v_fma_f64 v[4:5], v[142:143], v[146:147], -v[4:5]
	v_add_f64 v[6:7], v[2:3], v[4:5]
	scratch_load_dwordx4 v[2:5], off, off offset:688
	s_waitcnt vmcnt(0)
	v_add_f64 v[2:3], v[2:3], -v[6:7]
	v_add_f64 v[4:5], v[4:5], -v[80:81]
	scratch_store_dwordx4 off, v[2:5], off offset:688
	s_and_saveexec_b64 s[0:1], vcc
	s_cbranch_execz .LBB60_309
; %bb.308:
	scratch_load_dwordx4 v[2:5], off, s67
	v_mov_b32_e32 v6, 0
	v_mov_b32_e32 v7, v6
	;; [unrolled: 1-line block ×4, first 2 shown]
	v_accvgpr_read_b32 v0, a123
	scratch_store_dwordx4 off, v[6:9], off offset:672
	s_waitcnt vmcnt(1)
	ds_write_b128 v0, v[2:5]
.LBB60_309:
	s_or_b64 exec, exec, s[0:1]
	v_mov_b32_e32 v2, 0
	s_waitcnt lgkmcnt(0)
	; wave barrier
	ds_read_b128 v[16:19], v2 offset:1648
	ds_read_b128 v[12:15], v2 offset:1664
	;; [unrolled: 1-line block ×4, first 2 shown]
	scratch_load_dwordx4 v[20:23], off, off offset:688
	scratch_load_dwordx4 v[40:43], off, off offset:752
	;; [unrolled: 1-line block ×13, first 2 shown]
	v_cmp_lt_u32_e32 vcc, 40, v248
	scratch_load_dwordx4 v[48:51], off, off offset:768
	scratch_load_dwordx4 v[56:59], off, off offset:784
	;; [unrolled: 1-line block ×3, first 2 shown]
	s_waitcnt vmcnt(15) lgkmcnt(3)
	v_mul_f64 v[24:25], v[16:17], v[22:23]
	v_fmac_f64_e32 v[24:25], v[18:19], v[20:21]
	v_add_f64 v[28:29], v[24:25], 0
	scratch_load_dwordx4 v[24:27], off, off offset:704
	v_mul_f64 v[18:19], v[18:19], v[22:23]
	v_fma_f64 v[16:17], v[16:17], v[20:21], -v[18:19]
	v_add_f64 v[16:17], v[16:17], 0
	s_waitcnt vmcnt(0) lgkmcnt(2)
	v_mul_f64 v[30:31], v[12:13], v[26:27]
	v_fmac_f64_e32 v[30:31], v[14:15], v[24:25]
	v_add_f64 v[32:33], v[28:29], v[30:31]
	scratch_load_dwordx4 v[28:31], off, off offset:720
	v_mul_f64 v[14:15], v[14:15], v[26:27]
	v_fma_f64 v[12:13], v[12:13], v[24:25], -v[14:15]
	v_add_f64 v[12:13], v[16:17], v[12:13]
	;; [unrolled: 8-line block ×3, first 2 shown]
	s_waitcnt vmcnt(0) lgkmcnt(0)
	v_mul_f64 v[38:39], v[4:5], v[34:35]
	v_fmac_f64_e32 v[38:39], v[6:7], v[32:33]
	v_add_f64 v[44:45], v[36:37], v[38:39]
	ds_read_b128 v[36:39], v2 offset:1712
	v_mul_f64 v[6:7], v[6:7], v[34:35]
	v_fma_f64 v[4:5], v[4:5], v[32:33], -v[6:7]
	v_add_f64 v[4:5], v[8:9], v[4:5]
	s_waitcnt lgkmcnt(0)
	v_mul_f64 v[46:47], v[36:37], v[42:43]
	v_fmac_f64_e32 v[46:47], v[38:39], v[40:41]
	v_add_f64 v[52:53], v[44:45], v[46:47]
	ds_read_b128 v[44:47], v2 offset:1728
	v_mul_f64 v[6:7], v[38:39], v[42:43]
	v_fma_f64 v[6:7], v[36:37], v[40:41], -v[6:7]
	v_add_f64 v[4:5], v[4:5], v[6:7]
	s_waitcnt lgkmcnt(0)
	;; [unrolled: 8-line block ×15, first 2 shown]
	v_mul_f64 v[6:7], v[152:153], v[156:157]
	v_fma_f64 v[6:7], v[150:151], v[154:155], -v[6:7]
	v_add_f64 v[8:9], v[4:5], v[6:7]
	scratch_load_dwordx4 v[4:7], off, off offset:672
	v_mul_f64 v[158:159], v[150:151], v[156:157]
	v_fmac_f64_e32 v[158:159], v[152:153], v[154:155]
	v_add_f64 v[88:89], v[88:89], v[158:159]
	s_waitcnt vmcnt(0)
	v_add_f64 v[4:5], v[4:5], -v[8:9]
	v_add_f64 v[6:7], v[6:7], -v[88:89]
	scratch_store_dwordx4 off, v[4:7], off offset:672
	s_and_saveexec_b64 s[0:1], vcc
	s_cbranch_execz .LBB60_311
; %bb.310:
	scratch_load_dwordx4 v[6:9], off, s66
	v_mov_b32_e32 v3, v2
	v_mov_b32_e32 v4, v2
	;; [unrolled: 1-line block ×3, first 2 shown]
	v_accvgpr_read_b32 v0, a123
	scratch_store_dwordx4 off, v[2:5], off offset:656
	s_waitcnt vmcnt(1)
	ds_write_b128 v0, v[6:9]
.LBB60_311:
	s_or_b64 exec, exec, s[0:1]
	s_waitcnt lgkmcnt(0)
	; wave barrier
	ds_read_b128 v[16:19], v2 offset:1632
	ds_read_b128 v[12:15], v2 offset:1648
	;; [unrolled: 1-line block ×4, first 2 shown]
	scratch_load_dwordx4 v[20:23], off, off offset:672
	scratch_load_dwordx4 v[40:43], off, off offset:736
	;; [unrolled: 1-line block ×14, first 2 shown]
	v_cmp_lt_u32_e32 vcc, 39, v248
	scratch_load_dwordx4 v[48:51], off, off offset:752
	scratch_load_dwordx4 v[56:59], off, off offset:768
	;; [unrolled: 1-line block ×3, first 2 shown]
	s_waitcnt vmcnt(16) lgkmcnt(3)
	v_mul_f64 v[24:25], v[16:17], v[22:23]
	v_fmac_f64_e32 v[24:25], v[18:19], v[20:21]
	v_add_f64 v[28:29], v[24:25], 0
	scratch_load_dwordx4 v[24:27], off, off offset:688
	s_waitcnt vmcnt(0) lgkmcnt(2)
	v_mul_f64 v[30:31], v[12:13], v[26:27]
	v_fmac_f64_e32 v[30:31], v[14:15], v[24:25]
	v_add_f64 v[32:33], v[28:29], v[30:31]
	scratch_load_dwordx4 v[28:31], off, off offset:704
	v_mul_f64 v[14:15], v[14:15], v[26:27]
	v_fma_f64 v[12:13], v[12:13], v[24:25], -v[14:15]
	s_waitcnt vmcnt(0) lgkmcnt(1)
	v_mul_f64 v[34:35], v[8:9], v[30:31]
	v_fmac_f64_e32 v[34:35], v[10:11], v[28:29]
	v_add_f64 v[36:37], v[32:33], v[34:35]
	scratch_load_dwordx4 v[32:35], off, off offset:720
	v_mul_f64 v[10:11], v[10:11], v[30:31]
	v_fma_f64 v[8:9], v[8:9], v[28:29], -v[10:11]
	s_waitcnt vmcnt(0) lgkmcnt(0)
	v_mul_f64 v[38:39], v[4:5], v[34:35]
	v_fmac_f64_e32 v[38:39], v[6:7], v[32:33]
	v_add_f64 v[44:45], v[36:37], v[38:39]
	ds_read_b128 v[36:39], v2 offset:1696
	v_mul_f64 v[6:7], v[6:7], v[34:35]
	v_fma_f64 v[4:5], v[4:5], v[32:33], -v[6:7]
	s_waitcnt lgkmcnt(0)
	v_mul_f64 v[46:47], v[36:37], v[42:43]
	v_fmac_f64_e32 v[46:47], v[38:39], v[40:41]
	v_add_f64 v[52:53], v[44:45], v[46:47]
	ds_read_b128 v[44:47], v2 offset:1712
	s_waitcnt lgkmcnt(0)
	v_mul_f64 v[54:55], v[44:45], v[50:51]
	v_fmac_f64_e32 v[54:55], v[46:47], v[48:49]
	v_add_f64 v[60:61], v[52:53], v[54:55]
	ds_read_b128 v[52:55], v2 offset:1728
	;; [unrolled: 5-line block ×15, first 2 shown]
	s_waitcnt lgkmcnt(0)
	v_mul_f64 v[2:3], v[158:159], v[164:165]
	v_fmac_f64_e32 v[2:3], v[160:161], v[162:163]
	v_add_f64 v[96:97], v[96:97], v[2:3]
	v_mul_f64 v[2:3], v[18:19], v[22:23]
	v_fma_f64 v[2:3], v[16:17], v[20:21], -v[2:3]
	v_add_f64 v[2:3], v[2:3], 0
	v_add_f64 v[2:3], v[2:3], v[12:13]
	;; [unrolled: 1-line block ×4, first 2 shown]
	v_mul_f64 v[4:5], v[38:39], v[42:43]
	v_fma_f64 v[4:5], v[36:37], v[40:41], -v[4:5]
	v_add_f64 v[2:3], v[2:3], v[4:5]
	v_mul_f64 v[4:5], v[46:47], v[50:51]
	v_fma_f64 v[4:5], v[44:45], v[48:49], -v[4:5]
	v_add_f64 v[2:3], v[2:3], v[4:5]
	;; [unrolled: 3-line block ×16, first 2 shown]
	scratch_load_dwordx4 v[2:5], off, off offset:656
	s_waitcnt vmcnt(0)
	v_add_f64 v[2:3], v[2:3], -v[6:7]
	v_add_f64 v[4:5], v[4:5], -v[96:97]
	scratch_store_dwordx4 off, v[2:5], off offset:656
	s_and_saveexec_b64 s[0:1], vcc
	s_cbranch_execz .LBB60_313
; %bb.312:
	scratch_load_dwordx4 v[2:5], off, s65
	v_mov_b32_e32 v6, 0
	v_mov_b32_e32 v7, v6
	;; [unrolled: 1-line block ×4, first 2 shown]
	v_accvgpr_read_b32 v0, a123
	scratch_store_dwordx4 off, v[6:9], off offset:640
	s_waitcnt vmcnt(1)
	ds_write_b128 v0, v[2:5]
.LBB60_313:
	s_or_b64 exec, exec, s[0:1]
	v_mov_b32_e32 v2, 0
	s_waitcnt lgkmcnt(0)
	; wave barrier
	ds_read_b128 v[16:19], v2 offset:1616
	ds_read_b128 v[12:15], v2 offset:1632
	;; [unrolled: 1-line block ×4, first 2 shown]
	scratch_load_dwordx4 v[20:23], off, off offset:656
	scratch_load_dwordx4 v[40:43], off, off offset:720
	;; [unrolled: 1-line block ×15, first 2 shown]
	v_cmp_lt_u32_e32 vcc, 38, v248
	scratch_load_dwordx4 v[48:51], off, off offset:736
	scratch_load_dwordx4 v[56:59], off, off offset:752
	;; [unrolled: 1-line block ×3, first 2 shown]
	s_waitcnt vmcnt(17) lgkmcnt(3)
	v_mul_f64 v[24:25], v[16:17], v[22:23]
	v_fmac_f64_e32 v[24:25], v[18:19], v[20:21]
	v_add_f64 v[28:29], v[24:25], 0
	scratch_load_dwordx4 v[24:27], off, off offset:672
	v_mul_f64 v[18:19], v[18:19], v[22:23]
	v_fma_f64 v[16:17], v[16:17], v[20:21], -v[18:19]
	v_add_f64 v[16:17], v[16:17], 0
	s_waitcnt vmcnt(0) lgkmcnt(2)
	v_mul_f64 v[30:31], v[12:13], v[26:27]
	v_fmac_f64_e32 v[30:31], v[14:15], v[24:25]
	v_add_f64 v[32:33], v[28:29], v[30:31]
	scratch_load_dwordx4 v[28:31], off, off offset:688
	v_mul_f64 v[14:15], v[14:15], v[26:27]
	v_fma_f64 v[12:13], v[12:13], v[24:25], -v[14:15]
	v_add_f64 v[12:13], v[16:17], v[12:13]
	;; [unrolled: 8-line block ×3, first 2 shown]
	s_waitcnt vmcnt(0) lgkmcnt(0)
	v_mul_f64 v[38:39], v[4:5], v[34:35]
	v_fmac_f64_e32 v[38:39], v[6:7], v[32:33]
	v_add_f64 v[44:45], v[36:37], v[38:39]
	ds_read_b128 v[36:39], v2 offset:1680
	v_mul_f64 v[6:7], v[6:7], v[34:35]
	v_fma_f64 v[4:5], v[4:5], v[32:33], -v[6:7]
	v_add_f64 v[4:5], v[8:9], v[4:5]
	s_waitcnt lgkmcnt(0)
	v_mul_f64 v[46:47], v[36:37], v[42:43]
	v_fmac_f64_e32 v[46:47], v[38:39], v[40:41]
	v_add_f64 v[52:53], v[44:45], v[46:47]
	ds_read_b128 v[44:47], v2 offset:1696
	v_mul_f64 v[6:7], v[38:39], v[42:43]
	v_fma_f64 v[6:7], v[36:37], v[40:41], -v[6:7]
	v_add_f64 v[4:5], v[4:5], v[6:7]
	s_waitcnt lgkmcnt(0)
	;; [unrolled: 8-line block ×17, first 2 shown]
	v_mul_f64 v[6:7], v[168:169], v[172:173]
	v_fma_f64 v[6:7], v[166:167], v[170:171], -v[6:7]
	v_add_f64 v[8:9], v[4:5], v[6:7]
	scratch_load_dwordx4 v[4:7], off, off offset:640
	v_mul_f64 v[174:175], v[166:167], v[172:173]
	v_fmac_f64_e32 v[174:175], v[168:169], v[170:171]
	v_add_f64 v[104:105], v[104:105], v[174:175]
	s_waitcnt vmcnt(0)
	v_add_f64 v[4:5], v[4:5], -v[8:9]
	v_add_f64 v[6:7], v[6:7], -v[104:105]
	scratch_store_dwordx4 off, v[4:7], off offset:640
	s_and_saveexec_b64 s[0:1], vcc
	s_cbranch_execz .LBB60_315
; %bb.314:
	scratch_load_dwordx4 v[6:9], off, s64
	v_mov_b32_e32 v3, v2
	v_mov_b32_e32 v4, v2
	;; [unrolled: 1-line block ×3, first 2 shown]
	v_accvgpr_read_b32 v0, a123
	scratch_store_dwordx4 off, v[2:5], off offset:624
	s_waitcnt vmcnt(1)
	ds_write_b128 v0, v[6:9]
.LBB60_315:
	s_or_b64 exec, exec, s[0:1]
	s_waitcnt lgkmcnt(0)
	; wave barrier
	ds_read_b128 v[16:19], v2 offset:1600
	ds_read_b128 v[12:15], v2 offset:1616
	;; [unrolled: 1-line block ×4, first 2 shown]
	scratch_load_dwordx4 v[20:23], off, off offset:640
	scratch_load_dwordx4 v[40:43], off, off offset:704
	;; [unrolled: 1-line block ×16, first 2 shown]
	v_cmp_lt_u32_e32 vcc, 37, v248
	scratch_load_dwordx4 v[48:51], off, off offset:720
	scratch_load_dwordx4 v[56:59], off, off offset:736
	;; [unrolled: 1-line block ×3, first 2 shown]
	s_waitcnt vmcnt(18) lgkmcnt(3)
	v_mul_f64 v[24:25], v[16:17], v[22:23]
	v_fmac_f64_e32 v[24:25], v[18:19], v[20:21]
	v_add_f64 v[28:29], v[24:25], 0
	scratch_load_dwordx4 v[24:27], off, off offset:656
	s_waitcnt vmcnt(0) lgkmcnt(2)
	v_mul_f64 v[30:31], v[12:13], v[26:27]
	v_fmac_f64_e32 v[30:31], v[14:15], v[24:25]
	v_add_f64 v[32:33], v[28:29], v[30:31]
	scratch_load_dwordx4 v[28:31], off, off offset:672
	v_mul_f64 v[14:15], v[14:15], v[26:27]
	v_fma_f64 v[12:13], v[12:13], v[24:25], -v[14:15]
	s_waitcnt vmcnt(0) lgkmcnt(1)
	v_mul_f64 v[34:35], v[8:9], v[30:31]
	v_fmac_f64_e32 v[34:35], v[10:11], v[28:29]
	v_add_f64 v[36:37], v[32:33], v[34:35]
	scratch_load_dwordx4 v[32:35], off, off offset:688
	v_mul_f64 v[10:11], v[10:11], v[30:31]
	v_fma_f64 v[8:9], v[8:9], v[28:29], -v[10:11]
	s_waitcnt vmcnt(0) lgkmcnt(0)
	v_mul_f64 v[38:39], v[4:5], v[34:35]
	v_fmac_f64_e32 v[38:39], v[6:7], v[32:33]
	v_add_f64 v[44:45], v[36:37], v[38:39]
	ds_read_b128 v[36:39], v2 offset:1664
	v_mul_f64 v[6:7], v[6:7], v[34:35]
	v_fma_f64 v[4:5], v[4:5], v[32:33], -v[6:7]
	s_waitcnt lgkmcnt(0)
	v_mul_f64 v[46:47], v[36:37], v[42:43]
	v_fmac_f64_e32 v[46:47], v[38:39], v[40:41]
	v_add_f64 v[52:53], v[44:45], v[46:47]
	ds_read_b128 v[44:47], v2 offset:1680
	s_waitcnt lgkmcnt(0)
	v_mul_f64 v[54:55], v[44:45], v[50:51]
	v_fmac_f64_e32 v[54:55], v[46:47], v[48:49]
	v_add_f64 v[60:61], v[52:53], v[54:55]
	ds_read_b128 v[52:55], v2 offset:1696
	;; [unrolled: 5-line block ×17, first 2 shown]
	s_waitcnt lgkmcnt(0)
	v_mul_f64 v[2:3], v[174:175], v[180:181]
	v_fmac_f64_e32 v[2:3], v[176:177], v[178:179]
	v_add_f64 v[120:121], v[120:121], v[2:3]
	v_mul_f64 v[2:3], v[18:19], v[22:23]
	v_fma_f64 v[2:3], v[16:17], v[20:21], -v[2:3]
	v_add_f64 v[2:3], v[2:3], 0
	v_add_f64 v[2:3], v[2:3], v[12:13]
	;; [unrolled: 1-line block ×4, first 2 shown]
	v_mul_f64 v[4:5], v[38:39], v[42:43]
	v_fma_f64 v[4:5], v[36:37], v[40:41], -v[4:5]
	v_add_f64 v[2:3], v[2:3], v[4:5]
	v_mul_f64 v[4:5], v[46:47], v[50:51]
	v_fma_f64 v[4:5], v[44:45], v[48:49], -v[4:5]
	v_add_f64 v[2:3], v[2:3], v[4:5]
	;; [unrolled: 3-line block ×18, first 2 shown]
	scratch_load_dwordx4 v[2:5], off, off offset:624
	s_waitcnt vmcnt(0)
	v_add_f64 v[2:3], v[2:3], -v[6:7]
	v_add_f64 v[4:5], v[4:5], -v[120:121]
	scratch_store_dwordx4 off, v[2:5], off offset:624
	s_and_saveexec_b64 s[0:1], vcc
	s_cbranch_execz .LBB60_317
; %bb.316:
	scratch_load_dwordx4 v[2:5], off, s62
	v_mov_b32_e32 v6, 0
	v_mov_b32_e32 v7, v6
	;; [unrolled: 1-line block ×4, first 2 shown]
	v_accvgpr_read_b32 v0, a123
	scratch_store_dwordx4 off, v[6:9], off offset:608
	s_waitcnt vmcnt(1)
	ds_write_b128 v0, v[2:5]
.LBB60_317:
	s_or_b64 exec, exec, s[0:1]
	v_mov_b32_e32 v2, 0
	s_waitcnt lgkmcnt(0)
	; wave barrier
	ds_read_b128 v[16:19], v2 offset:1584
	ds_read_b128 v[12:15], v2 offset:1600
	;; [unrolled: 1-line block ×4, first 2 shown]
	scratch_load_dwordx4 v[20:23], off, off offset:624
	scratch_load_dwordx4 v[40:43], off, off offset:688
	;; [unrolled: 1-line block ×17, first 2 shown]
	v_cmp_lt_u32_e32 vcc, 36, v248
	scratch_load_dwordx4 v[48:51], off, off offset:704
	scratch_load_dwordx4 v[56:59], off, off offset:720
	;; [unrolled: 1-line block ×3, first 2 shown]
	s_waitcnt vmcnt(19) lgkmcnt(3)
	v_mul_f64 v[24:25], v[16:17], v[22:23]
	v_fmac_f64_e32 v[24:25], v[18:19], v[20:21]
	v_add_f64 v[28:29], v[24:25], 0
	scratch_load_dwordx4 v[24:27], off, off offset:640
	v_mul_f64 v[18:19], v[18:19], v[22:23]
	v_fma_f64 v[16:17], v[16:17], v[20:21], -v[18:19]
	v_add_f64 v[16:17], v[16:17], 0
	s_waitcnt vmcnt(0) lgkmcnt(2)
	v_mul_f64 v[30:31], v[12:13], v[26:27]
	v_fmac_f64_e32 v[30:31], v[14:15], v[24:25]
	v_add_f64 v[32:33], v[28:29], v[30:31]
	scratch_load_dwordx4 v[28:31], off, off offset:656
	v_mul_f64 v[14:15], v[14:15], v[26:27]
	v_fma_f64 v[12:13], v[12:13], v[24:25], -v[14:15]
	v_add_f64 v[12:13], v[16:17], v[12:13]
	;; [unrolled: 8-line block ×3, first 2 shown]
	s_waitcnt vmcnt(0) lgkmcnt(0)
	v_mul_f64 v[38:39], v[4:5], v[34:35]
	v_fmac_f64_e32 v[38:39], v[6:7], v[32:33]
	v_add_f64 v[44:45], v[36:37], v[38:39]
	ds_read_b128 v[36:39], v2 offset:1648
	v_mul_f64 v[6:7], v[6:7], v[34:35]
	v_fma_f64 v[4:5], v[4:5], v[32:33], -v[6:7]
	v_add_f64 v[4:5], v[8:9], v[4:5]
	s_waitcnt lgkmcnt(0)
	v_mul_f64 v[46:47], v[36:37], v[42:43]
	v_fmac_f64_e32 v[46:47], v[38:39], v[40:41]
	v_add_f64 v[52:53], v[44:45], v[46:47]
	ds_read_b128 v[44:47], v2 offset:1664
	v_mul_f64 v[6:7], v[38:39], v[42:43]
	v_fma_f64 v[6:7], v[36:37], v[40:41], -v[6:7]
	v_add_f64 v[4:5], v[4:5], v[6:7]
	s_waitcnt lgkmcnt(0)
	;; [unrolled: 8-line block ×19, first 2 shown]
	v_mul_f64 v[6:7], v[184:185], v[188:189]
	v_fma_f64 v[6:7], v[182:183], v[186:187], -v[6:7]
	v_add_f64 v[8:9], v[4:5], v[6:7]
	scratch_load_dwordx4 v[4:7], off, off offset:608
	v_mul_f64 v[190:191], v[182:183], v[188:189]
	v_fmac_f64_e32 v[190:191], v[184:185], v[186:187]
	v_add_f64 v[128:129], v[128:129], v[190:191]
	s_waitcnt vmcnt(0)
	v_add_f64 v[4:5], v[4:5], -v[8:9]
	v_add_f64 v[6:7], v[6:7], -v[128:129]
	scratch_store_dwordx4 off, v[4:7], off offset:608
	s_and_saveexec_b64 s[0:1], vcc
	s_cbranch_execz .LBB60_319
; %bb.318:
	scratch_load_dwordx4 v[6:9], off, s63
	v_mov_b32_e32 v3, v2
	v_mov_b32_e32 v4, v2
	;; [unrolled: 1-line block ×3, first 2 shown]
	v_accvgpr_read_b32 v0, a123
	scratch_store_dwordx4 off, v[2:5], off offset:592
	s_waitcnt vmcnt(1)
	ds_write_b128 v0, v[6:9]
.LBB60_319:
	s_or_b64 exec, exec, s[0:1]
	s_waitcnt lgkmcnt(0)
	; wave barrier
	ds_read_b128 v[16:19], v2 offset:1568
	ds_read_b128 v[12:15], v2 offset:1584
	;; [unrolled: 1-line block ×4, first 2 shown]
	scratch_load_dwordx4 v[20:23], off, off offset:608
	scratch_load_dwordx4 v[40:43], off, off offset:672
	scratch_load_dwordx4 v[72:75], off, off offset:736
	scratch_load_dwordx4 v[80:83], off, off offset:752
	scratch_load_dwordx4 v[88:91], off, off offset:768
	scratch_load_dwordx4 v[96:99], off, off offset:784
	scratch_load_dwordx4 v[104:107], off, off offset:800
	scratch_load_dwordx4 v[112:115], off, off offset:816
	scratch_load_dwordx4 v[120:123], off, off offset:832
	scratch_load_dwordx4 v[128:131], off, off offset:848
	scratch_load_dwordx4 v[136:139], off, off offset:864
	scratch_load_dwordx4 v[144:147], off, off offset:880
	scratch_load_dwordx4 v[154:157], off, off offset:896
	scratch_load_dwordx4 v[162:165], off, off offset:912
	scratch_load_dwordx4 v[170:173], off, off offset:928
	scratch_load_dwordx4 v[178:181], off, off offset:944
	scratch_load_dwordx4 v[186:189], off, off offset:960
	scratch_load_dwordx4 v[194:197], off, off offset:976
	v_cmp_lt_u32_e32 vcc, 35, v248
	scratch_load_dwordx4 v[48:51], off, off offset:688
	scratch_load_dwordx4 v[56:59], off, off offset:704
	;; [unrolled: 1-line block ×3, first 2 shown]
	s_waitcnt vmcnt(20) lgkmcnt(3)
	v_mul_f64 v[24:25], v[16:17], v[22:23]
	v_fmac_f64_e32 v[24:25], v[18:19], v[20:21]
	v_add_f64 v[28:29], v[24:25], 0
	scratch_load_dwordx4 v[24:27], off, off offset:624
	s_waitcnt vmcnt(0) lgkmcnt(2)
	v_mul_f64 v[30:31], v[12:13], v[26:27]
	v_fmac_f64_e32 v[30:31], v[14:15], v[24:25]
	v_add_f64 v[32:33], v[28:29], v[30:31]
	scratch_load_dwordx4 v[28:31], off, off offset:640
	v_mul_f64 v[14:15], v[14:15], v[26:27]
	v_fma_f64 v[12:13], v[12:13], v[24:25], -v[14:15]
	s_waitcnt vmcnt(0) lgkmcnt(1)
	v_mul_f64 v[34:35], v[8:9], v[30:31]
	v_fmac_f64_e32 v[34:35], v[10:11], v[28:29]
	v_add_f64 v[36:37], v[32:33], v[34:35]
	scratch_load_dwordx4 v[32:35], off, off offset:656
	v_mul_f64 v[10:11], v[10:11], v[30:31]
	v_fma_f64 v[8:9], v[8:9], v[28:29], -v[10:11]
	s_waitcnt vmcnt(0) lgkmcnt(0)
	v_mul_f64 v[38:39], v[4:5], v[34:35]
	v_fmac_f64_e32 v[38:39], v[6:7], v[32:33]
	v_add_f64 v[44:45], v[36:37], v[38:39]
	ds_read_b128 v[36:39], v2 offset:1632
	v_mul_f64 v[6:7], v[6:7], v[34:35]
	v_fma_f64 v[4:5], v[4:5], v[32:33], -v[6:7]
	s_waitcnt lgkmcnt(0)
	v_mul_f64 v[46:47], v[36:37], v[42:43]
	v_fmac_f64_e32 v[46:47], v[38:39], v[40:41]
	v_add_f64 v[52:53], v[44:45], v[46:47]
	ds_read_b128 v[44:47], v2 offset:1648
	s_waitcnt lgkmcnt(0)
	v_mul_f64 v[54:55], v[44:45], v[50:51]
	v_fmac_f64_e32 v[54:55], v[46:47], v[48:49]
	v_add_f64 v[60:61], v[52:53], v[54:55]
	ds_read_b128 v[52:55], v2 offset:1664
	;; [unrolled: 5-line block ×19, first 2 shown]
	s_waitcnt lgkmcnt(0)
	v_mul_f64 v[2:3], v[190:191], v[196:197]
	v_fmac_f64_e32 v[2:3], v[192:193], v[194:195]
	v_add_f64 v[148:149], v[148:149], v[2:3]
	v_mul_f64 v[2:3], v[18:19], v[22:23]
	v_fma_f64 v[2:3], v[16:17], v[20:21], -v[2:3]
	v_add_f64 v[2:3], v[2:3], 0
	v_add_f64 v[2:3], v[2:3], v[12:13]
	v_add_f64 v[2:3], v[2:3], v[8:9]
	v_add_f64 v[2:3], v[2:3], v[4:5]
	v_mul_f64 v[4:5], v[38:39], v[42:43]
	v_fma_f64 v[4:5], v[36:37], v[40:41], -v[4:5]
	v_add_f64 v[2:3], v[2:3], v[4:5]
	v_mul_f64 v[4:5], v[46:47], v[50:51]
	v_fma_f64 v[4:5], v[44:45], v[48:49], -v[4:5]
	v_add_f64 v[2:3], v[2:3], v[4:5]
	;; [unrolled: 3-line block ×20, first 2 shown]
	scratch_load_dwordx4 v[2:5], off, off offset:592
	s_waitcnt vmcnt(0)
	v_add_f64 v[2:3], v[2:3], -v[6:7]
	v_add_f64 v[4:5], v[4:5], -v[148:149]
	scratch_store_dwordx4 off, v[2:5], off offset:592
	s_and_saveexec_b64 s[0:1], vcc
	s_cbranch_execz .LBB60_321
; %bb.320:
	scratch_load_dwordx4 v[2:5], off, s61
	v_mov_b32_e32 v6, 0
	v_mov_b32_e32 v7, v6
	;; [unrolled: 1-line block ×4, first 2 shown]
	v_accvgpr_read_b32 v0, a123
	scratch_store_dwordx4 off, v[6:9], off offset:576
	s_waitcnt vmcnt(1)
	ds_write_b128 v0, v[2:5]
.LBB60_321:
	s_or_b64 exec, exec, s[0:1]
	v_mov_b32_e32 v2, 0
	s_waitcnt lgkmcnt(0)
	; wave barrier
	ds_read_b128 v[16:19], v2 offset:1552
	ds_read_b128 v[12:15], v2 offset:1568
	;; [unrolled: 1-line block ×4, first 2 shown]
	scratch_load_dwordx4 v[20:23], off, off offset:592
	scratch_load_dwordx4 v[40:43], off, off offset:656
	;; [unrolled: 1-line block ×19, first 2 shown]
	v_cmp_lt_u32_e32 vcc, 34, v248
	scratch_load_dwordx4 v[48:51], off, off offset:672
	scratch_load_dwordx4 v[56:59], off, off offset:688
	scratch_load_dwordx4 v[64:67], off, off offset:704
	s_waitcnt vmcnt(21) lgkmcnt(3)
	v_mul_f64 v[24:25], v[16:17], v[22:23]
	v_fmac_f64_e32 v[24:25], v[18:19], v[20:21]
	v_add_f64 v[28:29], v[24:25], 0
	scratch_load_dwordx4 v[24:27], off, off offset:608
	v_mul_f64 v[18:19], v[18:19], v[22:23]
	v_fma_f64 v[16:17], v[16:17], v[20:21], -v[18:19]
	v_add_f64 v[16:17], v[16:17], 0
	s_waitcnt vmcnt(0) lgkmcnt(2)
	v_mul_f64 v[30:31], v[12:13], v[26:27]
	v_fmac_f64_e32 v[30:31], v[14:15], v[24:25]
	v_add_f64 v[32:33], v[28:29], v[30:31]
	scratch_load_dwordx4 v[28:31], off, off offset:624
	v_mul_f64 v[14:15], v[14:15], v[26:27]
	v_fma_f64 v[12:13], v[12:13], v[24:25], -v[14:15]
	v_add_f64 v[12:13], v[16:17], v[12:13]
	;; [unrolled: 8-line block ×3, first 2 shown]
	s_waitcnt vmcnt(0) lgkmcnt(0)
	v_mul_f64 v[38:39], v[4:5], v[34:35]
	v_fmac_f64_e32 v[38:39], v[6:7], v[32:33]
	v_add_f64 v[44:45], v[36:37], v[38:39]
	ds_read_b128 v[36:39], v2 offset:1616
	v_mul_f64 v[6:7], v[6:7], v[34:35]
	v_fma_f64 v[4:5], v[4:5], v[32:33], -v[6:7]
	v_add_f64 v[4:5], v[8:9], v[4:5]
	s_waitcnt lgkmcnt(0)
	v_mul_f64 v[46:47], v[36:37], v[42:43]
	v_fmac_f64_e32 v[46:47], v[38:39], v[40:41]
	v_add_f64 v[52:53], v[44:45], v[46:47]
	ds_read_b128 v[44:47], v2 offset:1632
	v_mul_f64 v[6:7], v[38:39], v[42:43]
	v_fma_f64 v[6:7], v[36:37], v[40:41], -v[6:7]
	v_add_f64 v[4:5], v[4:5], v[6:7]
	s_waitcnt lgkmcnt(0)
	;; [unrolled: 8-line block ×21, first 2 shown]
	v_mul_f64 v[6:7], v[200:201], v[204:205]
	v_fma_f64 v[6:7], v[198:199], v[202:203], -v[6:7]
	v_add_f64 v[8:9], v[4:5], v[6:7]
	scratch_load_dwordx4 v[4:7], off, off offset:576
	v_mul_f64 v[206:207], v[198:199], v[204:205]
	v_fmac_f64_e32 v[206:207], v[200:201], v[202:203]
	v_add_f64 v[144:145], v[144:145], v[206:207]
	s_waitcnt vmcnt(0)
	v_add_f64 v[4:5], v[4:5], -v[8:9]
	v_add_f64 v[6:7], v[6:7], -v[144:145]
	scratch_store_dwordx4 off, v[4:7], off offset:576
	s_and_saveexec_b64 s[0:1], vcc
	s_cbranch_execz .LBB60_323
; %bb.322:
	scratch_load_dwordx4 v[6:9], off, s60
	v_mov_b32_e32 v3, v2
	v_mov_b32_e32 v4, v2
	;; [unrolled: 1-line block ×3, first 2 shown]
	v_accvgpr_read_b32 v0, a123
	scratch_store_dwordx4 off, v[2:5], off offset:560
	s_waitcnt vmcnt(1)
	ds_write_b128 v0, v[6:9]
.LBB60_323:
	s_or_b64 exec, exec, s[0:1]
	s_waitcnt lgkmcnt(0)
	; wave barrier
	ds_read_b128 v[16:19], v2 offset:1536
	ds_read_b128 v[12:15], v2 offset:1552
	;; [unrolled: 1-line block ×4, first 2 shown]
	scratch_load_dwordx4 v[20:23], off, off offset:576
	scratch_load_dwordx4 v[40:43], off, off offset:640
	scratch_load_dwordx4 v[72:75], off, off offset:704
	scratch_load_dwordx4 v[80:83], off, off offset:720
	scratch_load_dwordx4 v[88:91], off, off offset:736
	scratch_load_dwordx4 v[96:99], off, off offset:752
	scratch_load_dwordx4 v[104:107], off, off offset:768
	scratch_load_dwordx4 v[112:115], off, off offset:784
	scratch_load_dwordx4 v[120:123], off, off offset:800
	scratch_load_dwordx4 v[128:131], off, off offset:816
	scratch_load_dwordx4 v[136:139], off, off offset:832
	scratch_load_dwordx4 v[144:147], off, off offset:848
	scratch_load_dwordx4 v[152:155], off, off offset:864
	scratch_load_dwordx4 v[160:163], off, off offset:880
	scratch_load_dwordx4 v[170:173], off, off offset:896
	scratch_load_dwordx4 v[178:181], off, off offset:912
	scratch_load_dwordx4 v[186:189], off, off offset:928
	scratch_load_dwordx4 v[194:197], off, off offset:944
	scratch_load_dwordx4 v[202:205], off, off offset:960
	scratch_load_dwordx4 v[210:213], off, off offset:976
	v_cmp_lt_u32_e32 vcc, 33, v248
	scratch_load_dwordx4 v[48:51], off, off offset:656
	scratch_load_dwordx4 v[56:59], off, off offset:672
	;; [unrolled: 1-line block ×3, first 2 shown]
	s_waitcnt vmcnt(22) lgkmcnt(3)
	v_mul_f64 v[24:25], v[16:17], v[22:23]
	v_fmac_f64_e32 v[24:25], v[18:19], v[20:21]
	v_add_f64 v[28:29], v[24:25], 0
	scratch_load_dwordx4 v[24:27], off, off offset:592
	s_waitcnt vmcnt(0) lgkmcnt(2)
	v_mul_f64 v[30:31], v[12:13], v[26:27]
	v_fmac_f64_e32 v[30:31], v[14:15], v[24:25]
	v_add_f64 v[32:33], v[28:29], v[30:31]
	scratch_load_dwordx4 v[28:31], off, off offset:608
	v_mul_f64 v[14:15], v[14:15], v[26:27]
	v_fma_f64 v[12:13], v[12:13], v[24:25], -v[14:15]
	s_waitcnt vmcnt(0) lgkmcnt(1)
	v_mul_f64 v[34:35], v[8:9], v[30:31]
	v_fmac_f64_e32 v[34:35], v[10:11], v[28:29]
	v_add_f64 v[36:37], v[32:33], v[34:35]
	scratch_load_dwordx4 v[32:35], off, off offset:624
	v_mul_f64 v[10:11], v[10:11], v[30:31]
	v_fma_f64 v[8:9], v[8:9], v[28:29], -v[10:11]
	s_waitcnt vmcnt(0) lgkmcnt(0)
	v_mul_f64 v[38:39], v[4:5], v[34:35]
	v_fmac_f64_e32 v[38:39], v[6:7], v[32:33]
	v_add_f64 v[44:45], v[36:37], v[38:39]
	ds_read_b128 v[36:39], v2 offset:1600
	v_mul_f64 v[6:7], v[6:7], v[34:35]
	v_fma_f64 v[4:5], v[4:5], v[32:33], -v[6:7]
	s_waitcnt lgkmcnt(0)
	v_mul_f64 v[46:47], v[36:37], v[42:43]
	v_fmac_f64_e32 v[46:47], v[38:39], v[40:41]
	v_add_f64 v[52:53], v[44:45], v[46:47]
	ds_read_b128 v[44:47], v2 offset:1616
	s_waitcnt lgkmcnt(0)
	v_mul_f64 v[54:55], v[44:45], v[50:51]
	v_fmac_f64_e32 v[54:55], v[46:47], v[48:49]
	v_add_f64 v[60:61], v[52:53], v[54:55]
	ds_read_b128 v[52:55], v2 offset:1632
	;; [unrolled: 5-line block ×21, first 2 shown]
	s_waitcnt lgkmcnt(0)
	v_mul_f64 v[2:3], v[206:207], v[212:213]
	v_fmac_f64_e32 v[2:3], v[208:209], v[210:211]
	v_add_f64 v[168:169], v[168:169], v[2:3]
	v_mul_f64 v[2:3], v[18:19], v[22:23]
	v_fma_f64 v[2:3], v[16:17], v[20:21], -v[2:3]
	v_add_f64 v[2:3], v[2:3], 0
	v_add_f64 v[2:3], v[2:3], v[12:13]
	;; [unrolled: 1-line block ×4, first 2 shown]
	v_mul_f64 v[4:5], v[38:39], v[42:43]
	v_fma_f64 v[4:5], v[36:37], v[40:41], -v[4:5]
	v_add_f64 v[2:3], v[2:3], v[4:5]
	v_mul_f64 v[4:5], v[46:47], v[50:51]
	v_fma_f64 v[4:5], v[44:45], v[48:49], -v[4:5]
	v_add_f64 v[2:3], v[2:3], v[4:5]
	;; [unrolled: 3-line block ×22, first 2 shown]
	scratch_load_dwordx4 v[2:5], off, off offset:560
	s_waitcnt vmcnt(0)
	v_add_f64 v[2:3], v[2:3], -v[6:7]
	v_add_f64 v[4:5], v[4:5], -v[168:169]
	scratch_store_dwordx4 off, v[2:5], off offset:560
	s_and_saveexec_b64 s[0:1], vcc
	s_cbranch_execz .LBB60_325
; %bb.324:
	scratch_load_dwordx4 v[2:5], off, s59
	v_mov_b32_e32 v6, 0
	v_mov_b32_e32 v7, v6
	;; [unrolled: 1-line block ×4, first 2 shown]
	v_accvgpr_read_b32 v0, a123
	scratch_store_dwordx4 off, v[6:9], off offset:544
	s_waitcnt vmcnt(1)
	ds_write_b128 v0, v[2:5]
.LBB60_325:
	s_or_b64 exec, exec, s[0:1]
	v_mov_b32_e32 v2, 0
	s_waitcnt lgkmcnt(0)
	; wave barrier
	ds_read_b128 v[16:19], v2 offset:1520
	ds_read_b128 v[12:15], v2 offset:1536
	;; [unrolled: 1-line block ×4, first 2 shown]
	scratch_load_dwordx4 v[20:23], off, off offset:560
	scratch_load_dwordx4 v[40:43], off, off offset:624
	;; [unrolled: 1-line block ×21, first 2 shown]
	v_cmp_lt_u32_e32 vcc, 32, v248
	scratch_load_dwordx4 v[48:51], off, off offset:640
	scratch_load_dwordx4 v[56:59], off, off offset:656
	;; [unrolled: 1-line block ×3, first 2 shown]
	s_waitcnt vmcnt(23) lgkmcnt(3)
	v_mul_f64 v[24:25], v[16:17], v[22:23]
	v_fmac_f64_e32 v[24:25], v[18:19], v[20:21]
	v_add_f64 v[28:29], v[24:25], 0
	scratch_load_dwordx4 v[24:27], off, off offset:576
	v_mul_f64 v[18:19], v[18:19], v[22:23]
	v_fma_f64 v[16:17], v[16:17], v[20:21], -v[18:19]
	v_add_f64 v[16:17], v[16:17], 0
	s_waitcnt vmcnt(0) lgkmcnt(2)
	v_mul_f64 v[30:31], v[12:13], v[26:27]
	v_fmac_f64_e32 v[30:31], v[14:15], v[24:25]
	v_add_f64 v[32:33], v[28:29], v[30:31]
	scratch_load_dwordx4 v[28:31], off, off offset:592
	v_mul_f64 v[14:15], v[14:15], v[26:27]
	v_fma_f64 v[12:13], v[12:13], v[24:25], -v[14:15]
	v_add_f64 v[12:13], v[16:17], v[12:13]
	;; [unrolled: 8-line block ×3, first 2 shown]
	s_waitcnt vmcnt(0) lgkmcnt(0)
	v_mul_f64 v[38:39], v[4:5], v[34:35]
	v_fmac_f64_e32 v[38:39], v[6:7], v[32:33]
	v_add_f64 v[44:45], v[36:37], v[38:39]
	ds_read_b128 v[36:39], v2 offset:1584
	v_mul_f64 v[6:7], v[6:7], v[34:35]
	v_fma_f64 v[4:5], v[4:5], v[32:33], -v[6:7]
	v_add_f64 v[4:5], v[8:9], v[4:5]
	s_waitcnt lgkmcnt(0)
	v_mul_f64 v[46:47], v[36:37], v[42:43]
	v_fmac_f64_e32 v[46:47], v[38:39], v[40:41]
	v_add_f64 v[52:53], v[44:45], v[46:47]
	ds_read_b128 v[44:47], v2 offset:1600
	v_mul_f64 v[6:7], v[38:39], v[42:43]
	v_fma_f64 v[6:7], v[36:37], v[40:41], -v[6:7]
	v_add_f64 v[4:5], v[4:5], v[6:7]
	s_waitcnt lgkmcnt(0)
	;; [unrolled: 8-line block ×23, first 2 shown]
	v_mul_f64 v[6:7], v[216:217], v[220:221]
	v_fma_f64 v[6:7], v[214:215], v[218:219], -v[6:7]
	v_add_f64 v[8:9], v[4:5], v[6:7]
	scratch_load_dwordx4 v[4:7], off, off offset:544
	v_mul_f64 v[222:223], v[214:215], v[220:221]
	v_fmac_f64_e32 v[222:223], v[216:217], v[218:219]
	v_add_f64 v[160:161], v[160:161], v[222:223]
	s_waitcnt vmcnt(0)
	v_add_f64 v[4:5], v[4:5], -v[8:9]
	v_add_f64 v[6:7], v[6:7], -v[160:161]
	scratch_store_dwordx4 off, v[4:7], off offset:544
	s_and_saveexec_b64 s[0:1], vcc
	s_cbranch_execz .LBB60_327
; %bb.326:
	scratch_load_dwordx4 v[6:9], off, s58
	v_mov_b32_e32 v3, v2
	v_mov_b32_e32 v4, v2
	;; [unrolled: 1-line block ×3, first 2 shown]
	v_accvgpr_read_b32 v0, a123
	scratch_store_dwordx4 off, v[2:5], off offset:528
	s_waitcnt vmcnt(1)
	ds_write_b128 v0, v[6:9]
.LBB60_327:
	s_or_b64 exec, exec, s[0:1]
	s_waitcnt lgkmcnt(0)
	; wave barrier
	ds_read_b128 v[16:19], v2 offset:1504
	ds_read_b128 v[12:15], v2 offset:1520
	;; [unrolled: 1-line block ×4, first 2 shown]
	scratch_load_dwordx4 v[20:23], off, off offset:544
	scratch_load_dwordx4 v[40:43], off, off offset:608
	;; [unrolled: 1-line block ×22, first 2 shown]
	v_cmp_lt_u32_e32 vcc, 31, v248
	scratch_load_dwordx4 v[48:51], off, off offset:624
	scratch_load_dwordx4 v[56:59], off, off offset:640
	;; [unrolled: 1-line block ×3, first 2 shown]
	s_waitcnt vmcnt(24) lgkmcnt(3)
	v_mul_f64 v[24:25], v[16:17], v[22:23]
	v_fmac_f64_e32 v[24:25], v[18:19], v[20:21]
	v_add_f64 v[28:29], v[24:25], 0
	scratch_load_dwordx4 v[24:27], off, off offset:560
	s_waitcnt vmcnt(0) lgkmcnt(2)
	v_mul_f64 v[30:31], v[12:13], v[26:27]
	v_fmac_f64_e32 v[30:31], v[14:15], v[24:25]
	v_add_f64 v[32:33], v[28:29], v[30:31]
	scratch_load_dwordx4 v[28:31], off, off offset:576
	v_mul_f64 v[14:15], v[14:15], v[26:27]
	v_fma_f64 v[12:13], v[12:13], v[24:25], -v[14:15]
	s_waitcnt vmcnt(0) lgkmcnt(1)
	v_mul_f64 v[34:35], v[8:9], v[30:31]
	v_fmac_f64_e32 v[34:35], v[10:11], v[28:29]
	v_add_f64 v[36:37], v[32:33], v[34:35]
	scratch_load_dwordx4 v[32:35], off, off offset:592
	v_mul_f64 v[10:11], v[10:11], v[30:31]
	v_fma_f64 v[8:9], v[8:9], v[28:29], -v[10:11]
	s_waitcnt vmcnt(0) lgkmcnt(0)
	v_mul_f64 v[38:39], v[4:5], v[34:35]
	v_fmac_f64_e32 v[38:39], v[6:7], v[32:33]
	v_add_f64 v[44:45], v[36:37], v[38:39]
	ds_read_b128 v[36:39], v2 offset:1568
	v_mul_f64 v[6:7], v[6:7], v[34:35]
	v_fma_f64 v[4:5], v[4:5], v[32:33], -v[6:7]
	s_waitcnt lgkmcnt(0)
	v_mul_f64 v[46:47], v[36:37], v[42:43]
	v_fmac_f64_e32 v[46:47], v[38:39], v[40:41]
	v_add_f64 v[52:53], v[44:45], v[46:47]
	ds_read_b128 v[44:47], v2 offset:1584
	s_waitcnt lgkmcnt(0)
	v_mul_f64 v[54:55], v[44:45], v[50:51]
	v_fmac_f64_e32 v[54:55], v[46:47], v[48:49]
	v_add_f64 v[60:61], v[52:53], v[54:55]
	ds_read_b128 v[52:55], v2 offset:1600
	;; [unrolled: 5-line block ×23, first 2 shown]
	s_waitcnt lgkmcnt(0)
	v_mul_f64 v[2:3], v[222:223], v[228:229]
	v_fmac_f64_e32 v[2:3], v[224:225], v[226:227]
	v_add_f64 v[176:177], v[176:177], v[2:3]
	v_mul_f64 v[2:3], v[18:19], v[22:23]
	v_fma_f64 v[2:3], v[16:17], v[20:21], -v[2:3]
	v_add_f64 v[2:3], v[2:3], 0
	v_add_f64 v[2:3], v[2:3], v[12:13]
	;; [unrolled: 1-line block ×4, first 2 shown]
	v_mul_f64 v[4:5], v[38:39], v[42:43]
	v_fma_f64 v[4:5], v[36:37], v[40:41], -v[4:5]
	v_add_f64 v[2:3], v[2:3], v[4:5]
	v_mul_f64 v[4:5], v[46:47], v[50:51]
	v_fma_f64 v[4:5], v[44:45], v[48:49], -v[4:5]
	v_add_f64 v[2:3], v[2:3], v[4:5]
	;; [unrolled: 3-line block ×24, first 2 shown]
	scratch_load_dwordx4 v[2:5], off, off offset:528
	s_waitcnt vmcnt(0)
	v_add_f64 v[2:3], v[2:3], -v[6:7]
	v_add_f64 v[4:5], v[4:5], -v[176:177]
	scratch_store_dwordx4 off, v[2:5], off offset:528
	s_and_saveexec_b64 s[0:1], vcc
	s_cbranch_execz .LBB60_329
; %bb.328:
	scratch_load_dwordx4 v[2:5], off, s57
	v_mov_b32_e32 v6, 0
	v_mov_b32_e32 v7, v6
	;; [unrolled: 1-line block ×4, first 2 shown]
	v_accvgpr_read_b32 v0, a123
	scratch_store_dwordx4 off, v[6:9], off offset:512
	s_waitcnt vmcnt(1)
	ds_write_b128 v0, v[2:5]
.LBB60_329:
	s_or_b64 exec, exec, s[0:1]
	v_mov_b32_e32 v2, 0
	s_waitcnt lgkmcnt(0)
	; wave barrier
	ds_read_b128 v[16:19], v2 offset:1488
	ds_read_b128 v[12:15], v2 offset:1504
	;; [unrolled: 1-line block ×4, first 2 shown]
	scratch_load_dwordx4 v[20:23], off, off offset:528
	scratch_load_dwordx4 v[40:43], off, off offset:592
	scratch_load_dwordx4 v[72:75], off, off offset:656
	scratch_load_dwordx4 v[80:83], off, off offset:672
	scratch_load_dwordx4 v[88:91], off, off offset:688
	scratch_load_dwordx4 v[96:99], off, off offset:704
	scratch_load_dwordx4 v[104:107], off, off offset:720
	scratch_load_dwordx4 v[112:115], off, off offset:736
	scratch_load_dwordx4 v[120:123], off, off offset:752
	scratch_load_dwordx4 v[128:131], off, off offset:768
	scratch_load_dwordx4 v[136:139], off, off offset:784
	scratch_load_dwordx4 v[144:147], off, off offset:800
	scratch_load_dwordx4 v[152:155], off, off offset:816
	scratch_load_dwordx4 v[160:163], off, off offset:832
	scratch_load_dwordx4 v[168:171], off, off offset:848
	scratch_load_dwordx4 v[178:181], off, off offset:864
	scratch_load_dwordx4 v[186:189], off, off offset:880
	scratch_load_dwordx4 v[194:197], off, off offset:896
	scratch_load_dwordx4 v[202:205], off, off offset:912
	scratch_load_dwordx4 v[210:213], off, off offset:928
	scratch_load_dwordx4 v[218:221], off, off offset:944
	scratch_load_dwordx4 v[226:229], off, off offset:960
	scratch_load_dwordx4 v[234:237], off, off offset:976
	v_cmp_lt_u32_e32 vcc, 30, v248
	scratch_load_dwordx4 v[48:51], off, off offset:608
	scratch_load_dwordx4 v[56:59], off, off offset:624
	;; [unrolled: 1-line block ×3, first 2 shown]
	s_waitcnt vmcnt(25) lgkmcnt(3)
	v_mul_f64 v[24:25], v[16:17], v[22:23]
	v_fmac_f64_e32 v[24:25], v[18:19], v[20:21]
	v_add_f64 v[28:29], v[24:25], 0
	scratch_load_dwordx4 v[24:27], off, off offset:544
	v_mul_f64 v[18:19], v[18:19], v[22:23]
	v_fma_f64 v[16:17], v[16:17], v[20:21], -v[18:19]
	v_add_f64 v[16:17], v[16:17], 0
	s_waitcnt vmcnt(0) lgkmcnt(2)
	v_mul_f64 v[30:31], v[12:13], v[26:27]
	v_fmac_f64_e32 v[30:31], v[14:15], v[24:25]
	v_add_f64 v[32:33], v[28:29], v[30:31]
	scratch_load_dwordx4 v[28:31], off, off offset:560
	v_mul_f64 v[14:15], v[14:15], v[26:27]
	v_fma_f64 v[12:13], v[12:13], v[24:25], -v[14:15]
	v_add_f64 v[12:13], v[16:17], v[12:13]
	s_waitcnt vmcnt(0) lgkmcnt(1)
	v_mul_f64 v[34:35], v[8:9], v[30:31]
	v_fmac_f64_e32 v[34:35], v[10:11], v[28:29]
	v_add_f64 v[36:37], v[32:33], v[34:35]
	scratch_load_dwordx4 v[32:35], off, off offset:576
	v_mul_f64 v[10:11], v[10:11], v[30:31]
	v_fma_f64 v[8:9], v[8:9], v[28:29], -v[10:11]
	v_add_f64 v[8:9], v[12:13], v[8:9]
	s_waitcnt vmcnt(0) lgkmcnt(0)
	v_mul_f64 v[38:39], v[4:5], v[34:35]
	v_fmac_f64_e32 v[38:39], v[6:7], v[32:33]
	v_add_f64 v[44:45], v[36:37], v[38:39]
	ds_read_b128 v[36:39], v2 offset:1552
	v_mul_f64 v[6:7], v[6:7], v[34:35]
	v_fma_f64 v[4:5], v[4:5], v[32:33], -v[6:7]
	v_add_f64 v[4:5], v[8:9], v[4:5]
	s_waitcnt lgkmcnt(0)
	v_mul_f64 v[46:47], v[36:37], v[42:43]
	v_fmac_f64_e32 v[46:47], v[38:39], v[40:41]
	v_add_f64 v[52:53], v[44:45], v[46:47]
	ds_read_b128 v[44:47], v2 offset:1568
	v_mul_f64 v[6:7], v[38:39], v[42:43]
	v_fma_f64 v[6:7], v[36:37], v[40:41], -v[6:7]
	v_add_f64 v[4:5], v[4:5], v[6:7]
	s_waitcnt lgkmcnt(0)
	;; [unrolled: 8-line block ×25, first 2 shown]
	v_mul_f64 v[6:7], v[232:233], v[236:237]
	v_fma_f64 v[6:7], v[230:231], v[234:235], -v[6:7]
	v_add_f64 v[8:9], v[4:5], v[6:7]
	scratch_load_dwordx4 v[4:7], off, off offset:512
	v_mul_f64 v[238:239], v[230:231], v[236:237]
	v_fmac_f64_e32 v[238:239], v[232:233], v[234:235]
	v_add_f64 v[176:177], v[176:177], v[238:239]
	s_waitcnt vmcnt(0)
	v_add_f64 v[4:5], v[4:5], -v[8:9]
	v_add_f64 v[6:7], v[6:7], -v[176:177]
	scratch_store_dwordx4 off, v[4:7], off offset:512
	s_and_saveexec_b64 s[0:1], vcc
	s_cbranch_execz .LBB60_331
; %bb.330:
	scratch_load_dwordx4 v[6:9], off, s56
	v_mov_b32_e32 v3, v2
	v_mov_b32_e32 v4, v2
	v_mov_b32_e32 v5, v2
	v_accvgpr_read_b32 v0, a123
	scratch_store_dwordx4 off, v[2:5], off offset:496
	s_waitcnt vmcnt(1)
	ds_write_b128 v0, v[6:9]
.LBB60_331:
	s_or_b64 exec, exec, s[0:1]
	s_waitcnt lgkmcnt(0)
	; wave barrier
	ds_read_b128 v[16:19], v2 offset:1472
	ds_read_b128 v[12:15], v2 offset:1488
	;; [unrolled: 1-line block ×4, first 2 shown]
	scratch_load_dwordx4 v[20:23], off, off offset:512
	scratch_load_dwordx4 v[40:43], off, off offset:576
	;; [unrolled: 1-line block ×23, first 2 shown]
	v_cmp_lt_u32_e32 vcc, 29, v248
	scratch_load_dwordx4 v[48:51], off, off offset:592
	scratch_load_dwordx4 v[56:59], off, off offset:608
	;; [unrolled: 1-line block ×3, first 2 shown]
	ds_read_b128 v[250:253], v2 offset:1936
	s_waitcnt vmcnt(25) lgkmcnt(4)
	v_mul_f64 v[24:25], v[16:17], v[22:23]
	v_fmac_f64_e32 v[24:25], v[18:19], v[20:21]
	v_add_f64 v[28:29], v[24:25], 0
	scratch_load_dwordx4 v[24:27], off, off offset:528
	s_waitcnt vmcnt(0) lgkmcnt(3)
	v_mul_f64 v[30:31], v[12:13], v[26:27]
	v_fmac_f64_e32 v[30:31], v[14:15], v[24:25]
	v_add_f64 v[32:33], v[28:29], v[30:31]
	scratch_load_dwordx4 v[28:31], off, off offset:544
	v_mul_f64 v[14:15], v[14:15], v[26:27]
	v_fma_f64 v[12:13], v[12:13], v[24:25], -v[14:15]
	s_waitcnt vmcnt(0) lgkmcnt(2)
	v_mul_f64 v[34:35], v[8:9], v[30:31]
	v_fmac_f64_e32 v[34:35], v[10:11], v[28:29]
	v_add_f64 v[36:37], v[32:33], v[34:35]
	scratch_load_dwordx4 v[32:35], off, off offset:560
	v_mul_f64 v[10:11], v[10:11], v[30:31]
	v_fma_f64 v[8:9], v[8:9], v[28:29], -v[10:11]
	s_waitcnt vmcnt(0) lgkmcnt(1)
	v_mul_f64 v[38:39], v[4:5], v[34:35]
	v_fmac_f64_e32 v[38:39], v[6:7], v[32:33]
	v_add_f64 v[44:45], v[36:37], v[38:39]
	ds_read_b128 v[36:39], v2 offset:1536
	v_mul_f64 v[6:7], v[6:7], v[34:35]
	v_fma_f64 v[4:5], v[4:5], v[32:33], -v[6:7]
	s_waitcnt lgkmcnt(0)
	v_mul_f64 v[46:47], v[36:37], v[42:43]
	v_fmac_f64_e32 v[46:47], v[38:39], v[40:41]
	v_add_f64 v[52:53], v[44:45], v[46:47]
	ds_read_b128 v[44:47], v2 offset:1552
	s_waitcnt lgkmcnt(0)
	v_mul_f64 v[54:55], v[44:45], v[50:51]
	v_fmac_f64_e32 v[54:55], v[46:47], v[48:49]
	v_add_f64 v[60:61], v[52:53], v[54:55]
	ds_read_b128 v[52:55], v2 offset:1568
	;; [unrolled: 5-line block ×24, first 2 shown]
	s_waitcnt lgkmcnt(0)
	v_mul_f64 v[238:239], v[230:231], v[236:237]
	v_fmac_f64_e32 v[238:239], v[232:233], v[234:235]
	v_add_f64 v[184:185], v[184:185], v[238:239]
	scratch_load_dwordx4 v[238:241], off, off offset:976
	s_waitcnt vmcnt(0)
	v_mul_f64 v[2:3], v[250:251], v[240:241]
	v_fmac_f64_e32 v[2:3], v[252:253], v[238:239]
	v_add_f64 v[184:185], v[184:185], v[2:3]
	v_mul_f64 v[2:3], v[18:19], v[22:23]
	v_fma_f64 v[2:3], v[16:17], v[20:21], -v[2:3]
	v_add_f64 v[2:3], v[2:3], 0
	v_add_f64 v[2:3], v[2:3], v[12:13]
	;; [unrolled: 1-line block ×4, first 2 shown]
	v_mul_f64 v[4:5], v[38:39], v[42:43]
	v_fma_f64 v[4:5], v[36:37], v[40:41], -v[4:5]
	v_add_f64 v[2:3], v[2:3], v[4:5]
	v_mul_f64 v[4:5], v[46:47], v[50:51]
	v_fma_f64 v[4:5], v[44:45], v[48:49], -v[4:5]
	v_add_f64 v[2:3], v[2:3], v[4:5]
	;; [unrolled: 3-line block ×26, first 2 shown]
	scratch_load_dwordx4 v[2:5], off, off offset:496
	s_waitcnt vmcnt(0)
	v_add_f64 v[2:3], v[2:3], -v[6:7]
	v_add_f64 v[4:5], v[4:5], -v[184:185]
	scratch_store_dwordx4 off, v[2:5], off offset:496
	s_and_saveexec_b64 s[0:1], vcc
	s_cbranch_execz .LBB60_333
; %bb.332:
	scratch_load_dwordx4 v[2:5], off, s55
	v_mov_b32_e32 v6, 0
	v_mov_b32_e32 v7, v6
	;; [unrolled: 1-line block ×4, first 2 shown]
	v_accvgpr_read_b32 v0, a123
	scratch_store_dwordx4 off, v[6:9], off offset:480
	s_waitcnt vmcnt(1)
	ds_write_b128 v0, v[2:5]
.LBB60_333:
	s_or_b64 exec, exec, s[0:1]
	s_waitcnt lgkmcnt(0)
	; wave barrier
	scratch_load_dwordx4 v[16:19], off, off offset:496
	scratch_load_dwordx4 v[12:15], off, off offset:512
	;; [unrolled: 1-line block ×32, first 2 shown]
	v_mov_b32_e32 v2, 0
	ds_read_b128 v[132:135], v2 offset:1456
	ds_read_b128 v[136:139], v2 offset:1472
	;; [unrolled: 1-line block ×17, first 2 shown]
	v_cmp_lt_u32_e32 vcc, 28, v248
	s_waitcnt vmcnt(31) lgkmcnt(14)
	v_mul_f64 v[200:201], v[132:133], v[18:19]
	s_waitcnt vmcnt(30)
	v_mul_f64 v[202:203], v[136:137], v[14:15]
	v_fmac_f64_e32 v[200:201], v[134:135], v[16:17]
	s_waitcnt vmcnt(29)
	v_mul_f64 v[204:205], v[140:141], v[10:11]
	v_fmac_f64_e32 v[202:203], v[138:139], v[12:13]
	v_add_f64 v[200:201], v[200:201], 0
	s_waitcnt vmcnt(28) lgkmcnt(13)
	v_mul_f64 v[206:207], v[144:145], v[6:7]
	v_fmac_f64_e32 v[204:205], v[142:143], v[8:9]
	v_add_f64 v[200:201], v[200:201], v[202:203]
	s_waitcnt vmcnt(27) lgkmcnt(12)
	;; [unrolled: 4-line block ×12, first 2 shown]
	v_mul_f64 v[228:229], v[188:189], v[62:63]
	v_fmac_f64_e32 v[226:227], v[186:187], v[56:57]
	v_add_f64 v[200:201], v[200:201], v[224:225]
	v_fmac_f64_e32 v[228:229], v[190:191], v[60:61]
	v_add_f64 v[200:201], v[200:201], v[226:227]
	s_waitcnt vmcnt(16) lgkmcnt(1)
	v_mul_f64 v[202:203], v[192:193], v[66:67]
	v_add_f64 v[200:201], v[200:201], v[228:229]
	v_fmac_f64_e32 v[202:203], v[194:195], v[64:65]
	s_waitcnt vmcnt(15) lgkmcnt(0)
	v_mul_f64 v[206:207], v[196:197], v[70:71]
	v_add_f64 v[204:205], v[200:201], v[202:203]
	ds_read_b128 v[200:203], v2 offset:1728
	v_fmac_f64_e32 v[206:207], v[198:199], v[68:69]
	v_add_f64 v[208:209], v[204:205], v[206:207]
	ds_read_b128 v[204:207], v2 offset:1744
	v_mul_f64 v[18:19], v[134:135], v[18:19]
	s_waitcnt vmcnt(14) lgkmcnt(1)
	v_mul_f64 v[210:211], v[200:201], v[74:75]
	v_fmac_f64_e32 v[210:211], v[202:203], v[72:73]
	v_add_f64 v[212:213], v[208:209], v[210:211]
	s_waitcnt vmcnt(13) lgkmcnt(0)
	v_mul_f64 v[214:215], v[204:205], v[78:79]
	ds_read_b128 v[208:211], v2 offset:1760
	v_fmac_f64_e32 v[214:215], v[206:207], v[76:77]
	v_add_f64 v[216:217], v[212:213], v[214:215]
	ds_read_b128 v[212:215], v2 offset:1776
	v_fma_f64 v[242:243], v[132:133], v[16:17], -v[18:19]
	s_waitcnt vmcnt(12) lgkmcnt(1)
	v_mul_f64 v[218:219], v[208:209], v[82:83]
	v_fmac_f64_e32 v[218:219], v[210:211], v[80:81]
	v_add_f64 v[220:221], v[216:217], v[218:219]
	s_waitcnt vmcnt(11) lgkmcnt(0)
	v_mul_f64 v[222:223], v[212:213], v[86:87]
	ds_read_b128 v[216:219], v2 offset:1792
	v_fmac_f64_e32 v[222:223], v[214:215], v[84:85]
	v_add_f64 v[224:225], v[220:221], v[222:223]
	ds_read_b128 v[220:223], v2 offset:1808
	ds_read_b128 v[16:19], v2 offset:1888
	s_waitcnt vmcnt(10) lgkmcnt(2)
	v_mul_f64 v[226:227], v[216:217], v[90:91]
	v_fmac_f64_e32 v[226:227], v[218:219], v[88:89]
	v_add_f64 v[228:229], v[224:225], v[226:227]
	s_waitcnt vmcnt(9) lgkmcnt(1)
	v_mul_f64 v[230:231], v[220:221], v[94:95]
	ds_read_b128 v[224:227], v2 offset:1824
	v_fmac_f64_e32 v[230:231], v[222:223], v[92:93]
	v_add_f64 v[232:233], v[228:229], v[230:231]
	ds_read_b128 v[228:231], v2 offset:1840
	v_mul_f64 v[14:15], v[138:139], v[14:15]
	s_waitcnt vmcnt(8) lgkmcnt(1)
	v_mul_f64 v[234:235], v[224:225], v[98:99]
	v_fmac_f64_e32 v[234:235], v[226:227], v[96:97]
	v_add_f64 v[236:237], v[232:233], v[234:235]
	s_waitcnt vmcnt(7) lgkmcnt(0)
	v_mul_f64 v[238:239], v[228:229], v[102:103]
	ds_read_b128 v[232:235], v2 offset:1856
	v_fmac_f64_e32 v[238:239], v[230:231], v[100:101]
	v_add_f64 v[240:241], v[236:237], v[238:239]
	ds_read_b128 v[236:239], v2 offset:1872
	v_fma_f64 v[136:137], v[136:137], v[12:13], -v[14:15]
	s_waitcnt vmcnt(6) lgkmcnt(1)
	v_mul_f64 v[132:133], v[232:233], v[106:107]
	v_fmac_f64_e32 v[132:133], v[234:235], v[104:105]
	v_add_f64 v[132:133], v[240:241], v[132:133]
	s_waitcnt vmcnt(5) lgkmcnt(0)
	v_mul_f64 v[134:135], v[236:237], v[110:111]
	v_fmac_f64_e32 v[134:135], v[238:239], v[108:109]
	v_add_f64 v[132:133], v[132:133], v[134:135]
	ds_read_b128 v[12:15], v2 offset:1904
	s_waitcnt vmcnt(4)
	v_mul_f64 v[134:135], v[16:17], v[114:115]
	v_fmac_f64_e32 v[134:135], v[18:19], v[112:113]
	v_add_f64 v[138:139], v[132:133], v[134:135]
	ds_read_b128 v[132:135], v2 offset:1920
	v_mul_f64 v[10:11], v[142:143], v[10:11]
	v_fma_f64 v[140:141], v[140:141], v[8:9], -v[10:11]
	ds_read_b128 v[8:11], v2 offset:1936
	s_waitcnt vmcnt(3) lgkmcnt(2)
	v_mul_f64 v[142:143], v[12:13], v[118:119]
	v_fmac_f64_e32 v[142:143], v[14:15], v[116:117]
	v_add_f64 v[138:139], v[138:139], v[142:143]
	s_waitcnt vmcnt(2) lgkmcnt(1)
	v_mul_f64 v[142:143], v[132:133], v[122:123]
	v_fmac_f64_e32 v[142:143], v[134:135], v[120:121]
	v_add_f64 v[138:139], v[138:139], v[142:143]
	;; [unrolled: 4-line block ×3, first 2 shown]
	v_add_f64 v[142:143], v[242:243], 0
	v_add_f64 v[136:137], v[142:143], v[136:137]
	v_mul_f64 v[6:7], v[146:147], v[6:7]
	v_add_f64 v[136:137], v[136:137], v[140:141]
	v_fma_f64 v[4:5], v[144:145], v[4:5], -v[6:7]
	v_mul_f64 v[6:7], v[150:151], v[22:23]
	v_add_f64 v[4:5], v[136:137], v[4:5]
	v_fma_f64 v[6:7], v[148:149], v[20:21], -v[6:7]
	v_add_f64 v[4:5], v[4:5], v[6:7]
	v_mul_f64 v[6:7], v[154:155], v[26:27]
	v_fma_f64 v[6:7], v[152:153], v[24:25], -v[6:7]
	v_add_f64 v[4:5], v[4:5], v[6:7]
	v_mul_f64 v[6:7], v[158:159], v[30:31]
	;; [unrolled: 3-line block ×26, first 2 shown]
	v_fma_f64 v[6:7], v[8:9], v[124:125], -v[6:7]
	v_add_f64 v[4:5], v[4:5], v[6:7]
	s_waitcnt vmcnt(0)
	v_add_f64 v[4:5], v[128:129], -v[4:5]
	v_add_f64 v[6:7], v[130:131], -v[138:139]
	scratch_store_dwordx4 off, v[4:7], off offset:480
	s_and_saveexec_b64 s[0:1], vcc
	s_cbranch_execz .LBB60_335
; %bb.334:
	scratch_load_dwordx4 v[6:9], off, s54
	v_mov_b32_e32 v3, v2
	v_mov_b32_e32 v4, v2
	;; [unrolled: 1-line block ×3, first 2 shown]
	v_accvgpr_read_b32 v0, a123
	scratch_store_dwordx4 off, v[2:5], off offset:464
	s_waitcnt vmcnt(1)
	ds_write_b128 v0, v[6:9]
.LBB60_335:
	s_or_b64 exec, exec, s[0:1]
	s_waitcnt lgkmcnt(0)
	; wave barrier
	scratch_load_dwordx4 v[140:143], off, off offset:480
	scratch_load_dwordx4 v[148:151], off, off offset:496
	;; [unrolled: 1-line block ×16, first 2 shown]
	ds_read_b128 v[188:191], v2 offset:1440
	ds_read_b128 v[184:187], v2 offset:1456
	scratch_load_dwordx4 v[56:59], off, off offset:736
	ds_read_b128 v[192:195], v2 offset:1472
	ds_read_b128 v[68:71], v2 offset:1488
	scratch_load_dwordx4 v[60:63], off, off offset:752
	ds_read_b128 v[88:91], v2 offset:1504
	ds_read_b128 v[84:87], v2 offset:1520
	;; [unrolled: 1-line block ×4, first 2 shown]
	scratch_load_dwordx4 v[64:67], off, off offset:768
	ds_read_b128 v[100:103], v2 offset:1568
	ds_read_b128 v[96:99], v2 offset:1584
	scratch_load_dwordx4 v[72:75], off, off offset:784
	ds_read_b128 v[116:119], v2 offset:1600
	ds_read_b128 v[112:115], v2 offset:1616
	;; [unrolled: 1-line block ×4, first 2 shown]
	scratch_load_dwordx4 v[92:95], off, off offset:800
	ds_read_b128 v[132:135], v2 offset:1664
	ds_read_b128 v[128:131], v2 offset:1680
	ds_read_b128 v[124:127], v2 offset:1696
	scratch_load_dwordx4 v[120:123], off, off offset:816
	scratch_load_dwordx4 v[136:139], off, off offset:832
	;; [unrolled: 1-line block ×11, first 2 shown]
	v_cmp_lt_u32_e32 vcc, 27, v248
	s_waitcnt vmcnt(31) lgkmcnt(14)
	v_mul_f64 v[200:201], v[188:189], v[142:143]
	s_waitcnt vmcnt(30)
	v_mul_f64 v[202:203], v[184:185], v[150:151]
	v_fmac_f64_e32 v[200:201], v[190:191], v[140:141]
	s_waitcnt vmcnt(29)
	v_mul_f64 v[204:205], v[192:193], v[154:155]
	v_fmac_f64_e32 v[202:203], v[186:187], v[148:149]
	v_add_f64 v[200:201], v[200:201], 0
	s_waitcnt vmcnt(28) lgkmcnt(13)
	v_mul_f64 v[206:207], v[68:69], v[6:7]
	v_fmac_f64_e32 v[204:205], v[194:195], v[152:153]
	v_add_f64 v[200:201], v[200:201], v[202:203]
	s_waitcnt vmcnt(27) lgkmcnt(12)
	;; [unrolled: 4-line block ×13, first 2 shown]
	v_mul_f64 v[230:231], v[128:129], v[54:55]
	v_fmac_f64_e32 v[228:229], v[134:135], v[48:49]
	v_add_f64 v[200:201], v[200:201], v[226:227]
	v_add_f64 v[200:201], v[200:201], v[228:229]
	v_fmac_f64_e32 v[230:231], v[130:131], v[52:53]
	s_waitcnt vmcnt(15) lgkmcnt(0)
	v_mul_f64 v[206:207], v[124:125], v[58:59]
	v_add_f64 v[204:205], v[200:201], v[230:231]
	ds_read_b128 v[200:203], v2 offset:1712
	v_fmac_f64_e32 v[206:207], v[126:127], v[56:57]
	v_add_f64 v[208:209], v[204:205], v[206:207]
	ds_read_b128 v[204:207], v2 offset:1728
	v_mul_f64 v[142:143], v[190:191], v[142:143]
	s_waitcnt vmcnt(14) lgkmcnt(1)
	v_mul_f64 v[210:211], v[200:201], v[62:63]
	v_fmac_f64_e32 v[210:211], v[202:203], v[60:61]
	v_add_f64 v[212:213], v[208:209], v[210:211]
	s_waitcnt vmcnt(13) lgkmcnt(0)
	v_mul_f64 v[214:215], v[204:205], v[66:67]
	ds_read_b128 v[208:211], v2 offset:1744
	v_fmac_f64_e32 v[214:215], v[206:207], v[64:65]
	v_add_f64 v[216:217], v[212:213], v[214:215]
	ds_read_b128 v[212:215], v2 offset:1760
	v_fma_f64 v[250:251], v[188:189], v[140:141], -v[142:143]
	s_waitcnt vmcnt(12) lgkmcnt(1)
	v_mul_f64 v[218:219], v[208:209], v[74:75]
	v_fmac_f64_e32 v[218:219], v[210:211], v[72:73]
	v_add_f64 v[220:221], v[216:217], v[218:219]
	s_waitcnt vmcnt(11) lgkmcnt(0)
	v_mul_f64 v[222:223], v[212:213], v[94:95]
	ds_read_b128 v[216:219], v2 offset:1776
	v_fmac_f64_e32 v[222:223], v[214:215], v[92:93]
	v_add_f64 v[224:225], v[220:221], v[222:223]
	ds_read_b128 v[220:223], v2 offset:1792
	ds_read_b128 v[140:143], v2 offset:1872
	s_waitcnt vmcnt(10) lgkmcnt(2)
	v_mul_f64 v[226:227], v[216:217], v[122:123]
	v_fmac_f64_e32 v[226:227], v[218:219], v[120:121]
	v_add_f64 v[228:229], v[224:225], v[226:227]
	s_waitcnt vmcnt(9) lgkmcnt(1)
	v_mul_f64 v[230:231], v[220:221], v[138:139]
	ds_read_b128 v[224:227], v2 offset:1808
	v_fmac_f64_e32 v[230:231], v[222:223], v[136:137]
	v_add_f64 v[232:233], v[228:229], v[230:231]
	ds_read_b128 v[228:231], v2 offset:1824
	v_mul_f64 v[150:151], v[186:187], v[150:151]
	s_waitcnt vmcnt(8) lgkmcnt(1)
	v_mul_f64 v[234:235], v[224:225], v[146:147]
	v_fmac_f64_e32 v[234:235], v[226:227], v[144:145]
	v_add_f64 v[236:237], v[232:233], v[234:235]
	s_waitcnt vmcnt(7) lgkmcnt(0)
	v_mul_f64 v[238:239], v[228:229], v[158:159]
	ds_read_b128 v[232:235], v2 offset:1840
	v_fmac_f64_e32 v[238:239], v[230:231], v[156:157]
	v_add_f64 v[240:241], v[236:237], v[238:239]
	ds_read_b128 v[236:239], v2 offset:1856
	v_fma_f64 v[252:253], v[184:185], v[148:149], -v[150:151]
	s_waitcnt vmcnt(6) lgkmcnt(1)
	v_mul_f64 v[242:243], v[232:233], v[162:163]
	v_fmac_f64_e32 v[242:243], v[234:235], v[160:161]
	ds_read_b128 v[148:151], v2 offset:1888
	s_waitcnt vmcnt(5) lgkmcnt(1)
	v_mul_f64 v[188:189], v[236:237], v[166:167]
	v_add_f64 v[240:241], v[240:241], v[242:243]
	v_fmac_f64_e32 v[188:189], v[238:239], v[164:165]
	s_waitcnt vmcnt(4)
	v_mul_f64 v[184:185], v[140:141], v[170:171]
	v_add_f64 v[188:189], v[240:241], v[188:189]
	v_fmac_f64_e32 v[184:185], v[142:143], v[168:169]
	v_add_f64 v[188:189], v[188:189], v[184:185]
	ds_read_b128 v[184:187], v2 offset:1904
	v_mul_f64 v[154:155], v[194:195], v[154:155]
	s_waitcnt vmcnt(3) lgkmcnt(1)
	v_mul_f64 v[190:191], v[148:149], v[174:175]
	v_fma_f64 v[242:243], v[192:193], v[152:153], -v[154:155]
	ds_read_b128 v[152:155], v2 offset:1920
	v_fmac_f64_e32 v[190:191], v[150:151], v[172:173]
	v_add_f64 v[240:241], v[188:189], v[190:191]
	ds_read_b128 v[188:191], v2 offset:1936
	s_waitcnt vmcnt(2) lgkmcnt(2)
	v_mul_f64 v[192:193], v[184:185], v[178:179]
	v_fmac_f64_e32 v[192:193], v[186:187], v[176:177]
	v_add_f64 v[2:3], v[240:241], v[192:193]
	s_waitcnt vmcnt(1) lgkmcnt(1)
	v_mul_f64 v[192:193], v[152:153], v[182:183]
	v_fmac_f64_e32 v[192:193], v[154:155], v[180:181]
	v_add_f64 v[2:3], v[2:3], v[192:193]
	;; [unrolled: 4-line block ×3, first 2 shown]
	scratch_load_dwordx4 v[192:195], off, off offset:464
	v_add_f64 v[240:241], v[250:251], 0
	v_add_f64 v[240:241], v[240:241], v[252:253]
	v_mul_f64 v[6:7], v[70:71], v[6:7]
	v_add_f64 v[240:241], v[240:241], v[242:243]
	v_fma_f64 v[4:5], v[68:69], v[4:5], -v[6:7]
	v_mul_f64 v[6:7], v[90:91], v[10:11]
	v_add_f64 v[4:5], v[240:241], v[4:5]
	v_fma_f64 v[6:7], v[88:89], v[8:9], -v[6:7]
	v_add_f64 v[4:5], v[4:5], v[6:7]
	v_mul_f64 v[6:7], v[86:87], v[14:15]
	v_fma_f64 v[6:7], v[84:85], v[12:13], -v[6:7]
	v_add_f64 v[4:5], v[4:5], v[6:7]
	v_mul_f64 v[6:7], v[82:83], v[18:19]
	;; [unrolled: 3-line block ×27, first 2 shown]
	v_fma_f64 v[6:7], v[188:189], v[196:197], -v[6:7]
	v_add_f64 v[4:5], v[4:5], v[6:7]
	s_waitcnt vmcnt(0)
	v_add_f64 v[4:5], v[192:193], -v[4:5]
	v_add_f64 v[6:7], v[194:195], -v[2:3]
	scratch_store_dwordx4 off, v[4:7], off offset:464
	s_and_saveexec_b64 s[0:1], vcc
	s_cbranch_execz .LBB60_337
; %bb.336:
	scratch_load_dwordx4 v[2:5], off, s53
	v_mov_b32_e32 v6, 0
	v_mov_b32_e32 v7, v6
	;; [unrolled: 1-line block ×4, first 2 shown]
	v_accvgpr_read_b32 v0, a123
	scratch_store_dwordx4 off, v[6:9], off offset:448
	s_waitcnt vmcnt(1)
	ds_write_b128 v0, v[2:5]
.LBB60_337:
	s_or_b64 exec, exec, s[0:1]
	s_waitcnt lgkmcnt(0)
	; wave barrier
	scratch_load_dwordx4 v[108:111], off, off offset:464
	scratch_load_dwordx4 v[116:119], off, off offset:480
	;; [unrolled: 1-line block ×33, first 2 shown]
	v_mov_b32_e32 v2, 0
	ds_read_b128 v[220:223], v2 offset:1424
	ds_read_b128 v[224:227], v2 offset:1440
	;; [unrolled: 1-line block ×16, first 2 shown]
	v_cmp_lt_u32_e32 vcc, 26, v248
	s_waitcnt vmcnt(32) lgkmcnt(14)
	v_mul_f64 v[180:181], v[220:221], v[110:111]
	s_waitcnt vmcnt(31)
	v_mul_f64 v[182:183], v[224:225], v[118:119]
	v_fmac_f64_e32 v[180:181], v[222:223], v[108:109]
	s_waitcnt vmcnt(30) lgkmcnt(13)
	v_mul_f64 v[184:185], v[234:235], v[122:123]
	v_fmac_f64_e32 v[182:183], v[226:227], v[116:117]
	v_add_f64 v[180:181], v[180:181], 0
	s_waitcnt vmcnt(29) lgkmcnt(12)
	v_mul_f64 v[186:187], v[238:239], v[126:127]
	v_fmac_f64_e32 v[184:185], v[236:237], v[120:121]
	v_add_f64 v[180:181], v[180:181], v[182:183]
	;; [unrolled: 4-line block ×13, first 2 shown]
	v_fmac_f64_e32 v[208:209], v[142:143], v[40:41]
	v_add_f64 v[180:181], v[180:181], v[206:207]
	v_add_f64 v[184:185], v[180:181], v[208:209]
	ds_read_b128 v[180:183], v2 offset:1680
	s_waitcnt vmcnt(17) lgkmcnt(1)
	v_mul_f64 v[186:187], v[136:137], v[46:47]
	v_fmac_f64_e32 v[186:187], v[138:139], v[44:45]
	v_add_f64 v[188:189], v[184:185], v[186:187]
	ds_read_b128 v[184:187], v2 offset:1696
	s_waitcnt vmcnt(16) lgkmcnt(1)
	v_mul_f64 v[190:191], v[180:181], v[50:51]
	v_fmac_f64_e32 v[190:191], v[182:183], v[48:49]
	;; [unrolled: 5-line block ×10, first 2 shown]
	v_mul_f64 v[110:111], v[222:223], v[110:111]
	v_add_f64 v[228:229], v[228:229], v[230:231]
	v_fma_f64 v[230:231], v[220:221], v[108:109], -v[110:111]
	ds_read_b128 v[108:111], v2 offset:1840
	s_waitcnt vmcnt(7) lgkmcnt(1)
	v_mul_f64 v[220:221], v[216:217], v[86:87]
	v_mul_f64 v[118:119], v[226:227], v[118:119]
	v_fmac_f64_e32 v[220:221], v[218:219], v[84:85]
	v_fma_f64 v[232:233], v[224:225], v[116:117], -v[118:119]
	ds_read_b128 v[116:119], v2 offset:1856
	s_waitcnt vmcnt(6) lgkmcnt(1)
	v_mul_f64 v[222:223], v[108:109], v[90:91]
	v_add_f64 v[220:221], v[228:229], v[220:221]
	v_fmac_f64_e32 v[222:223], v[110:111], v[88:89]
	v_add_f64 v[224:225], v[220:221], v[222:223]
	ds_read_b128 v[220:223], v2 offset:1872
	v_mul_f64 v[122:123], v[236:237], v[122:123]
	v_fma_f64 v[234:235], v[234:235], v[120:121], -v[122:123]
	ds_read_b128 v[120:123], v2 offset:1888
	s_waitcnt vmcnt(5) lgkmcnt(2)
	v_mul_f64 v[226:227], v[116:117], v[94:95]
	v_fmac_f64_e32 v[226:227], v[118:119], v[92:93]
	v_add_f64 v[224:225], v[224:225], v[226:227]
	s_waitcnt vmcnt(4) lgkmcnt(1)
	v_mul_f64 v[226:227], v[220:221], v[98:99]
	v_mul_f64 v[126:127], v[240:241], v[126:127]
	v_fmac_f64_e32 v[226:227], v[222:223], v[96:97]
	v_fma_f64 v[236:237], v[238:239], v[124:125], -v[126:127]
	s_waitcnt vmcnt(3) lgkmcnt(0)
	v_mul_f64 v[238:239], v[120:121], v[102:103]
	v_add_f64 v[228:229], v[224:225], v[226:227]
	v_fmac_f64_e32 v[238:239], v[122:123], v[100:101]
	v_mul_f64 v[130:131], v[252:253], v[130:131]
	v_add_f64 v[228:229], v[228:229], v[238:239]
	v_fma_f64 v[238:239], v[250:251], v[128:129], -v[130:131]
	scratch_load_dwordx4 v[250:253], off, off offset:448
	v_add_f64 v[230:231], v[230:231], 0
	v_add_f64 v[230:231], v[230:231], v[232:233]
	;; [unrolled: 1-line block ×4, first 2 shown]
	v_mul_f64 v[6:7], v[178:179], v[6:7]
	v_add_f64 v[230:231], v[230:231], v[238:239]
	v_fma_f64 v[4:5], v[176:177], v[4:5], -v[6:7]
	v_mul_f64 v[6:7], v[174:175], v[10:11]
	v_add_f64 v[4:5], v[230:231], v[4:5]
	v_fma_f64 v[6:7], v[172:173], v[8:9], -v[6:7]
	v_add_f64 v[4:5], v[4:5], v[6:7]
	v_mul_f64 v[6:7], v[170:171], v[14:15]
	v_fma_f64 v[6:7], v[168:169], v[12:13], -v[6:7]
	v_add_f64 v[4:5], v[4:5], v[6:7]
	v_mul_f64 v[6:7], v[166:167], v[18:19]
	v_fma_f64 v[6:7], v[164:165], v[16:17], -v[6:7]
	v_add_f64 v[4:5], v[4:5], v[6:7]
	v_mul_f64 v[6:7], v[162:163], v[22:23]
	v_fma_f64 v[6:7], v[160:161], v[20:21], -v[6:7]
	v_add_f64 v[4:5], v[4:5], v[6:7]
	v_mul_f64 v[6:7], v[158:159], v[26:27]
	v_fma_f64 v[6:7], v[156:157], v[24:25], -v[6:7]
	v_add_f64 v[4:5], v[4:5], v[6:7]
	v_mul_f64 v[6:7], v[154:155], v[30:31]
	v_fma_f64 v[6:7], v[152:153], v[28:29], -v[6:7]
	v_add_f64 v[4:5], v[4:5], v[6:7]
	v_mul_f64 v[6:7], v[150:151], v[34:35]
	v_fma_f64 v[6:7], v[148:149], v[32:33], -v[6:7]
	v_add_f64 v[4:5], v[4:5], v[6:7]
	v_mul_f64 v[6:7], v[146:147], v[38:39]
	v_fma_f64 v[6:7], v[144:145], v[36:37], -v[6:7]
	v_add_f64 v[4:5], v[4:5], v[6:7]
	v_mul_f64 v[6:7], v[142:143], v[42:43]
	v_fma_f64 v[6:7], v[140:141], v[40:41], -v[6:7]
	v_add_f64 v[4:5], v[4:5], v[6:7]
	v_mul_f64 v[6:7], v[138:139], v[46:47]
	v_fma_f64 v[6:7], v[136:137], v[44:45], -v[6:7]
	v_add_f64 v[4:5], v[4:5], v[6:7]
	v_mul_f64 v[6:7], v[182:183], v[50:51]
	v_fma_f64 v[6:7], v[180:181], v[48:49], -v[6:7]
	v_add_f64 v[4:5], v[4:5], v[6:7]
	v_mul_f64 v[6:7], v[186:187], v[54:55]
	v_fma_f64 v[6:7], v[184:185], v[52:53], -v[6:7]
	v_add_f64 v[4:5], v[4:5], v[6:7]
	v_mul_f64 v[6:7], v[190:191], v[58:59]
	v_fma_f64 v[6:7], v[188:189], v[56:57], -v[6:7]
	v_add_f64 v[4:5], v[4:5], v[6:7]
	v_mul_f64 v[6:7], v[194:195], v[62:63]
	v_fma_f64 v[6:7], v[192:193], v[60:61], -v[6:7]
	v_add_f64 v[4:5], v[4:5], v[6:7]
	v_mul_f64 v[6:7], v[198:199], v[66:67]
	v_fma_f64 v[6:7], v[196:197], v[64:65], -v[6:7]
	v_add_f64 v[4:5], v[4:5], v[6:7]
	v_mul_f64 v[6:7], v[202:203], v[70:71]
	v_fma_f64 v[6:7], v[200:201], v[68:69], -v[6:7]
	v_add_f64 v[4:5], v[4:5], v[6:7]
	v_mul_f64 v[6:7], v[206:207], v[74:75]
	v_fma_f64 v[6:7], v[204:205], v[72:73], -v[6:7]
	v_add_f64 v[4:5], v[4:5], v[6:7]
	v_mul_f64 v[6:7], v[210:211], v[78:79]
	v_fma_f64 v[6:7], v[208:209], v[76:77], -v[6:7]
	v_add_f64 v[4:5], v[4:5], v[6:7]
	v_mul_f64 v[6:7], v[214:215], v[82:83]
	v_fma_f64 v[6:7], v[212:213], v[80:81], -v[6:7]
	v_add_f64 v[4:5], v[4:5], v[6:7]
	v_mul_f64 v[6:7], v[218:219], v[86:87]
	v_fma_f64 v[6:7], v[216:217], v[84:85], -v[6:7]
	v_add_f64 v[4:5], v[4:5], v[6:7]
	v_mul_f64 v[6:7], v[110:111], v[90:91]
	v_fma_f64 v[6:7], v[108:109], v[88:89], -v[6:7]
	v_add_f64 v[4:5], v[4:5], v[6:7]
	v_mul_f64 v[6:7], v[118:119], v[94:95]
	ds_read_b128 v[124:127], v2 offset:1904
	ds_read_b128 v[224:227], v2 offset:1920
	v_fma_f64 v[6:7], v[116:117], v[92:93], -v[6:7]
	v_add_f64 v[4:5], v[4:5], v[6:7]
	v_mul_f64 v[6:7], v[222:223], v[98:99]
	v_fma_f64 v[6:7], v[220:221], v[96:97], -v[6:7]
	v_add_f64 v[4:5], v[4:5], v[6:7]
	v_mul_f64 v[6:7], v[122:123], v[102:103]
	ds_read_b128 v[128:131], v2 offset:1936
	v_fma_f64 v[6:7], v[120:121], v[100:101], -v[6:7]
	s_waitcnt vmcnt(3) lgkmcnt(2)
	v_mul_f64 v[240:241], v[124:125], v[106:107]
	v_add_f64 v[4:5], v[4:5], v[6:7]
	v_mul_f64 v[6:7], v[126:127], v[106:107]
	v_fmac_f64_e32 v[240:241], v[126:127], v[104:105]
	v_fma_f64 v[6:7], v[124:125], v[104:105], -v[6:7]
	v_add_f64 v[228:229], v[228:229], v[240:241]
	s_waitcnt vmcnt(2) lgkmcnt(1)
	v_mul_f64 v[240:241], v[224:225], v[114:115]
	v_add_f64 v[4:5], v[4:5], v[6:7]
	v_mul_f64 v[6:7], v[226:227], v[114:115]
	v_fmac_f64_e32 v[240:241], v[226:227], v[112:113]
	v_fma_f64 v[6:7], v[224:225], v[112:113], -v[6:7]
	v_add_f64 v[228:229], v[228:229], v[240:241]
	;; [unrolled: 7-line block ×3, first 2 shown]
	v_add_f64 v[4:5], v[4:5], v[6:7]
	s_waitcnt vmcnt(0)
	v_add_f64 v[4:5], v[250:251], -v[4:5]
	v_add_f64 v[6:7], v[252:253], -v[228:229]
	scratch_store_dwordx4 off, v[4:7], off offset:448
	s_and_saveexec_b64 s[0:1], vcc
	s_cbranch_execz .LBB60_339
; %bb.338:
	scratch_load_dwordx4 v[6:9], off, s52
	v_mov_b32_e32 v3, v2
	v_mov_b32_e32 v4, v2
	v_mov_b32_e32 v5, v2
	v_accvgpr_read_b32 v0, a123
	scratch_store_dwordx4 off, v[2:5], off offset:432
	s_waitcnt vmcnt(1)
	ds_write_b128 v0, v[6:9]
.LBB60_339:
	s_or_b64 exec, exec, s[0:1]
	s_waitcnt lgkmcnt(0)
	; wave barrier
	scratch_load_dwordx4 v[144:147], off, off offset:448
	scratch_load_dwordx4 v[152:155], off, off offset:464
	;; [unrolled: 1-line block ×16, first 2 shown]
	ds_read_b128 v[196:199], v2 offset:1408
	ds_read_b128 v[188:191], v2 offset:1424
	ds_read_b128 v[180:183], v2 offset:1440
	scratch_load_dwordx4 v[48:51], off, off offset:704
	ds_read_b128 v[192:195], v2 offset:1456
	ds_read_b128 v[184:187], v2 offset:1472
	ds_read_b128 v[64:67], v2 offset:1488
	scratch_load_dwordx4 v[52:55], off, off offset:720
	;; [unrolled: 4-line block ×5, first 2 shown]
	ds_read_b128 v[116:119], v2 offset:1648
	ds_read_b128 v[112:115], v2 offset:1664
	scratch_load_dwordx4 v[108:111], off, off offset:784
	scratch_load_dwordx4 v[120:123], off, off offset:800
	;; [unrolled: 1-line block ×12, first 2 shown]
	v_cmp_lt_u32_e32 vcc, 25, v248
	scratch_load_dwordx4 v[252:255], off, off offset:432
	s_waitcnt vmcnt(33) lgkmcnt(14)
	v_mul_f64 v[204:205], v[196:197], v[146:147]
	s_waitcnt vmcnt(32)
	v_mul_f64 v[206:207], v[188:189], v[154:155]
	v_fmac_f64_e32 v[204:205], v[198:199], v[144:145]
	s_waitcnt vmcnt(31)
	v_mul_f64 v[208:209], v[180:181], v[158:159]
	v_fmac_f64_e32 v[206:207], v[190:191], v[152:153]
	v_add_f64 v[204:205], v[204:205], 0
	s_waitcnt vmcnt(30) lgkmcnt(13)
	v_mul_f64 v[210:211], v[192:193], v[162:163]
	v_fmac_f64_e32 v[208:209], v[182:183], v[156:157]
	v_add_f64 v[204:205], v[204:205], v[206:207]
	s_waitcnt vmcnt(29) lgkmcnt(12)
	;; [unrolled: 4-line block ×12, first 2 shown]
	v_mul_f64 v[232:233], v[96:97], v[42:43]
	v_fmac_f64_e32 v[230:231], v[102:103], v[36:37]
	v_add_f64 v[204:205], v[204:205], v[228:229]
	v_fmac_f64_e32 v[232:233], v[98:99], v[40:41]
	v_add_f64 v[204:205], v[204:205], v[230:231]
	s_waitcnt vmcnt(18) lgkmcnt(1)
	v_mul_f64 v[206:207], v[116:117], v[46:47]
	v_add_f64 v[204:205], v[204:205], v[232:233]
	v_fmac_f64_e32 v[206:207], v[118:119], v[44:45]
	s_waitcnt vmcnt(17) lgkmcnt(0)
	v_mul_f64 v[210:211], v[112:113], v[50:51]
	v_add_f64 v[208:209], v[204:205], v[206:207]
	ds_read_b128 v[204:207], v2 offset:1680
	v_fmac_f64_e32 v[210:211], v[114:115], v[48:49]
	v_add_f64 v[212:213], v[208:209], v[210:211]
	ds_read_b128 v[208:211], v2 offset:1696
	v_mul_f64 v[146:147], v[198:199], v[146:147]
	s_waitcnt vmcnt(16) lgkmcnt(1)
	v_mul_f64 v[214:215], v[204:205], v[54:55]
	v_fmac_f64_e32 v[214:215], v[206:207], v[52:53]
	v_add_f64 v[216:217], v[212:213], v[214:215]
	s_waitcnt vmcnt(15) lgkmcnt(0)
	v_mul_f64 v[218:219], v[208:209], v[58:59]
	ds_read_b128 v[212:215], v2 offset:1712
	v_fmac_f64_e32 v[218:219], v[210:211], v[56:57]
	v_add_f64 v[220:221], v[216:217], v[218:219]
	ds_read_b128 v[216:219], v2 offset:1728
	v_mul_f64 v[154:155], v[190:191], v[154:155]
	s_waitcnt vmcnt(14) lgkmcnt(1)
	v_mul_f64 v[222:223], v[212:213], v[62:63]
	v_fmac_f64_e32 v[222:223], v[214:215], v[60:61]
	v_add_f64 v[224:225], v[220:221], v[222:223]
	s_waitcnt vmcnt(13) lgkmcnt(0)
	v_mul_f64 v[226:227], v[216:217], v[94:95]
	ds_read_b128 v[220:223], v2 offset:1744
	v_fmac_f64_e32 v[226:227], v[218:219], v[92:93]
	v_add_f64 v[228:229], v[224:225], v[226:227]
	ds_read_b128 v[224:227], v2 offset:1760
	v_fma_f64 v[244:245], v[188:189], v[152:153], -v[154:155]
	s_waitcnt vmcnt(12) lgkmcnt(1)
	v_mul_f64 v[230:231], v[220:221], v[110:111]
	v_fmac_f64_e32 v[230:231], v[222:223], v[108:109]
	v_add_f64 v[232:233], v[228:229], v[230:231]
	s_waitcnt vmcnt(11) lgkmcnt(0)
	v_mul_f64 v[234:235], v[224:225], v[122:123]
	ds_read_b128 v[228:231], v2 offset:1776
	v_fmac_f64_e32 v[234:235], v[226:227], v[120:121]
	v_add_f64 v[236:237], v[232:233], v[234:235]
	ds_read_b128 v[232:235], v2 offset:1792
	ds_read_b128 v[152:155], v2 offset:1840
	s_waitcnt vmcnt(10) lgkmcnt(2)
	v_mul_f64 v[238:239], v[228:229], v[126:127]
	v_fmac_f64_e32 v[238:239], v[230:231], v[124:125]
	v_add_f64 v[240:241], v[236:237], v[238:239]
	s_waitcnt vmcnt(9) lgkmcnt(1)
	v_mul_f64 v[242:243], v[232:233], v[130:131]
	ds_read_b128 v[236:239], v2 offset:1808
	v_fmac_f64_e32 v[242:243], v[234:235], v[128:129]
	v_add_f64 v[240:241], v[240:241], v[242:243]
	v_fma_f64 v[242:243], v[196:197], v[144:145], -v[146:147]
	ds_read_b128 v[144:147], v2 offset:1824
	s_waitcnt vmcnt(8) lgkmcnt(1)
	v_mul_f64 v[196:197], v[236:237], v[134:135]
	v_fmac_f64_e32 v[196:197], v[238:239], v[132:133]
	v_add_f64 v[188:189], v[240:241], v[196:197]
	v_mul_f64 v[158:159], v[182:183], v[158:159]
	s_waitcnt vmcnt(7) lgkmcnt(0)
	v_mul_f64 v[190:191], v[144:145], v[138:139]
	v_fmac_f64_e32 v[190:191], v[146:147], v[136:137]
	v_add_f64 v[196:197], v[188:189], v[190:191]
	ds_read_b128 v[188:191], v2 offset:1856
	v_fma_f64 v[240:241], v[180:181], v[156:157], -v[158:159]
	ds_read_b128 v[156:159], v2 offset:1872
	s_waitcnt vmcnt(6)
	v_mul_f64 v[198:199], v[152:153], v[142:143]
	v_fmac_f64_e32 v[198:199], v[154:155], v[140:141]
	s_waitcnt vmcnt(5) lgkmcnt(1)
	v_mul_f64 v[180:181], v[188:189], v[150:151]
	v_add_f64 v[196:197], v[196:197], v[198:199]
	v_fmac_f64_e32 v[180:181], v[190:191], v[148:149]
	v_mul_f64 v[162:163], v[194:195], v[162:163]
	v_add_f64 v[198:199], v[196:197], v[180:181]
	v_fma_f64 v[196:197], v[192:193], v[160:161], -v[162:163]
	ds_read_b128 v[160:163], v2 offset:1888
	s_waitcnt vmcnt(4) lgkmcnt(1)
	v_mul_f64 v[192:193], v[156:157], v[166:167]
	ds_read_b128 v[180:183], v2 offset:1904
	v_fmac_f64_e32 v[192:193], v[158:159], v[164:165]
	v_mul_f64 v[170:171], v[186:187], v[170:171]
	v_add_f64 v[192:193], v[198:199], v[192:193]
	v_fma_f64 v[198:199], v[184:185], v[168:169], -v[170:171]
	ds_read_b128 v[168:171], v2 offset:1920
	s_waitcnt vmcnt(3) lgkmcnt(2)
	v_mul_f64 v[184:185], v[160:161], v[174:175]
	v_fmac_f64_e32 v[184:185], v[162:163], v[172:173]
	s_waitcnt vmcnt(2) lgkmcnt(1)
	v_mul_f64 v[186:187], v[180:181], v[178:179]
	v_add_f64 v[184:185], v[192:193], v[184:185]
	v_fmac_f64_e32 v[186:187], v[182:183], v[176:177]
	v_add_f64 v[184:185], v[184:185], v[186:187]
	s_waitcnt vmcnt(1) lgkmcnt(0)
	v_mul_f64 v[186:187], v[168:169], v[202:203]
	v_fmac_f64_e32 v[186:187], v[170:171], v[200:201]
	v_add_f64 v[246:247], v[184:185], v[186:187]
	scratch_load_dwordx4 v[184:187], off, off offset:976
	v_add_f64 v[242:243], v[242:243], 0
	v_add_f64 v[242:243], v[242:243], v[244:245]
	;; [unrolled: 1-line block ×4, first 2 shown]
	v_mul_f64 v[6:7], v[66:67], v[6:7]
	v_add_f64 v[196:197], v[196:197], v[198:199]
	v_fma_f64 v[4:5], v[64:65], v[4:5], -v[6:7]
	v_mul_f64 v[6:7], v[78:79], v[10:11]
	v_add_f64 v[4:5], v[196:197], v[4:5]
	v_fma_f64 v[6:7], v[76:77], v[8:9], -v[6:7]
	v_add_f64 v[4:5], v[4:5], v[6:7]
	v_mul_f64 v[6:7], v[74:75], v[14:15]
	v_fma_f64 v[6:7], v[72:73], v[12:13], -v[6:7]
	v_add_f64 v[4:5], v[4:5], v[6:7]
	v_mul_f64 v[6:7], v[70:71], v[18:19]
	;; [unrolled: 3-line block ×24, first 2 shown]
	ds_read_b128 v[192:195], v2 offset:1936
	v_fma_f64 v[6:7], v[160:161], v[172:173], -v[6:7]
	v_add_f64 v[4:5], v[4:5], v[6:7]
	v_mul_f64 v[6:7], v[182:183], v[178:179]
	v_fma_f64 v[6:7], v[180:181], v[176:177], -v[6:7]
	v_add_f64 v[4:5], v[4:5], v[6:7]
	v_mul_f64 v[6:7], v[170:171], v[202:203]
	v_fma_f64 v[6:7], v[168:169], v[200:201], -v[6:7]
	s_waitcnt vmcnt(0) lgkmcnt(0)
	v_mul_f64 v[2:3], v[192:193], v[186:187]
	v_add_f64 v[4:5], v[4:5], v[6:7]
	v_mul_f64 v[6:7], v[194:195], v[186:187]
	v_fmac_f64_e32 v[2:3], v[194:195], v[184:185]
	v_fma_f64 v[6:7], v[192:193], v[184:185], -v[6:7]
	v_add_f64 v[2:3], v[246:247], v[2:3]
	v_add_f64 v[4:5], v[4:5], v[6:7]
	v_add_f64 v[4:5], v[252:253], -v[4:5]
	v_add_f64 v[6:7], v[254:255], -v[2:3]
	scratch_store_dwordx4 off, v[4:7], off offset:432
	s_and_saveexec_b64 s[0:1], vcc
	s_cbranch_execz .LBB60_341
; %bb.340:
	scratch_load_dwordx4 v[2:5], off, s51
	v_mov_b32_e32 v6, 0
	v_mov_b32_e32 v7, v6
	;; [unrolled: 1-line block ×4, first 2 shown]
	v_accvgpr_read_b32 v0, a123
	scratch_store_dwordx4 off, v[6:9], off offset:416
	s_waitcnt vmcnt(1)
	ds_write_b128 v0, v[2:5]
.LBB60_341:
	s_or_b64 exec, exec, s[0:1]
	s_waitcnt lgkmcnt(0)
	; wave barrier
	scratch_load_dwordx4 v[184:187], off, off offset:432
	scratch_load_dwordx4 v[188:191], off, off offset:448
	scratch_load_dwordx4 v[196:199], off, off offset:464
	scratch_load_dwordx4 v[200:203], off, off offset:480
	scratch_load_dwordx4 v[208:211], off, off offset:496
	scratch_load_dwordx4 v[212:215], off, off offset:512
	scratch_load_dwordx4 v[220:223], off, off offset:528
	scratch_load_dwordx4 v[4:7], off, off offset:544
	scratch_load_dwordx4 v[8:11], off, off offset:560
	scratch_load_dwordx4 v[12:15], off, off offset:576
	scratch_load_dwordx4 v[16:19], off, off offset:592
	scratch_load_dwordx4 v[20:23], off, off offset:608
	scratch_load_dwordx4 v[24:27], off, off offset:624
	scratch_load_dwordx4 v[28:31], off, off offset:640
	scratch_load_dwordx4 v[32:35], off, off offset:656
	scratch_load_dwordx4 v[36:39], off, off offset:672
	scratch_load_dwordx4 v[40:43], off, off offset:688
	scratch_load_dwordx4 v[44:47], off, off offset:704
	scratch_load_dwordx4 v[48:51], off, off offset:720
	scratch_load_dwordx4 v[52:55], off, off offset:736
	scratch_load_dwordx4 v[56:59], off, off offset:752
	scratch_load_dwordx4 v[60:63], off, off offset:768
	scratch_load_dwordx4 v[64:67], off, off offset:784
	scratch_load_dwordx4 v[68:71], off, off offset:800
	scratch_load_dwordx4 v[72:75], off, off offset:816
	scratch_load_dwordx4 v[76:79], off, off offset:832
	scratch_load_dwordx4 v[80:83], off, off offset:848
	scratch_load_dwordx4 v[84:87], off, off offset:864
	scratch_load_dwordx4 v[88:91], off, off offset:880
	scratch_load_dwordx4 v[92:95], off, off offset:896
	scratch_load_dwordx4 v[100:103], off, off offset:912
	scratch_load_dwordx4 v[96:99], off, off offset:928
	v_mov_b32_e32 v2, 0
	ds_read_b128 v[192:195], v2 offset:1392
	ds_read_b128 v[204:207], v2 offset:1408
	;; [unrolled: 1-line block ×16, first 2 shown]
	v_cmp_lt_u32_e32 vcc, 24, v248
	s_waitcnt vmcnt(31) lgkmcnt(14)
	v_mul_f64 v[104:105], v[192:193], v[186:187]
	s_waitcnt vmcnt(30)
	v_mul_f64 v[106:107], v[204:205], v[190:191]
	v_fmac_f64_e32 v[104:105], v[194:195], v[184:185]
	s_waitcnt vmcnt(29) lgkmcnt(13)
	v_mul_f64 v[112:113], v[216:217], v[198:199]
	v_fmac_f64_e32 v[106:107], v[206:207], v[188:189]
	v_add_f64 v[104:105], v[104:105], 0
	s_waitcnt vmcnt(28) lgkmcnt(12)
	v_mul_f64 v[114:115], v[224:225], v[202:203]
	v_fmac_f64_e32 v[112:113], v[218:219], v[196:197]
	v_add_f64 v[104:105], v[104:105], v[106:107]
	s_waitcnt vmcnt(27) lgkmcnt(11)
	v_mul_f64 v[128:129], v[228:229], v[210:211]
	v_fmac_f64_e32 v[114:115], v[226:227], v[200:201]
	v_add_f64 v[104:105], v[104:105], v[112:113]
	s_waitcnt vmcnt(26) lgkmcnt(10)
	v_mul_f64 v[130:131], v[238:239], v[214:215]
	v_fmac_f64_e32 v[128:129], v[230:231], v[208:209]
	v_add_f64 v[104:105], v[104:105], v[114:115]
	s_waitcnt vmcnt(25) lgkmcnt(9)
	v_mul_f64 v[152:153], v[250:251], v[222:223]
	v_fmac_f64_e32 v[130:131], v[240:241], v[212:213]
	v_add_f64 v[104:105], v[104:105], v[128:129]
	s_waitcnt vmcnt(24) lgkmcnt(8)
	v_mul_f64 v[154:155], v[148:149], v[6:7]
	v_fmac_f64_e32 v[152:153], v[252:253], v[220:221]
	v_add_f64 v[104:105], v[104:105], v[130:131]
	s_waitcnt vmcnt(23) lgkmcnt(7)
	v_mul_f64 v[156:157], v[144:145], v[10:11]
	v_fmac_f64_e32 v[154:155], v[150:151], v[4:5]
	v_add_f64 v[104:105], v[104:105], v[152:153]
	s_waitcnt vmcnt(22) lgkmcnt(6)
	v_mul_f64 v[158:159], v[140:141], v[14:15]
	v_fmac_f64_e32 v[156:157], v[146:147], v[8:9]
	v_add_f64 v[104:105], v[104:105], v[154:155]
	s_waitcnt vmcnt(21) lgkmcnt(5)
	v_mul_f64 v[160:161], v[136:137], v[18:19]
	v_fmac_f64_e32 v[158:159], v[142:143], v[12:13]
	v_add_f64 v[104:105], v[104:105], v[156:157]
	s_waitcnt vmcnt(20) lgkmcnt(4)
	v_mul_f64 v[162:163], v[132:133], v[22:23]
	v_fmac_f64_e32 v[160:161], v[138:139], v[16:17]
	v_add_f64 v[104:105], v[104:105], v[158:159]
	ds_read_b128 v[152:155], v2 offset:1648
	ds_read_b128 v[156:159], v2 offset:1664
	s_waitcnt vmcnt(19) lgkmcnt(5)
	v_mul_f64 v[164:165], v[124:125], v[26:27]
	v_fmac_f64_e32 v[162:163], v[134:135], v[20:21]
	v_add_f64 v[104:105], v[104:105], v[160:161]
	s_waitcnt vmcnt(18) lgkmcnt(4)
	v_mul_f64 v[166:167], v[120:121], v[30:31]
	v_fmac_f64_e32 v[164:165], v[126:127], v[24:25]
	v_add_f64 v[104:105], v[104:105], v[162:163]
	;; [unrolled: 4-line block ×4, first 2 shown]
	v_add_f64 v[112:113], v[104:105], v[168:169]
	v_fmac_f64_e32 v[170:171], v[110:111], v[36:37]
	scratch_load_dwordx4 v[104:107], off, off offset:944
	s_waitcnt vmcnt(16) lgkmcnt(1)
	v_mul_f64 v[114:115], v[152:153], v[42:43]
	v_add_f64 v[112:113], v[112:113], v[170:171]
	v_fmac_f64_e32 v[114:115], v[154:155], v[40:41]
	v_add_f64 v[128:129], v[112:113], v[114:115]
	scratch_load_dwordx4 v[112:115], off, off offset:960
	s_waitcnt vmcnt(16) lgkmcnt(0)
	v_mul_f64 v[130:131], v[156:157], v[46:47]
	v_fmac_f64_e32 v[130:131], v[158:159], v[44:45]
	v_add_f64 v[168:169], v[128:129], v[130:131]
	scratch_load_dwordx4 v[128:131], off, off offset:976
	ds_read_b128 v[160:163], v2 offset:1680
	ds_read_b128 v[164:167], v2 offset:1696
	v_mul_f64 v[186:187], v[194:195], v[186:187]
	v_fma_f64 v[242:243], v[192:193], v[184:185], -v[186:187]
	ds_read_b128 v[184:187], v2 offset:1776
	s_waitcnt vmcnt(16) lgkmcnt(2)
	v_mul_f64 v[170:171], v[160:161], v[50:51]
	v_fmac_f64_e32 v[170:171], v[162:163], v[48:49]
	s_waitcnt vmcnt(15) lgkmcnt(1)
	v_mul_f64 v[174:175], v[164:165], v[54:55]
	v_add_f64 v[172:173], v[168:169], v[170:171]
	ds_read_b128 v[168:171], v2 offset:1712
	v_fmac_f64_e32 v[174:175], v[166:167], v[52:53]
	v_add_f64 v[176:177], v[172:173], v[174:175]
	ds_read_b128 v[172:175], v2 offset:1728
	v_mul_f64 v[190:191], v[206:207], v[190:191]
	s_waitcnt vmcnt(14) lgkmcnt(1)
	v_mul_f64 v[178:179], v[168:169], v[58:59]
	v_fmac_f64_e32 v[178:179], v[170:171], v[56:57]
	v_add_f64 v[180:181], v[176:177], v[178:179]
	s_waitcnt vmcnt(13) lgkmcnt(0)
	v_mul_f64 v[182:183], v[172:173], v[62:63]
	ds_read_b128 v[176:179], v2 offset:1744
	v_fmac_f64_e32 v[182:183], v[174:175], v[60:61]
	v_add_f64 v[232:233], v[180:181], v[182:183]
	ds_read_b128 v[180:183], v2 offset:1760
	v_fma_f64 v[244:245], v[204:205], v[188:189], -v[190:191]
	s_waitcnt vmcnt(12) lgkmcnt(1)
	v_mul_f64 v[234:235], v[176:177], v[66:67]
	v_fmac_f64_e32 v[234:235], v[178:179], v[64:65]
	v_add_f64 v[232:233], v[232:233], v[234:235]
	s_waitcnt vmcnt(11) lgkmcnt(0)
	v_mul_f64 v[192:193], v[180:181], v[70:71]
	v_fmac_f64_e32 v[192:193], v[182:183], v[68:69]
	ds_read_b128 v[188:191], v2 offset:1792
	s_waitcnt vmcnt(10)
	v_mul_f64 v[194:195], v[184:185], v[74:75]
	v_add_f64 v[192:193], v[232:233], v[192:193]
	v_fmac_f64_e32 v[194:195], v[186:187], v[72:73]
	v_add_f64 v[204:205], v[192:193], v[194:195]
	ds_read_b128 v[192:195], v2 offset:1808
	v_mul_f64 v[198:199], v[218:219], v[198:199]
	v_fma_f64 v[246:247], v[216:217], v[196:197], -v[198:199]
	ds_read_b128 v[196:199], v2 offset:1824
	s_waitcnt vmcnt(9) lgkmcnt(2)
	v_mul_f64 v[206:207], v[188:189], v[78:79]
	v_fmac_f64_e32 v[206:207], v[190:191], v[76:77]
	v_add_f64 v[204:205], v[204:205], v[206:207]
	s_waitcnt vmcnt(8) lgkmcnt(1)
	v_mul_f64 v[206:207], v[192:193], v[82:83]
	v_fmac_f64_e32 v[206:207], v[194:195], v[80:81]
	v_mul_f64 v[202:203], v[226:227], v[202:203]
	v_add_f64 v[204:205], v[204:205], v[206:207]
	v_fma_f64 v[234:235], v[224:225], v[200:201], -v[202:203]
	ds_read_b128 v[200:203], v2 offset:1840
	s_waitcnt vmcnt(7) lgkmcnt(1)
	v_mul_f64 v[206:207], v[196:197], v[86:87]
	v_fmac_f64_e32 v[206:207], v[198:199], v[84:85]
	v_add_f64 v[216:217], v[204:205], v[206:207]
	ds_read_b128 v[204:207], v2 offset:1856
	v_mul_f64 v[210:211], v[230:231], v[210:211]
	v_fma_f64 v[236:237], v[228:229], v[208:209], -v[210:211]
	ds_read_b128 v[208:211], v2 offset:1872
	s_waitcnt vmcnt(6) lgkmcnt(2)
	v_mul_f64 v[218:219], v[200:201], v[90:91]
	v_fmac_f64_e32 v[218:219], v[202:203], v[88:89]
	v_add_f64 v[216:217], v[216:217], v[218:219]
	s_waitcnt vmcnt(5) lgkmcnt(1)
	v_mul_f64 v[218:219], v[204:205], v[94:95]
	v_fmac_f64_e32 v[218:219], v[206:207], v[92:93]
	v_mul_f64 v[214:215], v[240:241], v[214:215]
	v_fma_f64 v[238:239], v[238:239], v[212:213], -v[214:215]
	ds_read_b128 v[212:215], v2 offset:1888
	v_add_f64 v[216:217], v[216:217], v[218:219]
	s_waitcnt vmcnt(4) lgkmcnt(1)
	v_mul_f64 v[218:219], v[208:209], v[102:103]
	v_fmac_f64_e32 v[218:219], v[210:211], v[100:101]
	v_add_f64 v[224:225], v[216:217], v[218:219]
	ds_read_b128 v[216:219], v2 offset:1904
	v_mul_f64 v[222:223], v[252:253], v[222:223]
	v_fma_f64 v[250:251], v[250:251], v[220:221], -v[222:223]
	ds_read_b128 v[220:223], v2 offset:1920
	s_waitcnt vmcnt(3) lgkmcnt(2)
	v_mul_f64 v[226:227], v[212:213], v[98:99]
	v_fmac_f64_e32 v[226:227], v[214:215], v[96:97]
	v_add_f64 v[224:225], v[224:225], v[226:227]
	s_waitcnt vmcnt(2) lgkmcnt(1)
	v_mul_f64 v[226:227], v[216:217], v[106:107]
	v_fmac_f64_e32 v[226:227], v[218:219], v[104:105]
	v_add_f64 v[224:225], v[224:225], v[226:227]
	;; [unrolled: 4-line block ×3, first 2 shown]
	ds_read_b128 v[224:227], v2 offset:1936
	v_mul_f64 v[6:7], v[150:151], v[6:7]
	v_fma_f64 v[4:5], v[148:149], v[4:5], -v[6:7]
	v_mul_f64 v[6:7], v[146:147], v[10:11]
	v_fma_f64 v[6:7], v[144:145], v[8:9], -v[6:7]
	s_waitcnt vmcnt(0) lgkmcnt(0)
	v_mul_f64 v[230:231], v[224:225], v[130:131]
	v_fmac_f64_e32 v[230:231], v[226:227], v[128:129]
	v_add_f64 v[232:233], v[228:229], v[230:231]
	v_add_f64 v[228:229], v[242:243], 0
	;; [unrolled: 1-line block ×4, first 2 shown]
	scratch_load_dwordx4 v[228:231], off, off offset:416
	v_add_f64 v[234:235], v[252:253], v[234:235]
	v_add_f64 v[234:235], v[234:235], v[236:237]
	;; [unrolled: 1-line block ×6, first 2 shown]
	v_mul_f64 v[6:7], v[142:143], v[14:15]
	v_fma_f64 v[6:7], v[140:141], v[12:13], -v[6:7]
	v_add_f64 v[4:5], v[4:5], v[6:7]
	v_mul_f64 v[6:7], v[138:139], v[18:19]
	v_fma_f64 v[6:7], v[136:137], v[16:17], -v[6:7]
	v_add_f64 v[4:5], v[4:5], v[6:7]
	;; [unrolled: 3-line block ×26, first 2 shown]
	s_waitcnt vmcnt(0)
	v_add_f64 v[4:5], v[228:229], -v[4:5]
	v_add_f64 v[6:7], v[230:231], -v[232:233]
	scratch_store_dwordx4 off, v[4:7], off offset:416
	s_and_saveexec_b64 s[0:1], vcc
	s_cbranch_execz .LBB60_343
; %bb.342:
	scratch_load_dwordx4 v[6:9], off, s50
	v_mov_b32_e32 v3, v2
	v_mov_b32_e32 v4, v2
	;; [unrolled: 1-line block ×3, first 2 shown]
	v_accvgpr_read_b32 v0, a123
	scratch_store_dwordx4 off, v[2:5], off offset:400
	s_waitcnt vmcnt(1)
	ds_write_b128 v0, v[6:9]
.LBB60_343:
	s_or_b64 exec, exec, s[0:1]
	s_waitcnt lgkmcnt(0)
	; wave barrier
	scratch_load_dwordx4 v[140:143], off, off offset:416
	scratch_load_dwordx4 v[144:147], off, off offset:432
	;; [unrolled: 1-line block ×16, first 2 shown]
	ds_read_b128 v[208:211], v2 offset:1376
	ds_read_b128 v[200:203], v2 offset:1392
	;; [unrolled: 1-line block ×3, first 2 shown]
	scratch_load_dwordx4 v[40:43], off, off offset:672
	ds_read_b128 v[204:207], v2 offset:1424
	ds_read_b128 v[192:195], v2 offset:1440
	;; [unrolled: 1-line block ×3, first 2 shown]
	scratch_load_dwordx4 v[44:47], off, off offset:688
	ds_read_b128 v[196:199], v2 offset:1472
	ds_read_b128 v[64:67], v2 offset:1488
	;; [unrolled: 1-line block ×4, first 2 shown]
	scratch_load_dwordx4 v[48:51], off, off offset:704
	ds_read_b128 v[72:75], v2 offset:1536
	ds_read_b128 v[68:71], v2 offset:1552
	scratch_load_dwordx4 v[56:59], off, off offset:720
	ds_read_b128 v[92:95], v2 offset:1568
	ds_read_b128 v[88:91], v2 offset:1584
	;; [unrolled: 1-line block ×4, first 2 shown]
	scratch_load_dwordx4 v[76:79], off, off offset:736
	scratch_load_dwordx4 v[96:99], off, off offset:752
	;; [unrolled: 1-line block ×12, first 2 shown]
	ds_read_b128 v[168:171], v2 offset:1632
	v_accvgpr_write_b32 a122, v248
	v_cmp_lt_u32_e32 vcc, 23, v248
	s_waitcnt vmcnt(31) lgkmcnt(14)
	v_mul_f64 v[172:173], v[208:209], v[142:143]
	s_waitcnt vmcnt(30)
	v_mul_f64 v[174:175], v[200:201], v[146:147]
	v_fmac_f64_e32 v[172:173], v[210:211], v[140:141]
	s_waitcnt vmcnt(29)
	v_mul_f64 v[176:177], v[188:189], v[150:151]
	v_fmac_f64_e32 v[174:175], v[202:203], v[144:145]
	v_add_f64 v[172:173], v[172:173], 0
	s_waitcnt vmcnt(28) lgkmcnt(13)
	v_mul_f64 v[178:179], v[204:205], v[154:155]
	v_fmac_f64_e32 v[176:177], v[190:191], v[148:149]
	v_add_f64 v[172:173], v[172:173], v[174:175]
	s_waitcnt vmcnt(27) lgkmcnt(12)
	;; [unrolled: 4-line block ×10, first 2 shown]
	v_mul_f64 v[224:225], v[92:93], v[26:27]
	v_fmac_f64_e32 v[222:223], v[70:71], v[20:21]
	v_add_f64 v[172:173], v[172:173], v[220:221]
	ds_read_b128 v[212:215], v2 offset:1648
	s_waitcnt vmcnt(18) lgkmcnt(4)
	v_mul_f64 v[226:227], v[88:89], v[30:31]
	v_fmac_f64_e32 v[224:225], v[94:95], v[24:25]
	v_add_f64 v[172:173], v[172:173], v[222:223]
	ds_read_b128 v[216:219], v2 offset:1664
	ds_read_b128 v[220:223], v2 offset:1680
	s_waitcnt vmcnt(17) lgkmcnt(5)
	v_mul_f64 v[228:229], v[84:85], v[34:35]
	v_fmac_f64_e32 v[226:227], v[90:91], v[28:29]
	v_add_f64 v[172:173], v[172:173], v[224:225]
	s_waitcnt vmcnt(16) lgkmcnt(4)
	v_mul_f64 v[230:231], v[80:81], v[38:39]
	v_fmac_f64_e32 v[228:229], v[86:87], v[32:33]
	v_add_f64 v[172:173], v[172:173], v[226:227]
	v_add_f64 v[176:177], v[172:173], v[228:229]
	v_fmac_f64_e32 v[230:231], v[82:83], v[36:37]
	s_waitcnt vmcnt(15) lgkmcnt(3)
	v_mul_f64 v[178:179], v[168:169], v[42:43]
	v_add_f64 v[176:177], v[176:177], v[230:231]
	v_fmac_f64_e32 v[178:179], v[170:171], v[40:41]
	s_waitcnt vmcnt(14) lgkmcnt(2)
	v_mul_f64 v[182:183], v[212:213], v[46:47]
	;; [unrolled: 4-line block ×3, first 2 shown]
	v_add_f64 v[224:225], v[180:181], v[182:183]
	v_fmac_f64_e32 v[226:227], v[218:219], v[48:49]
	v_add_f64 v[228:229], v[224:225], v[226:227]
	ds_read_b128 v[224:227], v2 offset:1696
	s_waitcnt vmcnt(12) lgkmcnt(1)
	v_mul_f64 v[230:231], v[220:221], v[58:59]
	v_fmac_f64_e32 v[230:231], v[222:223], v[56:57]
	v_add_f64 v[232:233], v[228:229], v[230:231]
	ds_read_b128 v[228:231], v2 offset:1712
	s_waitcnt vmcnt(11) lgkmcnt(1)
	v_mul_f64 v[234:235], v[224:225], v[78:79]
	v_fmac_f64_e32 v[234:235], v[226:227], v[76:77]
	v_add_f64 v[236:237], v[232:233], v[234:235]
	ds_read_b128 v[232:235], v2 offset:1728
	s_waitcnt vmcnt(10) lgkmcnt(1)
	v_mul_f64 v[238:239], v[228:229], v[98:99]
	v_fmac_f64_e32 v[238:239], v[230:231], v[96:97]
	v_add_f64 v[240:241], v[236:237], v[238:239]
	ds_read_b128 v[236:239], v2 offset:1744
	s_waitcnt vmcnt(9) lgkmcnt(1)
	v_mul_f64 v[242:243], v[232:233], v[102:103]
	v_fmac_f64_e32 v[242:243], v[234:235], v[100:101]
	v_mul_f64 v[142:143], v[210:211], v[142:143]
	v_add_f64 v[240:241], v[240:241], v[242:243]
	v_fma_f64 v[242:243], v[208:209], v[140:141], -v[142:143]
	ds_read_b128 v[140:143], v2 offset:1760
	s_waitcnt vmcnt(8) lgkmcnt(1)
	v_mul_f64 v[208:209], v[236:237], v[106:107]
	v_fmac_f64_e32 v[208:209], v[238:239], v[104:105]
	v_mul_f64 v[146:147], v[202:203], v[146:147]
	v_add_f64 v[208:209], v[240:241], v[208:209]
	v_fma_f64 v[240:241], v[200:201], v[144:145], -v[146:147]
	ds_read_b128 v[144:147], v2 offset:1776
	s_waitcnt vmcnt(7) lgkmcnt(1)
	v_mul_f64 v[200:201], v[140:141], v[110:111]
	scratch_load_dwordx4 v[172:175], off, off offset:928
	scratch_load_dwordx4 v[176:179], off, off offset:944
	v_fmac_f64_e32 v[200:201], v[142:143], v[108:109]
	v_add_f64 v[208:209], v[208:209], v[200:201]
	ds_read_b128 v[200:203], v2 offset:1792
	v_mul_f64 v[150:151], v[190:191], v[150:151]
	v_fma_f64 v[244:245], v[188:189], v[148:149], -v[150:151]
	ds_read_b128 v[148:151], v2 offset:1808
	s_waitcnt vmcnt(8) lgkmcnt(2)
	v_mul_f64 v[210:211], v[144:145], v[114:115]
	v_fmac_f64_e32 v[210:211], v[146:147], v[112:113]
	s_waitcnt vmcnt(7) lgkmcnt(1)
	v_mul_f64 v[188:189], v[200:201], v[118:119]
	v_add_f64 v[208:209], v[208:209], v[210:211]
	v_fmac_f64_e32 v[188:189], v[202:203], v[116:117]
	v_mul_f64 v[154:155], v[206:207], v[154:155]
	s_waitcnt vmcnt(6) lgkmcnt(0)
	v_mul_f64 v[190:191], v[148:149], v[122:123]
	v_add_f64 v[188:189], v[208:209], v[188:189]
	v_fma_f64 v[246:247], v[204:205], v[152:153], -v[154:155]
	ds_read_b128 v[152:155], v2 offset:1824
	v_fmac_f64_e32 v[190:191], v[150:151], v[120:121]
	scratch_load_dwordx4 v[180:183], off, off offset:960
	v_add_f64 v[204:205], v[188:189], v[190:191]
	ds_read_b128 v[188:191], v2 offset:1840
	s_waitcnt vmcnt(6) lgkmcnt(1)
	v_mul_f64 v[206:207], v[152:153], v[126:127]
	v_mul_f64 v[158:159], v[194:195], v[158:159]
	v_fmac_f64_e32 v[206:207], v[154:155], v[124:125]
	v_fma_f64 v[250:251], v[192:193], v[156:157], -v[158:159]
	s_waitcnt vmcnt(5) lgkmcnt(0)
	v_mul_f64 v[192:193], v[188:189], v[130:131]
	v_add_f64 v[204:205], v[204:205], v[206:207]
	v_fmac_f64_e32 v[192:193], v[190:191], v[128:129]
	v_mul_f64 v[162:163], v[186:187], v[162:163]
	v_fma_f64 v[208:209], v[184:185], v[160:161], -v[162:163]
	v_add_f64 v[184:185], v[204:205], v[192:193]
	scratch_load_dwordx4 v[204:207], off, off offset:976
	ds_read_b128 v[156:159], v2 offset:1856
	ds_read_b128 v[160:163], v2 offset:1872
	v_mul_f64 v[166:167], v[198:199], v[166:167]
	v_fma_f64 v[210:211], v[196:197], v[164:165], -v[166:167]
	ds_read_b128 v[164:167], v2 offset:1904
	s_waitcnt vmcnt(5) lgkmcnt(2)
	v_mul_f64 v[186:187], v[156:157], v[138:139]
	v_fmac_f64_e32 v[186:187], v[158:159], v[136:137]
	v_add_f64 v[192:193], v[184:185], v[186:187]
	ds_read_b128 v[184:187], v2 offset:1888
	s_waitcnt vmcnt(4) lgkmcnt(2)
	v_mul_f64 v[194:195], v[160:161], v[134:135]
	v_fmac_f64_e32 v[194:195], v[162:163], v[132:133]
	v_add_f64 v[192:193], v[192:193], v[194:195]
	v_add_f64 v[242:243], v[242:243], 0
	;; [unrolled: 1-line block ×7, first 2 shown]
	v_mul_f64 v[6:7], v[66:67], v[6:7]
	v_add_f64 v[208:209], v[208:209], v[210:211]
	v_fma_f64 v[4:5], v[64:65], v[4:5], -v[6:7]
	v_mul_f64 v[6:7], v[62:63], v[10:11]
	v_add_f64 v[4:5], v[208:209], v[4:5]
	v_fma_f64 v[6:7], v[60:61], v[8:9], -v[6:7]
	v_add_f64 v[4:5], v[4:5], v[6:7]
	v_mul_f64 v[6:7], v[54:55], v[14:15]
	v_fma_f64 v[6:7], v[52:53], v[12:13], -v[6:7]
	v_add_f64 v[4:5], v[4:5], v[6:7]
	v_mul_f64 v[6:7], v[74:75], v[18:19]
	;; [unrolled: 3-line block ×8, first 2 shown]
	s_waitcnt vmcnt(3) lgkmcnt(0)
	v_mul_f64 v[194:195], v[184:185], v[174:175]
	v_fmac_f64_e32 v[194:195], v[186:187], v[172:173]
	v_add_f64 v[192:193], v[192:193], v[194:195]
	s_waitcnt vmcnt(2)
	v_mul_f64 v[194:195], v[164:165], v[178:179]
	v_fmac_f64_e32 v[194:195], v[166:167], v[176:177]
	v_add_f64 v[196:197], v[192:193], v[194:195]
	ds_read_b128 v[192:195], v2 offset:1920
	v_fma_f64 v[6:7], v[168:169], v[40:41], -v[6:7]
	v_add_f64 v[4:5], v[4:5], v[6:7]
	v_mul_f64 v[6:7], v[214:215], v[46:47]
	v_fma_f64 v[6:7], v[212:213], v[44:45], -v[6:7]
	v_add_f64 v[4:5], v[4:5], v[6:7]
	v_mul_f64 v[6:7], v[218:219], v[50:51]
	;; [unrolled: 3-line block ×4, first 2 shown]
	s_waitcnt vmcnt(1) lgkmcnt(0)
	v_mul_f64 v[198:199], v[192:193], v[182:183]
	v_fmac_f64_e32 v[198:199], v[194:195], v[180:181]
	v_add_f64 v[252:253], v[196:197], v[198:199]
	ds_read_b128 v[196:199], v2 offset:1936
	v_fma_f64 v[6:7], v[224:225], v[76:77], -v[6:7]
	v_add_f64 v[4:5], v[4:5], v[6:7]
	v_mul_f64 v[6:7], v[230:231], v[98:99]
	v_fma_f64 v[6:7], v[228:229], v[96:97], -v[6:7]
	v_add_f64 v[4:5], v[4:5], v[6:7]
	v_mul_f64 v[6:7], v[234:235], v[102:103]
	;; [unrolled: 3-line block ×3, first 2 shown]
	s_waitcnt vmcnt(0) lgkmcnt(0)
	v_mul_f64 v[2:3], v[196:197], v[206:207]
	v_fmac_f64_e32 v[2:3], v[198:199], v[204:205]
	v_add_f64 v[2:3], v[252:253], v[2:3]
	scratch_load_dwordx4 v[252:255], off, off offset:400
	v_fma_f64 v[6:7], v[236:237], v[104:105], -v[6:7]
	v_add_f64 v[4:5], v[4:5], v[6:7]
	v_mul_f64 v[6:7], v[142:143], v[110:111]
	v_fma_f64 v[6:7], v[140:141], v[108:109], -v[6:7]
	v_add_f64 v[4:5], v[4:5], v[6:7]
	v_mul_f64 v[6:7], v[146:147], v[114:115]
	;; [unrolled: 3-line block ×12, first 2 shown]
	v_fma_f64 v[6:7], v[196:197], v[204:205], -v[6:7]
	v_add_f64 v[4:5], v[4:5], v[6:7]
	s_waitcnt vmcnt(0)
	v_add_f64 v[4:5], v[252:253], -v[4:5]
	v_add_f64 v[6:7], v[254:255], -v[2:3]
	scratch_store_dwordx4 off, v[4:7], off offset:400
	s_and_saveexec_b64 s[0:1], vcc
	s_cbranch_execz .LBB60_345
; %bb.344:
	scratch_load_dwordx4 v[2:5], off, s49
	v_mov_b32_e32 v6, 0
	v_mov_b32_e32 v7, v6
	;; [unrolled: 1-line block ×4, first 2 shown]
	v_accvgpr_read_b32 v0, a123
	scratch_store_dwordx4 off, v[6:9], off offset:384
	s_waitcnt vmcnt(1)
	ds_write_b128 v0, v[2:5]
.LBB60_345:
	s_or_b64 exec, exec, s[0:1]
	s_waitcnt lgkmcnt(0)
	; wave barrier
	scratch_load_dwordx4 v[168:171], off, off offset:400
	scratch_load_dwordx4 v[172:175], off, off offset:416
	;; [unrolled: 1-line block ×32, first 2 shown]
	v_mov_b32_e32 v2, 0
	ds_read_b128 v[176:179], v2 offset:1360
	ds_read_b128 v[188:191], v2 offset:1376
	;; [unrolled: 1-line block ×17, first 2 shown]
	v_accvgpr_read_b32 v0, a122
	v_cmp_lt_u32_e32 vcc, 22, v0
	s_waitcnt vmcnt(31) lgkmcnt(14)
	v_mul_f64 v[104:105], v[176:177], v[170:171]
	s_waitcnt vmcnt(30)
	v_mul_f64 v[106:107], v[188:189], v[174:175]
	v_fmac_f64_e32 v[104:105], v[178:179], v[168:169]
	s_waitcnt vmcnt(29)
	v_mul_f64 v[108:109], v[200:201], v[182:183]
	v_fmac_f64_e32 v[106:107], v[190:191], v[172:173]
	v_add_f64 v[104:105], v[104:105], 0
	s_waitcnt vmcnt(28) lgkmcnt(13)
	v_mul_f64 v[110:111], v[212:213], v[186:187]
	v_fmac_f64_e32 v[108:109], v[202:203], v[180:181]
	v_add_f64 v[104:105], v[104:105], v[106:107]
	s_waitcnt vmcnt(27) lgkmcnt(12)
	;; [unrolled: 4-line block ×12, first 2 shown]
	v_mul_f64 v[156:157], v[112:113], v[26:27]
	v_fmac_f64_e32 v[154:155], v[118:119], v[20:21]
	v_add_f64 v[104:105], v[104:105], v[152:153]
	v_fmac_f64_e32 v[156:157], v[114:115], v[24:25]
	v_add_f64 v[104:105], v[104:105], v[154:155]
	s_waitcnt vmcnt(16) lgkmcnt(1)
	v_mul_f64 v[106:107], v[100:101], v[30:31]
	v_add_f64 v[104:105], v[104:105], v[156:157]
	v_fmac_f64_e32 v[106:107], v[102:103], v[28:29]
	v_add_f64 v[108:109], v[104:105], v[106:107]
	ds_read_b128 v[144:147], v2 offset:1632
	ds_read_b128 v[148:151], v2 offset:1648
	scratch_load_dwordx4 v[104:107], off, off offset:912
	s_waitcnt vmcnt(16) lgkmcnt(2)
	v_mul_f64 v[110:111], v[96:97], v[34:35]
	v_fmac_f64_e32 v[110:111], v[98:99], v[32:33]
	v_add_f64 v[120:121], v[108:109], v[110:111]
	scratch_load_dwordx4 v[108:111], off, off offset:928
	s_waitcnt vmcnt(16) lgkmcnt(1)
	v_mul_f64 v[122:123], v[144:145], v[38:39]
	v_fmac_f64_e32 v[122:123], v[146:147], v[36:37]
	v_add_f64 v[132:133], v[120:121], v[122:123]
	s_waitcnt vmcnt(15) lgkmcnt(0)
	v_mul_f64 v[134:135], v[148:149], v[42:43]
	scratch_load_dwordx4 v[120:123], off, off offset:944
	v_fmac_f64_e32 v[134:135], v[150:151], v[40:41]
	v_add_f64 v[160:161], v[132:133], v[134:135]
	scratch_load_dwordx4 v[132:135], off, off offset:960
	ds_read_b128 v[152:155], v2 offset:1664
	ds_read_b128 v[156:159], v2 offset:1680
	v_mul_f64 v[170:171], v[178:179], v[170:171]
	v_fma_f64 v[242:243], v[176:177], v[168:169], -v[170:171]
	ds_read_b128 v[168:171], v2 offset:1728
	s_waitcnt vmcnt(16) lgkmcnt(2)
	v_mul_f64 v[162:163], v[152:153], v[46:47]
	v_fmac_f64_e32 v[162:163], v[154:155], v[44:45]
	s_waitcnt vmcnt(15) lgkmcnt(1)
	v_mul_f64 v[166:167], v[156:157], v[50:51]
	v_add_f64 v[164:165], v[160:161], v[162:163]
	ds_read_b128 v[160:163], v2 offset:1696
	v_fmac_f64_e32 v[166:167], v[158:159], v[48:49]
	v_add_f64 v[232:233], v[164:165], v[166:167]
	ds_read_b128 v[164:167], v2 offset:1712
	v_mul_f64 v[174:175], v[190:191], v[174:175]
	s_waitcnt vmcnt(14) lgkmcnt(1)
	v_mul_f64 v[234:235], v[160:161], v[54:55]
	v_fmac_f64_e32 v[234:235], v[162:163], v[52:53]
	v_add_f64 v[232:233], v[232:233], v[234:235]
	s_waitcnt vmcnt(13) lgkmcnt(0)
	v_mul_f64 v[176:177], v[164:165], v[58:59]
	v_fmac_f64_e32 v[176:177], v[166:167], v[56:57]
	v_fma_f64 v[244:245], v[188:189], v[172:173], -v[174:175]
	ds_read_b128 v[172:175], v2 offset:1744
	s_waitcnt vmcnt(12)
	v_mul_f64 v[178:179], v[168:169], v[62:63]
	v_add_f64 v[176:177], v[232:233], v[176:177]
	v_fmac_f64_e32 v[178:179], v[170:171], v[60:61]
	v_add_f64 v[188:189], v[176:177], v[178:179]
	ds_read_b128 v[176:179], v2 offset:1760
	v_mul_f64 v[182:183], v[202:203], v[182:183]
	v_fma_f64 v[246:247], v[200:201], v[180:181], -v[182:183]
	ds_read_b128 v[180:183], v2 offset:1776
	s_waitcnt vmcnt(11) lgkmcnt(2)
	v_mul_f64 v[190:191], v[172:173], v[66:67]
	v_fmac_f64_e32 v[190:191], v[174:175], v[64:65]
	v_add_f64 v[188:189], v[188:189], v[190:191]
	s_waitcnt vmcnt(10) lgkmcnt(1)
	v_mul_f64 v[190:191], v[176:177], v[70:71]
	v_fmac_f64_e32 v[190:191], v[178:179], v[68:69]
	v_mul_f64 v[186:187], v[214:215], v[186:187]
	v_fma_f64 v[254:255], v[212:213], v[184:185], -v[186:187]
	ds_read_b128 v[184:187], v2 offset:1792
	v_add_f64 v[188:189], v[188:189], v[190:191]
	s_waitcnt vmcnt(9) lgkmcnt(1)
	v_mul_f64 v[190:191], v[180:181], v[74:75]
	v_fmac_f64_e32 v[190:191], v[182:183], v[72:73]
	v_add_f64 v[200:201], v[188:189], v[190:191]
	ds_read_b128 v[188:191], v2 offset:1808
	v_mul_f64 v[194:195], v[222:223], v[194:195]
	v_fma_f64 v[248:249], v[220:221], v[192:193], -v[194:195]
	ds_read_b128 v[192:195], v2 offset:1824
	s_waitcnt vmcnt(8) lgkmcnt(2)
	v_mul_f64 v[202:203], v[184:185], v[78:79]
	v_fmac_f64_e32 v[202:203], v[186:187], v[76:77]
	v_add_f64 v[200:201], v[200:201], v[202:203]
	s_waitcnt vmcnt(7) lgkmcnt(1)
	v_mul_f64 v[202:203], v[188:189], v[82:83]
	v_fmac_f64_e32 v[202:203], v[190:191], v[80:81]
	v_mul_f64 v[198:199], v[226:227], v[198:199]
	v_add_f64 v[200:201], v[200:201], v[202:203]
	v_fma_f64 v[234:235], v[224:225], v[196:197], -v[198:199]
	ds_read_b128 v[196:199], v2 offset:1840
	s_waitcnt vmcnt(6) lgkmcnt(1)
	v_mul_f64 v[202:203], v[192:193], v[86:87]
	v_fmac_f64_e32 v[202:203], v[194:195], v[84:85]
	v_add_f64 v[212:213], v[200:201], v[202:203]
	ds_read_b128 v[200:203], v2 offset:1856
	v_mul_f64 v[206:207], v[230:231], v[206:207]
	v_fma_f64 v[236:237], v[228:229], v[204:205], -v[206:207]
	ds_read_b128 v[204:207], v2 offset:1872
	s_waitcnt vmcnt(5) lgkmcnt(2)
	v_mul_f64 v[214:215], v[196:197], v[94:95]
	v_fmac_f64_e32 v[214:215], v[198:199], v[92:93]
	v_add_f64 v[212:213], v[212:213], v[214:215]
	s_waitcnt vmcnt(4) lgkmcnt(1)
	v_mul_f64 v[214:215], v[200:201], v[90:91]
	v_fmac_f64_e32 v[214:215], v[202:203], v[88:89]
	v_mul_f64 v[210:211], v[240:241], v[210:211]
	v_fma_f64 v[238:239], v[238:239], v[208:209], -v[210:211]
	ds_read_b128 v[208:211], v2 offset:1888
	v_add_f64 v[212:213], v[212:213], v[214:215]
	s_waitcnt vmcnt(3) lgkmcnt(1)
	v_mul_f64 v[214:215], v[204:205], v[106:107]
	v_fmac_f64_e32 v[214:215], v[206:207], v[104:105]
	v_add_f64 v[220:221], v[212:213], v[214:215]
	ds_read_b128 v[212:215], v2 offset:1904
	v_mul_f64 v[218:219], v[252:253], v[218:219]
	v_fma_f64 v[250:251], v[250:251], v[216:217], -v[218:219]
	ds_read_b128 v[216:219], v2 offset:1920
	ds_read_b128 v[224:227], v2 offset:1936
	s_waitcnt vmcnt(2) lgkmcnt(3)
	v_mul_f64 v[222:223], v[208:209], v[110:111]
	v_fmac_f64_e32 v[222:223], v[210:211], v[108:109]
	v_add_f64 v[220:221], v[220:221], v[222:223]
	s_waitcnt vmcnt(1) lgkmcnt(2)
	v_mul_f64 v[222:223], v[212:213], v[122:123]
	v_fmac_f64_e32 v[222:223], v[214:215], v[120:121]
	v_add_f64 v[220:221], v[220:221], v[222:223]
	;; [unrolled: 4-line block ×3, first 2 shown]
	scratch_load_dwordx4 v[220:223], off, off offset:976
	v_mul_f64 v[6:7], v[142:143], v[6:7]
	v_fma_f64 v[4:5], v[140:141], v[4:5], -v[6:7]
	v_mul_f64 v[6:7], v[138:139], v[10:11]
	v_fma_f64 v[6:7], v[136:137], v[8:9], -v[6:7]
	s_waitcnt vmcnt(0) lgkmcnt(0)
	v_mul_f64 v[230:231], v[224:225], v[222:223]
	v_fmac_f64_e32 v[230:231], v[226:227], v[220:221]
	v_add_f64 v[232:233], v[228:229], v[230:231]
	v_add_f64 v[228:229], v[242:243], 0
	;; [unrolled: 1-line block ×6, first 2 shown]
	scratch_load_dwordx4 v[228:231], off, off offset:384
	v_add_f64 v[234:235], v[252:253], v[234:235]
	v_add_f64 v[234:235], v[234:235], v[236:237]
	;; [unrolled: 1-line block ×6, first 2 shown]
	v_mul_f64 v[6:7], v[130:131], v[14:15]
	v_fma_f64 v[6:7], v[128:129], v[12:13], -v[6:7]
	v_add_f64 v[4:5], v[4:5], v[6:7]
	v_mul_f64 v[6:7], v[126:127], v[18:19]
	v_fma_f64 v[6:7], v[124:125], v[16:17], -v[6:7]
	v_add_f64 v[4:5], v[4:5], v[6:7]
	;; [unrolled: 3-line block ×26, first 2 shown]
	s_waitcnt vmcnt(0)
	v_add_f64 v[4:5], v[228:229], -v[4:5]
	v_add_f64 v[6:7], v[230:231], -v[232:233]
	scratch_store_dwordx4 off, v[4:7], off offset:384
	s_and_saveexec_b64 s[0:1], vcc
	s_cbranch_execz .LBB60_347
; %bb.346:
	scratch_load_dwordx4 v[6:9], off, s48
	v_mov_b32_e32 v3, v2
	v_mov_b32_e32 v4, v2
	;; [unrolled: 1-line block ×3, first 2 shown]
	v_accvgpr_read_b32 v0, a123
	scratch_store_dwordx4 off, v[2:5], off offset:368
	s_waitcnt vmcnt(1)
	ds_write_b128 v0, v[6:9]
.LBB60_347:
	s_or_b64 exec, exec, s[0:1]
	s_waitcnt lgkmcnt(0)
	; wave barrier
	scratch_load_dwordx4 v[168:171], off, off offset:384
	scratch_load_dwordx4 v[172:175], off, off offset:400
	;; [unrolled: 1-line block ×16, first 2 shown]
	ds_read_b128 v[232:235], v2 offset:1344
	ds_read_b128 v[176:179], v2 offset:1360
	scratch_load_dwordx4 v[32:35], off, off offset:640
	ds_read_b128 v[236:239], v2 offset:1376
	ds_read_b128 v[188:191], v2 offset:1392
	;; [unrolled: 1-line block ×5, first 2 shown]
	scratch_load_dwordx4 v[36:39], off, off offset:656
	ds_read_b128 v[224:227], v2 offset:1456
	ds_read_b128 v[220:223], v2 offset:1472
	;; [unrolled: 1-line block ×3, first 2 shown]
	scratch_load_dwordx4 v[40:43], off, off offset:672
	ds_read_b128 v[64:67], v2 offset:1504
	ds_read_b128 v[60:63], v2 offset:1520
	;; [unrolled: 1-line block ×4, first 2 shown]
	scratch_load_dwordx4 v[48:51], off, off offset:688
	ds_read_b128 v[80:83], v2 offset:1568
	ds_read_b128 v[72:75], v2 offset:1584
	;; [unrolled: 1-line block ×3, first 2 shown]
	scratch_load_dwordx4 v[76:79], off, off offset:704
	scratch_load_dwordx4 v[84:87], off, off offset:720
	;; [unrolled: 1-line block ×12, first 2 shown]
	v_accvgpr_read_b32 v0, a122
	v_cmp_lt_u32_e32 vcc, 21, v0
	s_waitcnt vmcnt(31) lgkmcnt(14)
	v_mul_f64 v[128:129], v[232:233], v[170:171]
	s_waitcnt vmcnt(30)
	v_mul_f64 v[130:131], v[176:177], v[174:175]
	v_fmac_f64_e32 v[128:129], v[234:235], v[168:169]
	s_waitcnt vmcnt(29)
	v_mul_f64 v[132:133], v[236:237], v[182:183]
	v_fmac_f64_e32 v[130:131], v[178:179], v[172:173]
	v_add_f64 v[128:129], v[128:129], 0
	s_waitcnt vmcnt(28) lgkmcnt(13)
	v_mul_f64 v[134:135], v[188:189], v[186:187]
	v_fmac_f64_e32 v[132:133], v[238:239], v[180:181]
	v_add_f64 v[128:129], v[128:129], v[130:131]
	s_waitcnt vmcnt(27) lgkmcnt(12)
	;; [unrolled: 4-line block ×13, first 2 shown]
	v_mul_f64 v[158:159], v[72:73], v[30:31]
	v_fmac_f64_e32 v[156:157], v[82:83], v[24:25]
	v_add_f64 v[128:129], v[128:129], v[154:155]
	v_add_f64 v[128:129], v[128:129], v[156:157]
	v_fmac_f64_e32 v[158:159], v[74:75], v[28:29]
	v_add_f64 v[132:133], v[128:129], v[158:159]
	ds_read_b128 v[144:147], v2 offset:1616
	ds_read_b128 v[148:151], v2 offset:1632
	scratch_load_dwordx4 v[128:131], off, off offset:896
	s_waitcnt vmcnt(16) lgkmcnt(2)
	v_mul_f64 v[134:135], v[68:69], v[34:35]
	v_fmac_f64_e32 v[134:135], v[70:71], v[32:33]
	s_waitcnt vmcnt(15) lgkmcnt(1)
	v_mul_f64 v[138:139], v[144:145], v[38:39]
	v_add_f64 v[136:137], v[132:133], v[134:135]
	scratch_load_dwordx4 v[132:135], off, off offset:912
	v_fmac_f64_e32 v[138:139], v[146:147], v[36:37]
	v_add_f64 v[140:141], v[136:137], v[138:139]
	s_waitcnt vmcnt(15) lgkmcnt(0)
	v_mul_f64 v[142:143], v[148:149], v[42:43]
	scratch_load_dwordx4 v[136:139], off, off offset:928
	v_fmac_f64_e32 v[142:143], v[150:151], v[40:41]
	v_add_f64 v[160:161], v[140:141], v[142:143]
	scratch_load_dwordx4 v[140:143], off, off offset:944
	ds_read_b128 v[152:155], v2 offset:1648
	ds_read_b128 v[156:159], v2 offset:1664
	v_mul_f64 v[170:171], v[234:235], v[170:171]
	v_mul_f64 v[174:175], v[178:179], v[174:175]
	;; [unrolled: 1-line block ×3, first 2 shown]
	s_waitcnt vmcnt(16) lgkmcnt(1)
	v_mul_f64 v[162:163], v[152:153], v[50:51]
	v_fmac_f64_e32 v[162:163], v[154:155], v[48:49]
	v_add_f64 v[164:165], v[160:161], v[162:163]
	ds_read_b128 v[160:163], v2 offset:1680
	s_waitcnt vmcnt(15) lgkmcnt(1)
	v_mul_f64 v[166:167], v[156:157], v[78:79]
	v_fmac_f64_e32 v[166:167], v[158:159], v[76:77]
	v_add_f64 v[240:241], v[164:165], v[166:167]
	ds_read_b128 v[164:167], v2 offset:1696
	s_waitcnt vmcnt(14) lgkmcnt(1)
	v_mul_f64 v[242:243], v[160:161], v[86:87]
	v_fmac_f64_e32 v[242:243], v[162:163], v[84:85]
	v_add_f64 v[240:241], v[240:241], v[242:243]
	v_fma_f64 v[242:243], v[232:233], v[168:169], -v[170:171]
	ds_read_b128 v[168:171], v2 offset:1712
	s_waitcnt vmcnt(13) lgkmcnt(1)
	v_mul_f64 v[232:233], v[164:165], v[90:91]
	v_fmac_f64_e32 v[232:233], v[166:167], v[88:89]
	v_add_f64 v[232:233], v[240:241], v[232:233]
	v_fma_f64 v[240:241], v[176:177], v[172:173], -v[174:175]
	ds_read_b128 v[172:175], v2 offset:1728
	s_waitcnt vmcnt(12) lgkmcnt(1)
	v_mul_f64 v[176:177], v[168:169], v[94:95]
	v_fmac_f64_e32 v[176:177], v[170:171], v[92:93]
	v_add_f64 v[232:233], v[232:233], v[176:177]
	ds_read_b128 v[176:179], v2 offset:1744
	v_fma_f64 v[236:237], v[236:237], v[180:181], -v[182:183]
	ds_read_b128 v[180:183], v2 offset:1760
	s_waitcnt vmcnt(11) lgkmcnt(2)
	v_mul_f64 v[234:235], v[172:173], v[98:99]
	v_fmac_f64_e32 v[234:235], v[174:175], v[96:97]
	v_add_f64 v[232:233], v[232:233], v[234:235]
	s_waitcnt vmcnt(10) lgkmcnt(1)
	v_mul_f64 v[234:235], v[176:177], v[102:103]
	v_fmac_f64_e32 v[234:235], v[178:179], v[100:101]
	v_mul_f64 v[186:187], v[190:191], v[186:187]
	s_waitcnt vmcnt(9) lgkmcnt(0)
	v_mul_f64 v[190:191], v[180:181], v[106:107]
	v_fma_f64 v[238:239], v[188:189], v[184:185], -v[186:187]
	ds_read_b128 v[184:187], v2 offset:1776
	v_add_f64 v[188:189], v[232:233], v[234:235]
	v_fmac_f64_e32 v[190:191], v[182:183], v[104:105]
	v_add_f64 v[232:233], v[188:189], v[190:191]
	ds_read_b128 v[188:191], v2 offset:1792
	v_mul_f64 v[194:195], v[230:231], v[194:195]
	v_fma_f64 v[244:245], v[228:229], v[192:193], -v[194:195]
	ds_read_b128 v[192:195], v2 offset:1808
	s_waitcnt vmcnt(8) lgkmcnt(2)
	v_mul_f64 v[234:235], v[184:185], v[110:111]
	v_fmac_f64_e32 v[234:235], v[186:187], v[108:109]
	s_waitcnt vmcnt(7) lgkmcnt(1)
	v_mul_f64 v[228:229], v[188:189], v[114:115]
	v_mul_f64 v[198:199], v[202:203], v[198:199]
	v_add_f64 v[232:233], v[232:233], v[234:235]
	v_fmac_f64_e32 v[228:229], v[190:191], v[112:113]
	v_fma_f64 v[246:247], v[200:201], v[196:197], -v[198:199]
	ds_read_b128 v[196:199], v2 offset:1824
	s_waitcnt vmcnt(6) lgkmcnt(1)
	v_mul_f64 v[200:201], v[192:193], v[118:119]
	v_add_f64 v[228:229], v[232:233], v[228:229]
	v_fmac_f64_e32 v[200:201], v[194:195], v[116:117]
	v_add_f64 v[228:229], v[228:229], v[200:201]
	ds_read_b128 v[200:203], v2 offset:1840
	v_mul_f64 v[206:207], v[214:215], v[206:207]
	v_fma_f64 v[248:249], v[212:213], v[204:205], -v[206:207]
	ds_read_b128 v[204:207], v2 offset:1856
	s_waitcnt vmcnt(5) lgkmcnt(2)
	v_mul_f64 v[230:231], v[196:197], v[126:127]
	v_fmac_f64_e32 v[230:231], v[198:199], v[124:125]
	s_waitcnt vmcnt(4) lgkmcnt(1)
	v_mul_f64 v[212:213], v[200:201], v[122:123]
	v_add_f64 v[228:229], v[228:229], v[230:231]
	v_fmac_f64_e32 v[212:213], v[202:203], v[120:121]
	v_mul_f64 v[210:211], v[226:227], v[210:211]
	s_waitcnt vmcnt(3) lgkmcnt(0)
	v_mul_f64 v[214:215], v[204:205], v[130:131]
	v_fma_f64 v[250:251], v[224:225], v[208:209], -v[210:211]
	ds_read_b128 v[208:211], v2 offset:1872
	v_add_f64 v[212:213], v[228:229], v[212:213]
	v_fmac_f64_e32 v[214:215], v[206:207], v[128:129]
	v_add_f64 v[224:225], v[212:213], v[214:215]
	ds_read_b128 v[212:215], v2 offset:1888
	v_mul_f64 v[218:219], v[222:223], v[218:219]
	v_fma_f64 v[252:253], v[220:221], v[216:217], -v[218:219]
	ds_read_b128 v[216:219], v2 offset:1904
	s_waitcnt vmcnt(2) lgkmcnt(2)
	v_mul_f64 v[220:221], v[208:209], v[134:135]
	v_fmac_f64_e32 v[220:221], v[210:211], v[132:133]
	s_waitcnt vmcnt(1) lgkmcnt(1)
	v_mul_f64 v[222:223], v[212:213], v[138:139]
	v_add_f64 v[220:221], v[224:225], v[220:221]
	v_fmac_f64_e32 v[222:223], v[214:215], v[136:137]
	v_add_f64 v[220:221], v[220:221], v[222:223]
	ds_read_b128 v[224:227], v2 offset:1920
	s_waitcnt vmcnt(0) lgkmcnt(1)
	v_mul_f64 v[222:223], v[216:217], v[142:143]
	v_fmac_f64_e32 v[222:223], v[218:219], v[140:141]
	v_add_f64 v[228:229], v[220:221], v[222:223]
	scratch_load_dwordx4 v[220:223], off, off offset:960
	scratch_load_dwordx4 v[232:235], off, off offset:976
	v_add_f64 v[242:243], v[242:243], 0
	v_add_f64 v[240:241], v[242:243], v[240:241]
	;; [unrolled: 1-line block ×6, first 2 shown]
	v_mul_f64 v[6:7], v[46:47], v[6:7]
	v_fma_f64 v[4:5], v[44:45], v[4:5], -v[6:7]
	v_mul_f64 v[6:7], v[66:67], v[10:11]
	v_fma_f64 v[6:7], v[64:65], v[8:9], -v[6:7]
	s_waitcnt vmcnt(1) lgkmcnt(0)
	v_mul_f64 v[230:231], v[224:225], v[222:223]
	v_fmac_f64_e32 v[230:231], v[226:227], v[220:221]
	v_add_f64 v[254:255], v[228:229], v[230:231]
	ds_read_b128 v[228:231], v2 offset:1936
	s_waitcnt vmcnt(0) lgkmcnt(0)
	v_mul_f64 v[2:3], v[228:229], v[234:235]
	v_fmac_f64_e32 v[2:3], v[230:231], v[232:233]
	v_add_f64 v[2:3], v[254:255], v[2:3]
	v_add_f64 v[254:255], v[236:237], v[248:249]
	scratch_load_dwordx4 v[236:239], off, off offset:368
	v_add_f64 v[240:241], v[254:255], v[250:251]
	v_add_f64 v[240:241], v[240:241], v[252:253]
	;; [unrolled: 1-line block ×4, first 2 shown]
	v_mul_f64 v[6:7], v[62:63], v[14:15]
	v_fma_f64 v[6:7], v[60:61], v[12:13], -v[6:7]
	v_add_f64 v[4:5], v[4:5], v[6:7]
	v_mul_f64 v[6:7], v[58:59], v[18:19]
	v_fma_f64 v[6:7], v[56:57], v[16:17], -v[6:7]
	v_add_f64 v[4:5], v[4:5], v[6:7]
	;; [unrolled: 3-line block ×27, first 2 shown]
	s_waitcnt vmcnt(0)
	v_add_f64 v[4:5], v[236:237], -v[4:5]
	v_add_f64 v[6:7], v[238:239], -v[2:3]
	scratch_store_dwordx4 off, v[4:7], off offset:368
	s_and_saveexec_b64 s[0:1], vcc
	s_cbranch_execz .LBB60_349
; %bb.348:
	scratch_load_dwordx4 v[2:5], off, s47
	v_mov_b32_e32 v6, 0
	v_mov_b32_e32 v7, v6
	;; [unrolled: 1-line block ×4, first 2 shown]
	v_accvgpr_read_b32 v0, a123
	scratch_store_dwordx4 off, v[6:9], off offset:352
	s_waitcnt vmcnt(1)
	ds_write_b128 v0, v[2:5]
.LBB60_349:
	s_or_b64 exec, exec, s[0:1]
	s_waitcnt lgkmcnt(0)
	; wave barrier
	scratch_load_dwordx4 v[80:83], off, off offset:368
	scratch_load_dwordx4 v[84:87], off, off offset:384
	;; [unrolled: 1-line block ×31, first 2 shown]
	v_mov_b32_e32 v2, 0
	ds_read_b128 v[196:199], v2 offset:1328
	ds_read_b128 v[200:203], v2 offset:1344
	;; [unrolled: 1-line block ×20, first 2 shown]
	s_waitcnt vmcnt(30) lgkmcnt(14)
	v_mul_f64 v[140:141], v[196:197], v[82:83]
	s_waitcnt vmcnt(29)
	v_mul_f64 v[142:143], v[200:201], v[86:87]
	v_fmac_f64_e32 v[140:141], v[198:199], v[80:81]
	s_waitcnt vmcnt(28)
	v_mul_f64 v[152:153], v[204:205], v[90:91]
	v_fmac_f64_e32 v[142:143], v[202:203], v[84:85]
	v_add_f64 v[140:141], v[140:141], 0
	s_waitcnt vmcnt(27)
	v_mul_f64 v[154:155], v[208:209], v[94:95]
	v_fmac_f64_e32 v[152:153], v[206:207], v[88:89]
	v_add_f64 v[140:141], v[140:141], v[142:143]
	;; [unrolled: 4-line block ×4, first 2 shown]
	s_waitcnt vmcnt(24) lgkmcnt(13)
	v_mul_f64 v[164:165], v[220:221], v[106:107]
	v_fmac_f64_e32 v[162:163], v[218:219], v[100:101]
	v_add_f64 v[140:141], v[140:141], v[160:161]
	s_waitcnt vmcnt(23) lgkmcnt(12)
	v_mul_f64 v[166:167], v[224:225], v[110:111]
	v_fmac_f64_e32 v[164:165], v[222:223], v[104:105]
	v_add_f64 v[140:141], v[140:141], v[162:163]
	;; [unrolled: 4-line block ×8, first 2 shown]
	v_fmac_f64_e32 v[178:179], v[146:147], v[12:13]
	v_add_f64 v[140:141], v[140:141], v[176:177]
	v_add_f64 v[140:141], v[140:141], v[178:179]
	ds_read_b128 v[176:179], v2 offset:1600
	s_waitcnt vmcnt(16) lgkmcnt(6)
	v_mul_f64 v[180:181], v[136:137], v[18:19]
	s_waitcnt vmcnt(15) lgkmcnt(5)
	v_mul_f64 v[182:183], v[132:133], v[22:23]
	v_fmac_f64_e32 v[180:181], v[138:139], v[16:17]
	v_add_f64 v[152:153], v[140:141], v[180:181]
	v_fmac_f64_e32 v[182:183], v[134:135], v[20:21]
	scratch_load_dwordx4 v[140:143], off, off offset:864
	s_waitcnt vmcnt(15) lgkmcnt(4)
	v_mul_f64 v[154:155], v[128:129], v[26:27]
	v_add_f64 v[152:153], v[152:153], v[182:183]
	v_fmac_f64_e32 v[154:155], v[130:131], v[24:25]
	v_add_f64 v[160:161], v[152:153], v[154:155]
	ds_read_b128 v[180:183], v2 offset:1616
	s_waitcnt vmcnt(14) lgkmcnt(1)
	v_mul_f64 v[162:163], v[176:177], v[30:31]
	scratch_load_dwordx4 v[152:155], off, off offset:880
	v_fmac_f64_e32 v[162:163], v[178:179], v[28:29]
	v_add_f64 v[164:165], v[160:161], v[162:163]
	scratch_load_dwordx4 v[160:163], off, off offset:896
	s_waitcnt vmcnt(15) lgkmcnt(0)
	v_mul_f64 v[166:167], v[180:181], v[34:35]
	v_fmac_f64_e32 v[166:167], v[182:183], v[32:33]
	v_add_f64 v[168:169], v[164:165], v[166:167]
	s_waitcnt vmcnt(14)
	v_mul_f64 v[170:171], v[184:185], v[38:39]
	scratch_load_dwordx4 v[164:167], off, off offset:912
	v_fmac_f64_e32 v[170:171], v[186:187], v[36:37]
	v_add_f64 v[168:169], v[168:169], v[170:171]
	s_waitcnt vmcnt(14)
	v_mul_f64 v[170:171], v[188:189], v[42:43]
	scratch_load_dwordx4 v[172:175], off, off offset:928
	v_fmac_f64_e32 v[170:171], v[190:191], v[40:41]
	v_add_f64 v[232:233], v[168:169], v[170:171]
	scratch_load_dwordx4 v[168:171], off, off offset:944
	v_mul_f64 v[82:83], v[198:199], v[82:83]
	v_fma_f64 v[242:243], v[196:197], v[80:81], -v[82:83]
	ds_read_b128 v[196:199], v2 offset:1680
	s_waitcnt vmcnt(15)
	v_mul_f64 v[80:81], v[192:193], v[46:47]
	v_fmac_f64_e32 v[80:81], v[194:195], v[44:45]
	v_add_f64 v[232:233], v[232:233], v[80:81]
	v_mul_f64 v[80:81], v[202:203], v[86:87]
	v_fma_f64 v[244:245], v[200:201], v[84:85], -v[80:81]
	scratch_load_dwordx4 v[80:83], off, off offset:960
	ds_read_b128 v[84:87], v2 offset:1696
	v_mul_f64 v[90:91], v[206:207], v[90:91]
	v_fma_f64 v[246:247], v[204:205], v[88:89], -v[90:91]
	ds_read_b128 v[88:91], v2 offset:1712
	s_waitcnt vmcnt(15) lgkmcnt(2)
	v_mul_f64 v[200:201], v[196:197], v[50:51]
	v_fmac_f64_e32 v[200:201], v[198:199], v[48:49]
	s_waitcnt vmcnt(14) lgkmcnt(1)
	v_mul_f64 v[202:203], v[84:85], v[54:55]
	v_add_f64 v[200:201], v[232:233], v[200:201]
	v_fmac_f64_e32 v[202:203], v[86:87], v[52:53]
	v_mul_f64 v[94:95], v[210:211], v[94:95]
	v_fma_f64 v[248:249], v[208:209], v[92:93], -v[94:95]
	ds_read_b128 v[92:95], v2 offset:1728
	v_add_f64 v[200:201], v[200:201], v[202:203]
	s_waitcnt vmcnt(13) lgkmcnt(1)
	v_mul_f64 v[202:203], v[88:89], v[58:59]
	v_fmac_f64_e32 v[202:203], v[90:91], v[56:57]
	v_add_f64 v[204:205], v[200:201], v[202:203]
	ds_read_b128 v[200:203], v2 offset:1744
	v_mul_f64 v[98:99], v[214:215], v[98:99]
	v_fma_f64 v[254:255], v[212:213], v[96:97], -v[98:99]
	ds_read_b128 v[96:99], v2 offset:1760
	s_waitcnt vmcnt(12) lgkmcnt(2)
	v_mul_f64 v[206:207], v[92:93], v[62:63]
	v_fmac_f64_e32 v[206:207], v[94:95], v[60:61]
	v_add_f64 v[204:205], v[204:205], v[206:207]
	s_waitcnt vmcnt(11) lgkmcnt(1)
	v_mul_f64 v[206:207], v[200:201], v[66:67]
	v_fmac_f64_e32 v[206:207], v[202:203], v[64:65]
	v_mul_f64 v[102:103], v[218:219], v[102:103]
	v_add_f64 v[204:205], v[204:205], v[206:207]
	v_fma_f64 v[232:233], v[216:217], v[100:101], -v[102:103]
	ds_read_b128 v[100:103], v2 offset:1776
	s_waitcnt vmcnt(10) lgkmcnt(1)
	v_mul_f64 v[206:207], v[96:97], v[70:71]
	v_fmac_f64_e32 v[206:207], v[98:99], v[68:69]
	v_add_f64 v[208:209], v[204:205], v[206:207]
	ds_read_b128 v[204:207], v2 offset:1792
	v_mul_f64 v[106:107], v[222:223], v[106:107]
	v_fma_f64 v[0:1], v[220:221], v[104:105], -v[106:107]
	ds_read_b128 v[104:107], v2 offset:1808
	s_waitcnt vmcnt(9) lgkmcnt(2)
	v_mul_f64 v[210:211], v[100:101], v[74:75]
	v_fmac_f64_e32 v[210:211], v[102:103], v[72:73]
	v_add_f64 v[208:209], v[208:209], v[210:211]
	s_waitcnt vmcnt(8) lgkmcnt(1)
	v_mul_f64 v[210:211], v[204:205], v[78:79]
	v_fmac_f64_e32 v[210:211], v[206:207], v[76:77]
	v_mul_f64 v[110:111], v[226:227], v[110:111]
	v_fma_f64 v[234:235], v[224:225], v[108:109], -v[110:111]
	ds_read_b128 v[108:111], v2 offset:1824
	v_add_f64 v[208:209], v[208:209], v[210:211]
	s_waitcnt vmcnt(7) lgkmcnt(1)
	v_mul_f64 v[210:211], v[104:105], v[126:127]
	v_fmac_f64_e32 v[210:211], v[106:107], v[124:125]
	v_add_f64 v[212:213], v[208:209], v[210:211]
	ds_read_b128 v[208:211], v2 offset:1840
	v_mul_f64 v[114:115], v[230:231], v[114:115]
	v_fma_f64 v[236:237], v[228:229], v[112:113], -v[114:115]
	ds_read_b128 v[112:115], v2 offset:1856
	s_waitcnt vmcnt(6) lgkmcnt(2)
	v_mul_f64 v[214:215], v[108:109], v[142:143]
	v_fmac_f64_e32 v[214:215], v[110:111], v[140:141]
	v_add_f64 v[212:213], v[212:213], v[214:215]
	s_waitcnt vmcnt(5) lgkmcnt(1)
	v_mul_f64 v[214:215], v[208:209], v[154:155]
	v_fmac_f64_e32 v[214:215], v[210:211], v[152:153]
	v_mul_f64 v[118:119], v[240:241], v[118:119]
	v_add_f64 v[212:213], v[212:213], v[214:215]
	v_fma_f64 v[238:239], v[238:239], v[116:117], -v[118:119]
	ds_read_b128 v[116:119], v2 offset:1872
	s_waitcnt vmcnt(4) lgkmcnt(1)
	v_mul_f64 v[214:215], v[112:113], v[162:163]
	v_fmac_f64_e32 v[214:215], v[114:115], v[160:161]
	v_add_f64 v[216:217], v[212:213], v[214:215]
	ds_read_b128 v[212:215], v2 offset:1888
	v_mul_f64 v[122:123], v[252:253], v[122:123]
	v_fma_f64 v[250:251], v[250:251], v[120:121], -v[122:123]
	ds_read_b128 v[120:123], v2 offset:1904
	s_waitcnt vmcnt(3) lgkmcnt(2)
	v_mul_f64 v[218:219], v[116:117], v[166:167]
	v_fmac_f64_e32 v[218:219], v[118:119], v[164:165]
	v_add_f64 v[216:217], v[216:217], v[218:219]
	s_waitcnt vmcnt(2) lgkmcnt(1)
	v_mul_f64 v[218:219], v[212:213], v[174:175]
	v_fmac_f64_e32 v[218:219], v[214:215], v[172:173]
	v_add_f64 v[216:217], v[216:217], v[218:219]
	;; [unrolled: 4-line block ×3, first 2 shown]
	ds_read_b128 v[216:219], v2 offset:1920
	ds_read_b128 v[224:227], v2 offset:1936
	v_mul_f64 v[6:7], v[158:159], v[6:7]
	v_fma_f64 v[4:5], v[156:157], v[4:5], -v[6:7]
	s_waitcnt vmcnt(0) lgkmcnt(1)
	v_mul_f64 v[222:223], v[216:217], v[82:83]
	v_fmac_f64_e32 v[222:223], v[218:219], v[80:81]
	v_add_f64 v[228:229], v[220:221], v[222:223]
	scratch_load_dwordx4 v[220:223], off, off offset:976
	s_waitcnt vmcnt(0) lgkmcnt(0)
	v_mul_f64 v[230:231], v[224:225], v[222:223]
	v_fmac_f64_e32 v[230:231], v[226:227], v[220:221]
	v_add_f64 v[240:241], v[228:229], v[230:231]
	v_add_f64 v[228:229], v[242:243], 0
	;; [unrolled: 1-line block ×8, first 2 shown]
	scratch_load_dwordx4 v[228:231], off, off offset:352
	v_add_f64 v[0:1], v[252:253], v[234:235]
	v_add_f64 v[0:1], v[0:1], v[236:237]
	;; [unrolled: 1-line block ×5, first 2 shown]
	v_mul_f64 v[4:5], v[150:151], v[10:11]
	v_fma_f64 v[4:5], v[148:149], v[8:9], -v[4:5]
	v_add_f64 v[0:1], v[0:1], v[4:5]
	v_mul_f64 v[4:5], v[146:147], v[14:15]
	v_fma_f64 v[4:5], v[144:145], v[12:13], -v[4:5]
	v_add_f64 v[0:1], v[0:1], v[4:5]
	;; [unrolled: 3-line block ×27, first 2 shown]
	s_waitcnt vmcnt(0)
	v_add_f64 v[4:5], v[228:229], -v[0:1]
	v_accvgpr_read_b32 v0, a122
	v_add_f64 v[6:7], v[230:231], -v[240:241]
	v_cmp_lt_u32_e32 vcc, 20, v0
	scratch_store_dwordx4 off, v[4:7], off offset:352
	s_and_saveexec_b64 s[0:1], vcc
	s_cbranch_execz .LBB60_351
; %bb.350:
	scratch_load_dwordx4 v[6:9], off, s46
	v_mov_b32_e32 v3, v2
	v_mov_b32_e32 v4, v2
	;; [unrolled: 1-line block ×3, first 2 shown]
	v_accvgpr_read_b32 v0, a123
	scratch_store_dwordx4 off, v[2:5], off offset:336
	s_waitcnt vmcnt(1)
	ds_write_b128 v0, v[6:9]
.LBB60_351:
	s_or_b64 exec, exec, s[0:1]
	s_waitcnt lgkmcnt(0)
	; wave barrier
	scratch_load_dwordx4 v[132:135], off, off offset:352
	scratch_load_dwordx4 v[160:163], off, off offset:368
	;; [unrolled: 1-line block ×16, first 2 shown]
	ds_read_b128 v[156:159], v2 offset:1312
	ds_read_b128 v[172:175], v2 offset:1328
	scratch_load_dwordx4 v[24:27], off, off offset:608
	ds_read_b128 v[232:235], v2 offset:1344
	ds_read_b128 v[228:231], v2 offset:1360
	scratch_load_dwordx4 v[28:31], off, off offset:624
	ds_read_b128 v[236:239], v2 offset:1376
	ds_read_b128 v[184:187], v2 offset:1392
	ds_read_b128 v[224:227], v2 offset:1408
	ds_read_b128 v[196:199], v2 offset:1424
	ds_read_b128 v[208:211], v2 offset:1440
	scratch_load_dwordx4 v[32:35], off, off offset:640
	ds_read_b128 v[220:223], v2 offset:1456
	ds_read_b128 v[216:219], v2 offset:1472
	;; [unrolled: 1-line block ×3, first 2 shown]
	scratch_load_dwordx4 v[36:39], off, off offset:656
	ds_read_b128 v[64:67], v2 offset:1504
	ds_read_b128 v[60:63], v2 offset:1520
	;; [unrolled: 1-line block ×5, first 2 shown]
	scratch_load_dwordx4 v[52:55], off, off offset:672
	scratch_load_dwordx4 v[68:71], off, off offset:688
	;; [unrolled: 1-line block ×11, first 2 shown]
	ds_read_b128 v[144:147], v2 offset:1616
	ds_read_b128 v[148:151], v2 offset:1632
	;; [unrolled: 1-line block ×3, first 2 shown]
	s_waitcnt vmcnt(30) lgkmcnt(14)
	v_mul_f64 v[0:1], v[156:157], v[134:135]
	s_waitcnt vmcnt(29)
	v_mul_f64 v[108:109], v[172:173], v[162:163]
	v_fmac_f64_e32 v[0:1], v[158:159], v[132:133]
	s_waitcnt vmcnt(28)
	v_mul_f64 v[110:111], v[232:233], v[166:167]
	v_fmac_f64_e32 v[108:109], v[174:175], v[160:161]
	v_add_f64 v[0:1], v[0:1], 0
	s_waitcnt vmcnt(27)
	v_mul_f64 v[112:113], v[228:229], v[170:171]
	v_fmac_f64_e32 v[110:111], v[234:235], v[164:165]
	v_add_f64 v[0:1], v[0:1], v[108:109]
	;; [unrolled: 4-line block ×4, first 2 shown]
	s_waitcnt vmcnt(24) lgkmcnt(13)
	v_mul_f64 v[118:119], v[224:225], v[190:191]
	v_fmac_f64_e32 v[116:117], v[186:187], v[180:181]
	v_add_f64 v[0:1], v[0:1], v[114:115]
	s_waitcnt vmcnt(23) lgkmcnt(12)
	v_mul_f64 v[120:121], v[196:197], v[194:195]
	v_fmac_f64_e32 v[118:119], v[226:227], v[188:189]
	v_add_f64 v[0:1], v[0:1], v[116:117]
	;; [unrolled: 4-line block ×9, first 2 shown]
	v_fmac_f64_e32 v[138:139], v[58:59], v[16:17]
	v_add_f64 v[0:1], v[0:1], v[136:137]
	v_add_f64 v[0:1], v[0:1], v[138:139]
	ds_read_b128 v[136:139], v2 offset:1584
	s_waitcnt vmcnt(15) lgkmcnt(5)
	v_mul_f64 v[140:141], v[48:49], v[22:23]
	v_fmac_f64_e32 v[140:141], v[50:51], v[20:21]
	s_waitcnt vmcnt(14) lgkmcnt(4)
	v_mul_f64 v[112:113], v[44:45], v[26:27]
	scratch_load_dwordx4 v[108:111], off, off offset:848
	v_add_f64 v[0:1], v[0:1], v[140:141]
	v_fmac_f64_e32 v[112:113], v[46:47], v[24:25]
	v_add_f64 v[0:1], v[0:1], v[112:113]
	scratch_load_dwordx4 v[112:115], off, off offset:864
	ds_read_b128 v[140:143], v2 offset:1600
	s_waitcnt vmcnt(15) lgkmcnt(1)
	v_mul_f64 v[116:117], v[136:137], v[30:31]
	v_fmac_f64_e32 v[116:117], v[138:139], v[28:29]
	v_add_f64 v[0:1], v[0:1], v[116:117]
	scratch_load_dwordx4 v[116:119], off, off offset:880
	s_waitcnt vmcnt(15) lgkmcnt(0)
	v_mul_f64 v[120:121], v[140:141], v[34:35]
	v_fmac_f64_e32 v[120:121], v[142:143], v[32:33]
	s_waitcnt vmcnt(14)
	v_mul_f64 v[124:125], v[144:145], v[38:39]
	v_add_f64 v[0:1], v[0:1], v[120:121]
	scratch_load_dwordx4 v[120:123], off, off offset:896
	v_fmac_f64_e32 v[124:125], v[146:147], v[36:37]
	v_add_f64 v[0:1], v[0:1], v[124:125]
	s_waitcnt vmcnt(14)
	v_mul_f64 v[124:125], v[148:149], v[54:55]
	scratch_load_dwordx4 v[128:131], off, off offset:912
	v_fmac_f64_e32 v[124:125], v[150:151], v[52:53]
	v_add_f64 v[0:1], v[0:1], v[124:125]
	scratch_load_dwordx4 v[124:127], off, off offset:928
	v_mul_f64 v[134:135], v[158:159], v[134:135]
	v_fma_f64 v[240:241], v[156:157], v[132:133], -v[134:135]
	ds_read_b128 v[156:159], v2 offset:1664
	s_waitcnt vmcnt(15)
	v_mul_f64 v[132:133], v[152:153], v[70:71]
	v_fmac_f64_e32 v[132:133], v[154:155], v[68:69]
	v_add_f64 v[0:1], v[0:1], v[132:133]
	v_mul_f64 v[132:133], v[174:175], v[162:163]
	v_fma_f64 v[242:243], v[172:173], v[160:161], -v[132:133]
	scratch_load_dwordx4 v[132:135], off, off offset:944
	ds_read_b128 v[160:163], v2 offset:1680
	v_mul_f64 v[166:167], v[234:235], v[166:167]
	v_fma_f64 v[244:245], v[232:233], v[164:165], -v[166:167]
	ds_read_b128 v[164:167], v2 offset:1696
	s_waitcnt vmcnt(15) lgkmcnt(2)
	v_mul_f64 v[172:173], v[156:157], v[74:75]
	v_fmac_f64_e32 v[172:173], v[158:159], v[72:73]
	v_add_f64 v[0:1], v[0:1], v[172:173]
	s_waitcnt vmcnt(14) lgkmcnt(1)
	v_mul_f64 v[172:173], v[160:161], v[78:79]
	v_fmac_f64_e32 v[172:173], v[162:163], v[76:77]
	v_mul_f64 v[170:171], v[230:231], v[170:171]
	v_fma_f64 v[246:247], v[228:229], v[168:169], -v[170:171]
	ds_read_b128 v[168:171], v2 offset:1712
	v_add_f64 v[0:1], v[0:1], v[172:173]
	s_waitcnt vmcnt(13) lgkmcnt(1)
	v_mul_f64 v[172:173], v[164:165], v[82:83]
	v_fmac_f64_e32 v[172:173], v[166:167], v[80:81]
	v_add_f64 v[0:1], v[0:1], v[172:173]
	ds_read_b128 v[172:175], v2 offset:1728
	v_mul_f64 v[178:179], v[238:239], v[178:179]
	v_fma_f64 v[236:237], v[236:237], v[176:177], -v[178:179]
	ds_read_b128 v[176:179], v2 offset:1744
	s_waitcnt vmcnt(12) lgkmcnt(2)
	v_mul_f64 v[228:229], v[168:169], v[86:87]
	v_fmac_f64_e32 v[228:229], v[170:171], v[84:85]
	v_add_f64 v[0:1], v[0:1], v[228:229]
	s_waitcnt vmcnt(11) lgkmcnt(1)
	v_mul_f64 v[228:229], v[172:173], v[90:91]
	v_mul_f64 v[182:183], v[186:187], v[182:183]
	v_fmac_f64_e32 v[228:229], v[174:175], v[88:89]
	v_fma_f64 v[238:239], v[184:185], v[180:181], -v[182:183]
	ds_read_b128 v[180:183], v2 offset:1760
	s_waitcnt vmcnt(10) lgkmcnt(1)
	v_mul_f64 v[184:185], v[176:177], v[94:95]
	v_add_f64 v[0:1], v[0:1], v[228:229]
	v_fmac_f64_e32 v[184:185], v[178:179], v[92:93]
	v_add_f64 v[0:1], v[0:1], v[184:185]
	ds_read_b128 v[184:187], v2 offset:1776
	v_mul_f64 v[190:191], v[226:227], v[190:191]
	v_fma_f64 v[248:249], v[224:225], v[188:189], -v[190:191]
	ds_read_b128 v[188:191], v2 offset:1792
	s_waitcnt vmcnt(9) lgkmcnt(2)
	v_mul_f64 v[228:229], v[180:181], v[98:99]
	v_fmac_f64_e32 v[228:229], v[182:183], v[96:97]
	s_waitcnt vmcnt(8) lgkmcnt(1)
	v_mul_f64 v[224:225], v[184:185], v[102:103]
	v_mul_f64 v[194:195], v[198:199], v[194:195]
	v_add_f64 v[0:1], v[0:1], v[228:229]
	v_fmac_f64_e32 v[224:225], v[186:187], v[100:101]
	v_fma_f64 v[254:255], v[196:197], v[192:193], -v[194:195]
	s_waitcnt vmcnt(7) lgkmcnt(0)
	v_mul_f64 v[196:197], v[188:189], v[106:107]
	ds_read_b128 v[192:195], v2 offset:1808
	v_add_f64 v[0:1], v[0:1], v[224:225]
	v_fmac_f64_e32 v[196:197], v[190:191], v[104:105]
	v_add_f64 v[0:1], v[0:1], v[196:197]
	ds_read_b128 v[196:199], v2 offset:1824
	v_mul_f64 v[202:203], v[210:211], v[202:203]
	v_fma_f64 v[250:251], v[208:209], v[200:201], -v[202:203]
	ds_read_b128 v[200:203], v2 offset:1840
	s_waitcnt vmcnt(6) lgkmcnt(2)
	v_mul_f64 v[224:225], v[192:193], v[110:111]
	v_fmac_f64_e32 v[224:225], v[194:195], v[108:109]
	s_waitcnt vmcnt(5) lgkmcnt(1)
	v_mul_f64 v[208:209], v[196:197], v[114:115]
	v_add_f64 v[0:1], v[0:1], v[224:225]
	v_fmac_f64_e32 v[208:209], v[198:199], v[112:113]
	v_add_f64 v[208:209], v[0:1], v[208:209]
	v_mul_f64 v[0:1], v[222:223], v[206:207]
	v_fma_f64 v[0:1], v[220:221], v[204:205], -v[0:1]
	ds_read_b128 v[204:207], v2 offset:1856
	s_waitcnt vmcnt(4) lgkmcnt(1)
	v_mul_f64 v[210:211], v[200:201], v[118:119]
	v_fmac_f64_e32 v[210:211], v[202:203], v[116:117]
	v_add_f64 v[220:221], v[208:209], v[210:211]
	ds_read_b128 v[208:211], v2 offset:1872
	v_mul_f64 v[214:215], v[218:219], v[214:215]
	v_fma_f64 v[252:253], v[216:217], v[212:213], -v[214:215]
	ds_read_b128 v[212:215], v2 offset:1888
	s_waitcnt vmcnt(3) lgkmcnt(2)
	v_mul_f64 v[216:217], v[204:205], v[122:123]
	v_fmac_f64_e32 v[216:217], v[206:207], v[120:121]
	s_waitcnt vmcnt(2) lgkmcnt(1)
	v_mul_f64 v[218:219], v[208:209], v[130:131]
	v_add_f64 v[216:217], v[220:221], v[216:217]
	v_fmac_f64_e32 v[218:219], v[210:211], v[128:129]
	v_add_f64 v[216:217], v[216:217], v[218:219]
	s_waitcnt vmcnt(1) lgkmcnt(0)
	v_mul_f64 v[218:219], v[212:213], v[126:127]
	v_fmac_f64_e32 v[218:219], v[214:215], v[124:125]
	v_add_f64 v[220:221], v[216:217], v[218:219]
	ds_read_b128 v[216:219], v2 offset:1904
	ds_read_b128 v[224:227], v2 offset:1920
	scratch_load_dwordx4 v[232:235], off, off offset:976
	v_accvgpr_write_b32 a125, v1
	v_accvgpr_write_b32 a124, v0
	s_waitcnt vmcnt(1) lgkmcnt(1)
	v_mul_f64 v[222:223], v[216:217], v[134:135]
	v_fmac_f64_e32 v[222:223], v[218:219], v[132:133]
	v_add_f64 v[228:229], v[220:221], v[222:223]
	scratch_load_dwordx4 v[220:223], off, off offset:960
	v_mul_f64 v[6:7], v[42:43], v[6:7]
	v_fma_f64 v[4:5], v[40:41], v[4:5], -v[6:7]
	s_waitcnt vmcnt(0) lgkmcnt(0)
	v_mul_f64 v[230:231], v[224:225], v[222:223]
	v_fmac_f64_e32 v[230:231], v[226:227], v[220:221]
	v_add_f64 v[0:1], v[228:229], v[230:231]
	ds_read_b128 v[228:231], v2 offset:1936
	s_waitcnt lgkmcnt(0)
	v_mul_f64 v[2:3], v[228:229], v[234:235]
	v_fmac_f64_e32 v[2:3], v[230:231], v[232:233]
	v_add_f64 v[2:3], v[0:1], v[2:3]
	v_add_f64 v[0:1], v[240:241], 0
	;; [unrolled: 1-line block ×7, first 2 shown]
	scratch_load_dwordx4 v[236:239], off, off offset:336
	v_add_f64 v[0:1], v[0:1], v[248:249]
	v_add_f64 v[0:1], v[0:1], v[254:255]
	;; [unrolled: 1-line block ×3, first 2 shown]
	v_accvgpr_read_b32 v0, a124
	v_accvgpr_read_b32 v1, a125
	v_add_f64 v[0:1], v[254:255], v[0:1]
	v_add_f64 v[0:1], v[0:1], v[252:253]
	;; [unrolled: 1-line block ×3, first 2 shown]
	v_mul_f64 v[4:5], v[66:67], v[10:11]
	v_fma_f64 v[4:5], v[64:65], v[8:9], -v[4:5]
	v_add_f64 v[0:1], v[0:1], v[4:5]
	v_mul_f64 v[4:5], v[62:63], v[14:15]
	v_fma_f64 v[4:5], v[60:61], v[12:13], -v[4:5]
	v_add_f64 v[0:1], v[0:1], v[4:5]
	v_mul_f64 v[4:5], v[58:59], v[18:19]
	v_fma_f64 v[4:5], v[56:57], v[16:17], -v[4:5]
	v_add_f64 v[0:1], v[0:1], v[4:5]
	v_mul_f64 v[4:5], v[50:51], v[22:23]
	v_fma_f64 v[4:5], v[48:49], v[20:21], -v[4:5]
	v_add_f64 v[0:1], v[0:1], v[4:5]
	v_mul_f64 v[4:5], v[46:47], v[26:27]
	v_fma_f64 v[4:5], v[44:45], v[24:25], -v[4:5]
	v_add_f64 v[0:1], v[0:1], v[4:5]
	v_mul_f64 v[4:5], v[138:139], v[30:31]
	v_fma_f64 v[4:5], v[136:137], v[28:29], -v[4:5]
	v_add_f64 v[0:1], v[0:1], v[4:5]
	v_mul_f64 v[4:5], v[142:143], v[34:35]
	v_fma_f64 v[4:5], v[140:141], v[32:33], -v[4:5]
	v_add_f64 v[0:1], v[0:1], v[4:5]
	v_mul_f64 v[4:5], v[146:147], v[38:39]
	v_fma_f64 v[4:5], v[144:145], v[36:37], -v[4:5]
	v_add_f64 v[0:1], v[0:1], v[4:5]
	v_mul_f64 v[4:5], v[150:151], v[54:55]
	v_fma_f64 v[4:5], v[148:149], v[52:53], -v[4:5]
	v_add_f64 v[0:1], v[0:1], v[4:5]
	v_mul_f64 v[4:5], v[154:155], v[70:71]
	v_fma_f64 v[4:5], v[152:153], v[68:69], -v[4:5]
	v_add_f64 v[0:1], v[0:1], v[4:5]
	v_mul_f64 v[4:5], v[158:159], v[74:75]
	v_fma_f64 v[4:5], v[156:157], v[72:73], -v[4:5]
	v_add_f64 v[0:1], v[0:1], v[4:5]
	v_mul_f64 v[4:5], v[162:163], v[78:79]
	v_fma_f64 v[4:5], v[160:161], v[76:77], -v[4:5]
	v_add_f64 v[0:1], v[0:1], v[4:5]
	v_mul_f64 v[4:5], v[166:167], v[82:83]
	v_fma_f64 v[4:5], v[164:165], v[80:81], -v[4:5]
	v_add_f64 v[0:1], v[0:1], v[4:5]
	v_mul_f64 v[4:5], v[170:171], v[86:87]
	v_fma_f64 v[4:5], v[168:169], v[84:85], -v[4:5]
	v_add_f64 v[0:1], v[0:1], v[4:5]
	v_mul_f64 v[4:5], v[174:175], v[90:91]
	v_fma_f64 v[4:5], v[172:173], v[88:89], -v[4:5]
	v_add_f64 v[0:1], v[0:1], v[4:5]
	v_mul_f64 v[4:5], v[178:179], v[94:95]
	v_fma_f64 v[4:5], v[176:177], v[92:93], -v[4:5]
	v_add_f64 v[0:1], v[0:1], v[4:5]
	v_mul_f64 v[4:5], v[182:183], v[98:99]
	v_fma_f64 v[4:5], v[180:181], v[96:97], -v[4:5]
	v_add_f64 v[0:1], v[0:1], v[4:5]
	v_mul_f64 v[4:5], v[186:187], v[102:103]
	v_fma_f64 v[4:5], v[184:185], v[100:101], -v[4:5]
	v_add_f64 v[0:1], v[0:1], v[4:5]
	v_mul_f64 v[4:5], v[190:191], v[106:107]
	v_fma_f64 v[4:5], v[188:189], v[104:105], -v[4:5]
	v_add_f64 v[0:1], v[0:1], v[4:5]
	v_mul_f64 v[4:5], v[194:195], v[110:111]
	v_fma_f64 v[4:5], v[192:193], v[108:109], -v[4:5]
	v_add_f64 v[0:1], v[0:1], v[4:5]
	v_mul_f64 v[4:5], v[198:199], v[114:115]
	v_fma_f64 v[4:5], v[196:197], v[112:113], -v[4:5]
	v_add_f64 v[0:1], v[0:1], v[4:5]
	v_mul_f64 v[4:5], v[202:203], v[118:119]
	v_fma_f64 v[4:5], v[200:201], v[116:117], -v[4:5]
	v_add_f64 v[0:1], v[0:1], v[4:5]
	v_mul_f64 v[4:5], v[206:207], v[122:123]
	v_fma_f64 v[4:5], v[204:205], v[120:121], -v[4:5]
	v_add_f64 v[0:1], v[0:1], v[4:5]
	v_mul_f64 v[4:5], v[210:211], v[130:131]
	v_fma_f64 v[4:5], v[208:209], v[128:129], -v[4:5]
	v_add_f64 v[0:1], v[0:1], v[4:5]
	v_mul_f64 v[4:5], v[214:215], v[126:127]
	v_fma_f64 v[4:5], v[212:213], v[124:125], -v[4:5]
	v_add_f64 v[0:1], v[0:1], v[4:5]
	v_mul_f64 v[4:5], v[218:219], v[134:135]
	v_fma_f64 v[4:5], v[216:217], v[132:133], -v[4:5]
	v_add_f64 v[0:1], v[0:1], v[4:5]
	v_mul_f64 v[4:5], v[226:227], v[222:223]
	v_fma_f64 v[4:5], v[224:225], v[220:221], -v[4:5]
	v_add_f64 v[0:1], v[0:1], v[4:5]
	v_mul_f64 v[4:5], v[230:231], v[234:235]
	v_fma_f64 v[4:5], v[228:229], v[232:233], -v[4:5]
	v_add_f64 v[0:1], v[0:1], v[4:5]
	s_waitcnt vmcnt(0)
	v_add_f64 v[4:5], v[236:237], -v[0:1]
	v_accvgpr_read_b32 v0, a122
	v_add_f64 v[6:7], v[238:239], -v[2:3]
	v_cmp_lt_u32_e32 vcc, 19, v0
	scratch_store_dwordx4 off, v[4:7], off offset:336
	s_and_saveexec_b64 s[0:1], vcc
	s_cbranch_execz .LBB60_353
; %bb.352:
	scratch_load_dwordx4 v[2:5], off, s45
	v_mov_b32_e32 v6, 0
	v_mov_b32_e32 v7, v6
	v_mov_b32_e32 v8, v6
	v_mov_b32_e32 v9, v6
	v_accvgpr_read_b32 v0, a123
	scratch_store_dwordx4 off, v[6:9], off offset:320
	s_waitcnt vmcnt(1)
	ds_write_b128 v0, v[2:5]
.LBB60_353:
	s_or_b64 exec, exec, s[0:1]
	s_waitcnt lgkmcnt(0)
	; wave barrier
	scratch_load_dwordx4 v[112:115], off, off offset:336
	scratch_load_dwordx4 v[116:119], off, off offset:352
	;; [unrolled: 1-line block ×30, first 2 shown]
	v_mov_b32_e32 v2, 0
	ds_read_b128 v[144:147], v2 offset:1296
	ds_read_b128 v[156:159], v2 offset:1312
	;; [unrolled: 1-line block ×20, first 2 shown]
	s_waitcnt vmcnt(29) lgkmcnt(14)
	v_mul_f64 v[0:1], v[144:145], v[114:115]
	s_waitcnt vmcnt(28)
	v_mul_f64 v[88:89], v[156:157], v[118:119]
	v_fmac_f64_e32 v[0:1], v[146:147], v[112:113]
	s_waitcnt vmcnt(27)
	v_mul_f64 v[90:91], v[168:169], v[122:123]
	v_fmac_f64_e32 v[88:89], v[158:159], v[116:117]
	v_add_f64 v[0:1], v[0:1], 0
	s_waitcnt vmcnt(26)
	v_mul_f64 v[92:93], v[180:181], v[154:155]
	v_fmac_f64_e32 v[90:91], v[170:171], v[120:121]
	v_add_f64 v[0:1], v[0:1], v[88:89]
	;; [unrolled: 4-line block ×4, first 2 shown]
	s_waitcnt vmcnt(23) lgkmcnt(13)
	v_mul_f64 v[98:99], v[212:213], v[174:175]
	v_fmac_f64_e32 v[96:97], v[206:207], v[164:165]
	v_add_f64 v[0:1], v[0:1], v[94:95]
	s_waitcnt vmcnt(22) lgkmcnt(12)
	v_mul_f64 v[100:101], v[216:217], v[178:179]
	v_fmac_f64_e32 v[98:99], v[214:215], v[172:173]
	v_add_f64 v[0:1], v[0:1], v[96:97]
	;; [unrolled: 4-line block ×9, first 2 shown]
	v_fmac_f64_e32 v[126:127], v[82:83], v[234:235]
	v_add_f64 v[0:1], v[0:1], v[124:125]
	scratch_load_dwordx4 v[88:91], off, off offset:816
	s_waitcnt vmcnt(15) lgkmcnt(4)
	v_mul_f64 v[128:129], v[76:77], v[14:15]
	v_add_f64 v[0:1], v[0:1], v[126:127]
	ds_read_b128 v[124:127], v2 offset:1568
	v_fmac_f64_e32 v[128:129], v[78:79], v[12:13]
	v_add_f64 v[0:1], v[0:1], v[128:129]
	ds_read_b128 v[128:131], v2 offset:1584
	s_waitcnt vmcnt(14) lgkmcnt(5)
	v_mul_f64 v[92:93], v[72:73], v[18:19]
	v_fmac_f64_e32 v[92:93], v[74:75], v[16:17]
	v_add_f64 v[0:1], v[0:1], v[92:93]
	s_waitcnt vmcnt(13) lgkmcnt(1)
	v_mul_f64 v[96:97], v[124:125], v[22:23]
	scratch_load_dwordx4 v[92:95], off, off offset:832
	v_fmac_f64_e32 v[96:97], v[126:127], v[20:21]
	v_add_f64 v[0:1], v[0:1], v[96:97]
	s_waitcnt vmcnt(13) lgkmcnt(0)
	v_mul_f64 v[100:101], v[128:129], v[26:27]
	scratch_load_dwordx4 v[96:99], off, off offset:848
	v_fmac_f64_e32 v[100:101], v[130:131], v[24:25]
	v_add_f64 v[0:1], v[0:1], v[100:101]
	scratch_load_dwordx4 v[100:103], off, off offset:864
	s_waitcnt vmcnt(14)
	v_mul_f64 v[104:105], v[132:133], v[30:31]
	v_fmac_f64_e32 v[104:105], v[134:135], v[28:29]
	v_add_f64 v[0:1], v[0:1], v[104:105]
	s_waitcnt vmcnt(13)
	v_mul_f64 v[104:105], v[136:137], v[34:35]
	v_fmac_f64_e32 v[104:105], v[138:139], v[32:33]
	v_add_f64 v[0:1], v[0:1], v[104:105]
	scratch_load_dwordx4 v[104:107], off, off offset:880
	s_waitcnt vmcnt(13)
	v_mul_f64 v[108:109], v[140:141], v[38:39]
	v_fmac_f64_e32 v[108:109], v[142:143], v[36:37]
	v_add_f64 v[0:1], v[0:1], v[108:109]
	scratch_load_dwordx4 v[108:111], off, off offset:896
	v_mul_f64 v[114:115], v[146:147], v[114:115]
	v_fma_f64 v[242:243], v[144:145], v[112:113], -v[114:115]
	v_mul_f64 v[112:113], v[158:159], v[118:119]
	ds_read_b128 v[148:151], v2 offset:1648
	ds_read_b128 v[144:147], v2 offset:1664
	v_fma_f64 v[244:245], v[156:157], v[116:117], -v[112:113]
	scratch_load_dwordx4 v[116:119], off, off offset:912
	scratch_load_dwordx4 v[112:115], off, off offset:928
	v_mul_f64 v[122:123], v[170:171], v[122:123]
	v_fma_f64 v[246:247], v[168:169], v[120:121], -v[122:123]
	scratch_load_dwordx4 v[120:123], off, off offset:944
	s_waitcnt vmcnt(16) lgkmcnt(1)
	v_mul_f64 v[156:157], v[148:149], v[42:43]
	v_fmac_f64_e32 v[156:157], v[150:151], v[40:41]
	v_mul_f64 v[154:155], v[182:183], v[154:155]
	v_add_f64 v[0:1], v[0:1], v[156:157]
	v_fma_f64 v[248:249], v[180:181], v[152:153], -v[154:155]
	ds_read_b128 v[152:155], v2 offset:1680
	s_waitcnt vmcnt(15) lgkmcnt(1)
	v_mul_f64 v[156:157], v[144:145], v[46:47]
	v_fmac_f64_e32 v[156:157], v[146:147], v[44:45]
	v_add_f64 v[0:1], v[0:1], v[156:157]
	ds_read_b128 v[156:159], v2 offset:1696
	v_mul_f64 v[162:163], v[194:195], v[162:163]
	v_fma_f64 v[254:255], v[192:193], v[160:161], -v[162:163]
	ds_read_b128 v[160:163], v2 offset:1712
	s_waitcnt vmcnt(14) lgkmcnt(2)
	v_mul_f64 v[168:169], v[152:153], v[50:51]
	v_fmac_f64_e32 v[168:169], v[154:155], v[48:49]
	v_add_f64 v[0:1], v[0:1], v[168:169]
	s_waitcnt vmcnt(13) lgkmcnt(1)
	v_mul_f64 v[168:169], v[156:157], v[54:55]
	v_fmac_f64_e32 v[168:169], v[158:159], v[52:53]
	v_mul_f64 v[166:167], v[206:207], v[166:167]
	v_add_f64 v[0:1], v[0:1], v[168:169]
	v_fma_f64 v[232:233], v[204:205], v[164:165], -v[166:167]
	ds_read_b128 v[164:167], v2 offset:1728
	s_waitcnt vmcnt(12) lgkmcnt(1)
	v_mul_f64 v[168:169], v[160:161], v[58:59]
	v_fmac_f64_e32 v[168:169], v[162:163], v[56:57]
	v_add_f64 v[0:1], v[0:1], v[168:169]
	ds_read_b128 v[168:171], v2 offset:1744
	v_accvgpr_write_b32 a127, v7
	v_accvgpr_write_b32 a126, v6
	;; [unrolled: 1-line block ×4, first 2 shown]
	s_waitcnt vmcnt(11) lgkmcnt(1)
	v_mul_f64 v[6:7], v[164:165], v[62:63]
	v_mul_f64 v[174:175], v[214:215], v[174:175]
	v_fmac_f64_e32 v[6:7], v[166:167], v[60:61]
	v_fma_f64 v[8:9], v[212:213], v[172:173], -v[174:175]
	ds_read_b128 v[172:175], v2 offset:1760
	v_add_f64 v[0:1], v[0:1], v[6:7]
	s_waitcnt vmcnt(10) lgkmcnt(1)
	v_mul_f64 v[6:7], v[168:169], v[66:67]
	v_fmac_f64_e32 v[6:7], v[170:171], v[64:65]
	v_add_f64 v[0:1], v[0:1], v[6:7]
	v_mul_f64 v[6:7], v[218:219], v[178:179]
	v_fma_f64 v[4:5], v[216:217], v[176:177], -v[6:7]
	ds_read_b128 v[176:179], v2 offset:1776
	ds_read_b128 v[180:183], v2 offset:1792
	s_waitcnt vmcnt(9) lgkmcnt(2)
	v_mul_f64 v[6:7], v[172:173], v[70:71]
	v_fmac_f64_e32 v[6:7], v[174:175], v[68:69]
	v_add_f64 v[0:1], v[0:1], v[6:7]
	s_waitcnt vmcnt(8) lgkmcnt(1)
	v_mul_f64 v[6:7], v[176:177], v[90:91]
	v_fmac_f64_e32 v[6:7], v[178:179], v[88:89]
	v_add_f64 v[0:1], v[0:1], v[6:7]
	v_mul_f64 v[6:7], v[222:223], v[186:187]
	v_fma_f64 v[10:11], v[220:221], v[184:185], -v[6:7]
	ds_read_b128 v[184:187], v2 offset:1808
	v_mul_f64 v[6:7], v[226:227], v[190:191]
	v_fma_f64 v[6:7], v[224:225], v[188:189], -v[6:7]
	ds_read_b128 v[188:191], v2 offset:1824
	s_waitcnt vmcnt(7) lgkmcnt(2)
	v_mul_f64 v[192:193], v[180:181], v[94:95]
	v_fmac_f64_e32 v[192:193], v[182:183], v[92:93]
	v_add_f64 v[0:1], v[0:1], v[192:193]
	s_waitcnt vmcnt(6) lgkmcnt(1)
	v_mul_f64 v[192:193], v[184:185], v[98:99]
	v_fmac_f64_e32 v[192:193], v[186:187], v[96:97]
	v_add_f64 v[0:1], v[0:1], v[192:193]
	s_waitcnt vmcnt(5) lgkmcnt(0)
	v_mul_f64 v[204:205], v[188:189], v[102:103]
	ds_read_b128 v[192:195], v2 offset:1840
	v_fmac_f64_e32 v[204:205], v[190:191], v[100:101]
	v_add_f64 v[204:205], v[0:1], v[204:205]
	v_mul_f64 v[0:1], v[230:231], v[198:199]
	v_fma_f64 v[0:1], v[228:229], v[196:197], -v[0:1]
	ds_read_b128 v[196:199], v2 offset:1856
	v_mul_f64 v[202:203], v[240:241], v[202:203]
	s_waitcnt vmcnt(4) lgkmcnt(1)
	v_mul_f64 v[206:207], v[192:193], v[106:107]
	v_fma_f64 v[238:239], v[238:239], v[200:201], -v[202:203]
	ds_read_b128 v[200:203], v2 offset:1872
	v_fmac_f64_e32 v[206:207], v[194:195], v[104:105]
	v_add_f64 v[212:213], v[204:205], v[206:207]
	ds_read_b128 v[204:207], v2 offset:1888
	s_waitcnt vmcnt(3) lgkmcnt(2)
	v_mul_f64 v[214:215], v[196:197], v[110:111]
	v_mul_f64 v[210:211], v[252:253], v[210:211]
	v_fmac_f64_e32 v[214:215], v[198:199], v[108:109]
	v_fma_f64 v[250:251], v[250:251], v[208:209], -v[210:211]
	ds_read_b128 v[208:211], v2 offset:1904
	ds_read_b128 v[216:219], v2 offset:1920
	v_add_f64 v[212:213], v[212:213], v[214:215]
	s_waitcnt vmcnt(2) lgkmcnt(3)
	v_mul_f64 v[214:215], v[200:201], v[118:119]
	v_fmac_f64_e32 v[214:215], v[202:203], v[116:117]
	v_add_f64 v[212:213], v[212:213], v[214:215]
	s_waitcnt vmcnt(1) lgkmcnt(2)
	v_mul_f64 v[214:215], v[204:205], v[114:115]
	v_fmac_f64_e32 v[214:215], v[206:207], v[112:113]
	v_add_f64 v[212:213], v[212:213], v[214:215]
	s_waitcnt vmcnt(0) lgkmcnt(1)
	v_mul_f64 v[214:215], v[208:209], v[122:123]
	v_fmac_f64_e32 v[214:215], v[210:211], v[120:121]
	v_add_f64 v[220:221], v[212:213], v[214:215]
	scratch_load_dwordx4 v[212:215], off, off offset:960
	ds_read_b128 v[224:227], v2 offset:1936
	s_waitcnt vmcnt(0) lgkmcnt(1)
	v_mul_f64 v[222:223], v[216:217], v[214:215]
	v_fmac_f64_e32 v[222:223], v[218:219], v[212:213]
	v_add_f64 v[228:229], v[220:221], v[222:223]
	scratch_load_dwordx4 v[220:223], off, off offset:976
	s_waitcnt vmcnt(0) lgkmcnt(0)
	v_mul_f64 v[230:231], v[224:225], v[222:223]
	v_fmac_f64_e32 v[230:231], v[226:227], v[220:221]
	v_add_f64 v[240:241], v[228:229], v[230:231]
	v_add_f64 v[228:229], v[242:243], 0
	;; [unrolled: 1-line block ×8, first 2 shown]
	scratch_load_dwordx4 v[228:231], off, off offset:320
	v_add_f64 v[4:5], v[8:9], v[4:5]
	v_add_f64 v[252:253], v[4:5], v[10:11]
	v_add_f64 v[4:5], v[252:253], v[6:7]
	v_accvgpr_read_b32 v6, a124
	v_add_f64 v[0:1], v[4:5], v[0:1]
	v_accvgpr_read_b32 v8, a126
	v_accvgpr_read_b32 v9, a127
	v_add_f64 v[0:1], v[0:1], v[238:239]
	v_accvgpr_read_b32 v7, a125
	v_mul_f64 v[4:5], v[86:87], v[8:9]
	v_add_f64 v[0:1], v[0:1], v[250:251]
	v_fma_f64 v[4:5], v[84:85], v[6:7], -v[4:5]
	v_add_f64 v[0:1], v[0:1], v[4:5]
	v_mul_f64 v[4:5], v[82:83], v[236:237]
	v_fma_f64 v[4:5], v[80:81], v[234:235], -v[4:5]
	v_add_f64 v[0:1], v[0:1], v[4:5]
	v_mul_f64 v[4:5], v[78:79], v[14:15]
	;; [unrolled: 3-line block ×27, first 2 shown]
	v_fma_f64 v[4:5], v[224:225], v[220:221], -v[4:5]
	v_add_f64 v[0:1], v[0:1], v[4:5]
	s_waitcnt vmcnt(0)
	v_add_f64 v[4:5], v[228:229], -v[0:1]
	v_accvgpr_read_b32 v0, a122
	v_add_f64 v[6:7], v[230:231], -v[240:241]
	v_cmp_lt_u32_e32 vcc, 18, v0
	scratch_store_dwordx4 off, v[4:7], off offset:320
	s_and_saveexec_b64 s[0:1], vcc
	s_cbranch_execz .LBB60_355
; %bb.354:
	scratch_load_dwordx4 v[6:9], off, s44
	v_mov_b32_e32 v3, v2
	v_mov_b32_e32 v4, v2
	v_mov_b32_e32 v5, v2
	v_accvgpr_read_b32 v0, a123
	scratch_store_dwordx4 off, v[2:5], off offset:304
	s_waitcnt vmcnt(1)
	ds_write_b128 v0, v[6:9]
.LBB60_355:
	s_or_b64 exec, exec, s[0:1]
	s_waitcnt lgkmcnt(0)
	; wave barrier
	scratch_load_dwordx4 v[88:91], off, off offset:320
	scratch_load_dwordx4 v[92:95], off, off offset:336
	;; [unrolled: 1-line block ×17, first 2 shown]
	ds_read_b128 v[212:215], v2 offset:1280
	ds_read_b128 v[204:207], v2 offset:1296
	;; [unrolled: 1-line block ×3, first 2 shown]
	scratch_load_dwordx4 v[20:23], off, off offset:592
	ds_read_b128 v[216:219], v2 offset:1328
	ds_read_b128 v[208:211], v2 offset:1344
	;; [unrolled: 1-line block ×5, first 2 shown]
	scratch_load_dwordx4 v[24:27], off, off offset:608
	ds_read_b128 v[180:183], v2 offset:1408
	ds_read_b128 v[160:163], v2 offset:1424
	;; [unrolled: 1-line block ×3, first 2 shown]
	scratch_load_dwordx4 v[28:31], off, off offset:624
	ds_read_b128 v[172:175], v2 offset:1456
	ds_read_b128 v[148:151], v2 offset:1472
	;; [unrolled: 1-line block ×5, first 2 shown]
	scratch_load_dwordx4 v[36:39], off, off offset:640
	ds_read_b128 v[48:51], v2 offset:1536
	scratch_load_dwordx4 v[52:55], off, off offset:656
	scratch_load_dwordx4 v[56:59], off, off offset:672
	;; [unrolled: 1-line block ×9, first 2 shown]
	ds_read_b128 v[140:143], v2 offset:1552
	ds_read_b128 v[232:235], v2 offset:1616
	;; [unrolled: 1-line block ×3, first 2 shown]
	s_waitcnt vmcnt(29) lgkmcnt(14)
	v_mul_f64 v[0:1], v[212:213], v[90:91]
	s_waitcnt vmcnt(28)
	v_mul_f64 v[152:153], v[204:205], v[94:95]
	v_fmac_f64_e32 v[0:1], v[214:215], v[88:89]
	s_waitcnt vmcnt(27)
	v_mul_f64 v[154:155], v[196:197], v[98:99]
	v_fmac_f64_e32 v[152:153], v[206:207], v[92:93]
	v_add_f64 v[0:1], v[0:1], 0
	s_waitcnt vmcnt(26)
	v_mul_f64 v[164:165], v[216:217], v[102:103]
	v_fmac_f64_e32 v[154:155], v[198:199], v[96:97]
	v_add_f64 v[0:1], v[0:1], v[152:153]
	;; [unrolled: 4-line block ×4, first 2 shown]
	s_waitcnt vmcnt(23) lgkmcnt(13)
	v_mul_f64 v[170:171], v[184:185], v[114:115]
	v_fmac_f64_e32 v[168:169], v[202:203], v[108:109]
	v_add_f64 v[0:1], v[0:1], v[166:167]
	s_waitcnt vmcnt(22) lgkmcnt(12)
	v_mul_f64 v[176:177], v[156:157], v[118:119]
	v_fmac_f64_e32 v[170:171], v[186:187], v[112:113]
	v_add_f64 v[0:1], v[0:1], v[168:169]
	;; [unrolled: 4-line block ×10, first 2 shown]
	v_fmac_f64_e32 v[224:225], v[34:35], v[12:13]
	v_add_f64 v[0:1], v[0:1], v[222:223]
	ds_read_b128 v[220:223], v2 offset:1568
	v_add_f64 v[0:1], v[0:1], v[224:225]
	ds_read_b128 v[224:227], v2 offset:1584
	s_waitcnt vmcnt(13) lgkmcnt(5)
	v_mul_f64 v[164:165], v[48:49], v[18:19]
	scratch_load_dwordx4 v[152:155], off, off offset:800
	v_fmac_f64_e32 v[164:165], v[50:51], v[16:17]
	s_waitcnt vmcnt(13) lgkmcnt(4)
	v_mul_f64 v[168:169], v[140:141], v[22:23]
	v_add_f64 v[0:1], v[0:1], v[164:165]
	v_fmac_f64_e32 v[168:169], v[142:143], v[20:21]
	scratch_load_dwordx4 v[164:167], off, off offset:816
	v_add_f64 v[0:1], v[0:1], v[168:169]
	s_waitcnt vmcnt(13) lgkmcnt(1)
	v_mul_f64 v[176:177], v[220:221], v[26:27]
	scratch_load_dwordx4 v[168:171], off, off offset:832
	v_fmac_f64_e32 v[176:177], v[222:223], v[24:25]
	s_waitcnt vmcnt(13) lgkmcnt(0)
	v_mul_f64 v[188:189], v[224:225], v[30:31]
	v_add_f64 v[0:1], v[0:1], v[176:177]
	scratch_load_dwordx4 v[176:179], off, off offset:848
	v_fmac_f64_e32 v[188:189], v[226:227], v[28:29]
	v_add_f64 v[0:1], v[0:1], v[188:189]
	s_waitcnt vmcnt(13)
	v_mul_f64 v[188:189], v[228:229], v[38:39]
	v_fmac_f64_e32 v[188:189], v[230:231], v[36:37]
	v_add_f64 v[0:1], v[0:1], v[188:189]
	scratch_load_dwordx4 v[188:191], off, off offset:864
	s_waitcnt vmcnt(13)
	v_mul_f64 v[192:193], v[232:233], v[54:55]
	v_fmac_f64_e32 v[192:193], v[234:235], v[52:53]
	v_mul_f64 v[90:91], v[214:215], v[90:91]
	v_add_f64 v[0:1], v[0:1], v[192:193]
	scratch_load_dwordx4 v[192:195], off, off offset:880
	v_fma_f64 v[240:241], v[212:213], v[88:89], -v[90:91]
	v_mul_f64 v[88:89], v[206:207], v[94:95]
	ds_read_b128 v[236:239], v2 offset:1632
	ds_read_b128 v[212:215], v2 offset:1648
	v_fma_f64 v[242:243], v[204:205], v[92:93], -v[88:89]
	scratch_load_dwordx4 v[92:95], off, off offset:896
	scratch_load_dwordx4 v[88:91], off, off offset:912
	v_mul_f64 v[98:99], v[198:199], v[98:99]
	v_fma_f64 v[244:245], v[196:197], v[96:97], -v[98:99]
	scratch_load_dwordx4 v[96:99], off, off offset:928
	s_waitcnt vmcnt(16) lgkmcnt(1)
	v_mul_f64 v[204:205], v[236:237], v[58:59]
	v_mul_f64 v[102:103], v[218:219], v[102:103]
	v_fmac_f64_e32 v[204:205], v[238:239], v[56:57]
	v_fma_f64 v[216:217], v[216:217], v[100:101], -v[102:103]
	ds_read_b128 v[100:103], v2 offset:1664
	s_waitcnt vmcnt(15) lgkmcnt(1)
	v_mul_f64 v[196:197], v[212:213], v[62:63]
	v_add_f64 v[0:1], v[0:1], v[204:205]
	v_fmac_f64_e32 v[196:197], v[214:215], v[60:61]
	v_add_f64 v[0:1], v[0:1], v[196:197]
	ds_read_b128 v[196:199], v2 offset:1680
	v_mul_f64 v[106:107], v[210:211], v[106:107]
	v_fma_f64 v[218:219], v[208:209], v[104:105], -v[106:107]
	ds_read_b128 v[104:107], v2 offset:1696
	s_waitcnt vmcnt(14) lgkmcnt(2)
	v_mul_f64 v[204:205], v[100:101], v[66:67]
	v_fmac_f64_e32 v[204:205], v[102:103], v[64:65]
	v_add_f64 v[0:1], v[0:1], v[204:205]
	s_waitcnt vmcnt(13) lgkmcnt(1)
	v_mul_f64 v[204:205], v[196:197], v[70:71]
	v_mul_f64 v[110:111], v[202:203], v[110:111]
	v_fmac_f64_e32 v[204:205], v[198:199], v[68:69]
	v_fma_f64 v[246:247], v[200:201], v[108:109], -v[110:111]
	ds_read_b128 v[108:111], v2 offset:1712
	s_waitcnt vmcnt(12) lgkmcnt(1)
	v_mul_f64 v[200:201], v[104:105], v[74:75]
	v_add_f64 v[0:1], v[0:1], v[204:205]
	v_fmac_f64_e32 v[200:201], v[106:107], v[72:73]
	v_add_f64 v[0:1], v[0:1], v[200:201]
	ds_read_b128 v[200:203], v2 offset:1728
	v_mul_f64 v[114:115], v[186:187], v[114:115]
	v_fma_f64 v[248:249], v[184:185], v[112:113], -v[114:115]
	ds_read_b128 v[112:115], v2 offset:1744
	s_waitcnt vmcnt(11) lgkmcnt(2)
	v_mul_f64 v[184:185], v[108:109], v[78:79]
	v_fmac_f64_e32 v[184:185], v[110:111], v[76:77]
	v_add_f64 v[0:1], v[0:1], v[184:185]
	s_waitcnt vmcnt(10) lgkmcnt(1)
	v_mul_f64 v[184:185], v[200:201], v[82:83]
	v_mul_f64 v[118:119], v[158:159], v[118:119]
	v_fmac_f64_e32 v[184:185], v[202:203], v[80:81]
	v_fma_f64 v[254:255], v[156:157], v[116:117], -v[118:119]
	s_waitcnt vmcnt(9) lgkmcnt(0)
	v_mul_f64 v[156:157], v[112:113], v[86:87]
	v_add_f64 v[0:1], v[0:1], v[184:185]
	ds_read_b128 v[116:119], v2 offset:1760
	v_fmac_f64_e32 v[156:157], v[114:115], v[84:85]
	v_add_f64 v[0:1], v[0:1], v[156:157]
	ds_read_b128 v[156:159], v2 offset:1776
	v_mul_f64 v[122:123], v[182:183], v[122:123]
	v_fma_f64 v[250:251], v[180:181], v[120:121], -v[122:123]
	ds_read_b128 v[120:123], v2 offset:1792
	v_accvgpr_write_b32 a127, v7
	v_mul_f64 v[126:127], v[162:163], v[126:127]
	v_accvgpr_write_b32 a126, v6
	v_accvgpr_write_b32 a125, v5
	;; [unrolled: 1-line block ×3, first 2 shown]
	v_fma_f64 v[4:5], v[160:161], v[124:125], -v[126:127]
	ds_read_b128 v[124:127], v2 offset:1808
	s_waitcnt vmcnt(8) lgkmcnt(3)
	v_mul_f64 v[184:185], v[116:117], v[154:155]
	v_fmac_f64_e32 v[184:185], v[118:119], v[152:153]
	s_waitcnt vmcnt(7) lgkmcnt(2)
	v_mul_f64 v[180:181], v[156:157], v[166:167]
	v_add_f64 v[0:1], v[0:1], v[184:185]
	v_fmac_f64_e32 v[180:181], v[158:159], v[164:165]
	s_waitcnt vmcnt(6) lgkmcnt(1)
	v_mul_f64 v[6:7], v[120:121], v[170:171]
	ds_read_b128 v[160:163], v2 offset:1824
	v_add_f64 v[0:1], v[0:1], v[180:181]
	v_fmac_f64_e32 v[6:7], v[122:123], v[168:169]
	v_add_f64 v[0:1], v[0:1], v[6:7]
	s_waitcnt vmcnt(5) lgkmcnt(1)
	v_mul_f64 v[6:7], v[124:125], v[178:179]
	v_fmac_f64_e32 v[6:7], v[126:127], v[176:177]
	v_add_f64 v[0:1], v[0:1], v[6:7]
	v_mul_f64 v[6:7], v[146:147], v[130:131]
	v_fma_f64 v[6:7], v[144:145], v[128:129], -v[6:7]
	ds_read_b128 v[128:131], v2 offset:1840
	s_waitcnt vmcnt(4) lgkmcnt(1)
	v_mul_f64 v[144:145], v[160:161], v[190:191]
	v_fmac_f64_e32 v[144:145], v[162:163], v[188:189]
	v_add_f64 v[180:181], v[0:1], v[144:145]
	v_mul_f64 v[0:1], v[174:175], v[134:135]
	v_fma_f64 v[0:1], v[172:173], v[132:133], -v[0:1]
	ds_read_b128 v[132:135], v2 offset:1856
	ds_read_b128 v[144:147], v2 offset:1872
	v_mul_f64 v[138:139], v[150:151], v[138:139]
	v_fma_f64 v[252:253], v[148:149], v[136:137], -v[138:139]
	ds_read_b128 v[136:139], v2 offset:1888
	s_waitcnt vmcnt(3) lgkmcnt(3)
	v_mul_f64 v[172:173], v[128:129], v[194:195]
	v_fmac_f64_e32 v[172:173], v[130:131], v[192:193]
	s_waitcnt vmcnt(2) lgkmcnt(2)
	v_mul_f64 v[148:149], v[132:133], v[94:95]
	v_add_f64 v[172:173], v[180:181], v[172:173]
	v_fmac_f64_e32 v[148:149], v[134:135], v[92:93]
	s_waitcnt vmcnt(1) lgkmcnt(1)
	v_mul_f64 v[150:151], v[144:145], v[90:91]
	v_add_f64 v[148:149], v[172:173], v[148:149]
	v_fmac_f64_e32 v[150:151], v[146:147], v[88:89]
	v_add_f64 v[148:149], v[148:149], v[150:151]
	ds_read_b128 v[172:175], v2 offset:1904
	scratch_load_dwordx4 v[208:211], off, off offset:976
	s_waitcnt vmcnt(1) lgkmcnt(1)
	v_mul_f64 v[150:151], v[136:137], v[98:99]
	v_fmac_f64_e32 v[150:151], v[138:139], v[96:97]
	v_add_f64 v[180:181], v[148:149], v[150:151]
	scratch_load_dwordx4 v[148:151], off, off offset:944
	ds_read_b128 v[184:187], v2 offset:1920
	v_accvgpr_write_b32 a129, v1
	v_accvgpr_write_b32 a128, v0
	s_waitcnt vmcnt(0) lgkmcnt(1)
	v_mul_f64 v[182:183], v[172:173], v[150:151]
	v_fmac_f64_e32 v[182:183], v[174:175], v[148:149]
	v_add_f64 v[204:205], v[180:181], v[182:183]
	scratch_load_dwordx4 v[180:183], off, off offset:960
	s_waitcnt vmcnt(0) lgkmcnt(0)
	v_mul_f64 v[206:207], v[184:185], v[182:183]
	v_fmac_f64_e32 v[206:207], v[186:187], v[180:181]
	v_add_f64 v[0:1], v[204:205], v[206:207]
	ds_read_b128 v[204:207], v2 offset:1936
	s_waitcnt lgkmcnt(0)
	v_mul_f64 v[2:3], v[204:205], v[210:211]
	v_fmac_f64_e32 v[2:3], v[206:207], v[208:209]
	v_add_f64 v[2:3], v[0:1], v[2:3]
	v_add_f64 v[0:1], v[240:241], 0
	;; [unrolled: 1-line block ×6, first 2 shown]
	scratch_load_dwordx4 v[216:219], off, off offset:304
	v_add_f64 v[0:1], v[0:1], v[246:247]
	v_add_f64 v[0:1], v[0:1], v[248:249]
	;; [unrolled: 1-line block ×6, first 2 shown]
	v_accvgpr_read_b32 v0, a128
	v_accvgpr_read_b32 v243, a127
	;; [unrolled: 1-line block ×4, first 2 shown]
	v_add_f64 v[0:1], v[254:255], v[0:1]
	v_accvgpr_read_b32 v241, a125
	v_accvgpr_read_b32 v240, a124
	v_mul_f64 v[4:5], v[46:47], v[242:243]
	v_add_f64 v[0:1], v[0:1], v[252:253]
	v_fma_f64 v[4:5], v[44:45], v[240:241], -v[4:5]
	v_add_f64 v[0:1], v[0:1], v[4:5]
	v_mul_f64 v[4:5], v[42:43], v[10:11]
	v_fma_f64 v[4:5], v[40:41], v[8:9], -v[4:5]
	v_add_f64 v[0:1], v[0:1], v[4:5]
	v_mul_f64 v[4:5], v[34:35], v[14:15]
	;; [unrolled: 3-line block ×28, first 2 shown]
	v_fma_f64 v[4:5], v[204:205], v[208:209], -v[4:5]
	v_add_f64 v[0:1], v[0:1], v[4:5]
	s_waitcnt vmcnt(0)
	v_add_f64 v[4:5], v[216:217], -v[0:1]
	v_accvgpr_read_b32 v0, a122
	v_add_f64 v[6:7], v[218:219], -v[2:3]
	v_cmp_lt_u32_e32 vcc, 17, v0
	scratch_store_dwordx4 off, v[4:7], off offset:304
	s_and_saveexec_b64 s[0:1], vcc
	s_cbranch_execz .LBB60_357
; %bb.356:
	scratch_load_dwordx4 v[2:5], off, s43
	v_mov_b32_e32 v6, 0
	v_mov_b32_e32 v7, v6
	;; [unrolled: 1-line block ×4, first 2 shown]
	v_accvgpr_read_b32 v0, a123
	scratch_store_dwordx4 off, v[6:9], off offset:288
	s_waitcnt vmcnt(1)
	ds_write_b128 v0, v[2:5]
.LBB60_357:
	s_or_b64 exec, exec, s[0:1]
	s_waitcnt lgkmcnt(0)
	; wave barrier
	scratch_load_dwordx4 v[96:99], off, off offset:304
	scratch_load_dwordx4 v[100:103], off, off offset:320
	;; [unrolled: 1-line block ×30, first 2 shown]
	v_mov_b32_e32 v2, 0
	ds_read_b128 v[136:139], v2 offset:1264
	ds_read_b128 v[144:147], v2 offset:1280
	;; [unrolled: 1-line block ×20, first 2 shown]
	s_waitcnt vmcnt(29) lgkmcnt(14)
	v_mul_f64 v[0:1], v[136:137], v[98:99]
	s_waitcnt vmcnt(28)
	v_mul_f64 v[72:73], v[144:145], v[102:103]
	v_fmac_f64_e32 v[0:1], v[138:139], v[96:97]
	s_waitcnt vmcnt(27)
	v_mul_f64 v[74:75], v[148:149], v[106:107]
	v_fmac_f64_e32 v[72:73], v[146:147], v[100:101]
	v_add_f64 v[0:1], v[0:1], 0
	s_waitcnt vmcnt(26)
	v_mul_f64 v[76:77], v[164:165], v[110:111]
	v_fmac_f64_e32 v[74:75], v[150:151], v[104:105]
	v_add_f64 v[0:1], v[0:1], v[72:73]
	s_waitcnt vmcnt(25)
	v_mul_f64 v[78:79], v[176:177], v[114:115]
	v_fmac_f64_e32 v[76:77], v[166:167], v[108:109]
	v_add_f64 v[0:1], v[0:1], v[74:75]
	s_waitcnt vmcnt(24)
	v_mul_f64 v[80:81], v[188:189], v[154:155]
	v_fmac_f64_e32 v[78:79], v[178:179], v[112:113]
	v_add_f64 v[0:1], v[0:1], v[76:77]
	s_waitcnt vmcnt(23) lgkmcnt(13)
	v_mul_f64 v[82:83], v[200:201], v[158:159]
	v_fmac_f64_e32 v[80:81], v[190:191], v[152:153]
	v_add_f64 v[0:1], v[0:1], v[78:79]
	s_waitcnt vmcnt(22) lgkmcnt(12)
	v_mul_f64 v[84:85], v[208:209], v[162:163]
	v_fmac_f64_e32 v[82:83], v[202:203], v[156:157]
	v_add_f64 v[0:1], v[0:1], v[80:81]
	;; [unrolled: 4-line block ×9, first 2 shown]
	s_waitcnt vmcnt(14) lgkmcnt(4)
	v_mul_f64 v[120:121], v[68:69], v[6:7]
	v_fmac_f64_e32 v[118:119], v[252:253], v[204:205]
	v_accvgpr_write_b32 a127, v7
	v_add_f64 v[0:1], v[0:1], v[116:117]
	v_fmac_f64_e32 v[120:121], v[70:71], v[4:5]
	v_accvgpr_write_b32 a126, v6
	v_accvgpr_write_b32 a125, v5
	;; [unrolled: 1-line block ×3, first 2 shown]
	v_add_f64 v[0:1], v[0:1], v[118:119]
	ds_read_b128 v[116:119], v2 offset:1536
	s_waitcnt vmcnt(13)
	v_mov_b64_e32 v[4:5], v[8:9]
	v_mov_b64_e32 v[6:7], v[10:11]
	s_waitcnt lgkmcnt(4)
	v_mul_f64 v[76:77], v[64:65], v[6:7]
	scratch_load_dwordx4 v[72:75], off, off offset:784
	v_add_f64 v[0:1], v[0:1], v[120:121]
	v_fmac_f64_e32 v[76:77], v[66:67], v[4:5]
	v_add_f64 v[0:1], v[0:1], v[76:77]
	scratch_load_dwordx4 v[76:79], off, off offset:800
	ds_read_b128 v[120:123], v2 offset:1552
	s_waitcnt vmcnt(14) lgkmcnt(1)
	v_mul_f64 v[80:81], v[116:117], v[236:237]
	v_fmac_f64_e32 v[80:81], v[118:119], v[234:235]
	v_add_f64 v[0:1], v[0:1], v[80:81]
	scratch_load_dwordx4 v[80:83], off, off offset:816
	s_waitcnt vmcnt(14) lgkmcnt(0)
	v_mul_f64 v[84:85], v[120:121], v[18:19]
	v_fmac_f64_e32 v[84:85], v[122:123], v[16:17]
	s_waitcnt vmcnt(13)
	v_mul_f64 v[88:89], v[124:125], v[22:23]
	v_add_f64 v[0:1], v[0:1], v[84:85]
	v_fmac_f64_e32 v[88:89], v[126:127], v[20:21]
	scratch_load_dwordx4 v[84:87], off, off offset:832
	v_add_f64 v[0:1], v[0:1], v[88:89]
	s_waitcnt vmcnt(13)
	v_mul_f64 v[88:89], v[128:129], v[26:27]
	v_fmac_f64_e32 v[88:89], v[130:131], v[24:25]
	v_add_f64 v[0:1], v[0:1], v[88:89]
	scratch_load_dwordx4 v[88:91], off, off offset:848
	s_waitcnt vmcnt(13)
	v_mul_f64 v[92:93], v[132:133], v[30:31]
	v_fmac_f64_e32 v[92:93], v[134:135], v[28:29]
	v_add_f64 v[0:1], v[0:1], v[92:93]
	scratch_load_dwordx4 v[92:95], off, off offset:864
	v_mul_f64 v[98:99], v[138:139], v[98:99]
	v_fma_f64 v[242:243], v[136:137], v[96:97], -v[98:99]
	v_mul_f64 v[96:97], v[146:147], v[102:103]
	ds_read_b128 v[140:143], v2 offset:1616
	ds_read_b128 v[136:139], v2 offset:1632
	v_fma_f64 v[244:245], v[144:145], v[100:101], -v[96:97]
	scratch_load_dwordx4 v[100:103], off, off offset:880
	scratch_load_dwordx4 v[96:99], off, off offset:896
	s_waitcnt vmcnt(15) lgkmcnt(1)
	v_mul_f64 v[144:145], v[140:141], v[34:35]
	v_fmac_f64_e32 v[144:145], v[142:143], v[32:33]
	v_mul_f64 v[106:107], v[150:151], v[106:107]
	v_add_f64 v[0:1], v[0:1], v[144:145]
	s_waitcnt vmcnt(14) lgkmcnt(0)
	v_mul_f64 v[144:145], v[136:137], v[38:39]
	v_fma_f64 v[246:247], v[148:149], v[104:105], -v[106:107]
	v_mul_f64 v[104:105], v[166:167], v[110:111]
	v_fmac_f64_e32 v[144:145], v[138:139], v[36:37]
	v_fma_f64 v[248:249], v[164:165], v[108:109], -v[104:105]
	scratch_load_dwordx4 v[104:107], off, off offset:912
	v_add_f64 v[0:1], v[0:1], v[144:145]
	ds_read_b128 v[144:147], v2 offset:1648
	ds_read_b128 v[148:151], v2 offset:1664
	v_mul_f64 v[108:109], v[178:179], v[114:115]
	v_fma_f64 v[254:255], v[176:177], v[112:113], -v[108:109]
	scratch_load_dwordx4 v[108:111], off, off offset:928
	s_waitcnt vmcnt(15) lgkmcnt(1)
	v_mul_f64 v[112:113], v[144:145], v[42:43]
	v_fmac_f64_e32 v[112:113], v[146:147], v[40:41]
	v_add_f64 v[0:1], v[0:1], v[112:113]
	v_mul_f64 v[112:113], v[190:191], v[154:155]
	v_fma_f64 v[232:233], v[188:189], v[152:153], -v[112:113]
	scratch_load_dwordx4 v[112:115], off, off offset:944
	ds_read_b128 v[152:155], v2 offset:1680
	s_waitcnt vmcnt(15) lgkmcnt(1)
	v_mul_f64 v[164:165], v[148:149], v[46:47]
	v_mul_f64 v[158:159], v[202:203], v[158:159]
	v_fmac_f64_e32 v[164:165], v[150:151], v[44:45]
	v_fma_f64 v[12:13], v[200:201], v[156:157], -v[158:159]
	ds_read_b128 v[156:159], v2 offset:1696
	s_waitcnt vmcnt(14) lgkmcnt(1)
	v_mul_f64 v[6:7], v[152:153], v[50:51]
	v_add_f64 v[0:1], v[0:1], v[164:165]
	v_fmac_f64_e32 v[6:7], v[154:155], v[48:49]
	v_accvgpr_write_b32 a131, v11
	v_add_f64 v[0:1], v[0:1], v[6:7]
	v_mul_f64 v[6:7], v[210:211], v[162:163]
	v_accvgpr_write_b32 a130, v10
	v_accvgpr_write_b32 a129, v9
	;; [unrolled: 1-line block ×3, first 2 shown]
	v_fma_f64 v[8:9], v[208:209], v[160:161], -v[6:7]
	ds_read_b128 v[160:163], v2 offset:1712
	ds_read_b128 v[164:167], v2 offset:1728
	s_waitcnt vmcnt(13) lgkmcnt(2)
	v_mul_f64 v[6:7], v[156:157], v[54:55]
	v_fmac_f64_e32 v[6:7], v[158:159], v[52:53]
	v_add_f64 v[0:1], v[0:1], v[6:7]
	s_waitcnt vmcnt(12) lgkmcnt(1)
	v_mul_f64 v[6:7], v[160:161], v[62:63]
	v_fmac_f64_e32 v[6:7], v[162:163], v[60:61]
	v_add_f64 v[0:1], v[0:1], v[6:7]
	v_mul_f64 v[6:7], v[214:215], v[170:171]
	v_fma_f64 v[10:11], v[212:213], v[168:169], -v[6:7]
	s_waitcnt vmcnt(11) lgkmcnt(0)
	v_mul_f64 v[6:7], v[164:165], v[58:59]
	v_fmac_f64_e32 v[6:7], v[166:167], v[56:57]
	ds_read_b128 v[168:171], v2 offset:1744
	v_add_f64 v[0:1], v[0:1], v[6:7]
	v_mul_f64 v[6:7], v[218:219], v[174:175]
	v_fma_f64 v[4:5], v[216:217], v[172:173], -v[6:7]
	ds_read_b128 v[172:175], v2 offset:1760
	s_waitcnt vmcnt(10) lgkmcnt(1)
	v_mul_f64 v[6:7], v[168:169], v[74:75]
	ds_read_b128 v[176:179], v2 offset:1776
	v_fmac_f64_e32 v[6:7], v[170:171], v[72:73]
	v_add_f64 v[0:1], v[0:1], v[6:7]
	s_waitcnt vmcnt(9) lgkmcnt(1)
	v_mul_f64 v[6:7], v[172:173], v[78:79]
	v_fmac_f64_e32 v[6:7], v[174:175], v[76:77]
	v_add_f64 v[0:1], v[0:1], v[6:7]
	v_mul_f64 v[6:7], v[222:223], v[182:183]
	v_fma_f64 v[14:15], v[220:221], v[180:181], -v[6:7]
	ds_read_b128 v[180:183], v2 offset:1792
	s_waitcnt vmcnt(8) lgkmcnt(1)
	v_mul_f64 v[6:7], v[176:177], v[82:83]
	v_fmac_f64_e32 v[6:7], v[178:179], v[80:81]
	v_add_f64 v[0:1], v[0:1], v[6:7]
	v_mul_f64 v[6:7], v[226:227], v[186:187]
	v_fma_f64 v[6:7], v[224:225], v[184:185], -v[6:7]
	ds_read_b128 v[184:187], v2 offset:1808
	s_waitcnt vmcnt(7) lgkmcnt(1)
	v_mul_f64 v[188:189], v[180:181], v[86:87]
	v_fmac_f64_e32 v[188:189], v[182:183], v[84:85]
	v_add_f64 v[0:1], v[0:1], v[188:189]
	ds_read_b128 v[188:191], v2 offset:1824
	s_waitcnt vmcnt(6) lgkmcnt(1)
	v_mul_f64 v[200:201], v[184:185], v[90:91]
	v_fmac_f64_e32 v[200:201], v[186:187], v[88:89]
	v_add_f64 v[200:201], v[0:1], v[200:201]
	v_mul_f64 v[0:1], v[230:231], v[194:195]
	v_fma_f64 v[0:1], v[228:229], v[192:193], -v[0:1]
	ds_read_b128 v[192:195], v2 offset:1840
	s_waitcnt vmcnt(5) lgkmcnt(1)
	v_mul_f64 v[202:203], v[188:189], v[94:95]
	v_fmac_f64_e32 v[202:203], v[190:191], v[92:93]
	v_mul_f64 v[198:199], v[240:241], v[198:199]
	v_fma_f64 v[238:239], v[238:239], v[196:197], -v[198:199]
	ds_read_b128 v[196:199], v2 offset:1856
	v_add_f64 v[200:201], v[200:201], v[202:203]
	s_waitcnt vmcnt(4) lgkmcnt(1)
	v_mul_f64 v[202:203], v[192:193], v[102:103]
	v_fmac_f64_e32 v[202:203], v[194:195], v[100:101]
	v_add_f64 v[208:209], v[200:201], v[202:203]
	ds_read_b128 v[200:203], v2 offset:1872
	v_mul_f64 v[206:207], v[252:253], v[206:207]
	v_fma_f64 v[250:251], v[250:251], v[204:205], -v[206:207]
	ds_read_b128 v[204:207], v2 offset:1888
	s_waitcnt vmcnt(3) lgkmcnt(2)
	v_mul_f64 v[210:211], v[196:197], v[98:99]
	v_fmac_f64_e32 v[210:211], v[198:199], v[96:97]
	v_add_f64 v[208:209], v[208:209], v[210:211]
	s_waitcnt vmcnt(2) lgkmcnt(1)
	v_mul_f64 v[210:211], v[200:201], v[106:107]
	v_fmac_f64_e32 v[210:211], v[202:203], v[104:105]
	v_add_f64 v[208:209], v[208:209], v[210:211]
	;; [unrolled: 4-line block ×3, first 2 shown]
	ds_read_b128 v[208:211], v2 offset:1904
	ds_read_b128 v[216:219], v2 offset:1920
	;; [unrolled: 1-line block ×3, first 2 shown]
	s_waitcnt vmcnt(0) lgkmcnt(2)
	v_mul_f64 v[214:215], v[208:209], v[114:115]
	v_fmac_f64_e32 v[214:215], v[210:211], v[112:113]
	v_add_f64 v[220:221], v[212:213], v[214:215]
	scratch_load_dwordx4 v[212:215], off, off offset:960
	s_waitcnt vmcnt(0) lgkmcnt(1)
	v_mul_f64 v[222:223], v[216:217], v[214:215]
	v_fmac_f64_e32 v[222:223], v[218:219], v[212:213]
	v_add_f64 v[228:229], v[220:221], v[222:223]
	scratch_load_dwordx4 v[220:223], off, off offset:976
	s_waitcnt vmcnt(0) lgkmcnt(0)
	v_mul_f64 v[230:231], v[224:225], v[222:223]
	v_fmac_f64_e32 v[230:231], v[226:227], v[220:221]
	v_add_f64 v[240:241], v[228:229], v[230:231]
	v_add_f64 v[228:229], v[242:243], 0
	;; [unrolled: 1-line block ×8, first 2 shown]
	scratch_load_dwordx4 v[228:231], off, off offset:288
	v_add_f64 v[8:9], v[12:13], v[8:9]
	v_add_f64 v[8:9], v[8:9], v[10:11]
	;; [unrolled: 1-line block ×5, first 2 shown]
	v_accvgpr_read_b32 v6, a124
	v_accvgpr_read_b32 v8, a126
	;; [unrolled: 1-line block ×3, first 2 shown]
	v_add_f64 v[0:1], v[4:5], v[0:1]
	v_accvgpr_read_b32 v7, a125
	v_mul_f64 v[4:5], v[70:71], v[8:9]
	v_add_f64 v[0:1], v[0:1], v[238:239]
	v_fma_f64 v[4:5], v[68:69], v[6:7], -v[4:5]
	v_accvgpr_read_b32 v6, a128
	v_add_f64 v[0:1], v[0:1], v[250:251]
	v_accvgpr_read_b32 v8, a130
	v_accvgpr_read_b32 v9, a131
	v_add_f64 v[0:1], v[0:1], v[4:5]
	v_accvgpr_read_b32 v7, a129
	v_mul_f64 v[4:5], v[66:67], v[8:9]
	v_fma_f64 v[4:5], v[64:65], v[6:7], -v[4:5]
	v_add_f64 v[0:1], v[0:1], v[4:5]
	v_mul_f64 v[4:5], v[118:119], v[236:237]
	v_fma_f64 v[4:5], v[116:117], v[234:235], -v[4:5]
	v_add_f64 v[0:1], v[0:1], v[4:5]
	v_mul_f64 v[4:5], v[122:123], v[18:19]
	v_fma_f64 v[4:5], v[120:121], v[16:17], -v[4:5]
	v_add_f64 v[0:1], v[0:1], v[4:5]
	v_mul_f64 v[4:5], v[126:127], v[22:23]
	v_fma_f64 v[4:5], v[124:125], v[20:21], -v[4:5]
	v_add_f64 v[0:1], v[0:1], v[4:5]
	v_mul_f64 v[4:5], v[130:131], v[26:27]
	v_fma_f64 v[4:5], v[128:129], v[24:25], -v[4:5]
	v_add_f64 v[0:1], v[0:1], v[4:5]
	v_mul_f64 v[4:5], v[134:135], v[30:31]
	v_fma_f64 v[4:5], v[132:133], v[28:29], -v[4:5]
	v_add_f64 v[0:1], v[0:1], v[4:5]
	v_mul_f64 v[4:5], v[142:143], v[34:35]
	v_fma_f64 v[4:5], v[140:141], v[32:33], -v[4:5]
	v_add_f64 v[0:1], v[0:1], v[4:5]
	v_mul_f64 v[4:5], v[138:139], v[38:39]
	v_fma_f64 v[4:5], v[136:137], v[36:37], -v[4:5]
	v_add_f64 v[0:1], v[0:1], v[4:5]
	v_mul_f64 v[4:5], v[146:147], v[42:43]
	v_fma_f64 v[4:5], v[144:145], v[40:41], -v[4:5]
	v_add_f64 v[0:1], v[0:1], v[4:5]
	v_mul_f64 v[4:5], v[150:151], v[46:47]
	v_fma_f64 v[4:5], v[148:149], v[44:45], -v[4:5]
	v_add_f64 v[0:1], v[0:1], v[4:5]
	v_mul_f64 v[4:5], v[154:155], v[50:51]
	v_fma_f64 v[4:5], v[152:153], v[48:49], -v[4:5]
	v_add_f64 v[0:1], v[0:1], v[4:5]
	v_mul_f64 v[4:5], v[158:159], v[54:55]
	v_fma_f64 v[4:5], v[156:157], v[52:53], -v[4:5]
	v_add_f64 v[0:1], v[0:1], v[4:5]
	v_mul_f64 v[4:5], v[162:163], v[62:63]
	v_fma_f64 v[4:5], v[160:161], v[60:61], -v[4:5]
	v_add_f64 v[0:1], v[0:1], v[4:5]
	v_mul_f64 v[4:5], v[166:167], v[58:59]
	v_fma_f64 v[4:5], v[164:165], v[56:57], -v[4:5]
	v_add_f64 v[0:1], v[0:1], v[4:5]
	v_mul_f64 v[4:5], v[170:171], v[74:75]
	v_fma_f64 v[4:5], v[168:169], v[72:73], -v[4:5]
	v_add_f64 v[0:1], v[0:1], v[4:5]
	v_mul_f64 v[4:5], v[174:175], v[78:79]
	v_fma_f64 v[4:5], v[172:173], v[76:77], -v[4:5]
	v_add_f64 v[0:1], v[0:1], v[4:5]
	v_mul_f64 v[4:5], v[178:179], v[82:83]
	v_fma_f64 v[4:5], v[176:177], v[80:81], -v[4:5]
	v_add_f64 v[0:1], v[0:1], v[4:5]
	v_mul_f64 v[4:5], v[182:183], v[86:87]
	v_fma_f64 v[4:5], v[180:181], v[84:85], -v[4:5]
	v_add_f64 v[0:1], v[0:1], v[4:5]
	v_mul_f64 v[4:5], v[186:187], v[90:91]
	v_fma_f64 v[4:5], v[184:185], v[88:89], -v[4:5]
	v_add_f64 v[0:1], v[0:1], v[4:5]
	v_mul_f64 v[4:5], v[190:191], v[94:95]
	v_fma_f64 v[4:5], v[188:189], v[92:93], -v[4:5]
	v_add_f64 v[0:1], v[0:1], v[4:5]
	v_mul_f64 v[4:5], v[194:195], v[102:103]
	v_fma_f64 v[4:5], v[192:193], v[100:101], -v[4:5]
	v_add_f64 v[0:1], v[0:1], v[4:5]
	v_mul_f64 v[4:5], v[198:199], v[98:99]
	v_fma_f64 v[4:5], v[196:197], v[96:97], -v[4:5]
	v_add_f64 v[0:1], v[0:1], v[4:5]
	v_mul_f64 v[4:5], v[202:203], v[106:107]
	v_fma_f64 v[4:5], v[200:201], v[104:105], -v[4:5]
	v_add_f64 v[0:1], v[0:1], v[4:5]
	v_mul_f64 v[4:5], v[206:207], v[110:111]
	v_fma_f64 v[4:5], v[204:205], v[108:109], -v[4:5]
	v_add_f64 v[0:1], v[0:1], v[4:5]
	v_mul_f64 v[4:5], v[210:211], v[114:115]
	v_fma_f64 v[4:5], v[208:209], v[112:113], -v[4:5]
	v_add_f64 v[0:1], v[0:1], v[4:5]
	v_mul_f64 v[4:5], v[218:219], v[214:215]
	v_fma_f64 v[4:5], v[216:217], v[212:213], -v[4:5]
	v_add_f64 v[0:1], v[0:1], v[4:5]
	v_mul_f64 v[4:5], v[226:227], v[222:223]
	v_fma_f64 v[4:5], v[224:225], v[220:221], -v[4:5]
	v_add_f64 v[0:1], v[0:1], v[4:5]
	s_waitcnt vmcnt(0)
	v_add_f64 v[4:5], v[228:229], -v[0:1]
	v_accvgpr_read_b32 v0, a122
	v_add_f64 v[6:7], v[230:231], -v[240:241]
	v_cmp_lt_u32_e32 vcc, 16, v0
	scratch_store_dwordx4 off, v[4:7], off offset:288
	s_and_saveexec_b64 s[0:1], vcc
	s_cbranch_execz .LBB60_359
; %bb.358:
	scratch_load_dwordx4 v[6:9], off, s42
	v_mov_b32_e32 v3, v2
	v_mov_b32_e32 v4, v2
	;; [unrolled: 1-line block ×3, first 2 shown]
	v_accvgpr_read_b32 v0, a123
	scratch_store_dwordx4 off, v[2:5], off offset:272
	s_waitcnt vmcnt(1)
	ds_write_b128 v0, v[6:9]
.LBB60_359:
	s_or_b64 exec, exec, s[0:1]
	s_waitcnt lgkmcnt(0)
	; wave barrier
	scratch_load_dwordx4 v[72:75], off, off offset:288
	scratch_load_dwordx4 v[76:79], off, off offset:304
	;; [unrolled: 1-line block ×17, first 2 shown]
	ds_read_b128 v[176:179], v2 offset:1248
	ds_read_b128 v[192:195], v2 offset:1264
	;; [unrolled: 1-line block ×3, first 2 shown]
	scratch_load_dwordx4 v[20:23], off, off offset:560
	ds_read_b128 v[236:239], v2 offset:1296
	ds_read_b128 v[232:235], v2 offset:1312
	;; [unrolled: 1-line block ×5, first 2 shown]
	scratch_load_dwordx4 v[168:171], off, off offset:576
	ds_read_b128 v[224:227], v2 offset:1376
	ds_read_b128 v[212:215], v2 offset:1392
	;; [unrolled: 1-line block ×3, first 2 shown]
	scratch_load_dwordx4 v[12:15], off, off offset:592
	ds_read_b128 v[216:219], v2 offset:1424
	ds_read_b128 v[204:207], v2 offset:1440
	ds_read_b128 v[196:199], v2 offset:1456
	ds_read_b128 v[184:187], v2 offset:1472
	ds_read_b128 v[16:19], v2 offset:1488
	scratch_load_dwordx4 v[28:31], off, off offset:608
	ds_read_b128 v[32:35], v2 offset:1504
	scratch_load_dwordx4 v[36:39], off, off offset:624
	scratch_load_dwordx4 v[40:43], off, off offset:640
	;; [unrolled: 1-line block ×9, first 2 shown]
	ds_read_b128 v[132:135], v2 offset:1520
	s_waitcnt lgkmcnt(2)
	v_accvgpr_write_b32 a131, v19
	v_accvgpr_write_b32 a130, v18
	;; [unrolled: 1-line block ×4, first 2 shown]
	ds_read_b128 v[172:175], v2 offset:1584
	s_waitcnt vmcnt(29)
	v_mul_f64 v[0:1], v[176:177], v[74:75]
	s_waitcnt vmcnt(28)
	v_mul_f64 v[136:137], v[192:193], v[78:79]
	v_fmac_f64_e32 v[0:1], v[178:179], v[72:73]
	s_waitcnt vmcnt(27)
	v_mul_f64 v[138:139], v[188:189], v[82:83]
	v_fmac_f64_e32 v[136:137], v[194:195], v[76:77]
	v_add_f64 v[0:1], v[0:1], 0
	s_waitcnt vmcnt(26)
	v_mul_f64 v[140:141], v[236:237], v[86:87]
	v_fmac_f64_e32 v[138:139], v[190:191], v[80:81]
	v_add_f64 v[0:1], v[0:1], v[136:137]
	;; [unrolled: 4-line block ×14, first 2 shown]
	v_fmac_f64_e32 v[164:165], v[18:19], v[4:5]
	v_add_f64 v[0:1], v[0:1], v[162:163]
	s_waitcnt vmcnt(13) lgkmcnt(2)
	v_mul_f64 v[140:141], v[32:33], v[26:27]
	scratch_load_dwordx4 v[136:139], off, off offset:768
	v_add_f64 v[0:1], v[0:1], v[164:165]
	v_fmac_f64_e32 v[140:141], v[34:35], v[24:25]
	v_add_f64 v[0:1], v[0:1], v[140:141]
	ds_read_b128 v[160:163], v2 offset:1536
	scratch_load_dwordx4 v[140:143], off, off offset:784
	ds_read_b128 v[164:167], v2 offset:1552
	s_waitcnt vmcnt(13)
	v_mov_b64_e32 v[16:17], v[168:169]
	v_mov_b64_e32 v[18:19], v[170:171]
	ds_read_b128 v[168:171], v2 offset:1568
	s_waitcnt lgkmcnt(4)
	v_mul_f64 v[144:145], v[132:133], v[22:23]
	v_fmac_f64_e32 v[144:145], v[134:135], v[20:21]
	s_waitcnt lgkmcnt(2)
	v_mul_f64 v[148:149], v[160:161], v[18:19]
	v_add_f64 v[0:1], v[0:1], v[144:145]
	v_fmac_f64_e32 v[148:149], v[162:163], v[16:17]
	s_waitcnt vmcnt(12) lgkmcnt(1)
	v_mul_f64 v[152:153], v[164:165], v[14:15]
	scratch_load_dwordx4 v[144:147], off, off offset:800
	v_add_f64 v[0:1], v[0:1], v[148:149]
	v_fmac_f64_e32 v[152:153], v[166:167], v[12:13]
	scratch_load_dwordx4 v[148:151], off, off offset:816
	v_add_f64 v[0:1], v[0:1], v[152:153]
	s_waitcnt vmcnt(13) lgkmcnt(0)
	v_mul_f64 v[152:153], v[168:169], v[30:31]
	v_fmac_f64_e32 v[152:153], v[170:171], v[28:29]
	v_add_f64 v[0:1], v[0:1], v[152:153]
	scratch_load_dwordx4 v[152:155], off, off offset:832
	s_waitcnt vmcnt(13)
	v_mul_f64 v[156:157], v[172:173], v[38:39]
	v_fmac_f64_e32 v[156:157], v[174:175], v[36:37]
	v_mul_f64 v[74:75], v[178:179], v[74:75]
	v_add_f64 v[0:1], v[0:1], v[156:157]
	scratch_load_dwordx4 v[156:159], off, off offset:848
	v_fma_f64 v[240:241], v[176:177], v[72:73], -v[74:75]
	v_mul_f64 v[72:73], v[194:195], v[78:79]
	ds_read_b128 v[180:183], v2 offset:1600
	ds_read_b128 v[176:179], v2 offset:1616
	v_fma_f64 v[242:243], v[192:193], v[76:77], -v[72:73]
	scratch_load_dwordx4 v[76:79], off, off offset:864
	scratch_load_dwordx4 v[72:75], off, off offset:880
	v_mul_f64 v[82:83], v[190:191], v[82:83]
	v_fma_f64 v[244:245], v[188:189], v[80:81], -v[82:83]
	v_mul_f64 v[80:81], v[238:239], v[86:87]
	v_fma_f64 v[236:237], v[236:237], v[84:85], -v[80:81]
	scratch_load_dwordx4 v[80:83], off, off offset:896
	ds_read_b128 v[188:191], v2 offset:1632
	v_mul_f64 v[84:85], v[234:235], v[90:91]
	s_waitcnt vmcnt(16) lgkmcnt(2)
	v_mul_f64 v[192:193], v[180:181], v[42:43]
	v_fma_f64 v[238:239], v[232:233], v[88:89], -v[84:85]
	scratch_load_dwordx4 v[84:87], off, off offset:912
	v_fmac_f64_e32 v[192:193], v[182:183], v[40:41]
	v_add_f64 v[0:1], v[0:1], v[192:193]
	s_waitcnt vmcnt(16) lgkmcnt(1)
	v_mul_f64 v[192:193], v[176:177], v[46:47]
	v_fmac_f64_e32 v[192:193], v[178:179], v[44:45]
	v_add_f64 v[0:1], v[0:1], v[192:193]
	ds_read_b128 v[192:195], v2 offset:1648
	s_waitcnt vmcnt(15) lgkmcnt(1)
	v_mul_f64 v[88:89], v[188:189], v[50:51]
	v_fmac_f64_e32 v[88:89], v[190:191], v[48:49]
	v_add_f64 v[0:1], v[0:1], v[88:89]
	v_mul_f64 v[88:89], v[230:231], v[94:95]
	v_fma_f64 v[246:247], v[228:229], v[92:93], -v[88:89]
	scratch_load_dwordx4 v[88:91], off, off offset:928
	scratch_load_dwordx4 v[232:235], off, off offset:976
	ds_read_b128 v[92:95], v2 offset:1664
	v_mul_f64 v[98:99], v[222:223], v[98:99]
	v_fma_f64 v[248:249], v[220:221], v[96:97], -v[98:99]
	ds_read_b128 v[96:99], v2 offset:1680
	v_mul_f64 v[102:103], v[210:211], v[102:103]
	s_waitcnt vmcnt(16) lgkmcnt(2)
	v_mul_f64 v[228:229], v[192:193], v[54:55]
	v_fma_f64 v[254:255], v[208:209], v[100:101], -v[102:103]
	ds_read_b128 v[100:103], v2 offset:1696
	ds_read_b128 v[208:211], v2 offset:1712
	v_fmac_f64_e32 v[228:229], v[194:195], v[52:53]
	s_waitcnt vmcnt(15) lgkmcnt(3)
	v_mul_f64 v[220:221], v[92:93], v[58:59]
	v_add_f64 v[0:1], v[0:1], v[228:229]
	v_fmac_f64_e32 v[220:221], v[94:95], v[56:57]
	v_mul_f64 v[106:107], v[226:227], v[106:107]
	v_add_f64 v[0:1], v[0:1], v[220:221]
	s_waitcnt vmcnt(14) lgkmcnt(2)
	v_mul_f64 v[220:221], v[96:97], v[62:63]
	v_fma_f64 v[250:251], v[224:225], v[104:105], -v[106:107]
	ds_read_b128 v[104:107], v2 offset:1728
	v_fmac_f64_e32 v[220:221], v[98:99], v[60:61]
	v_mul_f64 v[110:111], v[214:215], v[110:111]
	v_add_f64 v[0:1], v[0:1], v[220:221]
	s_waitcnt vmcnt(13) lgkmcnt(2)
	v_mul_f64 v[220:221], v[100:101], v[70:71]
	v_fma_f64 v[8:9], v[212:213], v[108:109], -v[110:111]
	ds_read_b128 v[108:111], v2 offset:1744
	v_fmac_f64_e32 v[220:221], v[102:103], v[68:69]
	v_accvgpr_write_b32 a127, v7
	v_add_f64 v[0:1], v[0:1], v[220:221]
	s_waitcnt vmcnt(12) lgkmcnt(2)
	v_mul_f64 v[220:221], v[208:209], v[66:67]
	v_accvgpr_write_b32 a126, v6
	v_accvgpr_write_b32 a125, v5
	;; [unrolled: 1-line block ×3, first 2 shown]
	v_fmac_f64_e32 v[220:221], v[210:211], v[64:65]
	s_waitcnt vmcnt(11) lgkmcnt(1)
	v_mul_f64 v[6:7], v[104:105], v[138:139]
	v_add_f64 v[0:1], v[0:1], v[220:221]
	v_fmac_f64_e32 v[6:7], v[106:107], v[136:137]
	v_add_f64 v[0:1], v[0:1], v[6:7]
	s_waitcnt vmcnt(10) lgkmcnt(0)
	v_mul_f64 v[6:7], v[108:109], v[142:143]
	v_fmac_f64_e32 v[6:7], v[110:111], v[140:141]
	ds_read_b128 v[212:215], v2 offset:1760
	v_add_f64 v[0:1], v[0:1], v[6:7]
	v_mul_f64 v[6:7], v[202:203], v[114:115]
	v_fma_f64 v[6:7], v[200:201], v[112:113], -v[6:7]
	ds_read_b128 v[112:115], v2 offset:1776
	v_mul_f64 v[118:119], v[218:219], v[118:119]
	v_fma_f64 v[4:5], v[216:217], v[116:117], -v[118:119]
	ds_read_b128 v[116:119], v2 offset:1792
	s_waitcnt vmcnt(9) lgkmcnt(2)
	v_mul_f64 v[200:201], v[212:213], v[146:147]
	v_fmac_f64_e32 v[200:201], v[214:215], v[144:145]
	s_waitcnt vmcnt(8) lgkmcnt(1)
	v_mul_f64 v[10:11], v[112:113], v[150:151]
	v_add_f64 v[0:1], v[0:1], v[200:201]
	v_fmac_f64_e32 v[10:11], v[114:115], v[148:149]
	v_add_f64 v[0:1], v[0:1], v[10:11]
	ds_read_b128 v[200:203], v2 offset:1808
	s_waitcnt vmcnt(7) lgkmcnt(1)
	v_mul_f64 v[10:11], v[116:117], v[154:155]
	v_fmac_f64_e32 v[10:11], v[118:119], v[152:153]
	v_add_f64 v[10:11], v[0:1], v[10:11]
	v_mul_f64 v[0:1], v[206:207], v[122:123]
	v_fma_f64 v[0:1], v[204:205], v[120:121], -v[0:1]
	ds_read_b128 v[120:123], v2 offset:1824
	v_mul_f64 v[126:127], v[198:199], v[126:127]
	v_fma_f64 v[124:125], v[196:197], v[124:125], -v[126:127]
	s_waitcnt vmcnt(6) lgkmcnt(1)
	v_mul_f64 v[204:205], v[200:201], v[158:159]
	v_accvgpr_write_b32 a133, v125
	v_fmac_f64_e32 v[204:205], v[202:203], v[156:157]
	v_accvgpr_write_b32 a132, v124
	ds_read_b128 v[124:127], v2 offset:1840
	s_waitcnt vmcnt(5) lgkmcnt(1)
	v_mul_f64 v[196:197], v[120:121], v[78:79]
	v_add_f64 v[10:11], v[10:11], v[204:205]
	v_fmac_f64_e32 v[196:197], v[122:123], v[76:77]
	v_add_f64 v[10:11], v[10:11], v[196:197]
	ds_read_b128 v[196:199], v2 offset:1856
	v_mul_f64 v[130:131], v[186:187], v[130:131]
	v_fma_f64 v[252:253], v[184:185], v[128:129], -v[130:131]
	ds_read_b128 v[128:131], v2 offset:1872
	s_waitcnt vmcnt(4) lgkmcnt(2)
	v_mul_f64 v[184:185], v[124:125], v[74:75]
	v_fmac_f64_e32 v[184:185], v[126:127], v[72:73]
	v_add_f64 v[10:11], v[10:11], v[184:185]
	s_waitcnt vmcnt(3) lgkmcnt(1)
	v_mul_f64 v[184:185], v[196:197], v[82:83]
	v_fmac_f64_e32 v[184:185], v[198:199], v[80:81]
	v_add_f64 v[10:11], v[10:11], v[184:185]
	s_waitcnt vmcnt(2) lgkmcnt(0)
	v_mul_f64 v[184:185], v[128:129], v[86:87]
	v_fmac_f64_e32 v[184:185], v[130:131], v[84:85]
	v_add_f64 v[10:11], v[10:11], v[184:185]
	ds_read_b128 v[184:187], v2 offset:1888
	ds_read_b128 v[216:219], v2 offset:1904
	;; [unrolled: 1-line block ×3, first 2 shown]
	s_waitcnt vmcnt(1) lgkmcnt(2)
	v_mul_f64 v[204:205], v[184:185], v[90:91]
	v_fmac_f64_e32 v[204:205], v[186:187], v[88:89]
	v_add_f64 v[10:11], v[10:11], v[204:205]
	scratch_load_dwordx4 v[204:207], off, off offset:944
	s_waitcnt vmcnt(0) lgkmcnt(1)
	v_mul_f64 v[220:221], v[216:217], v[206:207]
	v_fmac_f64_e32 v[220:221], v[218:219], v[204:205]
	v_add_f64 v[10:11], v[10:11], v[220:221]
	scratch_load_dwordx4 v[220:223], off, off offset:960
	s_waitcnt vmcnt(0) lgkmcnt(0)
	v_mul_f64 v[228:229], v[224:225], v[222:223]
	v_fmac_f64_e32 v[228:229], v[226:227], v[220:221]
	v_add_f64 v[10:11], v[10:11], v[228:229]
	ds_read_b128 v[228:231], v2 offset:1936
	s_waitcnt lgkmcnt(0)
	v_mul_f64 v[2:3], v[228:229], v[234:235]
	v_fmac_f64_e32 v[2:3], v[230:231], v[232:233]
	v_add_f64 v[2:3], v[10:11], v[2:3]
	v_add_f64 v[10:11], v[240:241], 0
	v_add_f64 v[10:11], v[10:11], v[242:243]
	v_add_f64 v[10:11], v[10:11], v[244:245]
	v_add_f64 v[10:11], v[10:11], v[236:237]
	v_add_f64 v[10:11], v[10:11], v[238:239]
	scratch_load_dwordx4 v[236:239], off, off offset:272
	v_add_f64 v[10:11], v[10:11], v[246:247]
	v_add_f64 v[10:11], v[10:11], v[248:249]
	v_add_f64 v[10:11], v[10:11], v[254:255]
	v_add_f64 v[10:11], v[10:11], v[250:251]
	v_add_f64 v[8:9], v[10:11], v[8:9]
	v_add_f64 v[6:7], v[8:9], v[6:7]
	v_add_f64 v[4:5], v[6:7], v[4:5]
	v_add_f64 v[254:255], v[4:5], v[0:1]
	v_accvgpr_read_b32 v0, a132
	v_accvgpr_read_b32 v6, a124
	;; [unrolled: 1-line block ×7, first 2 shown]
	v_add_f64 v[0:1], v[254:255], v[0:1]
	v_accvgpr_read_b32 v7, a125
	v_accvgpr_read_b32 v241, a129
	;; [unrolled: 1-line block ×3, first 2 shown]
	v_mul_f64 v[4:5], v[242:243], v[8:9]
	v_add_f64 v[0:1], v[0:1], v[252:253]
	v_fma_f64 v[4:5], v[240:241], v[6:7], -v[4:5]
	v_add_f64 v[0:1], v[0:1], v[4:5]
	v_mul_f64 v[4:5], v[34:35], v[26:27]
	v_fma_f64 v[4:5], v[32:33], v[24:25], -v[4:5]
	v_add_f64 v[0:1], v[0:1], v[4:5]
	v_mul_f64 v[4:5], v[134:135], v[22:23]
	;; [unrolled: 3-line block ×28, first 2 shown]
	v_fma_f64 v[4:5], v[228:229], v[232:233], -v[4:5]
	v_add_f64 v[0:1], v[0:1], v[4:5]
	s_waitcnt vmcnt(0)
	v_add_f64 v[4:5], v[236:237], -v[0:1]
	v_accvgpr_read_b32 v0, a122
	v_add_f64 v[6:7], v[238:239], -v[2:3]
	v_cmp_lt_u32_e32 vcc, 15, v0
	scratch_store_dwordx4 off, v[4:7], off offset:272
	s_and_saveexec_b64 s[0:1], vcc
	s_cbranch_execz .LBB60_361
; %bb.360:
	scratch_load_dwordx4 v[2:5], off, s41
	v_mov_b32_e32 v6, 0
	v_mov_b32_e32 v7, v6
	v_mov_b32_e32 v8, v6
	v_mov_b32_e32 v9, v6
	v_accvgpr_read_b32 v0, a123
	scratch_store_dwordx4 off, v[6:9], off offset:256
	s_waitcnt vmcnt(1)
	ds_write_b128 v0, v[2:5]
.LBB60_361:
	s_or_b64 exec, exec, s[0:1]
	s_waitcnt lgkmcnt(0)
	; wave barrier
	scratch_load_dwordx4 v[80:83], off, off offset:272
	scratch_load_dwordx4 v[84:87], off, off offset:288
	;; [unrolled: 1-line block ×29, first 2 shown]
	v_mov_b32_e32 v2, 0
	ds_read_b128 v[132:135], v2 offset:1232
	ds_read_b128 v[136:139], v2 offset:1248
	;; [unrolled: 1-line block ×22, first 2 shown]
	s_waitcnt vmcnt(28) lgkmcnt(14)
	v_mul_f64 v[0:1], v[132:133], v[82:83]
	s_waitcnt vmcnt(27)
	v_mul_f64 v[56:57], v[136:137], v[86:87]
	v_fmac_f64_e32 v[0:1], v[134:135], v[80:81]
	s_waitcnt vmcnt(26)
	v_mul_f64 v[58:59], v[140:141], v[90:91]
	v_fmac_f64_e32 v[56:57], v[138:139], v[84:85]
	v_add_f64 v[0:1], v[0:1], 0
	s_waitcnt vmcnt(25)
	v_mul_f64 v[60:61], v[148:149], v[94:95]
	v_fmac_f64_e32 v[58:59], v[142:143], v[88:89]
	v_add_f64 v[0:1], v[0:1], v[56:57]
	;; [unrolled: 4-line block ×6, first 2 shown]
	s_waitcnt vmcnt(20) lgkmcnt(13)
	v_mul_f64 v[70:71], v[204:205], v[154:155]
	v_fmac_f64_e32 v[68:69], v[198:199], v[144:145]
	v_add_f64 v[0:1], v[0:1], v[66:67]
	s_waitcnt vmcnt(19) lgkmcnt(12)
	v_mul_f64 v[72:73], v[208:209], v[158:159]
	v_fmac_f64_e32 v[70:71], v[206:207], v[152:153]
	v_add_f64 v[0:1], v[0:1], v[68:69]
	;; [unrolled: 4-line block ×8, first 2 shown]
	v_fmac_f64_e32 v[112:113], v[240:241], v[192:193]
	v_add_f64 v[0:1], v[0:1], v[110:111]
	s_waitcnt vmcnt(12) lgkmcnt(5)
	v_mul_f64 v[60:61], v[250:251], v[202:203]
	scratch_load_dwordx4 v[56:59], off, off offset:736
	ds_read_b128 v[108:111], v2 offset:1520
	v_add_f64 v[0:1], v[0:1], v[112:113]
	v_fmac_f64_e32 v[60:61], v[252:253], v[200:201]
	v_add_f64 v[0:1], v[0:1], v[60:61]
	s_waitcnt vmcnt(12) lgkmcnt(5)
	v_mul_f64 v[64:65], v[52:53], v[6:7]
	scratch_load_dwordx4 v[60:63], off, off offset:752
	v_accvgpr_write_b32 a127, v7
	v_fmac_f64_e32 v[64:65], v[54:55], v[4:5]
	v_accvgpr_write_b32 a126, v6
	v_accvgpr_write_b32 a125, v5
	;; [unrolled: 1-line block ×3, first 2 shown]
	ds_read_b128 v[112:115], v2 offset:1536
	s_waitcnt vmcnt(12)
	v_mov_b64_e32 v[4:5], v[8:9]
	v_mov_b64_e32 v[6:7], v[10:11]
	s_waitcnt lgkmcnt(1)
	v_mul_f64 v[68:69], v[108:109], v[6:7]
	v_fmac_f64_e32 v[68:69], v[110:111], v[4:5]
	s_waitcnt vmcnt(11)
	v_mov_b64_e32 v[4:5], v[12:13]
	v_add_f64 v[0:1], v[0:1], v[64:65]
	v_mov_b64_e32 v[6:7], v[14:15]
	scratch_load_dwordx4 v[64:67], off, off offset:768
	v_add_f64 v[0:1], v[0:1], v[68:69]
	s_waitcnt lgkmcnt(0)
	v_mul_f64 v[68:69], v[112:113], v[6:7]
	v_fmac_f64_e32 v[68:69], v[114:115], v[4:5]
	v_add_f64 v[0:1], v[0:1], v[68:69]
	scratch_load_dwordx4 v[68:71], off, off offset:784
	s_waitcnt vmcnt(12)
	v_mul_f64 v[76:77], v[116:117], v[236:237]
	scratch_load_dwordx4 v[72:75], off, off offset:800
	v_fmac_f64_e32 v[76:77], v[118:119], v[234:235]
	v_add_f64 v[0:1], v[0:1], v[76:77]
	s_waitcnt vmcnt(12)
	v_mul_f64 v[76:77], v[120:121], v[22:23]
	v_fmac_f64_e32 v[76:77], v[122:123], v[20:21]
	v_add_f64 v[0:1], v[0:1], v[76:77]
	scratch_load_dwordx4 v[76:79], off, off offset:816
	v_mul_f64 v[82:83], v[134:135], v[82:83]
	v_fma_f64 v[242:243], v[132:133], v[80:81], -v[82:83]
	scratch_load_dwordx4 v[80:83], off, off offset:832
	v_mul_f64 v[86:87], v[138:139], v[86:87]
	v_fma_f64 v[244:245], v[136:137], v[84:85], -v[86:87]
	scratch_load_dwordx4 v[84:87], off, off offset:848
	v_mul_f64 v[90:91], v[142:143], v[90:91]
	s_waitcnt vmcnt(14)
	v_mul_f64 v[132:133], v[124:125], v[26:27]
	v_fma_f64 v[246:247], v[140:141], v[88:89], -v[90:91]
	scratch_load_dwordx4 v[88:91], off, off offset:864
	v_fmac_f64_e32 v[132:133], v[126:127], v[24:25]
	s_waitcnt vmcnt(14)
	v_mul_f64 v[136:137], v[128:129], v[30:31]
	v_mul_f64 v[94:95], v[150:151], v[94:95]
	v_add_f64 v[0:1], v[0:1], v[132:133]
	v_fmac_f64_e32 v[136:137], v[130:131], v[28:29]
	v_fma_f64 v[248:249], v[148:149], v[92:93], -v[94:95]
	v_mul_f64 v[92:93], v[162:163], v[98:99]
	ds_read_b128 v[132:135], v2 offset:1616
	v_add_f64 v[0:1], v[0:1], v[136:137]
	ds_read_b128 v[136:139], v2 offset:1632
	v_fma_f64 v[254:255], v[160:161], v[96:97], -v[92:93]
	scratch_load_dwordx4 v[96:99], off, off offset:880
	scratch_load_dwordx4 v[92:95], off, off offset:896
	v_mul_f64 v[102:103], v[174:175], v[102:103]
	v_fma_f64 v[232:233], v[172:173], v[100:101], -v[102:103]
	scratch_load_dwordx4 v[100:103], off, off offset:912
	v_mul_f64 v[106:107], v[186:187], v[106:107]
	v_fma_f64 v[16:17], v[184:185], v[104:105], -v[106:107]
	scratch_load_dwordx4 v[104:107], off, off offset:928
	s_waitcnt vmcnt(17) lgkmcnt(1)
	v_mul_f64 v[140:141], v[132:133], v[34:35]
	v_fmac_f64_e32 v[140:141], v[134:135], v[32:33]
	v_add_f64 v[0:1], v[0:1], v[140:141]
	ds_read_b128 v[140:143], v2 offset:1648
	v_accvgpr_write_b32 a135, v15
	v_mul_f64 v[6:7], v[198:199], v[146:147]
	v_accvgpr_write_b32 a134, v14
	v_accvgpr_write_b32 a133, v13
	;; [unrolled: 1-line block ×3, first 2 shown]
	v_fma_f64 v[12:13], v[196:197], v[144:145], -v[6:7]
	ds_read_b128 v[144:147], v2 offset:1664
	s_waitcnt vmcnt(16) lgkmcnt(2)
	v_mul_f64 v[148:149], v[136:137], v[38:39]
	v_fmac_f64_e32 v[148:149], v[138:139], v[36:37]
	v_add_f64 v[0:1], v[0:1], v[148:149]
	s_waitcnt vmcnt(15) lgkmcnt(1)
	v_mul_f64 v[6:7], v[140:141], v[42:43]
	ds_read_b128 v[148:151], v2 offset:1680
	v_fmac_f64_e32 v[6:7], v[142:143], v[40:41]
	v_add_f64 v[0:1], v[0:1], v[6:7]
	s_waitcnt vmcnt(14) lgkmcnt(1)
	v_mul_f64 v[6:7], v[144:145], v[46:47]
	v_fmac_f64_e32 v[6:7], v[146:147], v[44:45]
	v_accvgpr_write_b32 a131, v11
	v_add_f64 v[0:1], v[0:1], v[6:7]
	v_mul_f64 v[6:7], v[206:207], v[154:155]
	v_accvgpr_write_b32 a130, v10
	v_accvgpr_write_b32 a129, v9
	;; [unrolled: 1-line block ×3, first 2 shown]
	v_fma_f64 v[10:11], v[204:205], v[152:153], -v[6:7]
	ds_read_b128 v[152:155], v2 offset:1696
	s_waitcnt vmcnt(13) lgkmcnt(1)
	v_mul_f64 v[6:7], v[148:149], v[50:51]
	v_fmac_f64_e32 v[6:7], v[150:151], v[48:49]
	v_add_f64 v[0:1], v[0:1], v[6:7]
	v_mul_f64 v[6:7], v[210:211], v[158:159]
	v_fma_f64 v[8:9], v[208:209], v[156:157], -v[6:7]
	ds_read_b128 v[156:159], v2 offset:1712
	ds_read_b128 v[160:163], v2 offset:1728
	s_waitcnt vmcnt(12) lgkmcnt(2)
	v_mul_f64 v[6:7], v[152:153], v[58:59]
	v_fmac_f64_e32 v[6:7], v[154:155], v[56:57]
	v_add_f64 v[0:1], v[0:1], v[6:7]
	s_waitcnt vmcnt(11) lgkmcnt(1)
	v_mul_f64 v[6:7], v[156:157], v[62:63]
	v_fmac_f64_e32 v[6:7], v[158:159], v[60:61]
	v_add_f64 v[0:1], v[0:1], v[6:7]
	v_mul_f64 v[6:7], v[214:215], v[166:167]
	v_fma_f64 v[14:15], v[212:213], v[164:165], -v[6:7]
	ds_read_b128 v[164:167], v2 offset:1744
	v_mul_f64 v[170:171], v[218:219], v[170:171]
	v_fma_f64 v[4:5], v[216:217], v[168:169], -v[170:171]
	ds_read_b128 v[168:171], v2 offset:1760
	s_waitcnt vmcnt(10) lgkmcnt(2)
	v_mul_f64 v[6:7], v[160:161], v[66:67]
	v_fmac_f64_e32 v[6:7], v[162:163], v[64:65]
	v_add_f64 v[0:1], v[0:1], v[6:7]
	s_waitcnt vmcnt(9) lgkmcnt(1)
	v_mul_f64 v[6:7], v[164:165], v[70:71]
	ds_read_b128 v[172:175], v2 offset:1776
	v_fmac_f64_e32 v[6:7], v[166:167], v[68:69]
	v_add_f64 v[0:1], v[0:1], v[6:7]
	s_waitcnt vmcnt(8) lgkmcnt(1)
	v_mul_f64 v[6:7], v[168:169], v[74:75]
	v_fmac_f64_e32 v[6:7], v[170:171], v[72:73]
	v_add_f64 v[0:1], v[0:1], v[6:7]
	v_mul_f64 v[6:7], v[222:223], v[178:179]
	v_fma_f64 v[18:19], v[220:221], v[176:177], -v[6:7]
	ds_read_b128 v[176:179], v2 offset:1792
	s_waitcnt vmcnt(7) lgkmcnt(1)
	v_mul_f64 v[6:7], v[172:173], v[78:79]
	v_fmac_f64_e32 v[6:7], v[174:175], v[76:77]
	v_add_f64 v[0:1], v[0:1], v[6:7]
	v_mul_f64 v[6:7], v[226:227], v[182:183]
	v_fma_f64 v[6:7], v[224:225], v[180:181], -v[6:7]
	ds_read_b128 v[180:183], v2 offset:1808
	s_waitcnt vmcnt(6) lgkmcnt(1)
	v_mul_f64 v[184:185], v[176:177], v[82:83]
	v_fmac_f64_e32 v[184:185], v[178:179], v[80:81]
	v_add_f64 v[0:1], v[0:1], v[184:185]
	ds_read_b128 v[184:187], v2 offset:1824
	s_waitcnt vmcnt(5) lgkmcnt(1)
	v_mul_f64 v[196:197], v[180:181], v[86:87]
	v_fmac_f64_e32 v[196:197], v[182:183], v[84:85]
	v_add_f64 v[196:197], v[0:1], v[196:197]
	v_mul_f64 v[0:1], v[230:231], v[190:191]
	v_fma_f64 v[0:1], v[228:229], v[188:189], -v[0:1]
	ds_read_b128 v[188:191], v2 offset:1840
	s_waitcnt vmcnt(4) lgkmcnt(1)
	v_mul_f64 v[198:199], v[184:185], v[90:91]
	v_fmac_f64_e32 v[198:199], v[186:187], v[88:89]
	v_mul_f64 v[194:195], v[240:241], v[194:195]
	v_fma_f64 v[238:239], v[238:239], v[192:193], -v[194:195]
	ds_read_b128 v[192:195], v2 offset:1856
	v_add_f64 v[196:197], v[196:197], v[198:199]
	s_waitcnt vmcnt(3) lgkmcnt(1)
	v_mul_f64 v[198:199], v[188:189], v[98:99]
	v_fmac_f64_e32 v[198:199], v[190:191], v[96:97]
	v_add_f64 v[204:205], v[196:197], v[198:199]
	ds_read_b128 v[196:199], v2 offset:1872
	v_mul_f64 v[202:203], v[252:253], v[202:203]
	v_fma_f64 v[250:251], v[250:251], v[200:201], -v[202:203]
	ds_read_b128 v[200:203], v2 offset:1888
	s_waitcnt vmcnt(2) lgkmcnt(2)
	v_mul_f64 v[206:207], v[192:193], v[94:95]
	v_fmac_f64_e32 v[206:207], v[194:195], v[92:93]
	v_add_f64 v[204:205], v[204:205], v[206:207]
	s_waitcnt vmcnt(1) lgkmcnt(1)
	v_mul_f64 v[206:207], v[196:197], v[102:103]
	v_fmac_f64_e32 v[206:207], v[198:199], v[100:101]
	v_add_f64 v[204:205], v[204:205], v[206:207]
	;; [unrolled: 4-line block ×3, first 2 shown]
	scratch_load_dwordx4 v[204:207], off, off offset:944
	ds_read_b128 v[208:211], v2 offset:1904
	ds_read_b128 v[216:219], v2 offset:1920
	;; [unrolled: 1-line block ×3, first 2 shown]
	s_waitcnt vmcnt(0) lgkmcnt(2)
	v_mul_f64 v[214:215], v[208:209], v[206:207]
	v_fmac_f64_e32 v[214:215], v[210:211], v[204:205]
	v_add_f64 v[220:221], v[212:213], v[214:215]
	scratch_load_dwordx4 v[212:215], off, off offset:960
	s_waitcnt vmcnt(0) lgkmcnt(1)
	v_mul_f64 v[222:223], v[216:217], v[214:215]
	v_fmac_f64_e32 v[222:223], v[218:219], v[212:213]
	v_add_f64 v[228:229], v[220:221], v[222:223]
	scratch_load_dwordx4 v[220:223], off, off offset:976
	s_waitcnt vmcnt(0) lgkmcnt(0)
	v_mul_f64 v[230:231], v[224:225], v[222:223]
	v_fmac_f64_e32 v[230:231], v[226:227], v[220:221]
	v_add_f64 v[240:241], v[228:229], v[230:231]
	v_add_f64 v[228:229], v[242:243], 0
	;; [unrolled: 1-line block ×8, first 2 shown]
	scratch_load_dwordx4 v[228:231], off, off offset:256
	v_add_f64 v[12:13], v[16:17], v[12:13]
	v_add_f64 v[10:11], v[12:13], v[10:11]
	v_add_f64 v[8:9], v[10:11], v[8:9]
	v_add_f64 v[8:9], v[8:9], v[14:15]
	v_add_f64 v[4:5], v[8:9], v[4:5]
	v_add_f64 v[252:253], v[4:5], v[18:19]
	v_add_f64 v[4:5], v[252:253], v[6:7]
	v_accvgpr_read_b32 v6, a124
	v_accvgpr_read_b32 v8, a126
	;; [unrolled: 1-line block ×3, first 2 shown]
	v_add_f64 v[0:1], v[4:5], v[0:1]
	v_accvgpr_read_b32 v7, a125
	v_mul_f64 v[4:5], v[54:55], v[8:9]
	v_add_f64 v[0:1], v[0:1], v[238:239]
	v_fma_f64 v[4:5], v[52:53], v[6:7], -v[4:5]
	v_accvgpr_read_b32 v6, a128
	v_add_f64 v[0:1], v[0:1], v[250:251]
	v_accvgpr_read_b32 v8, a130
	v_accvgpr_read_b32 v9, a131
	v_add_f64 v[0:1], v[0:1], v[4:5]
	v_accvgpr_read_b32 v7, a129
	v_mul_f64 v[4:5], v[110:111], v[8:9]
	v_fma_f64 v[4:5], v[108:109], v[6:7], -v[4:5]
	v_accvgpr_read_b32 v6, a132
	v_accvgpr_read_b32 v8, a134
	;; [unrolled: 1-line block ×3, first 2 shown]
	v_add_f64 v[0:1], v[0:1], v[4:5]
	v_accvgpr_read_b32 v7, a133
	v_mul_f64 v[4:5], v[114:115], v[8:9]
	v_fma_f64 v[4:5], v[112:113], v[6:7], -v[4:5]
	v_add_f64 v[0:1], v[0:1], v[4:5]
	v_mul_f64 v[4:5], v[118:119], v[236:237]
	v_fma_f64 v[4:5], v[116:117], v[234:235], -v[4:5]
	v_add_f64 v[0:1], v[0:1], v[4:5]
	;; [unrolled: 3-line block ×26, first 2 shown]
	s_waitcnt vmcnt(0)
	v_add_f64 v[4:5], v[228:229], -v[0:1]
	v_accvgpr_read_b32 v0, a122
	v_add_f64 v[6:7], v[230:231], -v[240:241]
	v_cmp_lt_u32_e32 vcc, 14, v0
	scratch_store_dwordx4 off, v[4:7], off offset:256
	s_and_saveexec_b64 s[0:1], vcc
	s_cbranch_execz .LBB60_363
; %bb.362:
	scratch_load_dwordx4 v[6:9], off, s40
	v_mov_b32_e32 v3, v2
	v_mov_b32_e32 v4, v2
	v_mov_b32_e32 v5, v2
	v_accvgpr_read_b32 v0, a123
	scratch_store_dwordx4 off, v[2:5], off offset:240
	s_waitcnt vmcnt(1)
	ds_write_b128 v0, v[6:9]
.LBB60_363:
	s_or_b64 exec, exec, s[0:1]
	s_waitcnt lgkmcnt(0)
	; wave barrier
	scratch_load_dwordx4 v[80:83], off, off offset:256
	scratch_load_dwordx4 v[84:87], off, off offset:272
	;; [unrolled: 1-line block ×17, first 2 shown]
	ds_read_b128 v[136:139], v2 offset:1216
	ds_read_b128 v[132:135], v2 offset:1232
	scratch_load_dwordx4 v[4:7], off, off offset:528
	ds_read_b128 v[236:239], v2 offset:1248
	ds_read_b128 v[228:231], v2 offset:1264
	;; [unrolled: 1-line block ×5, first 2 shown]
	scratch_load_dwordx4 v[8:11], off, off offset:544
	ds_read_b128 v[232:235], v2 offset:1328
	ds_read_b128 v[216:219], v2 offset:1344
	;; [unrolled: 1-line block ×3, first 2 shown]
	scratch_load_dwordx4 v[12:15], off, off offset:560
	ds_read_b128 v[220:223], v2 offset:1376
	ds_read_b128 v[172:175], v2 offset:1392
	;; [unrolled: 1-line block ×5, first 2 shown]
	scratch_load_dwordx4 v[16:19], off, off offset:576
	ds_read_b128 v[208:211], v2 offset:1456
	ds_read_b128 v[204:207], v2 offset:1472
	;; [unrolled: 1-line block ×3, first 2 shown]
	scratch_load_dwordx4 v[24:27], off, off offset:592
	scratch_load_dwordx4 v[28:31], off, off offset:608
	;; [unrolled: 1-line block ×8, first 2 shown]
	ds_read_b128 v[116:119], v2 offset:1536
	ds_read_b128 v[120:123], v2 offset:1552
	ds_read_b128 v[124:127], v2 offset:1568
	ds_read_b128 v[128:131], v2 offset:1584
	s_waitcnt vmcnt(28) lgkmcnt(14)
	v_mul_f64 v[0:1], v[136:137], v[82:83]
	s_waitcnt vmcnt(27)
	v_mul_f64 v[56:57], v[132:133], v[86:87]
	v_fmac_f64_e32 v[0:1], v[138:139], v[80:81]
	s_waitcnt vmcnt(26)
	v_mul_f64 v[58:59], v[236:237], v[90:91]
	v_fmac_f64_e32 v[56:57], v[134:135], v[84:85]
	v_add_f64 v[0:1], v[0:1], 0
	s_waitcnt vmcnt(25)
	v_mul_f64 v[60:61], v[228:229], v[94:95]
	v_fmac_f64_e32 v[58:59], v[238:239], v[88:89]
	v_add_f64 v[0:1], v[0:1], v[56:57]
	;; [unrolled: 4-line block ×6, first 2 shown]
	s_waitcnt vmcnt(20) lgkmcnt(13)
	v_mul_f64 v[70:71], v[216:217], v[154:155]
	v_fmac_f64_e32 v[68:69], v[234:235], v[144:145]
	v_add_f64 v[0:1], v[0:1], v[66:67]
	s_waitcnt vmcnt(19) lgkmcnt(12)
	v_mul_f64 v[72:73], v[160:161], v[158:159]
	v_fmac_f64_e32 v[70:71], v[218:219], v[152:153]
	v_add_f64 v[0:1], v[0:1], v[68:69]
	;; [unrolled: 4-line block ×7, first 2 shown]
	v_fmac_f64_e32 v[110:111], v[198:199], v[188:189]
	v_add_f64 v[0:1], v[0:1], v[108:109]
	s_waitcnt vmcnt(13) lgkmcnt(6)
	v_mul_f64 v[112:113], v[208:209], v[194:195]
	v_add_f64 v[0:1], v[0:1], v[110:111]
	scratch_load_dwordx4 v[56:59], off, off offset:720
	scratch_load_dwordx4 v[60:63], off, off offset:736
	ds_read_b128 v[108:111], v2 offset:1504
	s_waitcnt vmcnt(14) lgkmcnt(6)
	v_mul_f64 v[114:115], v[204:205], v[202:203]
	v_fmac_f64_e32 v[112:113], v[210:211], v[192:193]
	v_add_f64 v[0:1], v[0:1], v[112:113]
	v_fmac_f64_e32 v[114:115], v[206:207], v[200:201]
	s_waitcnt vmcnt(13) lgkmcnt(5)
	v_mul_f64 v[64:65], v[20:21], v[6:7]
	v_accvgpr_write_b32 a127, v7
	v_add_f64 v[0:1], v[0:1], v[114:115]
	v_fmac_f64_e32 v[64:65], v[22:23], v[4:5]
	v_accvgpr_write_b32 a126, v6
	v_accvgpr_write_b32 a125, v5
	;; [unrolled: 1-line block ×3, first 2 shown]
	ds_read_b128 v[112:115], v2 offset:1520
	s_waitcnt vmcnt(12)
	v_mov_b64_e32 v[4:5], v[8:9]
	v_mov_b64_e32 v[6:7], v[10:11]
	s_waitcnt lgkmcnt(1)
	v_mul_f64 v[68:69], v[108:109], v[6:7]
	v_fmac_f64_e32 v[68:69], v[110:111], v[4:5]
	s_waitcnt vmcnt(11)
	v_mov_b64_e32 v[4:5], v[12:13]
	v_add_f64 v[0:1], v[0:1], v[64:65]
	v_mov_b64_e32 v[6:7], v[14:15]
	v_add_f64 v[0:1], v[0:1], v[68:69]
	s_waitcnt lgkmcnt(0)
	v_mul_f64 v[68:69], v[112:113], v[6:7]
	scratch_load_dwordx4 v[64:67], off, off offset:752
	v_fmac_f64_e32 v[68:69], v[114:115], v[4:5]
	v_add_f64 v[0:1], v[0:1], v[68:69]
	scratch_load_dwordx4 v[68:71], off, off offset:768
	scratch_load_dwordx4 v[72:75], off, off offset:784
	s_waitcnt vmcnt(13)
	v_mul_f64 v[76:77], v[116:117], v[18:19]
	v_fmac_f64_e32 v[76:77], v[118:119], v[16:17]
	v_add_f64 v[0:1], v[0:1], v[76:77]
	s_waitcnt vmcnt(12)
	v_mul_f64 v[76:77], v[120:121], v[26:27]
	v_fmac_f64_e32 v[76:77], v[122:123], v[24:25]
	v_add_f64 v[0:1], v[0:1], v[76:77]
	scratch_load_dwordx4 v[76:79], off, off offset:800
	v_mul_f64 v[82:83], v[138:139], v[82:83]
	v_fma_f64 v[240:241], v[136:137], v[80:81], -v[82:83]
	scratch_load_dwordx4 v[80:83], off, off offset:816
	v_mul_f64 v[86:87], v[134:135], v[86:87]
	v_fma_f64 v[242:243], v[132:133], v[84:85], -v[86:87]
	scratch_load_dwordx4 v[84:87], off, off offset:832
	s_waitcnt vmcnt(14)
	v_mul_f64 v[136:137], v[124:125], v[30:31]
	v_mul_f64 v[90:91], v[238:239], v[90:91]
	v_fmac_f64_e32 v[136:137], v[126:127], v[28:29]
	v_fma_f64 v[236:237], v[236:237], v[88:89], -v[90:91]
	scratch_load_dwordx4 v[88:91], off, off offset:848
	v_add_f64 v[0:1], v[0:1], v[136:137]
	s_waitcnt vmcnt(14)
	v_mul_f64 v[136:137], v[128:129], v[34:35]
	v_mul_f64 v[94:95], v[230:231], v[94:95]
	v_fmac_f64_e32 v[136:137], v[130:131], v[32:33]
	v_fma_f64 v[238:239], v[228:229], v[92:93], -v[94:95]
	v_mul_f64 v[92:93], v[226:227], v[98:99]
	ds_read_b128 v[132:135], v2 offset:1600
	v_add_f64 v[0:1], v[0:1], v[136:137]
	ds_read_b128 v[136:139], v2 offset:1616
	v_fma_f64 v[244:245], v[224:225], v[96:97], -v[92:93]
	scratch_load_dwordx4 v[96:99], off, off offset:864
	scratch_load_dwordx4 v[92:95], off, off offset:880
	v_mul_f64 v[102:103], v[150:151], v[102:103]
	v_fma_f64 v[246:247], v[148:149], v[100:101], -v[102:103]
	scratch_load_dwordx4 v[100:103], off, off offset:896
	v_mul_f64 v[106:107], v[142:143], v[106:107]
	v_fma_f64 v[248:249], v[140:141], v[104:105], -v[106:107]
	v_mul_f64 v[104:105], v[234:235], v[146:147]
	v_fma_f64 v[254:255], v[232:233], v[144:145], -v[104:105]
	scratch_load_dwordx4 v[104:107], off, off offset:912
	ds_read_b128 v[140:143], v2 offset:1632
	ds_read_b128 v[144:147], v2 offset:1648
	s_waitcnt vmcnt(17) lgkmcnt(3)
	v_mul_f64 v[228:229], v[132:133], v[38:39]
	v_fmac_f64_e32 v[228:229], v[134:135], v[36:37]
	s_waitcnt vmcnt(16) lgkmcnt(2)
	v_mul_f64 v[224:225], v[136:137], v[42:43]
	v_add_f64 v[0:1], v[0:1], v[228:229]
	v_fmac_f64_e32 v[224:225], v[138:139], v[40:41]
	s_waitcnt vmcnt(15) lgkmcnt(1)
	v_mul_f64 v[148:149], v[140:141], v[46:47]
	v_add_f64 v[0:1], v[0:1], v[224:225]
	v_fmac_f64_e32 v[148:149], v[142:143], v[44:45]
	v_add_f64 v[0:1], v[0:1], v[148:149]
	ds_read_b128 v[148:151], v2 offset:1664
	v_mul_f64 v[154:155], v[218:219], v[154:155]
	v_fma_f64 v[250:251], v[216:217], v[152:153], -v[154:155]
	ds_read_b128 v[152:155], v2 offset:1680
	v_accvgpr_write_b32 a135, v15
	v_mul_f64 v[158:159], v[162:163], v[158:159]
	v_accvgpr_write_b32 a134, v14
	v_accvgpr_write_b32 a133, v13
	;; [unrolled: 1-line block ×3, first 2 shown]
	v_fma_f64 v[12:13], v[160:161], v[156:157], -v[158:159]
	ds_read_b128 v[156:159], v2 offset:1696
	ds_read_b128 v[160:163], v2 offset:1712
	s_waitcnt vmcnt(14) lgkmcnt(4)
	v_mul_f64 v[224:225], v[144:145], v[50:51]
	v_fmac_f64_e32 v[224:225], v[146:147], v[48:49]
	s_waitcnt vmcnt(13) lgkmcnt(3)
	v_mul_f64 v[216:217], v[148:149], v[54:55]
	v_add_f64 v[0:1], v[0:1], v[224:225]
	v_fmac_f64_e32 v[216:217], v[150:151], v[52:53]
	s_waitcnt vmcnt(12) lgkmcnt(2)
	v_mul_f64 v[6:7], v[152:153], v[58:59]
	v_add_f64 v[0:1], v[0:1], v[216:217]
	v_fmac_f64_e32 v[6:7], v[154:155], v[56:57]
	v_add_f64 v[0:1], v[0:1], v[6:7]
	s_waitcnt vmcnt(11) lgkmcnt(1)
	v_mul_f64 v[6:7], v[156:157], v[62:63]
	v_fmac_f64_e32 v[6:7], v[158:159], v[60:61]
	v_accvgpr_write_b32 a131, v11
	v_add_f64 v[0:1], v[0:1], v[6:7]
	v_mul_f64 v[6:7], v[222:223], v[166:167]
	v_accvgpr_write_b32 a130, v10
	v_accvgpr_write_b32 a129, v9
	;; [unrolled: 1-line block ×3, first 2 shown]
	v_fma_f64 v[8:9], v[220:221], v[164:165], -v[6:7]
	ds_read_b128 v[164:167], v2 offset:1728
	v_mul_f64 v[170:171], v[174:175], v[170:171]
	v_fma_f64 v[6:7], v[172:173], v[168:169], -v[170:171]
	ds_read_b128 v[168:171], v2 offset:1744
	s_waitcnt vmcnt(10) lgkmcnt(2)
	v_mul_f64 v[216:217], v[160:161], v[66:67]
	v_fmac_f64_e32 v[216:217], v[162:163], v[64:65]
	s_waitcnt vmcnt(9) lgkmcnt(1)
	v_mul_f64 v[10:11], v[164:165], v[70:71]
	v_add_f64 v[0:1], v[0:1], v[216:217]
	v_fmac_f64_e32 v[10:11], v[166:167], v[68:69]
	v_add_f64 v[0:1], v[0:1], v[10:11]
	s_waitcnt vmcnt(8) lgkmcnt(0)
	v_mul_f64 v[10:11], v[168:169], v[74:75]
	v_fmac_f64_e32 v[10:11], v[170:171], v[72:73]
	ds_read_b128 v[172:175], v2 offset:1760
	v_add_f64 v[0:1], v[0:1], v[10:11]
	v_mul_f64 v[10:11], v[214:215], v[178:179]
	v_fma_f64 v[10:11], v[212:213], v[176:177], -v[10:11]
	ds_read_b128 v[176:179], v2 offset:1776
	v_mul_f64 v[182:183], v[186:187], v[182:183]
	v_fma_f64 v[4:5], v[184:185], v[180:181], -v[182:183]
	ds_read_b128 v[180:183], v2 offset:1792
	ds_read_b128 v[184:187], v2 offset:1808
	s_waitcnt vmcnt(7) lgkmcnt(3)
	v_mul_f64 v[212:213], v[172:173], v[78:79]
	v_fmac_f64_e32 v[212:213], v[174:175], v[76:77]
	s_waitcnt vmcnt(6) lgkmcnt(2)
	v_mul_f64 v[14:15], v[176:177], v[82:83]
	v_add_f64 v[0:1], v[0:1], v[212:213]
	v_fmac_f64_e32 v[14:15], v[178:179], v[80:81]
	v_add_f64 v[0:1], v[0:1], v[14:15]
	s_waitcnt vmcnt(5) lgkmcnt(1)
	v_mul_f64 v[14:15], v[180:181], v[86:87]
	v_fmac_f64_e32 v[14:15], v[182:183], v[84:85]
	v_add_f64 v[14:15], v[0:1], v[14:15]
	v_mul_f64 v[0:1], v[198:199], v[190:191]
	v_fma_f64 v[0:1], v[196:197], v[188:189], -v[0:1]
	ds_read_b128 v[188:191], v2 offset:1824
	v_mul_f64 v[194:195], v[210:211], v[194:195]
	s_waitcnt vmcnt(4) lgkmcnt(1)
	v_mul_f64 v[196:197], v[184:185], v[90:91]
	v_fma_f64 v[192:193], v[208:209], v[192:193], -v[194:195]
	v_fmac_f64_e32 v[196:197], v[186:187], v[88:89]
	v_accvgpr_write_b32 a136, v192
	v_accvgpr_write_b32 a137, v193
	ds_read_b128 v[192:195], v2 offset:1840
	v_add_f64 v[14:15], v[14:15], v[196:197]
	s_waitcnt vmcnt(3) lgkmcnt(1)
	v_mul_f64 v[196:197], v[188:189], v[98:99]
	v_fmac_f64_e32 v[196:197], v[190:191], v[96:97]
	v_add_f64 v[14:15], v[14:15], v[196:197]
	ds_read_b128 v[196:199], v2 offset:1856
	v_mul_f64 v[202:203], v[206:207], v[202:203]
	v_fma_f64 v[252:253], v[204:205], v[200:201], -v[202:203]
	ds_read_b128 v[200:203], v2 offset:1872
	s_waitcnt vmcnt(2) lgkmcnt(2)
	v_mul_f64 v[204:205], v[192:193], v[94:95]
	v_fmac_f64_e32 v[204:205], v[194:195], v[92:93]
	v_add_f64 v[14:15], v[14:15], v[204:205]
	s_waitcnt vmcnt(1) lgkmcnt(1)
	v_mul_f64 v[204:205], v[196:197], v[102:103]
	v_fmac_f64_e32 v[204:205], v[198:199], v[100:101]
	v_add_f64 v[14:15], v[14:15], v[204:205]
	;; [unrolled: 4-line block ×3, first 2 shown]
	scratch_load_dwordx4 v[204:207], off, off offset:928
	scratch_load_dwordx4 v[232:235], off, off offset:976
	ds_read_b128 v[208:211], v2 offset:1888
	ds_read_b128 v[216:219], v2 offset:1904
	;; [unrolled: 1-line block ×3, first 2 shown]
	s_waitcnt vmcnt(1) lgkmcnt(2)
	v_mul_f64 v[212:213], v[208:209], v[206:207]
	v_fmac_f64_e32 v[212:213], v[210:211], v[204:205]
	v_add_f64 v[14:15], v[14:15], v[212:213]
	scratch_load_dwordx4 v[212:215], off, off offset:944
	s_waitcnt vmcnt(0) lgkmcnt(1)
	v_mul_f64 v[220:221], v[216:217], v[214:215]
	v_fmac_f64_e32 v[220:221], v[218:219], v[212:213]
	v_add_f64 v[14:15], v[14:15], v[220:221]
	scratch_load_dwordx4 v[220:223], off, off offset:960
	s_waitcnt vmcnt(0) lgkmcnt(0)
	v_mul_f64 v[228:229], v[224:225], v[222:223]
	v_fmac_f64_e32 v[228:229], v[226:227], v[220:221]
	v_add_f64 v[14:15], v[14:15], v[228:229]
	ds_read_b128 v[228:231], v2 offset:1936
	s_waitcnt lgkmcnt(0)
	v_mul_f64 v[2:3], v[228:229], v[234:235]
	v_fmac_f64_e32 v[2:3], v[230:231], v[232:233]
	v_add_f64 v[2:3], v[14:15], v[2:3]
	v_add_f64 v[14:15], v[240:241], 0
	v_add_f64 v[14:15], v[14:15], v[242:243]
	v_add_f64 v[14:15], v[14:15], v[236:237]
	v_add_f64 v[14:15], v[14:15], v[238:239]
	scratch_load_dwordx4 v[236:239], off, off offset:240
	v_add_f64 v[14:15], v[14:15], v[244:245]
	v_add_f64 v[14:15], v[14:15], v[246:247]
	;; [unrolled: 1-line block ×10, first 2 shown]
	v_accvgpr_read_b32 v6, a124
	v_add_f64 v[254:255], v[4:5], v[0:1]
	v_accvgpr_read_b32 v0, a136
	v_accvgpr_read_b32 v8, a126
	;; [unrolled: 1-line block ×5, first 2 shown]
	v_mul_f64 v[4:5], v[22:23], v[8:9]
	v_add_f64 v[0:1], v[254:255], v[0:1]
	v_fma_f64 v[4:5], v[20:21], v[6:7], -v[4:5]
	v_accvgpr_read_b32 v6, a128
	v_add_f64 v[0:1], v[0:1], v[252:253]
	v_accvgpr_read_b32 v8, a130
	v_accvgpr_read_b32 v9, a131
	v_add_f64 v[0:1], v[0:1], v[4:5]
	v_accvgpr_read_b32 v7, a129
	v_mul_f64 v[4:5], v[110:111], v[8:9]
	v_fma_f64 v[4:5], v[108:109], v[6:7], -v[4:5]
	v_accvgpr_read_b32 v6, a132
	v_accvgpr_read_b32 v8, a134
	;; [unrolled: 1-line block ×3, first 2 shown]
	v_add_f64 v[0:1], v[0:1], v[4:5]
	v_accvgpr_read_b32 v7, a133
	v_mul_f64 v[4:5], v[114:115], v[8:9]
	v_fma_f64 v[4:5], v[112:113], v[6:7], -v[4:5]
	v_add_f64 v[0:1], v[0:1], v[4:5]
	v_mul_f64 v[4:5], v[118:119], v[18:19]
	v_fma_f64 v[4:5], v[116:117], v[16:17], -v[4:5]
	v_add_f64 v[0:1], v[0:1], v[4:5]
	;; [unrolled: 3-line block ×27, first 2 shown]
	s_waitcnt vmcnt(0)
	v_add_f64 v[4:5], v[236:237], -v[0:1]
	v_accvgpr_read_b32 v0, a122
	v_add_f64 v[6:7], v[238:239], -v[2:3]
	v_cmp_lt_u32_e32 vcc, 13, v0
	scratch_store_dwordx4 off, v[4:7], off offset:240
	s_and_saveexec_b64 s[0:1], vcc
	s_cbranch_execz .LBB60_365
; %bb.364:
	scratch_load_dwordx4 v[2:5], off, s39
	v_mov_b32_e32 v6, 0
	v_mov_b32_e32 v7, v6
	;; [unrolled: 1-line block ×4, first 2 shown]
	v_accvgpr_read_b32 v0, a123
	scratch_store_dwordx4 off, v[6:9], off offset:224
	s_waitcnt vmcnt(1)
	ds_write_b128 v0, v[2:5]
.LBB60_365:
	s_or_b64 exec, exec, s[0:1]
	s_waitcnt lgkmcnt(0)
	; wave barrier
	scratch_load_dwordx4 v[68:71], off, off offset:240
	scratch_load_dwordx4 v[72:75], off, off offset:256
	;; [unrolled: 1-line block ×28, first 2 shown]
	v_mov_b32_e32 v2, 0
	ds_read_b128 v[124:127], v2 offset:1200
	ds_read_b128 v[128:131], v2 offset:1216
	;; [unrolled: 1-line block ×23, first 2 shown]
	s_waitcnt vmcnt(27) lgkmcnt(14)
	v_mul_f64 v[0:1], v[124:125], v[70:71]
	s_waitcnt vmcnt(26)
	v_mul_f64 v[40:41], v[128:129], v[74:75]
	v_fmac_f64_e32 v[0:1], v[126:127], v[68:69]
	s_waitcnt vmcnt(25)
	v_mul_f64 v[42:43], v[132:133], v[78:79]
	v_fmac_f64_e32 v[40:41], v[130:131], v[72:73]
	v_add_f64 v[0:1], v[0:1], 0
	s_waitcnt vmcnt(24)
	v_mul_f64 v[44:45], v[136:137], v[82:83]
	v_fmac_f64_e32 v[42:43], v[134:135], v[76:77]
	v_add_f64 v[0:1], v[0:1], v[40:41]
	;; [unrolled: 4-line block ×7, first 2 shown]
	s_waitcnt vmcnt(18) lgkmcnt(13)
	v_mul_f64 v[56:57], v[200:201], v[146:147]
	v_fmac_f64_e32 v[54:55], v[194:195], v[112:113]
	v_add_f64 v[0:1], v[0:1], v[52:53]
	s_waitcnt vmcnt(17) lgkmcnt(12)
	v_mul_f64 v[58:59], v[204:205], v[150:151]
	v_fmac_f64_e32 v[56:57], v[202:203], v[144:145]
	v_add_f64 v[0:1], v[0:1], v[54:55]
	;; [unrolled: 4-line block ×7, first 2 shown]
	scratch_load_dwordx4 v[40:43], off, off offset:688
	scratch_load_dwordx4 v[44:47], off, off offset:704
	s_waitcnt vmcnt(13) lgkmcnt(6)
	v_mul_f64 v[102:103], v[228:229], v[186:187]
	v_fmac_f64_e32 v[100:101], v[226:227], v[176:177]
	v_add_f64 v[0:1], v[0:1], v[66:67]
	v_add_f64 v[0:1], v[0:1], v[100:101]
	v_fmac_f64_e32 v[102:103], v[230:231], v[184:185]
	v_add_f64 v[0:1], v[0:1], v[102:103]
	ds_read_b128 v[100:103], v2 offset:1504
	s_waitcnt vmcnt(12) lgkmcnt(6)
	v_mul_f64 v[48:49], v[238:239], v[190:191]
	v_fmac_f64_e32 v[48:49], v[240:241], v[188:189]
	v_add_f64 v[0:1], v[0:1], v[48:49]
	s_waitcnt vmcnt(11) lgkmcnt(5)
	v_mul_f64 v[48:49], v[250:251], v[198:199]
	v_fmac_f64_e32 v[48:49], v[252:253], v[196:197]
	v_add_f64 v[0:1], v[0:1], v[48:49]
	scratch_load_dwordx4 v[48:51], off, off offset:720
	scratch_load_dwordx4 v[52:55], off, off offset:736
	s_waitcnt vmcnt(12) lgkmcnt(0)
	v_mul_f64 v[56:57], v[100:101], v[6:7]
	v_accvgpr_write_b32 a127, v7
	v_fmac_f64_e32 v[56:57], v[102:103], v[4:5]
	v_accvgpr_write_b32 a126, v6
	v_accvgpr_write_b32 a125, v5
	;; [unrolled: 1-line block ×3, first 2 shown]
	s_waitcnt vmcnt(11)
	v_mov_b64_e32 v[4:5], v[8:9]
	v_mov_b64_e32 v[6:7], v[10:11]
	v_add_f64 v[0:1], v[0:1], v[56:57]
	v_mul_f64 v[56:57], v[104:105], v[6:7]
	v_fmac_f64_e32 v[56:57], v[106:107], v[4:5]
	v_add_f64 v[0:1], v[0:1], v[56:57]
	scratch_load_dwordx4 v[56:59], off, off offset:752
	s_waitcnt vmcnt(11)
	v_mov_b64_e32 v[4:5], v[12:13]
	v_mov_b64_e32 v[6:7], v[14:15]
	v_mul_f64 v[60:61], v[108:109], v[6:7]
	v_fmac_f64_e32 v[60:61], v[110:111], v[4:5]
	s_waitcnt vmcnt(10)
	v_mov_b64_e32 v[4:5], v[16:17]
	v_mov_b64_e32 v[6:7], v[18:19]
	v_add_f64 v[0:1], v[0:1], v[60:61]
	scratch_load_dwordx4 v[60:63], off, off offset:768
	v_mul_f64 v[64:65], v[116:117], v[6:7]
	v_fmac_f64_e32 v[64:65], v[118:119], v[4:5]
	v_add_f64 v[0:1], v[0:1], v[64:65]
	scratch_load_dwordx4 v[64:67], off, off offset:784
	v_mul_f64 v[70:71], v[126:127], v[70:71]
	v_fma_f64 v[242:243], v[124:125], v[68:69], -v[70:71]
	s_waitcnt vmcnt(11)
	v_mul_f64 v[124:125], v[120:121], v[236:237]
	scratch_load_dwordx4 v[68:71], off, off offset:800
	v_fmac_f64_e32 v[124:125], v[122:123], v[234:235]
	v_mul_f64 v[74:75], v[130:131], v[74:75]
	v_mul_f64 v[78:79], v[134:135], v[78:79]
	v_add_f64 v[0:1], v[0:1], v[124:125]
	v_fma_f64 v[244:245], v[128:129], v[72:73], -v[74:75]
	ds_read_b128 v[124:127], v2 offset:1584
	ds_read_b128 v[128:131], v2 offset:1600
	scratch_load_dwordx4 v[72:75], off, off offset:816
	v_fma_f64 v[246:247], v[132:133], v[76:77], -v[78:79]
	v_mul_f64 v[76:77], v[138:139], v[82:83]
	v_fma_f64 v[248:249], v[136:137], v[80:81], -v[76:77]
	scratch_load_dwordx4 v[76:79], off, off offset:832
	s_waitcnt vmcnt(13) lgkmcnt(1)
	v_mul_f64 v[132:133], v[124:125], v[26:27]
	v_fmac_f64_e32 v[132:133], v[126:127], v[24:25]
	v_add_f64 v[0:1], v[0:1], v[132:133]
	s_waitcnt vmcnt(12) lgkmcnt(0)
	v_mul_f64 v[132:133], v[128:129], v[30:31]
	scratch_load_dwordx4 v[80:83], off, off offset:848
	v_fmac_f64_e32 v[132:133], v[130:131], v[28:29]
	v_mul_f64 v[86:87], v[142:143], v[86:87]
	v_add_f64 v[0:1], v[0:1], v[132:133]
	v_fma_f64 v[254:255], v[140:141], v[84:85], -v[86:87]
	ds_read_b128 v[132:135], v2 offset:1616
	v_mul_f64 v[84:85], v[158:159], v[90:91]
	v_fma_f64 v[232:233], v[156:157], v[88:89], -v[84:85]
	scratch_load_dwordx4 v[88:91], off, off offset:864
	scratch_load_dwordx4 v[84:87], off, off offset:880
	v_accvgpr_write_b32 a139, v19
	s_waitcnt vmcnt(14) lgkmcnt(0)
	v_mul_f64 v[6:7], v[132:133], v[34:35]
	v_fmac_f64_e32 v[6:7], v[134:135], v[32:33]
	v_mul_f64 v[94:95], v[170:171], v[94:95]
	v_add_f64 v[0:1], v[0:1], v[6:7]
	v_mul_f64 v[6:7], v[182:183], v[98:99]
	v_accvgpr_write_b32 a138, v18
	v_accvgpr_write_b32 a137, v17
	;; [unrolled: 1-line block ×3, first 2 shown]
	v_fma_f64 v[20:21], v[168:169], v[92:93], -v[94:95]
	ds_read_b128 v[136:139], v2 offset:1632
	v_fma_f64 v[16:17], v[180:181], v[96:97], -v[6:7]
	scratch_load_dwordx4 v[96:99], off, off offset:896
	scratch_load_dwordx4 v[92:95], off, off offset:912
	v_accvgpr_write_b32 a135, v15
	v_mul_f64 v[6:7], v[194:195], v[114:115]
	v_accvgpr_write_b32 a134, v14
	v_accvgpr_write_b32 a133, v13
	;; [unrolled: 1-line block ×3, first 2 shown]
	v_fma_f64 v[12:13], v[192:193], v[112:113], -v[6:7]
	scratch_load_dwordx4 v[112:115], off, off offset:928
	ds_read_b128 v[140:143], v2 offset:1648
	s_waitcnt vmcnt(16) lgkmcnt(1)
	v_mul_f64 v[6:7], v[136:137], v[38:39]
	v_fmac_f64_e32 v[6:7], v[138:139], v[36:37]
	v_accvgpr_write_b32 a131, v11
	v_add_f64 v[0:1], v[0:1], v[6:7]
	v_mul_f64 v[6:7], v[202:203], v[146:147]
	v_accvgpr_write_b32 a130, v10
	v_accvgpr_write_b32 a129, v9
	;; [unrolled: 1-line block ×3, first 2 shown]
	v_fma_f64 v[10:11], v[200:201], v[144:145], -v[6:7]
	ds_read_b128 v[144:147], v2 offset:1664
	s_waitcnt vmcnt(15) lgkmcnt(1)
	v_mul_f64 v[6:7], v[140:141], v[42:43]
	v_fmac_f64_e32 v[6:7], v[142:143], v[40:41]
	v_add_f64 v[0:1], v[0:1], v[6:7]
	v_mul_f64 v[6:7], v[206:207], v[150:151]
	v_fma_f64 v[14:15], v[204:205], v[148:149], -v[6:7]
	ds_read_b128 v[148:151], v2 offset:1680
	v_mul_f64 v[154:155], v[210:211], v[154:155]
	v_fma_f64 v[8:9], v[208:209], v[152:153], -v[154:155]
	ds_read_b128 v[152:155], v2 offset:1696
	s_waitcnt vmcnt(14) lgkmcnt(2)
	v_mul_f64 v[6:7], v[144:145], v[46:47]
	v_fmac_f64_e32 v[6:7], v[146:147], v[44:45]
	v_add_f64 v[0:1], v[0:1], v[6:7]
	s_waitcnt vmcnt(13) lgkmcnt(1)
	v_mul_f64 v[6:7], v[148:149], v[50:51]
	ds_read_b128 v[156:159], v2 offset:1712
	v_fmac_f64_e32 v[6:7], v[150:151], v[48:49]
	v_add_f64 v[0:1], v[0:1], v[6:7]
	s_waitcnt vmcnt(12) lgkmcnt(1)
	v_mul_f64 v[6:7], v[152:153], v[54:55]
	v_fmac_f64_e32 v[6:7], v[154:155], v[52:53]
	v_add_f64 v[0:1], v[0:1], v[6:7]
	v_mul_f64 v[6:7], v[214:215], v[162:163]
	v_fma_f64 v[18:19], v[212:213], v[160:161], -v[6:7]
	ds_read_b128 v[160:163], v2 offset:1728
	s_waitcnt vmcnt(11) lgkmcnt(1)
	v_mul_f64 v[6:7], v[156:157], v[58:59]
	v_fmac_f64_e32 v[6:7], v[158:159], v[56:57]
	v_add_f64 v[0:1], v[0:1], v[6:7]
	v_mul_f64 v[6:7], v[218:219], v[166:167]
	v_fma_f64 v[4:5], v[216:217], v[164:165], -v[6:7]
	ds_read_b128 v[164:167], v2 offset:1744
	ds_read_b128 v[168:171], v2 offset:1760
	s_waitcnt vmcnt(10) lgkmcnt(2)
	v_mul_f64 v[6:7], v[160:161], v[62:63]
	v_fmac_f64_e32 v[6:7], v[162:163], v[60:61]
	v_add_f64 v[0:1], v[0:1], v[6:7]
	s_waitcnt vmcnt(9) lgkmcnt(1)
	v_mul_f64 v[6:7], v[164:165], v[66:67]
	v_fmac_f64_e32 v[6:7], v[166:167], v[64:65]
	v_add_f64 v[0:1], v[0:1], v[6:7]
	v_mul_f64 v[6:7], v[222:223], v[174:175]
	v_fma_f64 v[22:23], v[220:221], v[172:173], -v[6:7]
	ds_read_b128 v[172:175], v2 offset:1776
	v_mul_f64 v[6:7], v[226:227], v[178:179]
	v_fma_f64 v[6:7], v[224:225], v[176:177], -v[6:7]
	ds_read_b128 v[176:179], v2 offset:1792
	s_waitcnt vmcnt(8) lgkmcnt(2)
	v_mul_f64 v[180:181], v[168:169], v[70:71]
	v_fmac_f64_e32 v[180:181], v[170:171], v[68:69]
	v_add_f64 v[0:1], v[0:1], v[180:181]
	s_waitcnt vmcnt(7) lgkmcnt(1)
	v_mul_f64 v[180:181], v[172:173], v[74:75]
	v_fmac_f64_e32 v[180:181], v[174:175], v[72:73]
	s_waitcnt vmcnt(6) lgkmcnt(0)
	v_mul_f64 v[192:193], v[176:177], v[78:79]
	v_add_f64 v[0:1], v[0:1], v[180:181]
	v_fmac_f64_e32 v[192:193], v[178:179], v[76:77]
	ds_read_b128 v[180:183], v2 offset:1808
	v_add_f64 v[192:193], v[0:1], v[192:193]
	v_mul_f64 v[0:1], v[230:231], v[186:187]
	v_fma_f64 v[0:1], v[228:229], v[184:185], -v[0:1]
	ds_read_b128 v[184:187], v2 offset:1824
	s_waitcnt vmcnt(5) lgkmcnt(1)
	v_mul_f64 v[194:195], v[180:181], v[82:83]
	v_fmac_f64_e32 v[194:195], v[182:183], v[80:81]
	v_mul_f64 v[190:191], v[240:241], v[190:191]
	v_add_f64 v[192:193], v[192:193], v[194:195]
	v_fma_f64 v[238:239], v[238:239], v[188:189], -v[190:191]
	ds_read_b128 v[188:191], v2 offset:1840
	s_waitcnt vmcnt(4) lgkmcnt(1)
	v_mul_f64 v[194:195], v[184:185], v[90:91]
	v_fmac_f64_e32 v[194:195], v[186:187], v[88:89]
	v_add_f64 v[200:201], v[192:193], v[194:195]
	ds_read_b128 v[192:195], v2 offset:1856
	v_mul_f64 v[198:199], v[252:253], v[198:199]
	v_fma_f64 v[250:251], v[250:251], v[196:197], -v[198:199]
	ds_read_b128 v[196:199], v2 offset:1872
	ds_read_b128 v[208:211], v2 offset:1904
	s_waitcnt vmcnt(3) lgkmcnt(3)
	v_mul_f64 v[202:203], v[188:189], v[86:87]
	v_fmac_f64_e32 v[202:203], v[190:191], v[84:85]
	v_add_f64 v[200:201], v[200:201], v[202:203]
	s_waitcnt vmcnt(2) lgkmcnt(2)
	v_mul_f64 v[202:203], v[192:193], v[98:99]
	v_fmac_f64_e32 v[202:203], v[194:195], v[96:97]
	v_add_f64 v[200:201], v[200:201], v[202:203]
	;; [unrolled: 4-line block ×3, first 2 shown]
	ds_read_b128 v[200:203], v2 offset:1888
	ds_read_b128 v[216:219], v2 offset:1920
	;; [unrolled: 1-line block ×3, first 2 shown]
	s_waitcnt vmcnt(0) lgkmcnt(2)
	v_mul_f64 v[206:207], v[200:201], v[114:115]
	v_fmac_f64_e32 v[206:207], v[202:203], v[112:113]
	v_add_f64 v[212:213], v[204:205], v[206:207]
	scratch_load_dwordx4 v[204:207], off, off offset:944
	s_waitcnt vmcnt(0)
	v_mul_f64 v[214:215], v[208:209], v[206:207]
	v_fmac_f64_e32 v[214:215], v[210:211], v[204:205]
	v_add_f64 v[220:221], v[212:213], v[214:215]
	scratch_load_dwordx4 v[212:215], off, off offset:960
	s_waitcnt vmcnt(0) lgkmcnt(1)
	v_mul_f64 v[222:223], v[216:217], v[214:215]
	v_fmac_f64_e32 v[222:223], v[218:219], v[212:213]
	v_add_f64 v[228:229], v[220:221], v[222:223]
	scratch_load_dwordx4 v[220:223], off, off offset:976
	s_waitcnt vmcnt(0) lgkmcnt(0)
	v_mul_f64 v[230:231], v[224:225], v[222:223]
	v_fmac_f64_e32 v[230:231], v[226:227], v[220:221]
	v_add_f64 v[240:241], v[228:229], v[230:231]
	v_add_f64 v[228:229], v[242:243], 0
	;; [unrolled: 1-line block ×8, first 2 shown]
	scratch_load_dwordx4 v[228:231], off, off offset:224
	v_add_f64 v[16:17], v[20:21], v[16:17]
	v_add_f64 v[12:13], v[16:17], v[12:13]
	;; [unrolled: 1-line block ×9, first 2 shown]
	v_accvgpr_read_b32 v6, a124
	v_accvgpr_read_b32 v8, a126
	;; [unrolled: 1-line block ×3, first 2 shown]
	v_add_f64 v[0:1], v[4:5], v[0:1]
	v_accvgpr_read_b32 v7, a125
	v_mul_f64 v[4:5], v[102:103], v[8:9]
	v_add_f64 v[0:1], v[0:1], v[238:239]
	v_fma_f64 v[4:5], v[100:101], v[6:7], -v[4:5]
	v_accvgpr_read_b32 v6, a128
	v_add_f64 v[0:1], v[0:1], v[250:251]
	v_accvgpr_read_b32 v8, a130
	v_accvgpr_read_b32 v9, a131
	v_add_f64 v[0:1], v[0:1], v[4:5]
	v_accvgpr_read_b32 v7, a129
	v_mul_f64 v[4:5], v[106:107], v[8:9]
	v_fma_f64 v[4:5], v[104:105], v[6:7], -v[4:5]
	v_accvgpr_read_b32 v6, a132
	v_accvgpr_read_b32 v8, a134
	;; [unrolled: 1-line block ×3, first 2 shown]
	v_add_f64 v[0:1], v[0:1], v[4:5]
	v_accvgpr_read_b32 v7, a133
	v_mul_f64 v[4:5], v[110:111], v[8:9]
	v_fma_f64 v[4:5], v[108:109], v[6:7], -v[4:5]
	v_accvgpr_read_b32 v6, a136
	v_accvgpr_read_b32 v8, a138
	;; [unrolled: 1-line block ×3, first 2 shown]
	v_add_f64 v[0:1], v[0:1], v[4:5]
	v_accvgpr_read_b32 v7, a137
	v_mul_f64 v[4:5], v[118:119], v[8:9]
	v_fma_f64 v[4:5], v[116:117], v[6:7], -v[4:5]
	v_add_f64 v[0:1], v[0:1], v[4:5]
	v_mul_f64 v[4:5], v[122:123], v[236:237]
	v_fma_f64 v[4:5], v[120:121], v[234:235], -v[4:5]
	v_add_f64 v[0:1], v[0:1], v[4:5]
	v_mul_f64 v[4:5], v[126:127], v[26:27]
	v_fma_f64 v[4:5], v[124:125], v[24:25], -v[4:5]
	v_add_f64 v[0:1], v[0:1], v[4:5]
	v_mul_f64 v[4:5], v[130:131], v[30:31]
	v_fma_f64 v[4:5], v[128:129], v[28:29], -v[4:5]
	v_add_f64 v[0:1], v[0:1], v[4:5]
	v_mul_f64 v[4:5], v[134:135], v[34:35]
	v_fma_f64 v[4:5], v[132:133], v[32:33], -v[4:5]
	v_add_f64 v[0:1], v[0:1], v[4:5]
	v_mul_f64 v[4:5], v[138:139], v[38:39]
	v_fma_f64 v[4:5], v[136:137], v[36:37], -v[4:5]
	v_add_f64 v[0:1], v[0:1], v[4:5]
	v_mul_f64 v[4:5], v[142:143], v[42:43]
	v_fma_f64 v[4:5], v[140:141], v[40:41], -v[4:5]
	v_add_f64 v[0:1], v[0:1], v[4:5]
	v_mul_f64 v[4:5], v[146:147], v[46:47]
	v_fma_f64 v[4:5], v[144:145], v[44:45], -v[4:5]
	v_add_f64 v[0:1], v[0:1], v[4:5]
	v_mul_f64 v[4:5], v[150:151], v[50:51]
	v_fma_f64 v[4:5], v[148:149], v[48:49], -v[4:5]
	v_add_f64 v[0:1], v[0:1], v[4:5]
	v_mul_f64 v[4:5], v[154:155], v[54:55]
	v_fma_f64 v[4:5], v[152:153], v[52:53], -v[4:5]
	v_add_f64 v[0:1], v[0:1], v[4:5]
	v_mul_f64 v[4:5], v[158:159], v[58:59]
	v_fma_f64 v[4:5], v[156:157], v[56:57], -v[4:5]
	v_add_f64 v[0:1], v[0:1], v[4:5]
	v_mul_f64 v[4:5], v[162:163], v[62:63]
	v_fma_f64 v[4:5], v[160:161], v[60:61], -v[4:5]
	v_add_f64 v[0:1], v[0:1], v[4:5]
	v_mul_f64 v[4:5], v[166:167], v[66:67]
	v_fma_f64 v[4:5], v[164:165], v[64:65], -v[4:5]
	v_add_f64 v[0:1], v[0:1], v[4:5]
	v_mul_f64 v[4:5], v[170:171], v[70:71]
	v_fma_f64 v[4:5], v[168:169], v[68:69], -v[4:5]
	v_add_f64 v[0:1], v[0:1], v[4:5]
	v_mul_f64 v[4:5], v[174:175], v[74:75]
	v_fma_f64 v[4:5], v[172:173], v[72:73], -v[4:5]
	v_add_f64 v[0:1], v[0:1], v[4:5]
	v_mul_f64 v[4:5], v[178:179], v[78:79]
	v_fma_f64 v[4:5], v[176:177], v[76:77], -v[4:5]
	v_add_f64 v[0:1], v[0:1], v[4:5]
	v_mul_f64 v[4:5], v[182:183], v[82:83]
	v_fma_f64 v[4:5], v[180:181], v[80:81], -v[4:5]
	v_add_f64 v[0:1], v[0:1], v[4:5]
	v_mul_f64 v[4:5], v[186:187], v[90:91]
	v_fma_f64 v[4:5], v[184:185], v[88:89], -v[4:5]
	v_add_f64 v[0:1], v[0:1], v[4:5]
	v_mul_f64 v[4:5], v[190:191], v[86:87]
	v_fma_f64 v[4:5], v[188:189], v[84:85], -v[4:5]
	v_add_f64 v[0:1], v[0:1], v[4:5]
	v_mul_f64 v[4:5], v[194:195], v[98:99]
	v_fma_f64 v[4:5], v[192:193], v[96:97], -v[4:5]
	v_add_f64 v[0:1], v[0:1], v[4:5]
	v_mul_f64 v[4:5], v[198:199], v[94:95]
	v_fma_f64 v[4:5], v[196:197], v[92:93], -v[4:5]
	v_add_f64 v[0:1], v[0:1], v[4:5]
	v_mul_f64 v[4:5], v[202:203], v[114:115]
	v_fma_f64 v[4:5], v[200:201], v[112:113], -v[4:5]
	v_add_f64 v[0:1], v[0:1], v[4:5]
	v_mul_f64 v[4:5], v[210:211], v[206:207]
	v_fma_f64 v[4:5], v[208:209], v[204:205], -v[4:5]
	v_add_f64 v[0:1], v[0:1], v[4:5]
	v_mul_f64 v[4:5], v[218:219], v[214:215]
	v_fma_f64 v[4:5], v[216:217], v[212:213], -v[4:5]
	v_add_f64 v[0:1], v[0:1], v[4:5]
	v_mul_f64 v[4:5], v[226:227], v[222:223]
	v_fma_f64 v[4:5], v[224:225], v[220:221], -v[4:5]
	v_add_f64 v[0:1], v[0:1], v[4:5]
	s_waitcnt vmcnt(0)
	v_add_f64 v[4:5], v[228:229], -v[0:1]
	v_accvgpr_read_b32 v0, a122
	v_add_f64 v[6:7], v[230:231], -v[240:241]
	v_cmp_lt_u32_e32 vcc, 12, v0
	scratch_store_dwordx4 off, v[4:7], off offset:224
	s_and_saveexec_b64 s[0:1], vcc
	s_cbranch_execz .LBB60_367
; %bb.366:
	scratch_load_dwordx4 v[6:9], off, s38
	v_mov_b32_e32 v3, v2
	v_mov_b32_e32 v4, v2
	;; [unrolled: 1-line block ×3, first 2 shown]
	v_accvgpr_read_b32 v0, a123
	scratch_store_dwordx4 off, v[2:5], off offset:208
	s_waitcnt vmcnt(1)
	ds_write_b128 v0, v[6:9]
.LBB60_367:
	s_or_b64 exec, exec, s[0:1]
	s_waitcnt lgkmcnt(0)
	; wave barrier
	scratch_load_dwordx4 v[40:43], off, off offset:224
	scratch_load_dwordx4 v[44:47], off, off offset:240
	;; [unrolled: 1-line block ×18, first 2 shown]
	ds_read_b128 v[164:167], v2 offset:1184
	ds_read_b128 v[232:235], v2 offset:1200
	;; [unrolled: 1-line block ×6, first 2 shown]
	scratch_load_dwordx4 v[140:143], off, off offset:512
	ds_read_b128 v[224:227], v2 offset:1280
	ds_read_b128 v[212:215], v2 offset:1296
	;; [unrolled: 1-line block ×3, first 2 shown]
	scratch_load_dwordx4 v[4:7], off, off offset:528
	ds_read_b128 v[228:231], v2 offset:1328
	ds_read_b128 v[216:219], v2 offset:1344
	;; [unrolled: 1-line block ×5, first 2 shown]
	scratch_load_dwordx4 v[8:11], off, off offset:544
	ds_read_b128 v[208:211], v2 offset:1408
	ds_read_b128 v[196:199], v2 offset:1424
	;; [unrolled: 1-line block ×3, first 2 shown]
	scratch_load_dwordx4 v[12:15], off, off offset:560
	ds_read_b128 v[200:203], v2 offset:1456
	scratch_load_dwordx4 v[16:19], off, off offset:576
	scratch_load_dwordx4 v[20:23], off, off offset:592
	;; [unrolled: 1-line block ×7, first 2 shown]
	ds_read_b128 v[236:239], v2 offset:1472
	ds_read_b128 v[156:159], v2 offset:1536
	;; [unrolled: 1-line block ×4, first 2 shown]
	s_waitcnt vmcnt(28) lgkmcnt(14)
	v_mul_f64 v[0:1], v[164:165], v[42:43]
	s_waitcnt vmcnt(27)
	v_mul_f64 v[108:109], v[232:233], v[46:47]
	v_fmac_f64_e32 v[0:1], v[166:167], v[40:41]
	s_waitcnt vmcnt(26)
	v_mul_f64 v[110:111], v[168:169], v[50:51]
	v_fmac_f64_e32 v[108:109], v[234:235], v[44:45]
	v_add_f64 v[0:1], v[0:1], 0
	s_waitcnt vmcnt(25)
	v_mul_f64 v[116:117], v[220:221], v[54:55]
	v_fmac_f64_e32 v[110:111], v[170:171], v[48:49]
	v_add_f64 v[0:1], v[0:1], v[108:109]
	s_waitcnt vmcnt(24)
	v_mul_f64 v[118:119], v[172:173], v[58:59]
	v_fmac_f64_e32 v[116:117], v[222:223], v[52:53]
	v_add_f64 v[0:1], v[0:1], v[110:111]
	s_waitcnt vmcnt(23)
	v_mul_f64 v[120:121], v[176:177], v[62:63]
	v_fmac_f64_e32 v[118:119], v[174:175], v[56:57]
	v_add_f64 v[0:1], v[0:1], v[116:117]
	s_waitcnt vmcnt(22)
	v_mul_f64 v[122:123], v[224:225], v[66:67]
	v_fmac_f64_e32 v[120:121], v[178:179], v[60:61]
	v_add_f64 v[0:1], v[0:1], v[118:119]
	s_waitcnt vmcnt(21)
	v_mul_f64 v[124:125], v[212:213], v[70:71]
	v_fmac_f64_e32 v[122:123], v[226:227], v[64:65]
	v_add_f64 v[0:1], v[0:1], v[120:121]
	s_waitcnt vmcnt(20) lgkmcnt(13)
	v_mul_f64 v[126:127], v[180:181], v[78:79]
	v_fmac_f64_e32 v[124:125], v[214:215], v[68:69]
	v_add_f64 v[0:1], v[0:1], v[122:123]
	s_waitcnt vmcnt(19) lgkmcnt(12)
	v_mul_f64 v[128:129], v[228:229], v[82:83]
	v_fmac_f64_e32 v[126:127], v[182:183], v[76:77]
	v_add_f64 v[0:1], v[0:1], v[124:125]
	;; [unrolled: 4-line block ×9, first 2 shown]
	v_add_f64 v[0:1], v[0:1], v[148:149]
	v_fmac_f64_e32 v[150:151], v[186:187], v[112:113]
	s_waitcnt vmcnt(11) lgkmcnt(4)
	v_mul_f64 v[116:117], v[200:201], v[138:139]
	v_add_f64 v[0:1], v[0:1], v[150:151]
	v_fmac_f64_e32 v[116:117], v[202:203], v[136:137]
	v_add_f64 v[0:1], v[0:1], v[116:117]
	ds_read_b128 v[144:147], v2 offset:1488
	s_waitcnt vmcnt(10) lgkmcnt(4)
	v_mul_f64 v[116:117], v[236:237], v[142:143]
	scratch_load_dwordx4 v[108:111], off, off offset:688
	v_fmac_f64_e32 v[116:117], v[238:239], v[140:141]
	v_add_f64 v[0:1], v[0:1], v[116:117]
	scratch_load_dwordx4 v[116:119], off, off offset:704
	ds_read_b128 v[148:151], v2 offset:1504
	scratch_load_dwordx4 v[120:123], off, off offset:720
	s_waitcnt vmcnt(12) lgkmcnt(1)
	v_mul_f64 v[124:125], v[144:145], v[6:7]
	v_fmac_f64_e32 v[124:125], v[146:147], v[4:5]
	v_add_f64 v[0:1], v[0:1], v[124:125]
	s_waitcnt vmcnt(11) lgkmcnt(0)
	v_mul_f64 v[124:125], v[148:149], v[10:11]
	v_fmac_f64_e32 v[124:125], v[150:151], v[8:9]
	s_waitcnt vmcnt(10)
	v_mul_f64 v[128:129], v[152:153], v[14:15]
	v_add_f64 v[0:1], v[0:1], v[124:125]
	scratch_load_dwordx4 v[124:127], off, off offset:736
	v_fmac_f64_e32 v[128:129], v[154:155], v[12:13]
	v_add_f64 v[0:1], v[0:1], v[128:129]
	scratch_load_dwordx4 v[128:131], off, off offset:752
	s_waitcnt vmcnt(11)
	v_mul_f64 v[132:133], v[156:157], v[18:19]
	v_fmac_f64_e32 v[132:133], v[158:159], v[16:17]
	v_add_f64 v[0:1], v[0:1], v[132:133]
	scratch_load_dwordx4 v[132:135], off, off offset:768
	v_mul_f64 v[42:43], v[166:167], v[42:43]
	v_fma_f64 v[240:241], v[164:165], v[40:41], -v[42:43]
	scratch_load_dwordx4 v[40:43], off, off offset:784
	v_mul_f64 v[46:47], v[234:235], v[46:47]
	v_fma_f64 v[242:243], v[232:233], v[44:45], -v[46:47]
	;; [unrolled: 3-line block ×3, first 2 shown]
	v_mul_f64 v[48:49], v[222:223], v[54:55]
	v_fma_f64 v[246:247], v[220:221], v[52:53], -v[48:49]
	scratch_load_dwordx4 v[48:51], off, off offset:816
	scratch_load_dwordx4 v[52:55], off, off offset:832
	s_waitcnt vmcnt(15)
	v_mul_f64 v[164:165], v[160:161], v[22:23]
	v_fmac_f64_e32 v[164:165], v[162:163], v[20:21]
	v_add_f64 v[0:1], v[0:1], v[164:165]
	ds_read_b128 v[164:167], v2 offset:1568
	ds_read_b128 v[168:171], v2 offset:1584
	v_mul_f64 v[58:59], v[174:175], v[58:59]
	v_fma_f64 v[248:249], v[172:173], v[56:57], -v[58:59]
	ds_read_b128 v[172:175], v2 offset:1600
	v_mul_f64 v[56:57], v[178:179], v[62:63]
	v_fma_f64 v[254:255], v[176:177], v[60:61], -v[56:57]
	scratch_load_dwordx4 v[60:63], off, off offset:848
	scratch_load_dwordx4 v[56:59], off, off offset:864
	s_waitcnt vmcnt(16) lgkmcnt(2)
	v_mul_f64 v[232:233], v[164:165], v[34:35]
	v_fmac_f64_e32 v[232:233], v[166:167], v[32:33]
	s_waitcnt vmcnt(15) lgkmcnt(1)
	v_mul_f64 v[220:221], v[168:169], v[38:39]
	v_mul_f64 v[66:67], v[226:227], v[66:67]
	v_add_f64 v[0:1], v[0:1], v[232:233]
	v_fmac_f64_e32 v[220:221], v[170:171], v[36:37]
	v_fma_f64 v[250:251], v[224:225], v[64:65], -v[66:67]
	s_waitcnt vmcnt(14) lgkmcnt(0)
	v_mul_f64 v[64:65], v[172:173], v[30:31]
	v_add_f64 v[0:1], v[0:1], v[220:221]
	v_fmac_f64_e32 v[64:65], v[174:175], v[28:29]
	v_accvgpr_write_b32 a151, v23
	v_add_f64 v[0:1], v[0:1], v[64:65]
	v_mul_f64 v[64:65], v[214:215], v[70:71]
	v_accvgpr_write_b32 a150, v22
	v_accvgpr_write_b32 a149, v21
	;; [unrolled: 1-line block ×3, first 2 shown]
	ds_read_b128 v[176:179], v2 offset:1616
	v_fma_f64 v[20:21], v[212:213], v[68:69], -v[64:65]
	scratch_load_dwordx4 v[68:71], off, off offset:880
	scratch_load_dwordx4 v[64:67], off, off offset:896
	v_accvgpr_write_b32 a135, v7
	v_accvgpr_write_b32 a134, v6
	;; [unrolled: 1-line block ×5, first 2 shown]
	v_mul_f64 v[6:7], v[182:183], v[78:79]
	v_accvgpr_write_b32 a146, v18
	v_accvgpr_write_b32 a145, v17
	;; [unrolled: 1-line block ×3, first 2 shown]
	v_fma_f64 v[16:17], v[180:181], v[76:77], -v[6:7]
	s_waitcnt vmcnt(15) lgkmcnt(0)
	v_mul_f64 v[76:77], v[176:177], v[26:27]
	v_fmac_f64_e32 v[76:77], v[178:179], v[24:25]
	v_accvgpr_write_b32 a143, v15
	v_add_f64 v[0:1], v[0:1], v[76:77]
	v_mul_f64 v[76:77], v[230:231], v[82:83]
	v_accvgpr_write_b32 a142, v14
	v_accvgpr_write_b32 a141, v13
	;; [unrolled: 1-line block ×3, first 2 shown]
	v_fma_f64 v[12:13], v[228:229], v[80:81], -v[76:77]
	scratch_load_dwordx4 v[76:79], off, off offset:912
	scratch_load_dwordx4 v[232:235], off, off offset:976
	ds_read_b128 v[180:183], v2 offset:1632
	ds_read_b128 v[80:83], v2 offset:1648
	v_accvgpr_write_b32 a139, v11
	v_accvgpr_write_b32 a138, v10
	;; [unrolled: 1-line block ×4, first 2 shown]
	s_waitcnt vmcnt(16) lgkmcnt(1)
	v_mul_f64 v[10:11], v[180:181], v[74:75]
	v_fmac_f64_e32 v[10:11], v[182:183], v[72:73]
	v_add_f64 v[0:1], v[0:1], v[10:11]
	v_mul_f64 v[10:11], v[218:219], v[86:87]
	v_fma_f64 v[10:11], v[216:217], v[84:85], -v[10:11]
	ds_read_b128 v[84:87], v2 offset:1664
	v_mul_f64 v[90:91], v[190:191], v[90:91]
	v_fma_f64 v[8:9], v[188:189], v[88:89], -v[90:91]
	ds_read_b128 v[88:91], v2 offset:1680
	s_waitcnt vmcnt(15) lgkmcnt(2)
	v_mul_f64 v[212:213], v[80:81], v[110:111]
	v_fmac_f64_e32 v[212:213], v[82:83], v[108:109]
	s_waitcnt vmcnt(14) lgkmcnt(1)
	v_mul_f64 v[14:15], v[84:85], v[118:119]
	v_add_f64 v[0:1], v[0:1], v[212:213]
	v_fmac_f64_e32 v[14:15], v[86:87], v[116:117]
	v_add_f64 v[0:1], v[0:1], v[14:15]
	s_waitcnt vmcnt(13) lgkmcnt(0)
	v_mul_f64 v[14:15], v[88:89], v[122:123]
	v_fmac_f64_e32 v[14:15], v[90:91], v[120:121]
	ds_read_b128 v[188:191], v2 offset:1696
	v_add_f64 v[0:1], v[0:1], v[14:15]
	v_mul_f64 v[14:15], v[206:207], v[94:95]
	v_fma_f64 v[14:15], v[204:205], v[92:93], -v[14:15]
	ds_read_b128 v[92:95], v2 offset:1712
	v_mul_f64 v[98:99], v[194:195], v[98:99]
	v_fma_f64 v[6:7], v[192:193], v[96:97], -v[98:99]
	ds_read_b128 v[96:99], v2 offset:1728
	ds_read_b128 v[192:195], v2 offset:1744
	s_waitcnt vmcnt(12) lgkmcnt(3)
	v_mul_f64 v[204:205], v[188:189], v[126:127]
	v_fmac_f64_e32 v[204:205], v[190:191], v[124:125]
	s_waitcnt vmcnt(11) lgkmcnt(2)
	v_mul_f64 v[18:19], v[92:93], v[130:131]
	v_add_f64 v[0:1], v[0:1], v[204:205]
	v_fmac_f64_e32 v[18:19], v[94:95], v[128:129]
	v_add_f64 v[0:1], v[0:1], v[18:19]
	s_waitcnt vmcnt(10) lgkmcnt(1)
	v_mul_f64 v[18:19], v[96:97], v[134:135]
	v_fmac_f64_e32 v[18:19], v[98:99], v[132:133]
	v_add_f64 v[0:1], v[0:1], v[18:19]
	v_mul_f64 v[18:19], v[210:211], v[102:103]
	v_fma_f64 v[18:19], v[208:209], v[100:101], -v[18:19]
	ds_read_b128 v[100:103], v2 offset:1760
	v_mul_f64 v[106:107], v[198:199], v[106:107]
	v_fma_f64 v[4:5], v[196:197], v[104:105], -v[106:107]
	ds_read_b128 v[104:107], v2 offset:1776
	s_waitcnt vmcnt(9) lgkmcnt(2)
	v_mul_f64 v[204:205], v[192:193], v[42:43]
	v_fmac_f64_e32 v[204:205], v[194:195], v[40:41]
	s_waitcnt vmcnt(8) lgkmcnt(1)
	v_mul_f64 v[22:23], v[100:101], v[46:47]
	v_add_f64 v[0:1], v[0:1], v[204:205]
	v_fmac_f64_e32 v[22:23], v[102:103], v[44:45]
	v_add_f64 v[0:1], v[0:1], v[22:23]
	s_waitcnt vmcnt(7) lgkmcnt(0)
	v_mul_f64 v[22:23], v[104:105], v[50:51]
	ds_read_b128 v[196:199], v2 offset:1792
	v_fmac_f64_e32 v[22:23], v[106:107], v[48:49]
	v_add_f64 v[0:1], v[0:1], v[22:23]
	v_mul_f64 v[22:23], v[186:187], v[114:115]
	v_fma_f64 v[22:23], v[184:185], v[112:113], -v[22:23]
	ds_read_b128 v[112:115], v2 offset:1808
	s_waitcnt vmcnt(6) lgkmcnt(1)
	v_mul_f64 v[184:185], v[196:197], v[54:55]
	v_fmac_f64_e32 v[184:185], v[198:199], v[52:53]
	v_add_f64 v[184:185], v[0:1], v[184:185]
	v_mul_f64 v[0:1], v[202:203], v[138:139]
	v_fma_f64 v[0:1], v[200:201], v[136:137], -v[0:1]
	ds_read_b128 v[136:139], v2 offset:1824
	s_waitcnt vmcnt(5) lgkmcnt(1)
	v_mul_f64 v[186:187], v[112:113], v[62:63]
	v_fmac_f64_e32 v[186:187], v[114:115], v[60:61]
	v_add_f64 v[200:201], v[184:185], v[186:187]
	ds_read_b128 v[184:187], v2 offset:1840
	v_mul_f64 v[142:143], v[238:239], v[142:143]
	v_fma_f64 v[252:253], v[236:237], v[140:141], -v[142:143]
	ds_read_b128 v[140:143], v2 offset:1856
	ds_read_b128 v[208:211], v2 offset:1888
	s_waitcnt vmcnt(4) lgkmcnt(3)
	v_mul_f64 v[202:203], v[136:137], v[58:59]
	v_fmac_f64_e32 v[202:203], v[138:139], v[56:57]
	v_add_f64 v[200:201], v[200:201], v[202:203]
	s_waitcnt vmcnt(3) lgkmcnt(2)
	v_mul_f64 v[202:203], v[184:185], v[70:71]
	v_fmac_f64_e32 v[202:203], v[186:187], v[68:69]
	v_add_f64 v[200:201], v[200:201], v[202:203]
	;; [unrolled: 4-line block ×3, first 2 shown]
	ds_read_b128 v[200:203], v2 offset:1872
	ds_read_b128 v[216:219], v2 offset:1904
	;; [unrolled: 1-line block ×3, first 2 shown]
	s_waitcnt vmcnt(1) lgkmcnt(2)
	v_mul_f64 v[206:207], v[200:201], v[78:79]
	v_fmac_f64_e32 v[206:207], v[202:203], v[76:77]
	v_add_f64 v[212:213], v[204:205], v[206:207]
	scratch_load_dwordx4 v[204:207], off, off offset:928
	s_waitcnt vmcnt(0)
	v_mul_f64 v[214:215], v[208:209], v[206:207]
	v_fmac_f64_e32 v[214:215], v[210:211], v[204:205]
	v_add_f64 v[220:221], v[212:213], v[214:215]
	scratch_load_dwordx4 v[212:215], off, off offset:944
	s_waitcnt vmcnt(0) lgkmcnt(1)
	v_mul_f64 v[222:223], v[216:217], v[214:215]
	v_fmac_f64_e32 v[222:223], v[218:219], v[212:213]
	v_add_f64 v[228:229], v[220:221], v[222:223]
	scratch_load_dwordx4 v[220:223], off, off offset:960
	s_waitcnt vmcnt(0) lgkmcnt(0)
	v_mul_f64 v[230:231], v[224:225], v[222:223]
	v_fmac_f64_e32 v[230:231], v[226:227], v[220:221]
	v_add_f64 v[236:237], v[228:229], v[230:231]
	ds_read_b128 v[228:231], v2 offset:1936
	s_waitcnt lgkmcnt(0)
	v_mul_f64 v[2:3], v[228:229], v[234:235]
	v_fmac_f64_e32 v[2:3], v[230:231], v[232:233]
	v_add_f64 v[2:3], v[236:237], v[2:3]
	v_add_f64 v[236:237], v[240:241], 0
	;; [unrolled: 1-line block ×9, first 2 shown]
	scratch_load_dwordx4 v[236:239], off, off offset:208
	v_add_f64 v[16:17], v[20:21], v[16:17]
	v_add_f64 v[12:13], v[16:17], v[12:13]
	;; [unrolled: 1-line block ×8, first 2 shown]
	v_accvgpr_read_b32 v6, a132
	v_accvgpr_read_b32 v8, a134
	;; [unrolled: 1-line block ×3, first 2 shown]
	v_add_f64 v[254:255], v[4:5], v[22:23]
	v_accvgpr_read_b32 v7, a133
	v_mul_f64 v[4:5], v[146:147], v[8:9]
	v_add_f64 v[0:1], v[254:255], v[0:1]
	v_fma_f64 v[4:5], v[144:145], v[6:7], -v[4:5]
	v_accvgpr_read_b32 v6, a136
	v_add_f64 v[0:1], v[0:1], v[252:253]
	v_accvgpr_read_b32 v8, a138
	v_accvgpr_read_b32 v9, a139
	v_add_f64 v[0:1], v[0:1], v[4:5]
	v_accvgpr_read_b32 v7, a137
	v_mul_f64 v[4:5], v[150:151], v[8:9]
	v_fma_f64 v[4:5], v[148:149], v[6:7], -v[4:5]
	v_accvgpr_read_b32 v6, a140
	v_accvgpr_read_b32 v8, a142
	v_accvgpr_read_b32 v9, a143
	v_add_f64 v[0:1], v[0:1], v[4:5]
	v_accvgpr_read_b32 v7, a141
	v_mul_f64 v[4:5], v[154:155], v[8:9]
	v_fma_f64 v[4:5], v[152:153], v[6:7], -v[4:5]
	v_accvgpr_read_b32 v6, a144
	;; [unrolled: 7-line block ×3, first 2 shown]
	v_accvgpr_read_b32 v8, a150
	v_accvgpr_read_b32 v9, a151
	v_add_f64 v[0:1], v[0:1], v[4:5]
	v_accvgpr_read_b32 v7, a149
	v_mul_f64 v[4:5], v[162:163], v[8:9]
	v_fma_f64 v[4:5], v[160:161], v[6:7], -v[4:5]
	v_add_f64 v[0:1], v[0:1], v[4:5]
	v_mul_f64 v[4:5], v[166:167], v[34:35]
	v_fma_f64 v[4:5], v[164:165], v[32:33], -v[4:5]
	v_add_f64 v[0:1], v[0:1], v[4:5]
	;; [unrolled: 3-line block ×25, first 2 shown]
	s_waitcnt vmcnt(0)
	v_add_f64 v[4:5], v[236:237], -v[0:1]
	v_accvgpr_read_b32 v0, a122
	v_add_f64 v[6:7], v[238:239], -v[2:3]
	v_cmp_lt_u32_e32 vcc, 11, v0
	scratch_store_dwordx4 off, v[4:7], off offset:208
	s_and_saveexec_b64 s[0:1], vcc
	s_cbranch_execz .LBB60_369
; %bb.368:
	scratch_load_dwordx4 v[2:5], off, s37
	v_mov_b32_e32 v6, 0
	v_mov_b32_e32 v7, v6
	;; [unrolled: 1-line block ×4, first 2 shown]
	v_accvgpr_read_b32 v0, a123
	scratch_store_dwordx4 off, v[6:9], off offset:192
	s_waitcnt vmcnt(1)
	ds_write_b128 v0, v[2:5]
.LBB60_369:
	s_or_b64 exec, exec, s[0:1]
	s_waitcnt lgkmcnt(0)
	; wave barrier
	scratch_load_dwordx4 v[56:59], off, off offset:208
	scratch_load_dwordx4 v[60:63], off, off offset:224
	;; [unrolled: 1-line block ×28, first 2 shown]
	v_mov_b32_e32 v2, 0
	ds_read_b128 v[116:119], v2 offset:1168
	ds_read_b128 v[120:123], v2 offset:1184
	ds_read_b128 v[124:127], v2 offset:1200
	ds_read_b128 v[128:131], v2 offset:1216
	ds_read_b128 v[132:135], v2 offset:1232
	ds_read_b128 v[140:143], v2 offset:1248
	ds_read_b128 v[152:155], v2 offset:1264
	ds_read_b128 v[164:167], v2 offset:1280
	ds_read_b128 v[176:179], v2 offset:1296
	ds_read_b128 v[188:191], v2 offset:1312
	ds_read_b128 v[196:199], v2 offset:1328
	ds_read_b128 v[200:203], v2 offset:1344
	ds_read_b128 v[204:207], v2 offset:1360
	ds_read_b128 v[208:211], v2 offset:1376
	ds_read_b128 v[212:215], v2 offset:1392
	ds_read_b128 v[216:219], v2 offset:1408
	ds_read_b128 v[220:223], v2 offset:1424
	ds_read_b128 v[224:227], v2 offset:1440
	ds_read_b128 v[228:231], v2 offset:1456
	ds_read_b128 v[238:241], v2 offset:1472
	ds_read_b128 v[250:253], v2 offset:1488
	ds_read_b128 v[108:111], v2 offset:1536
	s_waitcnt vmcnt(27) lgkmcnt(14)
	v_mul_f64 v[0:1], v[116:117], v[58:59]
	s_waitcnt vmcnt(26)
	v_mul_f64 v[32:33], v[120:121], v[62:63]
	v_fmac_f64_e32 v[0:1], v[118:119], v[56:57]
	s_waitcnt vmcnt(25)
	v_mul_f64 v[34:35], v[124:125], v[66:67]
	v_fmac_f64_e32 v[32:33], v[122:123], v[60:61]
	v_add_f64 v[0:1], v[0:1], 0
	v_fmac_f64_e32 v[34:35], v[126:127], v[64:65]
	v_add_f64 v[0:1], v[0:1], v[32:33]
	v_add_f64 v[0:1], v[0:1], v[34:35]
	scratch_load_dwordx4 v[32:35], off, off offset:656
	s_waitcnt vmcnt(25)
	v_mul_f64 v[36:37], v[128:129], v[70:71]
	s_waitcnt vmcnt(24)
	v_mul_f64 v[38:39], v[132:133], v[74:75]
	v_fmac_f64_e32 v[36:37], v[130:131], v[68:69]
	s_waitcnt vmcnt(23)
	v_mul_f64 v[40:41], v[140:141], v[78:79]
	v_fmac_f64_e32 v[38:39], v[134:135], v[72:73]
	v_add_f64 v[0:1], v[0:1], v[36:37]
	s_waitcnt vmcnt(22)
	v_mul_f64 v[42:43], v[152:153], v[82:83]
	v_fmac_f64_e32 v[40:41], v[142:143], v[76:77]
	v_add_f64 v[0:1], v[0:1], v[38:39]
	;; [unrolled: 4-line block ×3, first 2 shown]
	s_waitcnt vmcnt(20) lgkmcnt(13)
	v_mul_f64 v[46:47], v[176:177], v[94:95]
	v_fmac_f64_e32 v[44:45], v[166:167], v[84:85]
	v_add_f64 v[0:1], v[0:1], v[42:43]
	s_waitcnt vmcnt(19) lgkmcnt(12)
	v_mul_f64 v[48:49], v[188:189], v[98:99]
	v_fmac_f64_e32 v[46:47], v[178:179], v[92:93]
	v_add_f64 v[0:1], v[0:1], v[44:45]
	s_waitcnt vmcnt(18) lgkmcnt(11)
	v_mul_f64 v[50:51], v[196:197], v[102:103]
	v_fmac_f64_e32 v[48:49], v[190:191], v[96:97]
	v_add_f64 v[0:1], v[0:1], v[46:47]
	s_waitcnt vmcnt(17) lgkmcnt(10)
	v_mul_f64 v[52:53], v[200:201], v[138:139]
	v_fmac_f64_e32 v[50:51], v[198:199], v[100:101]
	v_add_f64 v[0:1], v[0:1], v[48:49]
	s_waitcnt vmcnt(16) lgkmcnt(9)
	v_mul_f64 v[54:55], v[204:205], v[146:147]
	v_fmac_f64_e32 v[52:53], v[202:203], v[136:137]
	v_add_f64 v[0:1], v[0:1], v[50:51]
	s_waitcnt vmcnt(15) lgkmcnt(8)
	v_mul_f64 v[88:89], v[208:209], v[150:151]
	v_fmac_f64_e32 v[54:55], v[206:207], v[144:145]
	v_add_f64 v[0:1], v[0:1], v[52:53]
	s_waitcnt vmcnt(14) lgkmcnt(7)
	v_mul_f64 v[90:91], v[212:213], v[158:159]
	v_fmac_f64_e32 v[88:89], v[210:211], v[148:149]
	v_add_f64 v[0:1], v[0:1], v[54:55]
	s_waitcnt vmcnt(13) lgkmcnt(6)
	v_mul_f64 v[104:105], v[216:217], v[162:163]
	v_fmac_f64_e32 v[90:91], v[214:215], v[156:157]
	v_add_f64 v[0:1], v[0:1], v[88:89]
	s_waitcnt vmcnt(12) lgkmcnt(5)
	v_mul_f64 v[106:107], v[220:221], v[170:171]
	v_fmac_f64_e32 v[104:105], v[218:219], v[160:161]
	v_add_f64 v[0:1], v[0:1], v[90:91]
	v_add_f64 v[0:1], v[0:1], v[104:105]
	v_fmac_f64_e32 v[106:107], v[222:223], v[168:169]
	s_waitcnt vmcnt(11) lgkmcnt(4)
	v_mul_f64 v[40:41], v[224:225], v[174:175]
	v_add_f64 v[0:1], v[0:1], v[106:107]
	v_fmac_f64_e32 v[40:41], v[226:227], v[172:173]
	scratch_load_dwordx4 v[36:39], off, off offset:672
	v_add_f64 v[0:1], v[0:1], v[40:41]
	s_waitcnt vmcnt(11) lgkmcnt(3)
	v_mul_f64 v[40:41], v[228:229], v[182:183]
	v_fmac_f64_e32 v[40:41], v[230:231], v[180:181]
	s_waitcnt vmcnt(10) lgkmcnt(2)
	v_mul_f64 v[44:45], v[238:239], v[186:187]
	v_add_f64 v[0:1], v[0:1], v[40:41]
	v_fmac_f64_e32 v[44:45], v[240:241], v[184:185]
	scratch_load_dwordx4 v[40:43], off, off offset:688
	ds_read_b128 v[88:91], v2 offset:1504
	v_add_f64 v[0:1], v[0:1], v[44:45]
	s_waitcnt vmcnt(10) lgkmcnt(2)
	v_mul_f64 v[44:45], v[250:251], v[194:195]
	v_fmac_f64_e32 v[44:45], v[252:253], v[192:193]
	v_add_f64 v[0:1], v[0:1], v[44:45]
	scratch_load_dwordx4 v[44:47], off, off offset:704
	ds_read_b128 v[104:107], v2 offset:1520
	s_waitcnt vmcnt(10) lgkmcnt(1)
	v_mul_f64 v[48:49], v[88:89], v[6:7]
	v_accvgpr_write_b32 a127, v7
	v_fmac_f64_e32 v[48:49], v[90:91], v[4:5]
	v_accvgpr_write_b32 a126, v6
	v_accvgpr_write_b32 a125, v5
	;; [unrolled: 1-line block ×3, first 2 shown]
	s_waitcnt vmcnt(9)
	v_mov_b64_e32 v[4:5], v[8:9]
	v_add_f64 v[0:1], v[0:1], v[48:49]
	scratch_load_dwordx4 v[48:51], off, off offset:720
	v_mov_b64_e32 v[6:7], v[10:11]
	s_waitcnt lgkmcnt(0)
	v_mul_f64 v[52:53], v[104:105], v[6:7]
	v_fmac_f64_e32 v[52:53], v[106:107], v[4:5]
	v_add_f64 v[0:1], v[0:1], v[52:53]
	scratch_load_dwordx4 v[52:55], off, off offset:736
	v_mul_f64 v[58:59], v[118:119], v[58:59]
	v_fma_f64 v[242:243], v[116:117], v[56:57], -v[58:59]
	scratch_load_dwordx4 v[56:59], off, off offset:752
	s_waitcnt vmcnt(11)
	v_mov_b64_e32 v[4:5], v[12:13]
	v_mov_b64_e32 v[6:7], v[14:15]
	v_mul_f64 v[112:113], v[108:109], v[6:7]
	v_fmac_f64_e32 v[112:113], v[110:111], v[4:5]
	v_mul_f64 v[62:63], v[122:123], v[62:63]
	v_add_f64 v[0:1], v[0:1], v[112:113]
	ds_read_b128 v[112:115], v2 offset:1552
	ds_read_b128 v[116:119], v2 offset:1568
	v_fma_f64 v[244:245], v[120:121], v[60:61], -v[62:63]
	scratch_load_dwordx4 v[60:63], off, off offset:768
	v_mul_f64 v[66:67], v[126:127], v[66:67]
	v_fma_f64 v[246:247], v[124:125], v[64:65], -v[66:67]
	scratch_load_dwordx4 v[64:67], off, off offset:784
	s_waitcnt vmcnt(12)
	v_mov_b64_e32 v[4:5], v[16:17]
	v_mov_b64_e32 v[6:7], v[18:19]
	s_waitcnt lgkmcnt(1)
	v_mul_f64 v[120:121], v[112:113], v[6:7]
	v_fmac_f64_e32 v[120:121], v[114:115], v[4:5]
	s_waitcnt vmcnt(11)
	v_mov_b64_e32 v[4:5], v[20:21]
	v_mov_b64_e32 v[6:7], v[22:23]
	v_mul_f64 v[70:71], v[130:131], v[70:71]
	v_add_f64 v[0:1], v[0:1], v[120:121]
	s_waitcnt lgkmcnt(0)
	v_mul_f64 v[120:121], v[116:117], v[6:7]
	v_fma_f64 v[248:249], v[128:129], v[68:69], -v[70:71]
	scratch_load_dwordx4 v[68:71], off, off offset:800
	v_fmac_f64_e32 v[120:121], v[118:119], v[4:5]
	v_mul_f64 v[74:75], v[134:135], v[74:75]
	v_add_f64 v[0:1], v[0:1], v[120:121]
	ds_read_b128 v[120:123], v2 offset:1584
	ds_read_b128 v[124:127], v2 offset:1600
	v_fma_f64 v[254:255], v[132:133], v[72:73], -v[74:75]
	scratch_load_dwordx4 v[72:75], off, off offset:816
	v_mul_f64 v[78:79], v[142:143], v[78:79]
	v_fma_f64 v[232:233], v[140:141], v[76:77], -v[78:79]
	scratch_load_dwordx4 v[76:79], off, off offset:832
	s_waitcnt vmcnt(13) lgkmcnt(1)
	v_mul_f64 v[128:129], v[120:121], v[236:237]
	v_fmac_f64_e32 v[128:129], v[122:123], v[234:235]
	v_mul_f64 v[82:83], v[154:155], v[82:83]
	s_waitcnt vmcnt(12) lgkmcnt(0)
	v_mul_f64 v[6:7], v[124:125], v[30:31]
	v_add_f64 v[0:1], v[0:1], v[128:129]
	v_fma_f64 v[24:25], v[152:153], v[80:81], -v[82:83]
	v_fmac_f64_e32 v[6:7], v[126:127], v[28:29]
	scratch_load_dwordx4 v[80:83], off, off offset:848
	v_accvgpr_write_b32 a143, v23
	v_add_f64 v[0:1], v[0:1], v[6:7]
	v_mul_f64 v[6:7], v[166:167], v[86:87]
	v_accvgpr_write_b32 a142, v22
	v_accvgpr_write_b32 a141, v21
	;; [unrolled: 1-line block ×3, first 2 shown]
	v_fma_f64 v[20:21], v[164:165], v[84:85], -v[6:7]
	scratch_load_dwordx4 v[84:87], off, off offset:864
	ds_read_b128 v[132:135], v2 offset:1616
	ds_read_b128 v[128:131], v2 offset:1632
	v_accvgpr_write_b32 a139, v19
	v_mul_f64 v[6:7], v[178:179], v[94:95]
	v_accvgpr_write_b32 a135, v15
	v_accvgpr_write_b32 a138, v18
	;; [unrolled: 1-line block ×4, first 2 shown]
	v_fma_f64 v[16:17], v[176:177], v[92:93], -v[6:7]
	v_mul_f64 v[6:7], v[190:191], v[98:99]
	v_accvgpr_write_b32 a134, v14
	v_accvgpr_write_b32 a133, v13
	v_accvgpr_write_b32 a132, v12
	v_fma_f64 v[12:13], v[188:189], v[96:97], -v[6:7]
	scratch_load_dwordx4 v[96:99], off, off offset:880
	scratch_load_dwordx4 v[92:95], off, off offset:896
	s_waitcnt vmcnt(15) lgkmcnt(1)
	v_mul_f64 v[6:7], v[132:133], v[34:35]
	v_fmac_f64_e32 v[6:7], v[134:135], v[32:33]
	v_add_f64 v[0:1], v[0:1], v[6:7]
	v_mul_f64 v[6:7], v[198:199], v[102:103]
	v_fma_f64 v[14:15], v[196:197], v[100:101], -v[6:7]
	scratch_load_dwordx4 v[100:103], off, off offset:912
	v_accvgpr_write_b32 a131, v11
	v_mul_f64 v[6:7], v[202:203], v[138:139]
	v_accvgpr_write_b32 a130, v10
	v_accvgpr_write_b32 a129, v9
	;; [unrolled: 1-line block ×3, first 2 shown]
	v_fma_f64 v[10:11], v[200:201], v[136:137], -v[6:7]
	ds_read_b128 v[136:139], v2 offset:1648
	ds_read_b128 v[140:143], v2 offset:1664
	s_waitcnt vmcnt(15) lgkmcnt(2)
	v_mul_f64 v[6:7], v[128:129], v[38:39]
	v_fmac_f64_e32 v[6:7], v[130:131], v[36:37]
	v_add_f64 v[0:1], v[0:1], v[6:7]
	s_waitcnt vmcnt(14) lgkmcnt(1)
	v_mul_f64 v[6:7], v[136:137], v[42:43]
	v_fmac_f64_e32 v[6:7], v[138:139], v[40:41]
	v_add_f64 v[0:1], v[0:1], v[6:7]
	v_mul_f64 v[6:7], v[206:207], v[146:147]
	v_fma_f64 v[18:19], v[204:205], v[144:145], -v[6:7]
	ds_read_b128 v[144:147], v2 offset:1680
	s_waitcnt vmcnt(13) lgkmcnt(1)
	v_mul_f64 v[6:7], v[140:141], v[46:47]
	v_fmac_f64_e32 v[6:7], v[142:143], v[44:45]
	v_add_f64 v[0:1], v[0:1], v[6:7]
	v_mul_f64 v[6:7], v[210:211], v[150:151]
	v_fma_f64 v[8:9], v[208:209], v[148:149], -v[6:7]
	ds_read_b128 v[148:151], v2 offset:1696
	s_waitcnt vmcnt(12) lgkmcnt(1)
	v_mul_f64 v[6:7], v[144:145], v[50:51]
	ds_read_b128 v[152:155], v2 offset:1712
	v_fmac_f64_e32 v[6:7], v[146:147], v[48:49]
	v_add_f64 v[0:1], v[0:1], v[6:7]
	v_mul_f64 v[6:7], v[214:215], v[158:159]
	v_fma_f64 v[22:23], v[212:213], v[156:157], -v[6:7]
	s_waitcnt vmcnt(11) lgkmcnt(1)
	v_mul_f64 v[6:7], v[148:149], v[54:55]
	v_fmac_f64_e32 v[6:7], v[150:151], v[52:53]
	ds_read_b128 v[156:159], v2 offset:1728
	v_add_f64 v[0:1], v[0:1], v[6:7]
	s_waitcnt vmcnt(10) lgkmcnt(1)
	v_mul_f64 v[6:7], v[152:153], v[58:59]
	v_fmac_f64_e32 v[6:7], v[154:155], v[56:57]
	v_add_f64 v[0:1], v[0:1], v[6:7]
	v_mul_f64 v[6:7], v[218:219], v[162:163]
	v_fma_f64 v[4:5], v[216:217], v[160:161], -v[6:7]
	ds_read_b128 v[160:163], v2 offset:1744
	ds_read_b128 v[164:167], v2 offset:1760
	s_waitcnt vmcnt(9) lgkmcnt(2)
	v_mul_f64 v[6:7], v[156:157], v[62:63]
	v_fmac_f64_e32 v[6:7], v[158:159], v[60:61]
	v_add_f64 v[0:1], v[0:1], v[6:7]
	s_waitcnt vmcnt(8) lgkmcnt(1)
	v_mul_f64 v[6:7], v[160:161], v[66:67]
	v_fmac_f64_e32 v[6:7], v[162:163], v[64:65]
	v_add_f64 v[0:1], v[0:1], v[6:7]
	v_mul_f64 v[6:7], v[222:223], v[170:171]
	v_fma_f64 v[26:27], v[220:221], v[168:169], -v[6:7]
	ds_read_b128 v[168:171], v2 offset:1776
	v_mul_f64 v[6:7], v[226:227], v[174:175]
	v_fma_f64 v[6:7], v[224:225], v[172:173], -v[6:7]
	ds_read_b128 v[172:175], v2 offset:1792
	s_waitcnt vmcnt(7) lgkmcnt(2)
	v_mul_f64 v[176:177], v[164:165], v[70:71]
	v_fmac_f64_e32 v[176:177], v[166:167], v[68:69]
	v_add_f64 v[0:1], v[0:1], v[176:177]
	s_waitcnt vmcnt(6) lgkmcnt(1)
	v_mul_f64 v[176:177], v[168:169], v[74:75]
	v_fmac_f64_e32 v[176:177], v[170:171], v[72:73]
	v_add_f64 v[0:1], v[0:1], v[176:177]
	s_waitcnt vmcnt(5) lgkmcnt(0)
	v_mul_f64 v[188:189], v[172:173], v[78:79]
	ds_read_b128 v[176:179], v2 offset:1808
	v_fmac_f64_e32 v[188:189], v[174:175], v[76:77]
	v_add_f64 v[188:189], v[0:1], v[188:189]
	v_mul_f64 v[0:1], v[230:231], v[182:183]
	v_fma_f64 v[0:1], v[228:229], v[180:181], -v[0:1]
	ds_read_b128 v[180:183], v2 offset:1824
	v_mul_f64 v[186:187], v[240:241], v[186:187]
	s_waitcnt vmcnt(4) lgkmcnt(1)
	v_mul_f64 v[190:191], v[176:177], v[82:83]
	v_fma_f64 v[238:239], v[238:239], v[184:185], -v[186:187]
	ds_read_b128 v[184:187], v2 offset:1840
	v_fmac_f64_e32 v[190:191], v[178:179], v[80:81]
	v_add_f64 v[196:197], v[188:189], v[190:191]
	ds_read_b128 v[188:191], v2 offset:1856
	s_waitcnt vmcnt(3) lgkmcnt(2)
	v_mul_f64 v[198:199], v[180:181], v[86:87]
	v_mul_f64 v[194:195], v[252:253], v[194:195]
	v_fmac_f64_e32 v[198:199], v[182:183], v[84:85]
	v_fma_f64 v[250:251], v[250:251], v[192:193], -v[194:195]
	ds_read_b128 v[192:195], v2 offset:1872
	ds_read_b128 v[200:203], v2 offset:1888
	v_add_f64 v[196:197], v[196:197], v[198:199]
	s_waitcnt vmcnt(2) lgkmcnt(3)
	v_mul_f64 v[198:199], v[184:185], v[98:99]
	v_fmac_f64_e32 v[198:199], v[186:187], v[96:97]
	v_add_f64 v[196:197], v[196:197], v[198:199]
	s_waitcnt vmcnt(1) lgkmcnt(2)
	v_mul_f64 v[198:199], v[188:189], v[94:95]
	v_fmac_f64_e32 v[198:199], v[190:191], v[92:93]
	;; [unrolled: 4-line block ×3, first 2 shown]
	v_add_f64 v[204:205], v[196:197], v[198:199]
	scratch_load_dwordx4 v[196:199], off, off offset:928
	ds_read_b128 v[208:211], v2 offset:1904
	ds_read_b128 v[216:219], v2 offset:1920
	;; [unrolled: 1-line block ×3, first 2 shown]
	s_waitcnt vmcnt(0) lgkmcnt(3)
	v_mul_f64 v[206:207], v[200:201], v[198:199]
	v_fmac_f64_e32 v[206:207], v[202:203], v[196:197]
	v_add_f64 v[212:213], v[204:205], v[206:207]
	scratch_load_dwordx4 v[204:207], off, off offset:944
	s_waitcnt vmcnt(0) lgkmcnt(2)
	v_mul_f64 v[214:215], v[208:209], v[206:207]
	v_fmac_f64_e32 v[214:215], v[210:211], v[204:205]
	v_add_f64 v[220:221], v[212:213], v[214:215]
	scratch_load_dwordx4 v[212:215], off, off offset:960
	;; [unrolled: 5-line block ×3, first 2 shown]
	s_waitcnt vmcnt(0) lgkmcnt(0)
	v_mul_f64 v[230:231], v[224:225], v[222:223]
	v_fmac_f64_e32 v[230:231], v[226:227], v[220:221]
	v_add_f64 v[240:241], v[228:229], v[230:231]
	v_add_f64 v[228:229], v[242:243], 0
	;; [unrolled: 1-line block ×8, first 2 shown]
	scratch_load_dwordx4 v[228:231], off, off offset:192
	v_add_f64 v[20:21], v[24:25], v[20:21]
	v_add_f64 v[16:17], v[20:21], v[16:17]
	;; [unrolled: 1-line block ×11, first 2 shown]
	v_accvgpr_read_b32 v6, a124
	v_accvgpr_read_b32 v8, a126
	;; [unrolled: 1-line block ×3, first 2 shown]
	v_add_f64 v[0:1], v[4:5], v[0:1]
	v_accvgpr_read_b32 v7, a125
	v_mul_f64 v[4:5], v[90:91], v[8:9]
	v_add_f64 v[0:1], v[0:1], v[238:239]
	v_fma_f64 v[4:5], v[88:89], v[6:7], -v[4:5]
	v_accvgpr_read_b32 v6, a128
	v_add_f64 v[0:1], v[0:1], v[250:251]
	v_accvgpr_read_b32 v8, a130
	v_accvgpr_read_b32 v9, a131
	v_add_f64 v[0:1], v[0:1], v[4:5]
	v_accvgpr_read_b32 v7, a129
	v_mul_f64 v[4:5], v[106:107], v[8:9]
	v_fma_f64 v[4:5], v[104:105], v[6:7], -v[4:5]
	v_accvgpr_read_b32 v6, a132
	v_accvgpr_read_b32 v8, a134
	v_accvgpr_read_b32 v9, a135
	v_add_f64 v[0:1], v[0:1], v[4:5]
	v_accvgpr_read_b32 v7, a133
	v_mul_f64 v[4:5], v[110:111], v[8:9]
	v_fma_f64 v[4:5], v[108:109], v[6:7], -v[4:5]
	v_accvgpr_read_b32 v6, a136
	;; [unrolled: 7-line block ×3, first 2 shown]
	v_accvgpr_read_b32 v8, a142
	v_accvgpr_read_b32 v9, a143
	v_add_f64 v[0:1], v[0:1], v[4:5]
	v_accvgpr_read_b32 v7, a141
	v_mul_f64 v[4:5], v[118:119], v[8:9]
	v_fma_f64 v[4:5], v[116:117], v[6:7], -v[4:5]
	v_add_f64 v[0:1], v[0:1], v[4:5]
	v_mul_f64 v[4:5], v[122:123], v[236:237]
	v_fma_f64 v[4:5], v[120:121], v[234:235], -v[4:5]
	v_add_f64 v[0:1], v[0:1], v[4:5]
	v_mul_f64 v[4:5], v[126:127], v[30:31]
	v_fma_f64 v[4:5], v[124:125], v[28:29], -v[4:5]
	v_add_f64 v[0:1], v[0:1], v[4:5]
	v_mul_f64 v[4:5], v[134:135], v[34:35]
	v_fma_f64 v[4:5], v[132:133], v[32:33], -v[4:5]
	v_add_f64 v[0:1], v[0:1], v[4:5]
	v_mul_f64 v[4:5], v[130:131], v[38:39]
	v_fma_f64 v[4:5], v[128:129], v[36:37], -v[4:5]
	v_add_f64 v[0:1], v[0:1], v[4:5]
	v_mul_f64 v[4:5], v[138:139], v[42:43]
	v_fma_f64 v[4:5], v[136:137], v[40:41], -v[4:5]
	v_add_f64 v[0:1], v[0:1], v[4:5]
	v_mul_f64 v[4:5], v[142:143], v[46:47]
	v_fma_f64 v[4:5], v[140:141], v[44:45], -v[4:5]
	v_add_f64 v[0:1], v[0:1], v[4:5]
	v_mul_f64 v[4:5], v[146:147], v[50:51]
	v_fma_f64 v[4:5], v[144:145], v[48:49], -v[4:5]
	v_add_f64 v[0:1], v[0:1], v[4:5]
	v_mul_f64 v[4:5], v[150:151], v[54:55]
	v_fma_f64 v[4:5], v[148:149], v[52:53], -v[4:5]
	v_add_f64 v[0:1], v[0:1], v[4:5]
	v_mul_f64 v[4:5], v[154:155], v[58:59]
	v_fma_f64 v[4:5], v[152:153], v[56:57], -v[4:5]
	v_add_f64 v[0:1], v[0:1], v[4:5]
	v_mul_f64 v[4:5], v[158:159], v[62:63]
	v_fma_f64 v[4:5], v[156:157], v[60:61], -v[4:5]
	v_add_f64 v[0:1], v[0:1], v[4:5]
	v_mul_f64 v[4:5], v[162:163], v[66:67]
	v_fma_f64 v[4:5], v[160:161], v[64:65], -v[4:5]
	v_add_f64 v[0:1], v[0:1], v[4:5]
	v_mul_f64 v[4:5], v[166:167], v[70:71]
	v_fma_f64 v[4:5], v[164:165], v[68:69], -v[4:5]
	v_add_f64 v[0:1], v[0:1], v[4:5]
	v_mul_f64 v[4:5], v[170:171], v[74:75]
	v_fma_f64 v[4:5], v[168:169], v[72:73], -v[4:5]
	v_add_f64 v[0:1], v[0:1], v[4:5]
	v_mul_f64 v[4:5], v[174:175], v[78:79]
	v_fma_f64 v[4:5], v[172:173], v[76:77], -v[4:5]
	v_add_f64 v[0:1], v[0:1], v[4:5]
	v_mul_f64 v[4:5], v[178:179], v[82:83]
	v_fma_f64 v[4:5], v[176:177], v[80:81], -v[4:5]
	v_add_f64 v[0:1], v[0:1], v[4:5]
	v_mul_f64 v[4:5], v[182:183], v[86:87]
	v_fma_f64 v[4:5], v[180:181], v[84:85], -v[4:5]
	v_add_f64 v[0:1], v[0:1], v[4:5]
	v_mul_f64 v[4:5], v[186:187], v[98:99]
	v_fma_f64 v[4:5], v[184:185], v[96:97], -v[4:5]
	v_add_f64 v[0:1], v[0:1], v[4:5]
	v_mul_f64 v[4:5], v[190:191], v[94:95]
	v_fma_f64 v[4:5], v[188:189], v[92:93], -v[4:5]
	v_add_f64 v[0:1], v[0:1], v[4:5]
	v_mul_f64 v[4:5], v[194:195], v[102:103]
	v_fma_f64 v[4:5], v[192:193], v[100:101], -v[4:5]
	v_add_f64 v[0:1], v[0:1], v[4:5]
	v_mul_f64 v[4:5], v[202:203], v[198:199]
	v_fma_f64 v[4:5], v[200:201], v[196:197], -v[4:5]
	v_add_f64 v[0:1], v[0:1], v[4:5]
	v_mul_f64 v[4:5], v[210:211], v[206:207]
	v_fma_f64 v[4:5], v[208:209], v[204:205], -v[4:5]
	v_add_f64 v[0:1], v[0:1], v[4:5]
	v_mul_f64 v[4:5], v[218:219], v[214:215]
	v_fma_f64 v[4:5], v[216:217], v[212:213], -v[4:5]
	v_add_f64 v[0:1], v[0:1], v[4:5]
	v_mul_f64 v[4:5], v[226:227], v[222:223]
	v_fma_f64 v[4:5], v[224:225], v[220:221], -v[4:5]
	v_add_f64 v[0:1], v[0:1], v[4:5]
	s_waitcnt vmcnt(0)
	v_add_f64 v[4:5], v[228:229], -v[0:1]
	v_accvgpr_read_b32 v0, a122
	v_add_f64 v[6:7], v[230:231], -v[240:241]
	v_cmp_lt_u32_e32 vcc, 10, v0
	scratch_store_dwordx4 off, v[4:7], off offset:192
	s_and_saveexec_b64 s[0:1], vcc
	s_cbranch_execz .LBB60_371
; %bb.370:
	scratch_load_dwordx4 v[6:9], off, s36
	v_mov_b32_e32 v3, v2
	v_mov_b32_e32 v4, v2
	;; [unrolled: 1-line block ×3, first 2 shown]
	v_accvgpr_read_b32 v0, a123
	scratch_store_dwordx4 off, v[2:5], off offset:176
	s_waitcnt vmcnt(1)
	ds_write_b128 v0, v[6:9]
.LBB60_371:
	s_or_b64 exec, exec, s[0:1]
	s_waitcnt lgkmcnt(0)
	; wave barrier
	scratch_load_dwordx4 v[56:59], off, off offset:192
	scratch_load_dwordx4 v[60:63], off, off offset:208
	;; [unrolled: 1-line block ×18, first 2 shown]
	ds_read_b128 v[116:119], v2 offset:1152
	ds_read_b128 v[220:223], v2 offset:1168
	;; [unrolled: 1-line block ×6, first 2 shown]
	scratch_load_dwordx4 v[180:183], off, off offset:480
	ds_read_b128 v[204:207], v2 offset:1248
	ds_read_b128 v[132:135], v2 offset:1264
	scratch_load_dwordx4 v[184:187], off, off offset:496
	ds_read_b128 v[224:227], v2 offset:1280
	ds_read_b128 v[216:219], v2 offset:1296
	ds_read_b128 v[196:199], v2 offset:1312
	ds_read_b128 v[140:143], v2 offset:1328
	ds_read_b128 v[152:155], v2 offset:1344
	scratch_load_dwordx4 v[192:195], off, off offset:512
	ds_read_b128 v[200:203], v2 offset:1360
	ds_read_b128 v[164:167], v2 offset:1376
	scratch_load_dwordx4 v[4:7], off, off offset:528
	ds_read_b128 v[212:215], v2 offset:1392
	ds_read_b128 v[188:191], v2 offset:1408
	;; [unrolled: 1-line block ×3, first 2 shown]
	scratch_load_dwordx4 v[8:11], off, off offset:544
	scratch_load_dwordx4 v[12:15], off, off offset:560
	;; [unrolled: 1-line block ×6, first 2 shown]
	ds_read_b128 v[228:231], v2 offset:1440
	ds_read_b128 v[232:235], v2 offset:1456
	;; [unrolled: 1-line block ×4, first 2 shown]
	s_waitcnt vmcnt(27) lgkmcnt(14)
	v_mul_f64 v[0:1], v[116:117], v[58:59]
	s_waitcnt vmcnt(26)
	v_mul_f64 v[32:33], v[220:221], v[62:63]
	v_fmac_f64_e32 v[0:1], v[118:119], v[56:57]
	s_waitcnt vmcnt(25)
	v_mul_f64 v[34:35], v[208:209], v[66:67]
	v_fmac_f64_e32 v[32:33], v[222:223], v[60:61]
	v_add_f64 v[0:1], v[0:1], 0
	v_fmac_f64_e32 v[34:35], v[210:211], v[64:65]
	v_add_f64 v[0:1], v[0:1], v[32:33]
	v_add_f64 v[0:1], v[0:1], v[34:35]
	scratch_load_dwordx4 v[32:35], off, off offset:640
	s_waitcnt vmcnt(25)
	v_mul_f64 v[36:37], v[120:121], v[70:71]
	s_waitcnt vmcnt(24)
	v_mul_f64 v[38:39], v[128:129], v[74:75]
	v_fmac_f64_e32 v[36:37], v[122:123], v[68:69]
	s_waitcnt vmcnt(23)
	v_mul_f64 v[40:41], v[124:125], v[78:79]
	v_fmac_f64_e32 v[38:39], v[130:131], v[72:73]
	v_add_f64 v[0:1], v[0:1], v[36:37]
	s_waitcnt vmcnt(22)
	v_mul_f64 v[42:43], v[204:205], v[82:83]
	v_fmac_f64_e32 v[40:41], v[126:127], v[76:77]
	v_add_f64 v[0:1], v[0:1], v[38:39]
	;; [unrolled: 4-line block ×3, first 2 shown]
	s_waitcnt vmcnt(20) lgkmcnt(13)
	v_mul_f64 v[46:47], v[224:225], v[94:95]
	v_fmac_f64_e32 v[44:45], v[134:135], v[84:85]
	v_add_f64 v[0:1], v[0:1], v[42:43]
	s_waitcnt vmcnt(19) lgkmcnt(12)
	v_mul_f64 v[48:49], v[216:217], v[98:99]
	v_fmac_f64_e32 v[46:47], v[226:227], v[92:93]
	v_add_f64 v[0:1], v[0:1], v[44:45]
	;; [unrolled: 4-line block ×9, first 2 shown]
	v_fmac_f64_e32 v[106:107], v[190:191], v[168:169]
	v_add_f64 v[0:1], v[0:1], v[104:105]
	s_waitcnt vmcnt(11) lgkmcnt(4)
	v_mul_f64 v[40:41], v[176:177], v[174:175]
	v_add_f64 v[0:1], v[0:1], v[106:107]
	v_fmac_f64_e32 v[40:41], v[178:179], v[172:173]
	scratch_load_dwordx4 v[36:39], off, off offset:656
	v_add_f64 v[0:1], v[0:1], v[40:41]
	s_waitcnt vmcnt(11) lgkmcnt(3)
	v_mul_f64 v[40:41], v[228:229], v[182:183]
	v_fmac_f64_e32 v[40:41], v[230:231], v[180:181]
	v_add_f64 v[0:1], v[0:1], v[40:41]
	scratch_load_dwordx4 v[40:43], off, off offset:672
	ds_read_b128 v[88:91], v2 offset:1488
	s_waitcnt vmcnt(11) lgkmcnt(3)
	v_mul_f64 v[44:45], v[232:233], v[186:187]
	v_fmac_f64_e32 v[44:45], v[234:235], v[184:185]
	v_add_f64 v[0:1], v[0:1], v[44:45]
	s_waitcnt vmcnt(10) lgkmcnt(2)
	v_mul_f64 v[44:45], v[236:237], v[194:195]
	v_fmac_f64_e32 v[44:45], v[238:239], v[192:193]
	s_waitcnt vmcnt(9) lgkmcnt(0)
	v_mul_f64 v[48:49], v[88:89], v[6:7]
	ds_read_b128 v[104:107], v2 offset:1504
	v_add_f64 v[0:1], v[0:1], v[44:45]
	scratch_load_dwordx4 v[44:47], off, off offset:688
	v_fmac_f64_e32 v[48:49], v[90:91], v[4:5]
	v_accvgpr_write_b32 a127, v7
	v_add_f64 v[0:1], v[0:1], v[48:49]
	scratch_load_dwordx4 v[48:51], off, off offset:704
	v_accvgpr_write_b32 a126, v6
	v_accvgpr_write_b32 a125, v5
	;; [unrolled: 1-line block ×3, first 2 shown]
	s_waitcnt vmcnt(10)
	v_mov_b64_e32 v[4:5], v[8:9]
	v_mov_b64_e32 v[6:7], v[10:11]
	s_waitcnt lgkmcnt(0)
	v_mul_f64 v[52:53], v[104:105], v[6:7]
	v_fmac_f64_e32 v[52:53], v[106:107], v[4:5]
	v_add_f64 v[0:1], v[0:1], v[52:53]
	scratch_load_dwordx4 v[52:55], off, off offset:720
	v_mul_f64 v[58:59], v[118:119], v[58:59]
	v_fma_f64 v[240:241], v[116:117], v[56:57], -v[58:59]
	scratch_load_dwordx4 v[56:59], off, off offset:736
	v_mul_f64 v[62:63], v[222:223], v[62:63]
	v_fma_f64 v[242:243], v[220:221], v[60:61], -v[62:63]
	scratch_load_dwordx4 v[60:63], off, off offset:752
	s_waitcnt vmcnt(12)
	v_mov_b64_e32 v[4:5], v[12:13]
	v_mul_f64 v[66:67], v[210:211], v[66:67]
	v_mov_b64_e32 v[6:7], v[14:15]
	v_fma_f64 v[244:245], v[208:209], v[64:65], -v[66:67]
	scratch_load_dwordx4 v[64:67], off, off offset:768
	v_mul_f64 v[112:113], v[108:109], v[6:7]
	v_fmac_f64_e32 v[112:113], v[110:111], v[4:5]
	v_add_f64 v[0:1], v[0:1], v[112:113]
	ds_read_b128 v[112:115], v2 offset:1536
	ds_read_b128 v[116:119], v2 offset:1552
	s_waitcnt vmcnt(12)
	v_mov_b64_e32 v[4:5], v[16:17]
	v_mul_f64 v[70:71], v[122:123], v[70:71]
	v_mov_b64_e32 v[6:7], v[18:19]
	v_fma_f64 v[246:247], v[120:121], v[68:69], -v[70:71]
	scratch_load_dwordx4 v[68:71], off, off offset:784
	v_mul_f64 v[74:75], v[130:131], v[74:75]
	s_waitcnt lgkmcnt(1)
	v_mul_f64 v[220:221], v[112:113], v[6:7]
	v_fma_f64 v[248:249], v[128:129], v[72:73], -v[74:75]
	scratch_load_dwordx4 v[72:75], off, off offset:800
	v_fmac_f64_e32 v[220:221], v[114:115], v[4:5]
	s_waitcnt vmcnt(13)
	v_mov_b64_e32 v[4:5], v[20:21]
	ds_read_b128 v[120:123], v2 offset:1568
	v_mul_f64 v[78:79], v[126:127], v[78:79]
	v_mov_b64_e32 v[6:7], v[22:23]
	v_fma_f64 v[254:255], v[124:125], v[76:77], -v[78:79]
	scratch_load_dwordx4 v[76:79], off, off offset:816
	s_waitcnt lgkmcnt(1)
	v_mul_f64 v[208:209], v[116:117], v[6:7]
	ds_read_b128 v[124:127], v2 offset:1584
	v_fmac_f64_e32 v[208:209], v[118:119], v[4:5]
	s_waitcnt vmcnt(13)
	v_mov_b64_e32 v[4:5], v[24:25]
	v_mul_f64 v[82:83], v[206:207], v[82:83]
	v_mov_b64_e32 v[6:7], v[26:27]
	v_fma_f64 v[250:251], v[204:205], v[80:81], -v[82:83]
	scratch_load_dwordx4 v[80:83], off, off offset:832
	v_add_f64 v[0:1], v[0:1], v[220:221]
	s_waitcnt lgkmcnt(1)
	v_mul_f64 v[128:129], v[120:121], v[6:7]
	v_add_f64 v[0:1], v[0:1], v[208:209]
	v_fmac_f64_e32 v[128:129], v[122:123], v[4:5]
	v_add_f64 v[0:1], v[0:1], v[128:129]
	s_waitcnt vmcnt(13) lgkmcnt(0)
	v_mul_f64 v[128:129], v[124:125], v[30:31]
	v_accvgpr_write_b32 a147, v27
	v_fmac_f64_e32 v[128:129], v[126:127], v[28:29]
	v_mul_f64 v[86:87], v[134:135], v[86:87]
	v_accvgpr_write_b32 a146, v26
	v_accvgpr_write_b32 a145, v25
	;; [unrolled: 1-line block ×3, first 2 shown]
	v_add_f64 v[0:1], v[0:1], v[128:129]
	v_fma_f64 v[24:25], v[132:133], v[84:85], -v[86:87]
	scratch_load_dwordx4 v[84:87], off, off offset:848
	ds_read_b128 v[132:135], v2 offset:1600
	ds_read_b128 v[128:131], v2 offset:1616
	v_accvgpr_write_b32 a143, v23
	v_mul_f64 v[6:7], v[226:227], v[94:95]
	v_accvgpr_write_b32 a139, v19
	v_accvgpr_write_b32 a142, v22
	;; [unrolled: 1-line block ×4, first 2 shown]
	v_fma_f64 v[20:21], v[224:225], v[92:93], -v[6:7]
	v_mul_f64 v[92:93], v[218:219], v[98:99]
	v_accvgpr_write_b32 a131, v11
	v_accvgpr_write_b32 a138, v18
	v_accvgpr_write_b32 a137, v17
	v_accvgpr_write_b32 a136, v16
	v_fma_f64 v[16:17], v[216:217], v[96:97], -v[92:93]
	scratch_load_dwordx4 v[96:99], off, off offset:864
	scratch_load_dwordx4 v[92:95], off, off offset:880
	v_accvgpr_write_b32 a130, v10
	v_accvgpr_write_b32 a129, v9
	v_accvgpr_write_b32 a128, v8
	s_waitcnt vmcnt(15) lgkmcnt(1)
	v_mul_f64 v[10:11], v[132:133], v[34:35]
	v_fmac_f64_e32 v[10:11], v[134:135], v[32:33]
	v_accvgpr_write_b32 a135, v15
	v_add_f64 v[0:1], v[0:1], v[10:11]
	v_mul_f64 v[10:11], v[198:199], v[102:103]
	v_accvgpr_write_b32 a134, v14
	v_accvgpr_write_b32 a133, v13
	;; [unrolled: 1-line block ×3, first 2 shown]
	v_fma_f64 v[12:13], v[196:197], v[100:101], -v[10:11]
	scratch_load_dwordx4 v[100:103], off, off offset:896
	v_mul_f64 v[138:139], v[142:143], v[138:139]
	v_fma_f64 v[10:11], v[140:141], v[136:137], -v[138:139]
	ds_read_b128 v[136:139], v2 offset:1632
	ds_read_b128 v[140:143], v2 offset:1648
	s_waitcnt vmcnt(15) lgkmcnt(2)
	v_mul_f64 v[14:15], v[128:129], v[38:39]
	v_fmac_f64_e32 v[14:15], v[130:131], v[36:37]
	v_add_f64 v[0:1], v[0:1], v[14:15]
	s_waitcnt vmcnt(14) lgkmcnt(1)
	v_mul_f64 v[14:15], v[136:137], v[42:43]
	v_fmac_f64_e32 v[14:15], v[138:139], v[40:41]
	v_add_f64 v[0:1], v[0:1], v[14:15]
	v_mul_f64 v[14:15], v[154:155], v[146:147]
	v_fma_f64 v[14:15], v[152:153], v[144:145], -v[14:15]
	ds_read_b128 v[144:147], v2 offset:1664
	s_waitcnt vmcnt(13) lgkmcnt(1)
	v_mul_f64 v[152:153], v[140:141], v[46:47]
	v_mul_f64 v[150:151], v[202:203], v[150:151]
	v_fmac_f64_e32 v[152:153], v[142:143], v[44:45]
	v_fma_f64 v[8:9], v[200:201], v[148:149], -v[150:151]
	ds_read_b128 v[148:151], v2 offset:1680
	s_waitcnt vmcnt(12) lgkmcnt(1)
	v_mul_f64 v[18:19], v[144:145], v[50:51]
	v_add_f64 v[0:1], v[0:1], v[152:153]
	v_fmac_f64_e32 v[18:19], v[146:147], v[48:49]
	v_add_f64 v[0:1], v[0:1], v[18:19]
	ds_read_b128 v[152:155], v2 offset:1696
	v_mul_f64 v[18:19], v[166:167], v[158:159]
	v_fma_f64 v[18:19], v[164:165], v[156:157], -v[18:19]
	ds_read_b128 v[156:159], v2 offset:1712
	v_mul_f64 v[162:163], v[214:215], v[162:163]
	s_waitcnt vmcnt(11) lgkmcnt(2)
	v_mul_f64 v[164:165], v[148:149], v[54:55]
	v_fma_f64 v[6:7], v[212:213], v[160:161], -v[162:163]
	ds_read_b128 v[160:163], v2 offset:1728
	v_fmac_f64_e32 v[164:165], v[150:151], v[52:53]
	v_add_f64 v[0:1], v[0:1], v[164:165]
	s_waitcnt vmcnt(10) lgkmcnt(2)
	v_mul_f64 v[164:165], v[152:153], v[58:59]
	v_fmac_f64_e32 v[164:165], v[154:155], v[56:57]
	s_waitcnt vmcnt(9) lgkmcnt(1)
	v_mul_f64 v[22:23], v[156:157], v[62:63]
	v_add_f64 v[0:1], v[0:1], v[164:165]
	v_fmac_f64_e32 v[22:23], v[158:159], v[60:61]
	v_add_f64 v[0:1], v[0:1], v[22:23]
	ds_read_b128 v[164:167], v2 offset:1744
	s_waitcnt vmcnt(8) lgkmcnt(1)
	v_mul_f64 v[22:23], v[160:161], v[66:67]
	v_fmac_f64_e32 v[22:23], v[162:163], v[64:65]
	v_add_f64 v[0:1], v[0:1], v[22:23]
	v_mul_f64 v[22:23], v[190:191], v[170:171]
	v_fma_f64 v[22:23], v[188:189], v[168:169], -v[22:23]
	ds_read_b128 v[168:171], v2 offset:1760
	v_mul_f64 v[174:175], v[178:179], v[174:175]
	v_fma_f64 v[4:5], v[176:177], v[172:173], -v[174:175]
	ds_read_b128 v[172:175], v2 offset:1776
	s_waitcnt vmcnt(7) lgkmcnt(2)
	v_mul_f64 v[188:189], v[164:165], v[70:71]
	v_fmac_f64_e32 v[188:189], v[166:167], v[68:69]
	s_waitcnt vmcnt(6) lgkmcnt(1)
	v_mul_f64 v[26:27], v[168:169], v[74:75]
	ds_read_b128 v[176:179], v2 offset:1792
	v_add_f64 v[0:1], v[0:1], v[188:189]
	v_fmac_f64_e32 v[26:27], v[170:171], v[72:73]
	v_add_f64 v[0:1], v[0:1], v[26:27]
	s_waitcnt vmcnt(5) lgkmcnt(1)
	v_mul_f64 v[26:27], v[172:173], v[78:79]
	v_fmac_f64_e32 v[26:27], v[174:175], v[76:77]
	v_add_f64 v[0:1], v[0:1], v[26:27]
	v_mul_f64 v[26:27], v[230:231], v[182:183]
	v_fma_f64 v[26:27], v[228:229], v[180:181], -v[26:27]
	ds_read_b128 v[180:183], v2 offset:1808
	s_waitcnt vmcnt(4) lgkmcnt(1)
	v_mul_f64 v[188:189], v[176:177], v[82:83]
	v_fmac_f64_e32 v[188:189], v[178:179], v[80:81]
	v_add_f64 v[196:197], v[0:1], v[188:189]
	v_mul_f64 v[0:1], v[234:235], v[186:187]
	v_fma_f64 v[0:1], v[232:233], v[184:185], -v[0:1]
	ds_read_b128 v[184:187], v2 offset:1824
	ds_read_b128 v[188:191], v2 offset:1840
	s_waitcnt vmcnt(3) lgkmcnt(2)
	v_mul_f64 v[198:199], v[180:181], v[86:87]
	v_mul_f64 v[194:195], v[238:239], v[194:195]
	v_fmac_f64_e32 v[198:199], v[182:183], v[84:85]
	v_fma_f64 v[252:253], v[236:237], v[192:193], -v[194:195]
	ds_read_b128 v[192:195], v2 offset:1856
	ds_read_b128 v[200:203], v2 offset:1872
	v_add_f64 v[196:197], v[196:197], v[198:199]
	s_waitcnt vmcnt(2) lgkmcnt(3)
	v_mul_f64 v[198:199], v[184:185], v[98:99]
	v_fmac_f64_e32 v[198:199], v[186:187], v[96:97]
	v_add_f64 v[196:197], v[196:197], v[198:199]
	s_waitcnt vmcnt(1) lgkmcnt(2)
	v_mul_f64 v[198:199], v[188:189], v[94:95]
	v_fmac_f64_e32 v[198:199], v[190:191], v[92:93]
	v_add_f64 v[196:197], v[196:197], v[198:199]
	scratch_load_dwordx4 v[232:235], off, off offset:976
	s_waitcnt vmcnt(1) lgkmcnt(1)
	v_mul_f64 v[198:199], v[192:193], v[102:103]
	v_fmac_f64_e32 v[198:199], v[194:195], v[100:101]
	v_add_f64 v[204:205], v[196:197], v[198:199]
	scratch_load_dwordx4 v[196:199], off, off offset:912
	ds_read_b128 v[208:211], v2 offset:1888
	ds_read_b128 v[216:219], v2 offset:1904
	;; [unrolled: 1-line block ×3, first 2 shown]
	s_waitcnt vmcnt(0) lgkmcnt(3)
	v_mul_f64 v[206:207], v[200:201], v[198:199]
	v_fmac_f64_e32 v[206:207], v[202:203], v[196:197]
	v_add_f64 v[212:213], v[204:205], v[206:207]
	scratch_load_dwordx4 v[204:207], off, off offset:928
	s_waitcnt vmcnt(0) lgkmcnt(2)
	v_mul_f64 v[214:215], v[208:209], v[206:207]
	v_fmac_f64_e32 v[214:215], v[210:211], v[204:205]
	v_add_f64 v[220:221], v[212:213], v[214:215]
	scratch_load_dwordx4 v[212:215], off, off offset:944
	;; [unrolled: 5-line block ×3, first 2 shown]
	s_waitcnt vmcnt(0) lgkmcnt(0)
	v_mul_f64 v[230:231], v[224:225], v[222:223]
	v_fmac_f64_e32 v[230:231], v[226:227], v[220:221]
	v_add_f64 v[236:237], v[228:229], v[230:231]
	ds_read_b128 v[228:231], v2 offset:1936
	s_waitcnt lgkmcnt(0)
	v_mul_f64 v[2:3], v[228:229], v[234:235]
	v_fmac_f64_e32 v[2:3], v[230:231], v[232:233]
	v_add_f64 v[2:3], v[236:237], v[2:3]
	v_add_f64 v[236:237], v[240:241], 0
	;; [unrolled: 1-line block ×9, first 2 shown]
	scratch_load_dwordx4 v[236:239], off, off offset:176
	v_add_f64 v[20:21], v[24:25], v[20:21]
	v_add_f64 v[16:17], v[20:21], v[16:17]
	;; [unrolled: 1-line block ×10, first 2 shown]
	v_accvgpr_read_b32 v6, a124
	v_accvgpr_read_b32 v8, a126
	;; [unrolled: 1-line block ×3, first 2 shown]
	v_add_f64 v[254:255], v[4:5], v[26:27]
	v_accvgpr_read_b32 v7, a125
	v_mul_f64 v[4:5], v[90:91], v[8:9]
	v_add_f64 v[0:1], v[254:255], v[0:1]
	v_fma_f64 v[4:5], v[88:89], v[6:7], -v[4:5]
	v_accvgpr_read_b32 v6, a128
	v_add_f64 v[0:1], v[0:1], v[252:253]
	v_accvgpr_read_b32 v8, a130
	v_accvgpr_read_b32 v9, a131
	v_add_f64 v[0:1], v[0:1], v[4:5]
	v_accvgpr_read_b32 v7, a129
	v_mul_f64 v[4:5], v[106:107], v[8:9]
	v_fma_f64 v[4:5], v[104:105], v[6:7], -v[4:5]
	v_accvgpr_read_b32 v6, a132
	v_accvgpr_read_b32 v8, a134
	v_accvgpr_read_b32 v9, a135
	v_add_f64 v[0:1], v[0:1], v[4:5]
	v_accvgpr_read_b32 v7, a133
	v_mul_f64 v[4:5], v[110:111], v[8:9]
	v_fma_f64 v[4:5], v[108:109], v[6:7], -v[4:5]
	v_accvgpr_read_b32 v6, a136
	;; [unrolled: 7-line block ×4, first 2 shown]
	v_accvgpr_read_b32 v8, a146
	v_accvgpr_read_b32 v9, a147
	v_add_f64 v[0:1], v[0:1], v[4:5]
	v_accvgpr_read_b32 v7, a145
	v_mul_f64 v[4:5], v[122:123], v[8:9]
	v_fma_f64 v[4:5], v[120:121], v[6:7], -v[4:5]
	v_add_f64 v[0:1], v[0:1], v[4:5]
	v_mul_f64 v[4:5], v[126:127], v[30:31]
	v_fma_f64 v[4:5], v[124:125], v[28:29], -v[4:5]
	v_add_f64 v[0:1], v[0:1], v[4:5]
	;; [unrolled: 3-line block ×24, first 2 shown]
	s_waitcnt vmcnt(0)
	v_add_f64 v[4:5], v[236:237], -v[0:1]
	v_accvgpr_read_b32 v0, a122
	v_add_f64 v[6:7], v[238:239], -v[2:3]
	v_cmp_lt_u32_e32 vcc, 9, v0
	scratch_store_dwordx4 off, v[4:7], off offset:176
	s_and_saveexec_b64 s[0:1], vcc
	s_cbranch_execz .LBB60_373
; %bb.372:
	scratch_load_dwordx4 v[2:5], off, s35
	v_mov_b32_e32 v6, 0
	v_mov_b32_e32 v7, v6
	;; [unrolled: 1-line block ×4, first 2 shown]
	v_accvgpr_read_b32 v0, a123
	scratch_store_dwordx4 off, v[6:9], off offset:160
	s_waitcnt vmcnt(1)
	ds_write_b128 v0, v[2:5]
.LBB60_373:
	s_or_b64 exec, exec, s[0:1]
	s_waitcnt lgkmcnt(0)
	; wave barrier
	scratch_load_dwordx4 v[48:51], off, off offset:176
	scratch_load_dwordx4 v[52:55], off, off offset:192
	;; [unrolled: 1-line block ×28, first 2 shown]
	v_mov_b32_e32 v2, 0
	ds_read_b128 v[104:107], v2 offset:1136
	ds_read_b128 v[112:115], v2 offset:1152
	;; [unrolled: 1-line block ×18, first 2 shown]
	scratch_load_dwordx4 a[124:127], off, off offset:624
	scratch_load_dwordx4 v[234:237], off, off offset:640
	ds_read_b128 v[220:223], v2 offset:1424
	ds_read_b128 v[224:227], v2 offset:1440
	;; [unrolled: 1-line block ×5, first 2 shown]
	s_waitcnt vmcnt(29) lgkmcnt(14)
	v_mul_f64 v[0:1], v[104:105], v[50:51]
	s_waitcnt vmcnt(28)
	v_mul_f64 v[24:25], v[112:113], v[54:55]
	v_fmac_f64_e32 v[0:1], v[106:107], v[48:49]
	s_waitcnt vmcnt(27)
	v_mul_f64 v[26:27], v[116:117], v[58:59]
	v_fmac_f64_e32 v[24:25], v[114:115], v[52:53]
	v_add_f64 v[0:1], v[0:1], 0
	s_waitcnt vmcnt(26)
	v_mul_f64 v[28:29], v[120:121], v[62:63]
	v_fmac_f64_e32 v[26:27], v[118:119], v[56:57]
	v_add_f64 v[0:1], v[0:1], v[24:25]
	;; [unrolled: 4-line block ×7, first 2 shown]
	s_waitcnt vmcnt(20) lgkmcnt(13)
	v_mul_f64 v[40:41], v[172:173], v[86:87]
	v_fmac_f64_e32 v[38:39], v[162:163], v[80:81]
	v_add_f64 v[0:1], v[0:1], v[36:37]
	s_waitcnt vmcnt(19) lgkmcnt(12)
	v_mul_f64 v[42:43], v[184:185], v[94:95]
	v_fmac_f64_e32 v[40:41], v[174:175], v[84:85]
	v_add_f64 v[0:1], v[0:1], v[38:39]
	;; [unrolled: 4-line block ×8, first 2 shown]
	v_add_f64 v[0:1], v[0:1], v[96:97]
	v_fmac_f64_e32 v[98:99], v[214:215], v[152:153]
	s_waitcnt vmcnt(12) lgkmcnt(5)
	v_mul_f64 v[32:33], v[216:217], v[158:159]
	v_add_f64 v[0:1], v[0:1], v[98:99]
	v_fmac_f64_e32 v[32:33], v[218:219], v[156:157]
	v_add_f64 v[0:1], v[0:1], v[32:33]
	s_waitcnt vmcnt(11) lgkmcnt(4)
	v_mul_f64 v[32:33], v[220:221], v[166:167]
	v_fmac_f64_e32 v[32:33], v[222:223], v[164:165]
	v_add_f64 v[0:1], v[0:1], v[32:33]
	scratch_load_dwordx4 v[32:35], off, off offset:656
	s_waitcnt vmcnt(11) lgkmcnt(3)
	v_mul_f64 v[36:37], v[224:225], v[170:171]
	v_fmac_f64_e32 v[36:37], v[226:227], v[168:169]
	v_add_f64 v[0:1], v[0:1], v[36:37]
	s_waitcnt vmcnt(10) lgkmcnt(2)
	v_mul_f64 v[36:37], v[228:229], v[178:179]
	v_fmac_f64_e32 v[36:37], v[230:231], v[176:177]
	v_add_f64 v[0:1], v[0:1], v[36:37]
	scratch_load_dwordx4 v[36:39], off, off offset:672
	s_waitcnt vmcnt(10) lgkmcnt(1)
	v_mul_f64 v[40:41], v[238:239], v[182:183]
	v_fmac_f64_e32 v[40:41], v[240:241], v[180:181]
	v_add_f64 v[0:1], v[0:1], v[40:41]
	scratch_load_dwordx4 v[40:43], off, off offset:688
	ds_read_b128 v[88:91], v2 offset:1504
	s_waitcnt vmcnt(10) lgkmcnt(1)
	v_mul_f64 v[44:45], v[250:251], v[190:191]
	v_fmac_f64_e32 v[44:45], v[252:253], v[188:189]
	v_add_f64 v[0:1], v[0:1], v[44:45]
	scratch_load_dwordx4 v[44:47], off, off offset:704
	v_mul_f64 v[50:51], v[106:107], v[50:51]
	v_fma_f64 v[242:243], v[104:105], v[48:49], -v[50:51]
	scratch_load_dwordx4 v[48:51], off, off offset:720
	v_mul_f64 v[54:55], v[114:115], v[54:55]
	v_fma_f64 v[244:245], v[112:113], v[52:53], -v[54:55]
	scratch_load_dwordx4 v[52:55], off, off offset:736
	s_waitcnt vmcnt(12) lgkmcnt(0)
	v_mul_f64 v[96:97], v[88:89], v[6:7]
	v_fmac_f64_e32 v[96:97], v[90:91], v[4:5]
	v_mul_f64 v[58:59], v[118:119], v[58:59]
	v_add_f64 v[0:1], v[0:1], v[96:97]
	ds_read_b128 v[96:99], v2 offset:1520
	ds_read_b128 v[104:107], v2 offset:1536
	v_fma_f64 v[246:247], v[116:117], v[56:57], -v[58:59]
	scratch_load_dwordx4 v[56:59], off, off offset:752
	v_mul_f64 v[62:63], v[122:123], v[62:63]
	v_accvgpr_write_b32 a131, v7
	v_fma_f64 v[248:249], v[120:121], v[60:61], -v[62:63]
	scratch_load_dwordx4 v[60:63], off, off offset:768
	v_accvgpr_write_b32 a130, v6
	v_accvgpr_write_b32 a129, v5
	;; [unrolled: 1-line block ×3, first 2 shown]
	s_waitcnt vmcnt(13)
	v_mov_b64_e32 v[4:5], v[8:9]
	v_mov_b64_e32 v[6:7], v[10:11]
	v_mul_f64 v[66:67], v[126:127], v[66:67]
	s_waitcnt lgkmcnt(1)
	v_mul_f64 v[112:113], v[96:97], v[6:7]
	v_fma_f64 v[254:255], v[124:125], v[64:65], -v[66:67]
	scratch_load_dwordx4 v[64:67], off, off offset:784
	v_fmac_f64_e32 v[112:113], v[98:99], v[4:5]
	s_waitcnt vmcnt(13)
	v_mov_b64_e32 v[4:5], v[12:13]
	v_mov_b64_e32 v[6:7], v[14:15]
	v_add_f64 v[0:1], v[0:1], v[112:113]
	s_waitcnt lgkmcnt(0)
	v_mul_f64 v[112:113], v[104:105], v[6:7]
	v_fmac_f64_e32 v[112:113], v[106:107], v[4:5]
	v_add_f64 v[0:1], v[0:1], v[112:113]
	ds_read_b128 v[112:115], v2 offset:1552
	ds_read_b128 v[116:119], v2 offset:1568
	v_mul_f64 v[70:71], v[130:131], v[70:71]
	v_fma_f64 v[232:233], v[128:129], v[68:69], -v[70:71]
	scratch_load_dwordx4 v[68:71], off, off offset:800
	v_mul_f64 v[74:75], v[134:135], v[74:75]
	v_accvgpr_write_b32 a135, v11
	s_waitcnt vmcnt(13)
	v_mov_b64_e32 v[4:5], v[16:17]
	v_fma_f64 v[28:29], v[132:133], v[72:73], -v[74:75]
	scratch_load_dwordx4 v[72:75], off, off offset:816
	v_accvgpr_write_b32 a134, v10
	v_accvgpr_write_b32 a133, v9
	;; [unrolled: 1-line block ×3, first 2 shown]
	v_mov_b64_e32 v[6:7], v[18:19]
	s_waitcnt vmcnt(13)
	v_mov_b64_e32 v[8:9], v[20:21]
	s_waitcnt lgkmcnt(1)
	v_mul_f64 v[120:121], v[112:113], v[6:7]
	v_mov_b64_e32 v[10:11], v[22:23]
	v_fmac_f64_e32 v[120:121], v[114:115], v[4:5]
	s_waitcnt lgkmcnt(0)
	v_mul_f64 v[6:7], v[116:117], v[10:11]
	v_add_f64 v[0:1], v[0:1], v[120:121]
	v_fmac_f64_e32 v[6:7], v[118:119], v[8:9]
	v_add_f64 v[0:1], v[0:1], v[6:7]
	v_mul_f64 v[6:7], v[150:151], v[78:79]
	v_accvgpr_write_b32 a147, v23
	v_fma_f64 v[24:25], v[148:149], v[76:77], -v[6:7]
	scratch_load_dwordx4 v[76:79], off, off offset:832
	v_mul_f64 v[6:7], v[162:163], v[82:83]
	ds_read_b128 v[124:127], v2 offset:1584
	ds_read_b128 v[120:123], v2 offset:1600
	v_accvgpr_write_b32 a143, v19
	v_accvgpr_write_b32 a146, v22
	;; [unrolled: 1-line block ×4, first 2 shown]
	v_fma_f64 v[20:21], v[160:161], v[80:81], -v[6:7]
	v_mul_f64 v[6:7], v[174:175], v[86:87]
	v_accvgpr_write_b32 a142, v18
	v_accvgpr_write_b32 a141, v17
	;; [unrolled: 1-line block ×3, first 2 shown]
	v_fma_f64 v[16:17], v[172:173], v[84:85], -v[6:7]
	scratch_load_dwordx4 v[84:87], off, off offset:848
	scratch_load_dwordx4 v[80:83], off, off offset:864
	s_waitcnt vmcnt(15)
	v_accvgpr_read_b32 v8, a124
	v_accvgpr_read_b32 v10, a126
	;; [unrolled: 1-line block ×4, first 2 shown]
	s_waitcnt lgkmcnt(1)
	v_mul_f64 v[6:7], v[124:125], v[10:11]
	v_fmac_f64_e32 v[6:7], v[126:127], v[8:9]
	v_add_f64 v[0:1], v[0:1], v[6:7]
	s_waitcnt vmcnt(14) lgkmcnt(0)
	v_mul_f64 v[6:7], v[120:121], v[236:237]
	v_fmac_f64_e32 v[6:7], v[122:123], v[234:235]
	v_accvgpr_write_b32 a139, v15
	v_add_f64 v[0:1], v[0:1], v[6:7]
	v_mul_f64 v[6:7], v[186:187], v[94:95]
	v_accvgpr_write_b32 a138, v14
	v_accvgpr_write_b32 a137, v13
	;; [unrolled: 1-line block ×3, first 2 shown]
	v_fma_f64 v[14:15], v[184:185], v[92:93], -v[6:7]
	scratch_load_dwordx4 v[92:95], off, off offset:880
	v_mul_f64 v[6:7], v[194:195], v[102:103]
	v_fma_f64 v[12:13], v[192:193], v[100:101], -v[6:7]
	scratch_load_dwordx4 v[100:103], off, off offset:896
	v_mul_f64 v[6:7], v[198:199], v[110:111]
	v_fma_f64 v[18:19], v[196:197], v[108:109], -v[6:7]
	scratch_load_dwordx4 v[108:111], off, off offset:912
	ds_read_b128 v[128:131], v2 offset:1616
	ds_read_b128 v[132:135], v2 offset:1632
	;; [unrolled: 1-line block ×4, first 2 shown]
	v_mul_f64 v[182:183], v[240:241], v[182:183]
	s_waitcnt vmcnt(16) lgkmcnt(3)
	v_mul_f64 v[6:7], v[128:129], v[34:35]
	v_fmac_f64_e32 v[6:7], v[130:131], v[32:33]
	v_add_f64 v[0:1], v[0:1], v[6:7]
	v_mul_f64 v[6:7], v[202:203], v[138:139]
	v_fma_f64 v[10:11], v[200:201], v[136:137], -v[6:7]
	ds_read_b128 v[136:139], v2 offset:1648
	s_waitcnt vmcnt(15) lgkmcnt(3)
	v_mul_f64 v[6:7], v[132:133], v[38:39]
	v_fmac_f64_e32 v[6:7], v[134:135], v[36:37]
	v_add_f64 v[0:1], v[0:1], v[6:7]
	v_mul_f64 v[6:7], v[206:207], v[142:143]
	v_fma_f64 v[22:23], v[204:205], v[140:141], -v[6:7]
	ds_read_b128 v[140:143], v2 offset:1664
	;; [unrolled: 7-line block ×3, first 2 shown]
	s_waitcnt vmcnt(13) lgkmcnt(1)
	v_mul_f64 v[6:7], v[140:141], v[46:47]
	v_fmac_f64_e32 v[6:7], v[142:143], v[44:45]
	v_add_f64 v[0:1], v[0:1], v[6:7]
	v_fma_f64 v[238:239], v[238:239], v[180:181], -v[182:183]
	s_waitcnt vmcnt(12) lgkmcnt(0)
	v_mul_f64 v[6:7], v[144:145], v[50:51]
	v_fmac_f64_e32 v[6:7], v[146:147], v[48:49]
	v_add_f64 v[0:1], v[0:1], v[6:7]
	v_mul_f64 v[6:7], v[214:215], v[154:155]
	v_fma_f64 v[26:27], v[212:213], v[152:153], -v[6:7]
	s_waitcnt vmcnt(11)
	v_mul_f64 v[6:7], v[148:149], v[54:55]
	v_fmac_f64_e32 v[6:7], v[150:151], v[52:53]
	ds_read_b128 v[152:155], v2 offset:1712
	v_add_f64 v[0:1], v[0:1], v[6:7]
	v_mul_f64 v[6:7], v[218:219], v[158:159]
	v_fma_f64 v[4:5], v[216:217], v[156:157], -v[6:7]
	ds_read_b128 v[156:159], v2 offset:1728
	s_waitcnt vmcnt(10) lgkmcnt(1)
	v_mul_f64 v[6:7], v[152:153], v[58:59]
	v_fmac_f64_e32 v[6:7], v[154:155], v[56:57]
	v_add_f64 v[0:1], v[0:1], v[6:7]
	ds_read_b128 v[180:183], v2 offset:1824
	s_waitcnt vmcnt(9) lgkmcnt(1)
	v_mul_f64 v[6:7], v[156:157], v[62:63]
	v_fmac_f64_e32 v[6:7], v[158:159], v[60:61]
	v_add_f64 v[0:1], v[0:1], v[6:7]
	v_mul_f64 v[6:7], v[222:223], v[166:167]
	v_fma_f64 v[30:31], v[220:221], v[164:165], -v[6:7]
	ds_read_b128 v[164:167], v2 offset:1760
	s_waitcnt vmcnt(8)
	v_mul_f64 v[6:7], v[160:161], v[66:67]
	v_fmac_f64_e32 v[6:7], v[162:163], v[64:65]
	v_add_f64 v[0:1], v[0:1], v[6:7]
	v_mul_f64 v[6:7], v[226:227], v[170:171]
	v_fma_f64 v[6:7], v[224:225], v[168:169], -v[6:7]
	ds_read_b128 v[168:171], v2 offset:1776
	s_waitcnt vmcnt(7) lgkmcnt(1)
	v_mul_f64 v[172:173], v[164:165], v[70:71]
	v_fmac_f64_e32 v[172:173], v[166:167], v[68:69]
	v_add_f64 v[0:1], v[0:1], v[172:173]
	ds_read_b128 v[172:175], v2 offset:1792
	s_waitcnt vmcnt(6) lgkmcnt(1)
	v_mul_f64 v[184:185], v[168:169], v[74:75]
	v_fmac_f64_e32 v[184:185], v[170:171], v[72:73]
	v_add_f64 v[184:185], v[0:1], v[184:185]
	v_mul_f64 v[0:1], v[230:231], v[178:179]
	v_fma_f64 v[0:1], v[228:229], v[176:177], -v[0:1]
	ds_read_b128 v[176:179], v2 offset:1808
	s_waitcnt vmcnt(5) lgkmcnt(1)
	v_mul_f64 v[186:187], v[172:173], v[78:79]
	v_fmac_f64_e32 v[186:187], v[174:175], v[76:77]
	v_add_f64 v[184:185], v[184:185], v[186:187]
	v_mul_f64 v[190:191], v[252:253], v[190:191]
	s_waitcnt vmcnt(4) lgkmcnt(0)
	v_mul_f64 v[186:187], v[176:177], v[86:87]
	v_fmac_f64_e32 v[186:187], v[178:179], v[84:85]
	v_add_f64 v[192:193], v[184:185], v[186:187]
	ds_read_b128 v[184:187], v2 offset:1840
	v_fma_f64 v[250:251], v[250:251], v[188:189], -v[190:191]
	ds_read_b128 v[188:191], v2 offset:1856
	s_waitcnt vmcnt(3)
	v_mul_f64 v[194:195], v[180:181], v[82:83]
	v_fmac_f64_e32 v[194:195], v[182:183], v[80:81]
	v_add_f64 v[192:193], v[192:193], v[194:195]
	s_waitcnt vmcnt(2) lgkmcnt(1)
	v_mul_f64 v[194:195], v[184:185], v[94:95]
	v_fmac_f64_e32 v[194:195], v[186:187], v[92:93]
	v_add_f64 v[192:193], v[192:193], v[194:195]
	s_waitcnt vmcnt(1) lgkmcnt(0)
	v_mul_f64 v[194:195], v[188:189], v[102:103]
	v_fmac_f64_e32 v[194:195], v[190:191], v[100:101]
	v_add_f64 v[196:197], v[192:193], v[194:195]
	ds_read_b128 v[192:195], v2 offset:1872
	ds_read_b128 v[200:203], v2 offset:1888
	;; [unrolled: 1-line block ×5, first 2 shown]
	s_waitcnt vmcnt(0) lgkmcnt(4)
	v_mul_f64 v[198:199], v[192:193], v[110:111]
	v_fmac_f64_e32 v[198:199], v[194:195], v[108:109]
	v_add_f64 v[204:205], v[196:197], v[198:199]
	scratch_load_dwordx4 v[196:199], off, off offset:928
	s_waitcnt vmcnt(0) lgkmcnt(3)
	v_mul_f64 v[206:207], v[200:201], v[198:199]
	v_fmac_f64_e32 v[206:207], v[202:203], v[196:197]
	v_add_f64 v[212:213], v[204:205], v[206:207]
	scratch_load_dwordx4 v[204:207], off, off offset:944
	;; [unrolled: 5-line block ×4, first 2 shown]
	s_waitcnt vmcnt(0) lgkmcnt(0)
	v_mul_f64 v[230:231], v[224:225], v[222:223]
	v_fmac_f64_e32 v[230:231], v[226:227], v[220:221]
	v_add_f64 v[240:241], v[228:229], v[230:231]
	v_add_f64 v[228:229], v[242:243], 0
	;; [unrolled: 1-line block ×8, first 2 shown]
	scratch_load_dwordx4 v[228:231], off, off offset:160
	v_add_f64 v[24:25], v[28:29], v[24:25]
	v_add_f64 v[20:21], v[24:25], v[20:21]
	;; [unrolled: 1-line block ×13, first 2 shown]
	v_accvgpr_read_b32 v6, a128
	v_accvgpr_read_b32 v8, a130
	;; [unrolled: 1-line block ×3, first 2 shown]
	v_add_f64 v[0:1], v[4:5], v[0:1]
	v_accvgpr_read_b32 v7, a129
	v_mul_f64 v[4:5], v[90:91], v[8:9]
	v_add_f64 v[0:1], v[0:1], v[238:239]
	v_fma_f64 v[4:5], v[88:89], v[6:7], -v[4:5]
	v_accvgpr_read_b32 v6, a132
	v_add_f64 v[0:1], v[0:1], v[250:251]
	v_accvgpr_read_b32 v8, a134
	v_accvgpr_read_b32 v9, a135
	v_add_f64 v[0:1], v[0:1], v[4:5]
	v_accvgpr_read_b32 v7, a133
	v_mul_f64 v[4:5], v[98:99], v[8:9]
	v_fma_f64 v[4:5], v[96:97], v[6:7], -v[4:5]
	v_accvgpr_read_b32 v6, a136
	v_accvgpr_read_b32 v8, a138
	v_accvgpr_read_b32 v9, a139
	v_add_f64 v[0:1], v[0:1], v[4:5]
	v_accvgpr_read_b32 v7, a137
	v_mul_f64 v[4:5], v[106:107], v[8:9]
	v_fma_f64 v[4:5], v[104:105], v[6:7], -v[4:5]
	v_accvgpr_read_b32 v6, a140
	;; [unrolled: 7-line block ×4, first 2 shown]
	v_accvgpr_read_b32 v8, a126
	v_accvgpr_read_b32 v9, a127
	v_add_f64 v[0:1], v[0:1], v[4:5]
	v_accvgpr_read_b32 v7, a125
	v_mul_f64 v[4:5], v[126:127], v[8:9]
	v_fma_f64 v[4:5], v[124:125], v[6:7], -v[4:5]
	v_add_f64 v[0:1], v[0:1], v[4:5]
	v_mul_f64 v[4:5], v[122:123], v[236:237]
	v_fma_f64 v[4:5], v[120:121], v[234:235], -v[4:5]
	v_add_f64 v[0:1], v[0:1], v[4:5]
	v_mul_f64 v[4:5], v[130:131], v[34:35]
	v_fma_f64 v[4:5], v[128:129], v[32:33], -v[4:5]
	v_add_f64 v[0:1], v[0:1], v[4:5]
	v_mul_f64 v[4:5], v[134:135], v[38:39]
	v_fma_f64 v[4:5], v[132:133], v[36:37], -v[4:5]
	v_add_f64 v[0:1], v[0:1], v[4:5]
	v_mul_f64 v[4:5], v[138:139], v[42:43]
	v_fma_f64 v[4:5], v[136:137], v[40:41], -v[4:5]
	v_add_f64 v[0:1], v[0:1], v[4:5]
	v_mul_f64 v[4:5], v[142:143], v[46:47]
	v_fma_f64 v[4:5], v[140:141], v[44:45], -v[4:5]
	v_add_f64 v[0:1], v[0:1], v[4:5]
	v_mul_f64 v[4:5], v[146:147], v[50:51]
	v_fma_f64 v[4:5], v[144:145], v[48:49], -v[4:5]
	v_add_f64 v[0:1], v[0:1], v[4:5]
	v_mul_f64 v[4:5], v[150:151], v[54:55]
	v_fma_f64 v[4:5], v[148:149], v[52:53], -v[4:5]
	v_add_f64 v[0:1], v[0:1], v[4:5]
	v_mul_f64 v[4:5], v[154:155], v[58:59]
	v_fma_f64 v[4:5], v[152:153], v[56:57], -v[4:5]
	v_add_f64 v[0:1], v[0:1], v[4:5]
	v_mul_f64 v[4:5], v[158:159], v[62:63]
	v_fma_f64 v[4:5], v[156:157], v[60:61], -v[4:5]
	v_add_f64 v[0:1], v[0:1], v[4:5]
	v_mul_f64 v[4:5], v[162:163], v[66:67]
	v_fma_f64 v[4:5], v[160:161], v[64:65], -v[4:5]
	v_add_f64 v[0:1], v[0:1], v[4:5]
	v_mul_f64 v[4:5], v[166:167], v[70:71]
	v_fma_f64 v[4:5], v[164:165], v[68:69], -v[4:5]
	v_add_f64 v[0:1], v[0:1], v[4:5]
	v_mul_f64 v[4:5], v[170:171], v[74:75]
	v_fma_f64 v[4:5], v[168:169], v[72:73], -v[4:5]
	v_add_f64 v[0:1], v[0:1], v[4:5]
	v_mul_f64 v[4:5], v[174:175], v[78:79]
	v_fma_f64 v[4:5], v[172:173], v[76:77], -v[4:5]
	v_add_f64 v[0:1], v[0:1], v[4:5]
	v_mul_f64 v[4:5], v[178:179], v[86:87]
	v_fma_f64 v[4:5], v[176:177], v[84:85], -v[4:5]
	v_add_f64 v[0:1], v[0:1], v[4:5]
	v_mul_f64 v[4:5], v[182:183], v[82:83]
	v_fma_f64 v[4:5], v[180:181], v[80:81], -v[4:5]
	v_add_f64 v[0:1], v[0:1], v[4:5]
	v_mul_f64 v[4:5], v[186:187], v[94:95]
	v_fma_f64 v[4:5], v[184:185], v[92:93], -v[4:5]
	v_add_f64 v[0:1], v[0:1], v[4:5]
	v_mul_f64 v[4:5], v[190:191], v[102:103]
	v_fma_f64 v[4:5], v[188:189], v[100:101], -v[4:5]
	v_add_f64 v[0:1], v[0:1], v[4:5]
	v_mul_f64 v[4:5], v[194:195], v[110:111]
	v_fma_f64 v[4:5], v[192:193], v[108:109], -v[4:5]
	v_add_f64 v[0:1], v[0:1], v[4:5]
	v_mul_f64 v[4:5], v[202:203], v[198:199]
	v_fma_f64 v[4:5], v[200:201], v[196:197], -v[4:5]
	v_add_f64 v[0:1], v[0:1], v[4:5]
	v_mul_f64 v[4:5], v[210:211], v[206:207]
	v_fma_f64 v[4:5], v[208:209], v[204:205], -v[4:5]
	v_add_f64 v[0:1], v[0:1], v[4:5]
	v_mul_f64 v[4:5], v[218:219], v[214:215]
	v_fma_f64 v[4:5], v[216:217], v[212:213], -v[4:5]
	v_add_f64 v[0:1], v[0:1], v[4:5]
	v_mul_f64 v[4:5], v[226:227], v[222:223]
	v_fma_f64 v[4:5], v[224:225], v[220:221], -v[4:5]
	v_add_f64 v[0:1], v[0:1], v[4:5]
	s_waitcnt vmcnt(0)
	v_add_f64 v[4:5], v[228:229], -v[0:1]
	v_accvgpr_read_b32 v0, a122
	v_add_f64 v[6:7], v[230:231], -v[240:241]
	v_cmp_lt_u32_e32 vcc, 8, v0
	scratch_store_dwordx4 off, v[4:7], off offset:160
	s_and_saveexec_b64 s[0:1], vcc
	s_cbranch_execz .LBB60_375
; %bb.374:
	scratch_load_dwordx4 v[6:9], off, s34
	v_mov_b32_e32 v3, v2
	v_mov_b32_e32 v4, v2
	;; [unrolled: 1-line block ×3, first 2 shown]
	v_accvgpr_read_b32 v0, a123
	scratch_store_dwordx4 off, v[2:5], off offset:144
	s_waitcnt vmcnt(1)
	ds_write_b128 v0, v[6:9]
.LBB60_375:
	s_or_b64 exec, exec, s[0:1]
	s_waitcnt lgkmcnt(0)
	; wave barrier
	scratch_load_dwordx4 v[48:51], off, off offset:160
	scratch_load_dwordx4 v[52:55], off, off offset:176
	;; [unrolled: 1-line block ×18, first 2 shown]
	ds_read_b128 v[104:107], v2 offset:1120
	ds_read_b128 v[208:211], v2 offset:1136
	;; [unrolled: 1-line block ×6, first 2 shown]
	scratch_load_dwordx4 v[164:167], off, off offset:448
	ds_read_b128 v[192:195], v2 offset:1216
	ds_read_b128 v[124:127], v2 offset:1232
	scratch_load_dwordx4 v[168:171], off, off offset:464
	ds_read_b128 v[212:215], v2 offset:1248
	ds_read_b128 v[204:207], v2 offset:1264
	;; [unrolled: 1-line block ×5, first 2 shown]
	scratch_load_dwordx4 v[176:179], off, off offset:480
	ds_read_b128 v[200:203], v2 offset:1328
	ds_read_b128 v[172:175], v2 offset:1344
	scratch_load_dwordx4 v[180:183], off, off offset:496
	ds_read_b128 v[216:219], v2 offset:1360
	ds_read_b128 v[184:187], v2 offset:1376
	ds_read_b128 v[160:163], v2 offset:1392
	scratch_load_dwordx4 v[188:191], off, off offset:512
	scratch_load_dwordx4 v[4:7], off, off offset:528
	;; [unrolled: 1-line block ×8, first 2 shown]
	ds_read_b128 v[220:223], v2 offset:1408
	ds_read_b128 v[224:227], v2 offset:1424
	;; [unrolled: 1-line block ×5, first 2 shown]
	s_waitcnt vmcnt(29) lgkmcnt(14)
	v_mul_f64 v[0:1], v[104:105], v[50:51]
	s_waitcnt vmcnt(28)
	v_mul_f64 v[24:25], v[208:209], v[54:55]
	v_fmac_f64_e32 v[0:1], v[106:107], v[48:49]
	s_waitcnt vmcnt(27)
	v_mul_f64 v[26:27], v[196:197], v[58:59]
	v_fmac_f64_e32 v[24:25], v[210:211], v[52:53]
	v_add_f64 v[0:1], v[0:1], 0
	s_waitcnt vmcnt(26)
	v_mul_f64 v[28:29], v[112:113], v[62:63]
	v_fmac_f64_e32 v[26:27], v[198:199], v[56:57]
	v_add_f64 v[0:1], v[0:1], v[24:25]
	;; [unrolled: 4-line block ×7, first 2 shown]
	s_waitcnt vmcnt(20) lgkmcnt(13)
	v_mul_f64 v[40:41], v[204:205], v[86:87]
	v_fmac_f64_e32 v[38:39], v[214:215], v[80:81]
	v_add_f64 v[0:1], v[0:1], v[36:37]
	s_waitcnt vmcnt(19) lgkmcnt(12)
	v_mul_f64 v[42:43], v[128:129], v[94:95]
	v_fmac_f64_e32 v[40:41], v[206:207], v[84:85]
	v_add_f64 v[0:1], v[0:1], v[38:39]
	;; [unrolled: 4-line block ×8, first 2 shown]
	v_fmac_f64_e32 v[98:99], v[186:187], v[152:153]
	v_add_f64 v[0:1], v[0:1], v[96:97]
	s_waitcnt vmcnt(12) lgkmcnt(5)
	v_mul_f64 v[32:33], v[160:161], v[158:159]
	v_add_f64 v[0:1], v[0:1], v[98:99]
	v_fmac_f64_e32 v[32:33], v[162:163], v[156:157]
	v_add_f64 v[0:1], v[0:1], v[32:33]
	s_waitcnt vmcnt(11) lgkmcnt(4)
	v_mul_f64 v[32:33], v[220:221], v[166:167]
	v_fmac_f64_e32 v[32:33], v[222:223], v[164:165]
	v_add_f64 v[0:1], v[0:1], v[32:33]
	scratch_load_dwordx4 v[32:35], off, off offset:640
	s_waitcnt vmcnt(11) lgkmcnt(3)
	v_mul_f64 v[36:37], v[224:225], v[170:171]
	v_fmac_f64_e32 v[36:37], v[226:227], v[168:169]
	v_add_f64 v[0:1], v[0:1], v[36:37]
	s_waitcnt vmcnt(10) lgkmcnt(2)
	v_mul_f64 v[36:37], v[228:229], v[178:179]
	v_fmac_f64_e32 v[36:37], v[230:231], v[176:177]
	v_add_f64 v[0:1], v[0:1], v[36:37]
	scratch_load_dwordx4 v[36:39], off, off offset:656
	s_waitcnt vmcnt(10) lgkmcnt(1)
	v_mul_f64 v[40:41], v[232:233], v[182:183]
	v_fmac_f64_e32 v[40:41], v[234:235], v[180:181]
	ds_read_b128 v[88:91], v2 offset:1488
	s_waitcnt vmcnt(9) lgkmcnt(1)
	v_mul_f64 v[44:45], v[236:237], v[190:191]
	v_add_f64 v[0:1], v[0:1], v[40:41]
	scratch_load_dwordx4 v[40:43], off, off offset:672
	v_fmac_f64_e32 v[44:45], v[238:239], v[188:189]
	v_add_f64 v[0:1], v[0:1], v[44:45]
	scratch_load_dwordx4 v[44:47], off, off offset:688
	v_mul_f64 v[50:51], v[106:107], v[50:51]
	v_fma_f64 v[240:241], v[104:105], v[48:49], -v[50:51]
	scratch_load_dwordx4 v[48:51], off, off offset:704
	s_waitcnt vmcnt(11) lgkmcnt(0)
	v_mul_f64 v[96:97], v[88:89], v[6:7]
	v_mul_f64 v[54:55], v[210:211], v[54:55]
	v_fmac_f64_e32 v[96:97], v[90:91], v[4:5]
	v_fma_f64 v[242:243], v[208:209], v[52:53], -v[54:55]
	scratch_load_dwordx4 v[52:55], off, off offset:720
	v_mul_f64 v[58:59], v[198:199], v[58:59]
	v_add_f64 v[0:1], v[0:1], v[96:97]
	ds_read_b128 v[96:99], v2 offset:1504
	ds_read_b128 v[104:107], v2 offset:1520
	v_fma_f64 v[244:245], v[196:197], v[56:57], -v[58:59]
	scratch_load_dwordx4 v[56:59], off, off offset:736
	v_mul_f64 v[62:63], v[114:115], v[62:63]
	v_accvgpr_write_b32 a135, v7
	v_fma_f64 v[246:247], v[112:113], v[60:61], -v[62:63]
	scratch_load_dwordx4 v[60:63], off, off offset:752
	v_accvgpr_write_b32 a134, v6
	v_accvgpr_write_b32 a133, v5
	v_accvgpr_write_b32 a132, v4
	s_waitcnt vmcnt(13)
	v_mov_b64_e32 v[4:5], v[8:9]
	v_mov_b64_e32 v[6:7], v[10:11]
	s_waitcnt lgkmcnt(1)
	v_mul_f64 v[208:209], v[96:97], v[6:7]
	v_fmac_f64_e32 v[208:209], v[98:99], v[4:5]
	s_waitcnt vmcnt(12)
	v_mov_b64_e32 v[4:5], v[12:13]
	ds_read_b128 v[112:115], v2 offset:1536
	v_mov_b64_e32 v[6:7], v[14:15]
	s_waitcnt lgkmcnt(1)
	v_mul_f64 v[196:197], v[104:105], v[6:7]
	v_mul_f64 v[66:67], v[122:123], v[66:67]
	;; [unrolled: 1-line block ×3, first 2 shown]
	v_fmac_f64_e32 v[196:197], v[106:107], v[4:5]
	v_fma_f64 v[248:249], v[120:121], v[64:65], -v[66:67]
	scratch_load_dwordx4 v[64:67], off, off offset:768
	v_fma_f64 v[254:255], v[116:117], v[68:69], -v[70:71]
	ds_read_b128 v[116:119], v2 offset:1552
	s_waitcnt vmcnt(12)
	v_mov_b64_e32 v[4:5], v[16:17]
	v_mov_b64_e32 v[6:7], v[18:19]
	scratch_load_dwordx4 v[68:71], off, off offset:784
	s_waitcnt lgkmcnt(1)
	v_mul_f64 v[120:121], v[112:113], v[6:7]
	v_mul_f64 v[74:75], v[194:195], v[74:75]
	v_add_f64 v[0:1], v[0:1], v[208:209]
	v_fmac_f64_e32 v[120:121], v[114:115], v[4:5]
	v_fma_f64 v[250:251], v[192:193], v[72:73], -v[74:75]
	s_waitcnt vmcnt(12)
	v_mov_b64_e32 v[4:5], v[20:21]
	scratch_load_dwordx4 v[72:75], off, off offset:800
	v_add_f64 v[0:1], v[0:1], v[196:197]
	v_mov_b64_e32 v[6:7], v[22:23]
	v_add_f64 v[0:1], v[0:1], v[120:121]
	s_waitcnt lgkmcnt(0)
	v_mul_f64 v[120:121], v[116:117], v[6:7]
	v_fmac_f64_e32 v[120:121], v[118:119], v[4:5]
	v_mul_f64 v[78:79], v[126:127], v[78:79]
	v_add_f64 v[0:1], v[0:1], v[120:121]
	v_fma_f64 v[28:29], v[124:125], v[76:77], -v[78:79]
	scratch_load_dwordx4 v[76:79], off, off offset:816
	ds_read_b128 v[124:127], v2 offset:1568
	ds_read_b128 v[120:123], v2 offset:1584
	v_mul_f64 v[6:7], v[214:215], v[82:83]
	v_fma_f64 v[24:25], v[212:213], v[80:81], -v[6:7]
	s_waitcnt vmcnt(13)
	v_accvgpr_read_b32 v4, a124
	v_accvgpr_write_b32 a139, v11
	v_accvgpr_write_b32 a151, v23
	v_mul_f64 v[80:81], v[206:207], v[86:87]
	v_accvgpr_read_b32 v6, a126
	v_accvgpr_read_b32 v7, a127
	v_accvgpr_write_b32 a138, v10
	v_accvgpr_write_b32 a137, v9
	;; [unrolled: 1-line block ×6, first 2 shown]
	v_fma_f64 v[20:21], v[204:205], v[84:85], -v[80:81]
	scratch_load_dwordx4 v[84:87], off, off offset:832
	v_accvgpr_read_b32 v5, a125
	s_waitcnt lgkmcnt(1)
	v_mul_f64 v[10:11], v[124:125], v[6:7]
	v_fmac_f64_e32 v[10:11], v[126:127], v[4:5]
	s_waitcnt vmcnt(13)
	v_accvgpr_read_b32 v4, a128
	v_accvgpr_read_b32 v6, a130
	;; [unrolled: 1-line block ×3, first 2 shown]
	v_add_f64 v[0:1], v[0:1], v[10:11]
	v_accvgpr_read_b32 v5, a129
	s_waitcnt lgkmcnt(0)
	v_mul_f64 v[10:11], v[120:121], v[6:7]
	v_fmac_f64_e32 v[10:11], v[122:123], v[4:5]
	v_accvgpr_write_b32 a147, v19
	scratch_load_dwordx4 v[80:83], off, off offset:848
	v_add_f64 v[0:1], v[0:1], v[10:11]
	v_mul_f64 v[10:11], v[130:131], v[94:95]
	v_accvgpr_write_b32 a143, v15
	v_accvgpr_write_b32 a146, v18
	;; [unrolled: 1-line block ×4, first 2 shown]
	v_fma_f64 v[16:17], v[128:129], v[92:93], -v[10:11]
	v_mul_f64 v[92:93], v[134:135], v[102:103]
	v_accvgpr_write_b32 a142, v14
	v_accvgpr_write_b32 a141, v13
	;; [unrolled: 1-line block ×3, first 2 shown]
	v_fma_f64 v[12:13], v[132:133], v[100:101], -v[92:93]
	scratch_load_dwordx4 v[92:95], off, off offset:864
	ds_read_b128 v[128:131], v2 offset:1600
	ds_read_b128 v[132:135], v2 offset:1616
	scratch_load_dwordx4 v[100:103], off, off offset:880
	v_mul_f64 v[14:15], v[150:151], v[110:111]
	v_fma_f64 v[14:15], v[148:149], v[108:109], -v[14:15]
	s_waitcnt vmcnt(15) lgkmcnt(1)
	v_mul_f64 v[108:109], v[128:129], v[34:35]
	v_fmac_f64_e32 v[108:109], v[130:131], v[32:33]
	v_add_f64 v[0:1], v[0:1], v[108:109]
	v_mul_f64 v[108:109], v[202:203], v[138:139]
	v_fma_f64 v[10:11], v[200:201], v[136:137], -v[108:109]
	scratch_load_dwordx4 v[108:111], off, off offset:896
	s_waitcnt vmcnt(15) lgkmcnt(0)
	v_mul_f64 v[18:19], v[132:133], v[38:39]
	v_fmac_f64_e32 v[18:19], v[134:135], v[36:37]
	ds_read_b128 v[136:139], v2 offset:1632
	v_add_f64 v[0:1], v[0:1], v[18:19]
	v_mul_f64 v[18:19], v[174:175], v[142:143]
	v_fma_f64 v[18:19], v[172:173], v[140:141], -v[18:19]
	ds_read_b128 v[140:143], v2 offset:1648
	v_mul_f64 v[146:147], v[218:219], v[146:147]
	v_fma_f64 v[8:9], v[216:217], v[144:145], -v[146:147]
	ds_read_b128 v[144:147], v2 offset:1664
	s_waitcnt vmcnt(14) lgkmcnt(2)
	v_mul_f64 v[148:149], v[136:137], v[42:43]
	v_fmac_f64_e32 v[148:149], v[138:139], v[40:41]
	s_waitcnt vmcnt(13) lgkmcnt(1)
	v_mul_f64 v[22:23], v[140:141], v[46:47]
	v_add_f64 v[0:1], v[0:1], v[148:149]
	v_fmac_f64_e32 v[22:23], v[142:143], v[44:45]
	ds_read_b128 v[148:151], v2 offset:1680
	v_add_f64 v[0:1], v[0:1], v[22:23]
	s_waitcnt vmcnt(12) lgkmcnt(1)
	v_mul_f64 v[22:23], v[144:145], v[50:51]
	v_fmac_f64_e32 v[22:23], v[146:147], v[48:49]
	v_add_f64 v[0:1], v[0:1], v[22:23]
	v_mul_f64 v[22:23], v[186:187], v[154:155]
	v_fma_f64 v[22:23], v[184:185], v[152:153], -v[22:23]
	ds_read_b128 v[152:155], v2 offset:1696
	v_mul_f64 v[158:159], v[162:163], v[158:159]
	v_fma_f64 v[6:7], v[160:161], v[156:157], -v[158:159]
	ds_read_b128 v[156:159], v2 offset:1712
	s_waitcnt vmcnt(11) lgkmcnt(2)
	v_mul_f64 v[172:173], v[148:149], v[54:55]
	v_fmac_f64_e32 v[172:173], v[150:151], v[52:53]
	s_waitcnt vmcnt(10) lgkmcnt(1)
	v_mul_f64 v[26:27], v[152:153], v[58:59]
	v_add_f64 v[0:1], v[0:1], v[172:173]
	v_fmac_f64_e32 v[26:27], v[154:155], v[56:57]
	v_add_f64 v[0:1], v[0:1], v[26:27]
	s_waitcnt vmcnt(9) lgkmcnt(0)
	v_mul_f64 v[26:27], v[156:157], v[62:63]
	v_fmac_f64_e32 v[26:27], v[158:159], v[60:61]
	ds_read_b128 v[160:163], v2 offset:1728
	v_add_f64 v[0:1], v[0:1], v[26:27]
	v_mul_f64 v[26:27], v[222:223], v[166:167]
	v_fma_f64 v[26:27], v[220:221], v[164:165], -v[26:27]
	ds_read_b128 v[164:167], v2 offset:1744
	v_mul_f64 v[170:171], v[226:227], v[170:171]
	v_fma_f64 v[4:5], v[224:225], v[168:169], -v[170:171]
	ds_read_b128 v[168:171], v2 offset:1760
	s_waitcnt vmcnt(8) lgkmcnt(2)
	v_mul_f64 v[172:173], v[160:161], v[66:67]
	v_fmac_f64_e32 v[172:173], v[162:163], v[64:65]
	s_waitcnt vmcnt(7) lgkmcnt(1)
	v_mul_f64 v[30:31], v[164:165], v[70:71]
	v_add_f64 v[0:1], v[0:1], v[172:173]
	v_fmac_f64_e32 v[30:31], v[166:167], v[68:69]
	v_add_f64 v[0:1], v[0:1], v[30:31]
	ds_read_b128 v[172:175], v2 offset:1776
	s_waitcnt vmcnt(6) lgkmcnt(1)
	v_mul_f64 v[30:31], v[168:169], v[74:75]
	v_fmac_f64_e32 v[30:31], v[170:171], v[72:73]
	v_add_f64 v[30:31], v[0:1], v[30:31]
	v_mul_f64 v[0:1], v[230:231], v[178:179]
	v_fma_f64 v[0:1], v[228:229], v[176:177], -v[0:1]
	ds_read_b128 v[176:179], v2 offset:1792
	v_mul_f64 v[182:183], v[234:235], v[182:183]
	s_waitcnt vmcnt(5) lgkmcnt(1)
	v_mul_f64 v[184:185], v[172:173], v[78:79]
	v_fma_f64 v[180:181], v[232:233], v[180:181], -v[182:183]
	v_fmac_f64_e32 v[184:185], v[174:175], v[76:77]
	v_accvgpr_write_b32 a152, v180
	v_mul_f64 v[190:191], v[238:239], v[190:191]
	v_accvgpr_write_b32 a153, v181
	ds_read_b128 v[180:183], v2 offset:1808
	v_add_f64 v[30:31], v[30:31], v[184:185]
	v_fma_f64 v[252:253], v[236:237], v[188:189], -v[190:191]
	scratch_load_dwordx4 v[236:239], off, off offset:144
	s_waitcnt vmcnt(5) lgkmcnt(1)
	v_mul_f64 v[184:185], v[176:177], v[86:87]
	v_fmac_f64_e32 v[184:185], v[178:179], v[84:85]
	v_add_f64 v[30:31], v[30:31], v[184:185]
	ds_read_b128 v[184:187], v2 offset:1824
	ds_read_b128 v[188:191], v2 offset:1840
	s_waitcnt vmcnt(4) lgkmcnt(2)
	v_mul_f64 v[192:193], v[180:181], v[82:83]
	v_fmac_f64_e32 v[192:193], v[182:183], v[80:81]
	v_add_f64 v[30:31], v[30:31], v[192:193]
	s_waitcnt vmcnt(3) lgkmcnt(1)
	v_mul_f64 v[192:193], v[184:185], v[94:95]
	v_fmac_f64_e32 v[192:193], v[186:187], v[92:93]
	v_add_f64 v[30:31], v[30:31], v[192:193]
	;; [unrolled: 4-line block ×3, first 2 shown]
	ds_read_b128 v[192:195], v2 offset:1856
	ds_read_b128 v[200:203], v2 offset:1872
	scratch_load_dwordx4 v[232:235], off, off offset:976
	ds_read_b128 v[208:211], v2 offset:1888
	ds_read_b128 v[216:219], v2 offset:1904
	s_waitcnt vmcnt(2) lgkmcnt(3)
	v_mul_f64 v[196:197], v[192:193], v[110:111]
	v_fmac_f64_e32 v[196:197], v[194:195], v[108:109]
	v_add_f64 v[30:31], v[30:31], v[196:197]
	scratch_load_dwordx4 v[196:199], off, off offset:912
	ds_read_b128 v[224:227], v2 offset:1920
	s_waitcnt vmcnt(0) lgkmcnt(3)
	v_mul_f64 v[204:205], v[200:201], v[198:199]
	v_fmac_f64_e32 v[204:205], v[202:203], v[196:197]
	v_add_f64 v[30:31], v[30:31], v[204:205]
	scratch_load_dwordx4 v[204:207], off, off offset:928
	s_waitcnt vmcnt(0) lgkmcnt(2)
	v_mul_f64 v[212:213], v[208:209], v[206:207]
	v_fmac_f64_e32 v[212:213], v[210:211], v[204:205]
	v_add_f64 v[30:31], v[30:31], v[212:213]
	scratch_load_dwordx4 v[212:215], off, off offset:944
	s_waitcnt vmcnt(0) lgkmcnt(1)
	v_mul_f64 v[220:221], v[216:217], v[214:215]
	v_fmac_f64_e32 v[220:221], v[218:219], v[212:213]
	v_add_f64 v[30:31], v[30:31], v[220:221]
	scratch_load_dwordx4 v[220:223], off, off offset:960
	s_waitcnt vmcnt(0) lgkmcnt(0)
	v_mul_f64 v[228:229], v[224:225], v[222:223]
	v_fmac_f64_e32 v[228:229], v[226:227], v[220:221]
	v_add_f64 v[30:31], v[30:31], v[228:229]
	ds_read_b128 v[228:231], v2 offset:1936
	s_waitcnt lgkmcnt(0)
	v_mul_f64 v[2:3], v[228:229], v[234:235]
	v_fmac_f64_e32 v[2:3], v[230:231], v[232:233]
	v_add_f64 v[2:3], v[30:31], v[2:3]
	v_add_f64 v[30:31], v[240:241], 0
	;; [unrolled: 1-line block ×21, first 2 shown]
	v_accvgpr_read_b32 v6, a132
	v_add_f64 v[254:255], v[4:5], v[0:1]
	v_accvgpr_read_b32 v0, a152
	v_accvgpr_read_b32 v8, a134
	;; [unrolled: 1-line block ×5, first 2 shown]
	v_mul_f64 v[4:5], v[90:91], v[8:9]
	v_add_f64 v[0:1], v[254:255], v[0:1]
	v_fma_f64 v[4:5], v[88:89], v[6:7], -v[4:5]
	v_accvgpr_read_b32 v6, a136
	v_add_f64 v[0:1], v[0:1], v[252:253]
	v_accvgpr_read_b32 v8, a138
	v_accvgpr_read_b32 v9, a139
	v_add_f64 v[0:1], v[0:1], v[4:5]
	v_accvgpr_read_b32 v7, a137
	v_mul_f64 v[4:5], v[98:99], v[8:9]
	v_fma_f64 v[4:5], v[96:97], v[6:7], -v[4:5]
	v_accvgpr_read_b32 v6, a140
	v_accvgpr_read_b32 v8, a142
	v_accvgpr_read_b32 v9, a143
	v_add_f64 v[0:1], v[0:1], v[4:5]
	v_accvgpr_read_b32 v7, a141
	v_mul_f64 v[4:5], v[106:107], v[8:9]
	v_fma_f64 v[4:5], v[104:105], v[6:7], -v[4:5]
	v_accvgpr_read_b32 v6, a144
	;; [unrolled: 7-line block ×5, first 2 shown]
	v_accvgpr_read_b32 v8, a130
	v_accvgpr_read_b32 v9, a131
	v_add_f64 v[0:1], v[0:1], v[4:5]
	v_accvgpr_read_b32 v7, a129
	v_mul_f64 v[4:5], v[122:123], v[8:9]
	v_fma_f64 v[4:5], v[120:121], v[6:7], -v[4:5]
	v_add_f64 v[0:1], v[0:1], v[4:5]
	v_mul_f64 v[4:5], v[130:131], v[34:35]
	v_fma_f64 v[4:5], v[128:129], v[32:33], -v[4:5]
	v_add_f64 v[0:1], v[0:1], v[4:5]
	;; [unrolled: 3-line block ×23, first 2 shown]
	v_add_f64 v[4:5], v[236:237], -v[0:1]
	v_accvgpr_read_b32 v0, a122
	v_add_f64 v[6:7], v[238:239], -v[2:3]
	v_cmp_lt_u32_e32 vcc, 7, v0
	scratch_store_dwordx4 off, v[4:7], off offset:144
	s_and_saveexec_b64 s[0:1], vcc
	s_cbranch_execz .LBB60_377
; %bb.376:
	scratch_load_dwordx4 v[2:5], off, s26
	v_mov_b32_e32 v6, 0
	v_mov_b32_e32 v7, v6
	;; [unrolled: 1-line block ×4, first 2 shown]
	v_accvgpr_read_b32 v0, a123
	scratch_store_dwordx4 off, v[6:9], off offset:128
	s_waitcnt vmcnt(1)
	ds_write_b128 v0, v[2:5]
.LBB60_377:
	s_or_b64 exec, exec, s[0:1]
	s_waitcnt lgkmcnt(0)
	; wave barrier
	scratch_load_dwordx4 v[40:43], off, off offset:144
	scratch_load_dwordx4 v[44:47], off, off offset:160
	;; [unrolled: 1-line block ×29, first 2 shown]
	v_mov_b32_e32 v2, 0
	ds_read_b128 v[80:83], v2 offset:1104
	ds_read_b128 v[100:103], v2 offset:1120
	;; [unrolled: 1-line block ×18, first 2 shown]
	scratch_load_dwordx4 a[124:127], off, off offset:608
	scratch_load_dwordx4 a[128:131], off, off offset:624
	;; [unrolled: 1-line block ×4, first 2 shown]
	ds_read_b128 v[228:231], v2 offset:1456
	ds_read_b128 v[238:241], v2 offset:1472
	;; [unrolled: 1-line block ×4, first 2 shown]
	s_waitcnt vmcnt(32) lgkmcnt(14)
	v_mul_f64 v[0:1], v[80:81], v[42:43]
	s_waitcnt vmcnt(31)
	v_mul_f64 v[20:21], v[100:101], v[46:47]
	v_fmac_f64_e32 v[0:1], v[82:83], v[40:41]
	s_waitcnt vmcnt(30)
	v_mul_f64 v[22:23], v[104:105], v[50:51]
	v_fmac_f64_e32 v[20:21], v[102:103], v[44:45]
	v_add_f64 v[0:1], v[0:1], 0
	s_waitcnt vmcnt(29)
	v_mul_f64 v[24:25], v[108:109], v[54:55]
	v_fmac_f64_e32 v[22:23], v[106:107], v[48:49]
	v_add_f64 v[0:1], v[0:1], v[20:21]
	;; [unrolled: 4-line block ×6, first 2 shown]
	s_waitcnt vmcnt(24) lgkmcnt(13)
	v_mul_f64 v[34:35], v[144:145], v[74:75]
	v_fmac_f64_e32 v[32:33], v[134:135], v[68:69]
	v_add_f64 v[0:1], v[0:1], v[30:31]
	s_waitcnt vmcnt(23) lgkmcnt(12)
	v_mul_f64 v[36:37], v[156:157], v[78:79]
	v_fmac_f64_e32 v[34:35], v[146:147], v[72:73]
	v_add_f64 v[0:1], v[0:1], v[32:33]
	;; [unrolled: 4-line block ×7, first 2 shown]
	v_fmac_f64_e32 v[218:219], v[198:199], v[124:125]
	v_add_f64 v[0:1], v[0:1], v[216:217]
	ds_read_b128 v[212:215], v2 offset:1392
	s_waitcnt vmcnt(17) lgkmcnt(7)
	v_mul_f64 v[220:221], v[200:201], v[130:131]
	v_add_f64 v[0:1], v[0:1], v[218:219]
	ds_read_b128 v[216:219], v2 offset:1408
	v_fmac_f64_e32 v[220:221], v[202:203], v[128:129]
	s_waitcnt vmcnt(16) lgkmcnt(7)
	v_mul_f64 v[20:21], v[204:205], v[138:139]
	v_add_f64 v[0:1], v[0:1], v[220:221]
	v_fmac_f64_e32 v[20:21], v[206:207], v[136:137]
	s_waitcnt vmcnt(15) lgkmcnt(6)
	v_mul_f64 v[24:25], v[208:209], v[142:143]
	ds_read_b128 v[220:223], v2 offset:1424
	v_add_f64 v[0:1], v[0:1], v[20:21]
	v_fmac_f64_e32 v[24:25], v[210:211], v[140:141]
	v_add_f64 v[0:1], v[0:1], v[24:25]
	s_waitcnt vmcnt(14) lgkmcnt(2)
	v_mul_f64 v[24:25], v[212:213], v[150:151]
	v_fmac_f64_e32 v[24:25], v[214:215], v[148:149]
	s_waitcnt vmcnt(13) lgkmcnt(1)
	v_mul_f64 v[28:29], v[216:217], v[154:155]
	v_add_f64 v[0:1], v[0:1], v[24:25]
	v_fmac_f64_e32 v[28:29], v[218:219], v[152:153]
	v_add_f64 v[0:1], v[0:1], v[28:29]
	s_waitcnt vmcnt(12) lgkmcnt(0)
	v_mul_f64 v[28:29], v[220:221], v[162:163]
	v_fmac_f64_e32 v[28:29], v[222:223], v[160:161]
	s_waitcnt vmcnt(11)
	v_mul_f64 v[32:33], v[224:225], v[166:167]
	v_add_f64 v[0:1], v[0:1], v[28:29]
	v_fmac_f64_e32 v[32:33], v[226:227], v[164:165]
	v_add_f64 v[0:1], v[0:1], v[32:33]
	s_waitcnt vmcnt(10)
	v_mul_f64 v[32:33], v[228:229], v[174:175]
	v_fmac_f64_e32 v[32:33], v[230:231], v[172:173]
	s_waitcnt vmcnt(9)
	v_mul_f64 v[36:37], v[238:239], v[178:179]
	v_add_f64 v[0:1], v[0:1], v[32:33]
	v_fmac_f64_e32 v[36:37], v[240:241], v[176:177]
	v_mul_f64 v[42:43], v[82:83], v[42:43]
	v_add_f64 v[0:1], v[0:1], v[36:37]
	scratch_load_dwordx4 v[36:39], off, off offset:672
	v_fma_f64 v[242:243], v[80:81], v[40:41], -v[42:43]
	ds_read_b128 v[80:83], v2 offset:1504
	s_waitcnt vmcnt(9)
	v_mul_f64 v[40:41], v[250:251], v[186:187]
	v_fmac_f64_e32 v[40:41], v[252:253], v[184:185]
	v_add_f64 v[0:1], v[0:1], v[40:41]
	v_mul_f64 v[40:41], v[102:103], v[46:47]
	v_fma_f64 v[244:245], v[100:101], v[44:45], -v[40:41]
	scratch_load_dwordx4 v[40:43], off, off offset:688
	s_waitcnt vmcnt(9) lgkmcnt(0)
	v_mul_f64 v[44:45], v[80:81], v[6:7]
	v_fmac_f64_e32 v[44:45], v[82:83], v[4:5]
	v_add_f64 v[0:1], v[0:1], v[44:45]
	scratch_load_dwordx4 v[44:47], off, off offset:704
	v_mul_f64 v[50:51], v[106:107], v[50:51]
	v_fma_f64 v[246:247], v[104:105], v[48:49], -v[50:51]
	ds_read_b128 v[100:103], v2 offset:1520
	v_mul_f64 v[48:49], v[110:111], v[54:55]
	v_fma_f64 v[248:249], v[108:109], v[52:53], -v[48:49]
	scratch_load_dwordx4 v[52:55], off, off offset:720
	scratch_load_dwordx4 v[48:51], off, off offset:736
	v_accvgpr_write_b32 a139, v7
	v_accvgpr_write_b32 a138, v6
	;; [unrolled: 1-line block ×4, first 2 shown]
	s_waitcnt vmcnt(11)
	v_mov_b64_e32 v[4:5], v[8:9]
	v_mul_f64 v[58:59], v[114:115], v[58:59]
	v_mov_b64_e32 v[6:7], v[10:11]
	v_fma_f64 v[254:255], v[112:113], v[56:57], -v[58:59]
	s_waitcnt lgkmcnt(0)
	v_mul_f64 v[56:57], v[100:101], v[6:7]
	v_fmac_f64_e32 v[56:57], v[102:103], v[4:5]
	v_add_f64 v[0:1], v[0:1], v[56:57]
	v_mul_f64 v[56:57], v[118:119], v[62:63]
	v_fma_f64 v[232:233], v[116:117], v[60:61], -v[56:57]
	scratch_load_dwordx4 v[56:59], off, off offset:752
	scratch_load_dwordx4 v[60:63], off, off offset:768
	ds_read_b128 v[104:107], v2 offset:1536
	ds_read_b128 v[112:115], v2 offset:1568
	v_mul_f64 v[66:67], v[122:123], v[66:67]
	v_fma_f64 v[32:33], v[120:121], v[64:65], -v[66:67]
	scratch_load_dwordx4 v[64:67], off, off offset:784
	s_waitcnt vmcnt(13)
	v_mov_b64_e32 v[4:5], v[12:13]
	v_mov_b64_e32 v[6:7], v[14:15]
	s_waitcnt lgkmcnt(1)
	v_mul_f64 v[108:109], v[104:105], v[6:7]
	v_fmac_f64_e32 v[108:109], v[106:107], v[4:5]
	v_mul_f64 v[6:7], v[134:135], v[70:71]
	v_add_f64 v[0:1], v[0:1], v[108:109]
	ds_read_b128 v[108:111], v2 offset:1552
	ds_read_b128 v[116:119], v2 offset:1584
	v_fma_f64 v[28:29], v[132:133], v[68:69], -v[6:7]
	scratch_load_dwordx4 v[68:71], off, off offset:800
	v_mul_f64 v[6:7], v[146:147], v[74:75]
	v_accvgpr_write_b32 a143, v11
	v_fma_f64 v[24:25], v[144:145], v[72:73], -v[6:7]
	scratch_load_dwordx4 v[72:75], off, off offset:816
	v_accvgpr_write_b32 a142, v10
	v_accvgpr_write_b32 a141, v9
	;; [unrolled: 1-line block ×3, first 2 shown]
	s_waitcnt vmcnt(14)
	v_mov_b64_e32 v[8:9], v[16:17]
	v_mov_b64_e32 v[10:11], v[18:19]
	s_waitcnt lgkmcnt(1)
	v_mul_f64 v[6:7], v[108:109], v[10:11]
	v_fmac_f64_e32 v[6:7], v[110:111], v[8:9]
	s_waitcnt vmcnt(13)
	v_accvgpr_read_b32 v8, a124
	v_add_f64 v[0:1], v[0:1], v[6:7]
	v_mul_f64 v[6:7], v[158:159], v[78:79]
	v_accvgpr_read_b32 v10, a126
	v_accvgpr_read_b32 v11, a127
	v_fma_f64 v[20:21], v[156:157], v[76:77], -v[6:7]
	v_accvgpr_read_b32 v9, a125
	v_mul_f64 v[6:7], v[112:113], v[10:11]
	scratch_load_dwordx4 v[76:79], off, off offset:832
	v_accvgpr_write_b32 a147, v15
	v_fmac_f64_e32 v[6:7], v[114:115], v[8:9]
	v_accvgpr_write_b32 a146, v14
	v_accvgpr_write_b32 a145, v13
	;; [unrolled: 1-line block ×4, first 2 shown]
	v_mul_f64 v[14:15], v[170:171], v[86:87]
	v_add_f64 v[0:1], v[0:1], v[6:7]
	v_mul_f64 v[6:7], v[182:183], v[90:91]
	v_accvgpr_write_b32 a150, v18
	v_accvgpr_write_b32 a149, v17
	;; [unrolled: 1-line block ×3, first 2 shown]
	v_fma_f64 v[16:17], v[168:169], v[84:85], -v[14:15]
	v_fma_f64 v[14:15], v[180:181], v[88:89], -v[6:7]
	ds_read_b128 v[120:123], v2 offset:1600
	scratch_load_dwordx4 v[88:91], off, off offset:848
	scratch_load_dwordx4 v[84:87], off, off offset:864
	s_waitcnt vmcnt(15)
	v_accvgpr_read_b32 v8, a128
	v_accvgpr_read_b32 v10, a130
	;; [unrolled: 1-line block ×3, first 2 shown]
	v_mul_f64 v[18:19], v[190:191], v[94:95]
	v_accvgpr_read_b32 v9, a129
	s_waitcnt lgkmcnt(1)
	v_mul_f64 v[6:7], v[116:117], v[10:11]
	v_fma_f64 v[18:19], v[188:189], v[92:93], -v[18:19]
	v_mul_f64 v[92:93], v[194:195], v[98:99]
	v_fmac_f64_e32 v[6:7], v[118:119], v[8:9]
	s_waitcnt vmcnt(14)
	v_accvgpr_read_b32 v8, a132
	v_fma_f64 v[12:13], v[192:193], v[96:97], -v[92:93]
	scratch_load_dwordx4 v[92:95], off, off offset:880
	v_accvgpr_read_b32 v10, a134
	v_accvgpr_read_b32 v11, a135
	v_mul_f64 v[96:97], v[202:203], v[130:131]
	v_add_f64 v[0:1], v[0:1], v[6:7]
	s_waitcnt lgkmcnt(0)
	v_mul_f64 v[6:7], v[120:121], v[10:11]
	v_fma_f64 v[10:11], v[200:201], v[128:129], -v[96:97]
	scratch_load_dwordx4 v[96:99], off, off offset:896
	v_mul_f64 v[22:23], v[198:199], v[126:127]
	v_fma_f64 v[22:23], v[196:197], v[124:125], -v[22:23]
	ds_read_b128 v[124:127], v2 offset:1616
	ds_read_b128 v[128:131], v2 offset:1632
	v_accvgpr_read_b32 v9, a133
	v_fmac_f64_e32 v[6:7], v[122:123], v[8:9]
	v_add_f64 v[0:1], v[0:1], v[6:7]
	s_waitcnt vmcnt(15) lgkmcnt(1)
	v_mul_f64 v[6:7], v[124:125], v[236:237]
	ds_read_b128 v[132:135], v2 offset:1648
	v_fmac_f64_e32 v[6:7], v[126:127], v[234:235]
	v_add_f64 v[0:1], v[0:1], v[6:7]
	s_waitcnt vmcnt(14) lgkmcnt(1)
	v_mul_f64 v[6:7], v[128:129], v[38:39]
	v_fmac_f64_e32 v[6:7], v[130:131], v[36:37]
	v_add_f64 v[0:1], v[0:1], v[6:7]
	v_mul_f64 v[6:7], v[206:207], v[138:139]
	v_fma_f64 v[26:27], v[204:205], v[136:137], -v[6:7]
	ds_read_b128 v[136:139], v2 offset:1664
	s_waitcnt vmcnt(13) lgkmcnt(1)
	v_mul_f64 v[6:7], v[132:133], v[42:43]
	v_fmac_f64_e32 v[6:7], v[134:135], v[40:41]
	v_add_f64 v[0:1], v[0:1], v[6:7]
	v_mul_f64 v[6:7], v[210:211], v[142:143]
	v_fma_f64 v[8:9], v[208:209], v[140:141], -v[6:7]
	ds_read_b128 v[140:143], v2 offset:1680
	ds_read_b128 v[144:147], v2 offset:1696
	s_waitcnt vmcnt(12) lgkmcnt(2)
	v_mul_f64 v[6:7], v[136:137], v[46:47]
	v_fmac_f64_e32 v[6:7], v[138:139], v[44:45]
	v_add_f64 v[0:1], v[0:1], v[6:7]
	s_waitcnt vmcnt(11) lgkmcnt(1)
	v_mul_f64 v[6:7], v[140:141], v[54:55]
	v_fmac_f64_e32 v[6:7], v[142:143], v[52:53]
	v_add_f64 v[0:1], v[0:1], v[6:7]
	v_mul_f64 v[6:7], v[214:215], v[150:151]
	v_fma_f64 v[30:31], v[212:213], v[148:149], -v[6:7]
	ds_read_b128 v[148:151], v2 offset:1712
	v_mul_f64 v[154:155], v[218:219], v[154:155]
	v_fma_f64 v[4:5], v[216:217], v[152:153], -v[154:155]
	ds_read_b128 v[152:155], v2 offset:1728
	s_waitcnt vmcnt(10) lgkmcnt(2)
	v_mul_f64 v[6:7], v[144:145], v[50:51]
	v_fmac_f64_e32 v[6:7], v[146:147], v[48:49]
	v_add_f64 v[0:1], v[0:1], v[6:7]
	s_waitcnt vmcnt(9) lgkmcnt(1)
	v_mul_f64 v[6:7], v[148:149], v[58:59]
	ds_read_b128 v[156:159], v2 offset:1744
	v_fmac_f64_e32 v[6:7], v[150:151], v[56:57]
	v_add_f64 v[0:1], v[0:1], v[6:7]
	s_waitcnt vmcnt(8) lgkmcnt(1)
	v_mul_f64 v[6:7], v[152:153], v[62:63]
	v_fmac_f64_e32 v[6:7], v[154:155], v[60:61]
	v_add_f64 v[0:1], v[0:1], v[6:7]
	v_mul_f64 v[6:7], v[222:223], v[162:163]
	v_fma_f64 v[34:35], v[220:221], v[160:161], -v[6:7]
	ds_read_b128 v[160:163], v2 offset:1760
	s_waitcnt vmcnt(7) lgkmcnt(1)
	v_mul_f64 v[6:7], v[156:157], v[66:67]
	v_fmac_f64_e32 v[6:7], v[158:159], v[64:65]
	v_add_f64 v[0:1], v[0:1], v[6:7]
	v_mul_f64 v[6:7], v[226:227], v[166:167]
	v_fma_f64 v[6:7], v[224:225], v[164:165], -v[6:7]
	ds_read_b128 v[164:167], v2 offset:1776
	s_waitcnt vmcnt(6) lgkmcnt(1)
	v_mul_f64 v[168:169], v[160:161], v[70:71]
	v_fmac_f64_e32 v[168:169], v[162:163], v[68:69]
	v_add_f64 v[0:1], v[0:1], v[168:169]
	ds_read_b128 v[168:171], v2 offset:1792
	s_waitcnt vmcnt(5) lgkmcnt(1)
	v_mul_f64 v[180:181], v[164:165], v[74:75]
	v_fmac_f64_e32 v[180:181], v[166:167], v[72:73]
	v_add_f64 v[180:181], v[0:1], v[180:181]
	v_mul_f64 v[0:1], v[230:231], v[174:175]
	v_fma_f64 v[0:1], v[228:229], v[172:173], -v[0:1]
	ds_read_b128 v[172:175], v2 offset:1808
	s_waitcnt vmcnt(4) lgkmcnt(1)
	v_mul_f64 v[182:183], v[168:169], v[78:79]
	v_fmac_f64_e32 v[182:183], v[170:171], v[76:77]
	v_mul_f64 v[178:179], v[240:241], v[178:179]
	v_fma_f64 v[238:239], v[238:239], v[176:177], -v[178:179]
	ds_read_b128 v[176:179], v2 offset:1824
	v_add_f64 v[180:181], v[180:181], v[182:183]
	s_waitcnt vmcnt(3) lgkmcnt(1)
	v_mul_f64 v[182:183], v[172:173], v[90:91]
	v_fmac_f64_e32 v[182:183], v[174:175], v[88:89]
	v_add_f64 v[188:189], v[180:181], v[182:183]
	ds_read_b128 v[180:183], v2 offset:1840
	v_mul_f64 v[186:187], v[252:253], v[186:187]
	v_fma_f64 v[250:251], v[250:251], v[184:185], -v[186:187]
	ds_read_b128 v[184:187], v2 offset:1856
	s_waitcnt vmcnt(2) lgkmcnt(2)
	v_mul_f64 v[190:191], v[176:177], v[86:87]
	v_fmac_f64_e32 v[190:191], v[178:179], v[84:85]
	v_add_f64 v[188:189], v[188:189], v[190:191]
	s_waitcnt vmcnt(1) lgkmcnt(1)
	v_mul_f64 v[190:191], v[180:181], v[94:95]
	v_fmac_f64_e32 v[190:191], v[182:183], v[92:93]
	v_add_f64 v[188:189], v[188:189], v[190:191]
	;; [unrolled: 4-line block ×3, first 2 shown]
	scratch_load_dwordx4 v[188:191], off, off offset:912
	ds_read_b128 v[192:195], v2 offset:1872
	ds_read_b128 v[200:203], v2 offset:1888
	;; [unrolled: 1-line block ×5, first 2 shown]
	s_waitcnt vmcnt(0) lgkmcnt(4)
	v_mul_f64 v[198:199], v[192:193], v[190:191]
	v_fmac_f64_e32 v[198:199], v[194:195], v[188:189]
	v_add_f64 v[204:205], v[196:197], v[198:199]
	scratch_load_dwordx4 v[196:199], off, off offset:928
	s_waitcnt vmcnt(0) lgkmcnt(3)
	v_mul_f64 v[206:207], v[200:201], v[198:199]
	v_fmac_f64_e32 v[206:207], v[202:203], v[196:197]
	v_add_f64 v[212:213], v[204:205], v[206:207]
	scratch_load_dwordx4 v[204:207], off, off offset:944
	;; [unrolled: 5-line block ×4, first 2 shown]
	s_waitcnt vmcnt(0) lgkmcnt(0)
	v_mul_f64 v[230:231], v[224:225], v[222:223]
	v_fmac_f64_e32 v[230:231], v[226:227], v[220:221]
	v_add_f64 v[240:241], v[228:229], v[230:231]
	v_add_f64 v[228:229], v[242:243], 0
	;; [unrolled: 1-line block ×8, first 2 shown]
	scratch_load_dwordx4 v[228:231], off, off offset:128
	v_add_f64 v[28:29], v[32:33], v[28:29]
	v_add_f64 v[24:25], v[28:29], v[24:25]
	;; [unrolled: 1-line block ×15, first 2 shown]
	v_accvgpr_read_b32 v6, a136
	v_accvgpr_read_b32 v8, a138
	;; [unrolled: 1-line block ×3, first 2 shown]
	v_add_f64 v[0:1], v[4:5], v[0:1]
	v_accvgpr_read_b32 v7, a137
	v_mul_f64 v[4:5], v[82:83], v[8:9]
	v_add_f64 v[0:1], v[0:1], v[238:239]
	v_fma_f64 v[4:5], v[80:81], v[6:7], -v[4:5]
	v_accvgpr_read_b32 v6, a140
	v_add_f64 v[0:1], v[0:1], v[250:251]
	v_accvgpr_read_b32 v8, a142
	v_accvgpr_read_b32 v9, a143
	v_add_f64 v[0:1], v[0:1], v[4:5]
	v_accvgpr_read_b32 v7, a141
	v_mul_f64 v[4:5], v[102:103], v[8:9]
	v_fma_f64 v[4:5], v[100:101], v[6:7], -v[4:5]
	v_accvgpr_read_b32 v6, a144
	v_accvgpr_read_b32 v8, a146
	v_accvgpr_read_b32 v9, a147
	v_add_f64 v[0:1], v[0:1], v[4:5]
	v_accvgpr_read_b32 v7, a145
	v_mul_f64 v[4:5], v[106:107], v[8:9]
	v_fma_f64 v[4:5], v[104:105], v[6:7], -v[4:5]
	v_accvgpr_read_b32 v6, a148
	;; [unrolled: 7-line block ×5, first 2 shown]
	v_accvgpr_read_b32 v8, a134
	v_accvgpr_read_b32 v9, a135
	v_add_f64 v[0:1], v[0:1], v[4:5]
	v_accvgpr_read_b32 v7, a133
	v_mul_f64 v[4:5], v[122:123], v[8:9]
	v_fma_f64 v[4:5], v[120:121], v[6:7], -v[4:5]
	v_add_f64 v[0:1], v[0:1], v[4:5]
	v_mul_f64 v[4:5], v[126:127], v[236:237]
	v_fma_f64 v[4:5], v[124:125], v[234:235], -v[4:5]
	v_add_f64 v[0:1], v[0:1], v[4:5]
	v_mul_f64 v[4:5], v[130:131], v[38:39]
	v_fma_f64 v[4:5], v[128:129], v[36:37], -v[4:5]
	v_add_f64 v[0:1], v[0:1], v[4:5]
	v_mul_f64 v[4:5], v[134:135], v[42:43]
	v_fma_f64 v[4:5], v[132:133], v[40:41], -v[4:5]
	v_add_f64 v[0:1], v[0:1], v[4:5]
	v_mul_f64 v[4:5], v[138:139], v[46:47]
	v_fma_f64 v[4:5], v[136:137], v[44:45], -v[4:5]
	v_add_f64 v[0:1], v[0:1], v[4:5]
	v_mul_f64 v[4:5], v[142:143], v[54:55]
	v_fma_f64 v[4:5], v[140:141], v[52:53], -v[4:5]
	v_add_f64 v[0:1], v[0:1], v[4:5]
	v_mul_f64 v[4:5], v[146:147], v[50:51]
	v_fma_f64 v[4:5], v[144:145], v[48:49], -v[4:5]
	v_add_f64 v[0:1], v[0:1], v[4:5]
	v_mul_f64 v[4:5], v[150:151], v[58:59]
	v_fma_f64 v[4:5], v[148:149], v[56:57], -v[4:5]
	v_add_f64 v[0:1], v[0:1], v[4:5]
	v_mul_f64 v[4:5], v[154:155], v[62:63]
	v_fma_f64 v[4:5], v[152:153], v[60:61], -v[4:5]
	v_add_f64 v[0:1], v[0:1], v[4:5]
	v_mul_f64 v[4:5], v[158:159], v[66:67]
	v_fma_f64 v[4:5], v[156:157], v[64:65], -v[4:5]
	v_add_f64 v[0:1], v[0:1], v[4:5]
	v_mul_f64 v[4:5], v[162:163], v[70:71]
	v_fma_f64 v[4:5], v[160:161], v[68:69], -v[4:5]
	v_add_f64 v[0:1], v[0:1], v[4:5]
	v_mul_f64 v[4:5], v[166:167], v[74:75]
	v_fma_f64 v[4:5], v[164:165], v[72:73], -v[4:5]
	v_add_f64 v[0:1], v[0:1], v[4:5]
	v_mul_f64 v[4:5], v[170:171], v[78:79]
	v_fma_f64 v[4:5], v[168:169], v[76:77], -v[4:5]
	v_add_f64 v[0:1], v[0:1], v[4:5]
	v_mul_f64 v[4:5], v[174:175], v[90:91]
	v_fma_f64 v[4:5], v[172:173], v[88:89], -v[4:5]
	v_add_f64 v[0:1], v[0:1], v[4:5]
	v_mul_f64 v[4:5], v[178:179], v[86:87]
	v_fma_f64 v[4:5], v[176:177], v[84:85], -v[4:5]
	v_add_f64 v[0:1], v[0:1], v[4:5]
	v_mul_f64 v[4:5], v[182:183], v[94:95]
	v_fma_f64 v[4:5], v[180:181], v[92:93], -v[4:5]
	v_add_f64 v[0:1], v[0:1], v[4:5]
	v_mul_f64 v[4:5], v[186:187], v[98:99]
	v_fma_f64 v[4:5], v[184:185], v[96:97], -v[4:5]
	v_add_f64 v[0:1], v[0:1], v[4:5]
	v_mul_f64 v[4:5], v[194:195], v[190:191]
	v_fma_f64 v[4:5], v[192:193], v[188:189], -v[4:5]
	v_add_f64 v[0:1], v[0:1], v[4:5]
	v_mul_f64 v[4:5], v[202:203], v[198:199]
	v_fma_f64 v[4:5], v[200:201], v[196:197], -v[4:5]
	v_add_f64 v[0:1], v[0:1], v[4:5]
	v_mul_f64 v[4:5], v[210:211], v[206:207]
	v_fma_f64 v[4:5], v[208:209], v[204:205], -v[4:5]
	v_add_f64 v[0:1], v[0:1], v[4:5]
	v_mul_f64 v[4:5], v[218:219], v[214:215]
	v_fma_f64 v[4:5], v[216:217], v[212:213], -v[4:5]
	v_add_f64 v[0:1], v[0:1], v[4:5]
	v_mul_f64 v[4:5], v[226:227], v[222:223]
	v_fma_f64 v[4:5], v[224:225], v[220:221], -v[4:5]
	v_add_f64 v[0:1], v[0:1], v[4:5]
	s_waitcnt vmcnt(0)
	v_add_f64 v[4:5], v[228:229], -v[0:1]
	v_accvgpr_read_b32 v0, a122
	v_add_f64 v[6:7], v[230:231], -v[240:241]
	v_cmp_lt_u32_e32 vcc, 6, v0
	scratch_store_dwordx4 off, v[4:7], off offset:128
	s_and_saveexec_b64 s[0:1], vcc
	s_cbranch_execz .LBB60_379
; %bb.378:
	scratch_load_dwordx4 v[6:9], off, s27
	v_mov_b32_e32 v3, v2
	v_mov_b32_e32 v4, v2
	v_mov_b32_e32 v5, v2
	v_accvgpr_read_b32 v0, a123
	scratch_store_dwordx4 off, v[2:5], off offset:112
	s_waitcnt vmcnt(1)
	ds_write_b128 v0, v[6:9]
.LBB60_379:
	s_or_b64 exec, exec, s[0:1]
	s_waitcnt lgkmcnt(0)
	; wave barrier
	scratch_load_dwordx4 v[40:43], off, off offset:128
	scratch_load_dwordx4 v[44:47], off, off offset:144
	;; [unrolled: 1-line block ×18, first 2 shown]
	ds_read_b128 v[80:83], v2 offset:1088
	ds_read_b128 v[204:207], v2 offset:1104
	;; [unrolled: 1-line block ×6, first 2 shown]
	scratch_load_dwordx4 v[148:151], off, off offset:416
	ds_read_b128 v[180:183], v2 offset:1184
	ds_read_b128 v[112:115], v2 offset:1200
	scratch_load_dwordx4 v[152:155], off, off offset:432
	ds_read_b128 v[208:211], v2 offset:1216
	ds_read_b128 v[200:203], v2 offset:1232
	;; [unrolled: 1-line block ×5, first 2 shown]
	scratch_load_dwordx4 v[160:163], off, off offset:448
	ds_read_b128 v[196:199], v2 offset:1296
	ds_read_b128 v[192:195], v2 offset:1312
	;; [unrolled: 1-line block ×4, first 2 shown]
	scratch_load_dwordx4 v[164:167], off, off offset:464
	ds_read_b128 v[168:171], v2 offset:1360
	scratch_load_dwordx4 v[172:175], off, off offset:480
	scratch_load_dwordx4 v[176:179], off, off offset:496
	;; [unrolled: 1-line block ×7, first 2 shown]
	ds_read_b128 v[228:231], v2 offset:1440
	ds_read_b128 v[232:235], v2 offset:1456
	scratch_load_dwordx4 a[128:131], off, off offset:624
	scratch_load_dwordx4 a[132:135], off, off offset:640
	ds_read_b128 v[236:239], v2 offset:1472
	scratch_load_dwordx4 a[124:127], off, off offset:608
	ds_read_b128 v[224:227], v2 offset:1424
	s_waitcnt vmcnt(31) lgkmcnt(14)
	v_mul_f64 v[0:1], v[80:81], v[42:43]
	s_waitcnt vmcnt(30)
	v_mul_f64 v[20:21], v[204:205], v[46:47]
	v_fmac_f64_e32 v[0:1], v[82:83], v[40:41]
	s_waitcnt vmcnt(29)
	v_mul_f64 v[22:23], v[100:101], v[50:51]
	v_fmac_f64_e32 v[20:21], v[206:207], v[44:45]
	v_add_f64 v[0:1], v[0:1], 0
	v_fmac_f64_e32 v[22:23], v[102:103], v[48:49]
	v_add_f64 v[0:1], v[0:1], v[20:21]
	v_add_f64 v[0:1], v[0:1], v[22:23]
	scratch_load_dwordx4 v[20:23], off, off offset:592
	s_waitcnt vmcnt(29)
	v_mul_f64 v[24:25], v[116:117], v[54:55]
	s_waitcnt vmcnt(28)
	v_mul_f64 v[26:27], v[104:105], v[58:59]
	v_fmac_f64_e32 v[24:25], v[118:119], v[52:53]
	s_waitcnt vmcnt(27)
	v_mul_f64 v[28:29], v[108:109], v[62:63]
	v_fmac_f64_e32 v[26:27], v[106:107], v[56:57]
	v_add_f64 v[0:1], v[0:1], v[24:25]
	s_waitcnt vmcnt(26)
	v_mul_f64 v[30:31], v[180:181], v[66:67]
	v_fmac_f64_e32 v[28:29], v[110:111], v[60:61]
	v_add_f64 v[0:1], v[0:1], v[26:27]
	;; [unrolled: 4-line block ×3, first 2 shown]
	s_waitcnt vmcnt(24) lgkmcnt(13)
	v_mul_f64 v[34:35], v[208:209], v[74:75]
	v_fmac_f64_e32 v[32:33], v[114:115], v[68:69]
	v_add_f64 v[0:1], v[0:1], v[30:31]
	s_waitcnt vmcnt(23) lgkmcnt(12)
	v_mul_f64 v[36:37], v[200:201], v[78:79]
	v_fmac_f64_e32 v[34:35], v[210:211], v[72:73]
	v_add_f64 v[0:1], v[0:1], v[32:33]
	;; [unrolled: 4-line block ×8, first 2 shown]
	ds_read_b128 v[212:215], v2 offset:1376
	s_waitcnt vmcnt(16) lgkmcnt(6)
	v_mul_f64 v[222:223], v[144:145], v[138:139]
	v_fmac_f64_e32 v[220:221], v[158:159], v[128:129]
	v_add_f64 v[0:1], v[0:1], v[218:219]
	ds_read_b128 v[216:219], v2 offset:1392
	v_add_f64 v[0:1], v[0:1], v[220:221]
	v_fmac_f64_e32 v[222:223], v[146:147], v[136:137]
	v_add_f64 v[0:1], v[0:1], v[222:223]
	s_waitcnt vmcnt(15) lgkmcnt(6)
	v_mul_f64 v[24:25], v[168:169], v[142:143]
	ds_read_b128 v[220:223], v2 offset:1408
	v_fmac_f64_e32 v[24:25], v[170:171], v[140:141]
	v_add_f64 v[0:1], v[0:1], v[24:25]
	s_waitcnt vmcnt(14) lgkmcnt(2)
	v_mul_f64 v[24:25], v[212:213], v[150:151]
	v_fmac_f64_e32 v[24:25], v[214:215], v[148:149]
	s_waitcnt vmcnt(13) lgkmcnt(1)
	v_mul_f64 v[28:29], v[216:217], v[154:155]
	v_add_f64 v[0:1], v[0:1], v[24:25]
	v_fmac_f64_e32 v[28:29], v[218:219], v[152:153]
	v_add_f64 v[0:1], v[0:1], v[28:29]
	s_waitcnt vmcnt(12) lgkmcnt(0)
	v_mul_f64 v[28:29], v[220:221], v[162:163]
	v_fmac_f64_e32 v[28:29], v[222:223], v[160:161]
	s_waitcnt vmcnt(11)
	v_mul_f64 v[32:33], v[224:225], v[166:167]
	v_add_f64 v[0:1], v[0:1], v[28:29]
	v_fmac_f64_e32 v[32:33], v[226:227], v[164:165]
	v_add_f64 v[0:1], v[0:1], v[32:33]
	s_waitcnt vmcnt(10)
	v_mul_f64 v[32:33], v[228:229], v[174:175]
	v_fmac_f64_e32 v[32:33], v[230:231], v[172:173]
	s_waitcnt vmcnt(9)
	v_mul_f64 v[36:37], v[232:233], v[178:179]
	v_add_f64 v[0:1], v[0:1], v[32:33]
	v_fmac_f64_e32 v[36:37], v[234:235], v[176:177]
	v_mul_f64 v[42:43], v[82:83], v[42:43]
	v_add_f64 v[0:1], v[0:1], v[36:37]
	scratch_load_dwordx4 v[36:39], off, off offset:656
	v_fma_f64 v[240:241], v[80:81], v[40:41], -v[42:43]
	ds_read_b128 v[80:83], v2 offset:1488
	s_waitcnt vmcnt(9)
	v_mul_f64 v[40:41], v[236:237], v[186:187]
	v_fmac_f64_e32 v[40:41], v[238:239], v[184:185]
	v_add_f64 v[0:1], v[0:1], v[40:41]
	v_mul_f64 v[40:41], v[206:207], v[46:47]
	v_fma_f64 v[242:243], v[204:205], v[44:45], -v[40:41]
	scratch_load_dwordx4 v[40:43], off, off offset:672
	s_waitcnt vmcnt(9) lgkmcnt(0)
	v_mul_f64 v[44:45], v[80:81], v[6:7]
	v_fmac_f64_e32 v[44:45], v[82:83], v[4:5]
	v_add_f64 v[0:1], v[0:1], v[44:45]
	scratch_load_dwordx4 v[44:47], off, off offset:688
	v_mul_f64 v[50:51], v[102:103], v[50:51]
	v_fma_f64 v[244:245], v[100:101], v[48:49], -v[50:51]
	ds_read_b128 v[100:103], v2 offset:1504
	v_mul_f64 v[48:49], v[118:119], v[54:55]
	v_fma_f64 v[246:247], v[116:117], v[52:53], -v[48:49]
	scratch_load_dwordx4 v[52:55], off, off offset:704
	scratch_load_dwordx4 v[48:51], off, off offset:720
	v_accvgpr_write_b32 a139, v7
	v_accvgpr_write_b32 a138, v6
	;; [unrolled: 1-line block ×4, first 2 shown]
	s_waitcnt vmcnt(11)
	v_mov_b64_e32 v[4:5], v[8:9]
	v_mul_f64 v[58:59], v[106:107], v[58:59]
	v_mov_b64_e32 v[6:7], v[10:11]
	v_fma_f64 v[248:249], v[104:105], v[56:57], -v[58:59]
	s_waitcnt lgkmcnt(0)
	v_mul_f64 v[56:57], v[100:101], v[6:7]
	ds_read_b128 v[104:107], v2 offset:1520
	v_fmac_f64_e32 v[56:57], v[102:103], v[4:5]
	v_add_f64 v[0:1], v[0:1], v[56:57]
	v_mul_f64 v[56:57], v[110:111], v[62:63]
	v_fma_f64 v[254:255], v[108:109], v[60:61], -v[56:57]
	scratch_load_dwordx4 v[56:59], off, off offset:736
	scratch_load_dwordx4 v[60:63], off, off offset:752
	s_waitcnt vmcnt(12)
	v_mov_b64_e32 v[4:5], v[12:13]
	v_mul_f64 v[66:67], v[182:183], v[66:67]
	v_mov_b64_e32 v[6:7], v[14:15]
	v_fma_f64 v[250:251], v[180:181], v[64:65], -v[66:67]
	v_mul_f64 v[64:65], v[114:115], v[70:71]
	v_fma_f64 v[32:33], v[112:113], v[68:69], -v[64:65]
	ds_read_b128 v[112:115], v2 offset:1552
	s_waitcnt lgkmcnt(1)
	v_mul_f64 v[108:109], v[104:105], v[6:7]
	v_fmac_f64_e32 v[108:109], v[106:107], v[4:5]
	v_add_f64 v[0:1], v[0:1], v[108:109]
	ds_read_b128 v[108:111], v2 offset:1536
	ds_read_b128 v[116:119], v2 offset:1568
	scratch_load_dwordx4 v[64:67], off, off offset:768
	scratch_load_dwordx4 v[68:71], off, off offset:784
	v_mul_f64 v[6:7], v[210:211], v[74:75]
	v_fma_f64 v[28:29], v[208:209], v[72:73], -v[6:7]
	s_waitcnt vmcnt(13)
	v_mov_b64_e32 v[4:5], v[16:17]
	v_mov_b64_e32 v[6:7], v[18:19]
	s_waitcnt lgkmcnt(1)
	v_mul_f64 v[72:73], v[108:109], v[6:7]
	v_fmac_f64_e32 v[72:73], v[110:111], v[4:5]
	v_add_f64 v[0:1], v[0:1], v[72:73]
	v_mul_f64 v[72:73], v[202:203], v[78:79]
	v_fma_f64 v[24:25], v[200:201], v[76:77], -v[72:73]
	scratch_load_dwordx4 v[72:75], off, off offset:800
	s_waitcnt vmcnt(10)
	v_mov_b64_e32 v[4:5], v[20:21]
	v_accvgpr_write_b32 a143, v11
	v_mov_b64_e32 v[6:7], v[22:23]
	v_mul_f64 v[76:77], v[190:191], v[86:87]
	v_accvgpr_write_b32 a142, v10
	v_accvgpr_write_b32 a141, v9
	;; [unrolled: 1-line block ×3, first 2 shown]
	v_mul_f64 v[10:11], v[112:113], v[6:7]
	v_fma_f64 v[252:253], v[188:189], v[84:85], -v[76:77]
	scratch_load_dwordx4 v[76:79], off, off offset:816
	v_fmac_f64_e32 v[10:11], v[114:115], v[4:5]
	v_accvgpr_write_b32 a155, v23
	v_add_f64 v[0:1], v[0:1], v[10:11]
	v_mul_f64 v[10:11], v[122:123], v[90:91]
	v_accvgpr_write_b32 a154, v22
	v_accvgpr_write_b32 a153, v21
	;; [unrolled: 1-line block ×3, first 2 shown]
	v_fma_f64 v[20:21], v[120:121], v[88:89], -v[10:11]
	ds_read_b128 v[120:123], v2 offset:1584
	scratch_load_dwordx4 v[88:91], off, off offset:832
	scratch_load_dwordx4 v[84:87], off, off offset:848
	v_accvgpr_write_b32 a147, v15
	v_accvgpr_write_b32 a146, v14
	;; [unrolled: 1-line block ×5, first 2 shown]
	v_mul_f64 v[14:15], v[134:135], v[94:95]
	v_accvgpr_write_b32 a150, v18
	v_accvgpr_write_b32 a149, v17
	;; [unrolled: 1-line block ×3, first 2 shown]
	v_fma_f64 v[16:17], v[132:133], v[92:93], -v[14:15]
	v_mul_f64 v[92:93], v[198:199], v[98:99]
	v_fma_f64 v[14:15], v[196:197], v[96:97], -v[92:93]
	scratch_load_dwordx4 v[92:95], off, off offset:864
	v_mul_f64 v[96:97], v[158:159], v[130:131]
	v_fma_f64 v[12:13], v[156:157], v[128:129], -v[96:97]
	scratch_load_dwordx4 v[96:99], off, off offset:880
	v_accvgpr_read_b32 v4, a124
	v_accvgpr_read_b32 v6, a126
	v_accvgpr_read_b32 v7, a127
	v_accvgpr_read_b32 v5, a125
	s_waitcnt lgkmcnt(1)
	v_mul_f64 v[10:11], v[116:117], v[6:7]
	v_mul_f64 v[18:19], v[194:195], v[126:127]
	v_fmac_f64_e32 v[10:11], v[118:119], v[4:5]
	v_accvgpr_read_b32 v4, a128
	v_fma_f64 v[18:19], v[192:193], v[124:125], -v[18:19]
	ds_read_b128 v[124:127], v2 offset:1600
	ds_read_b128 v[128:131], v2 offset:1616
	v_accvgpr_read_b32 v6, a130
	v_accvgpr_read_b32 v7, a131
	v_add_f64 v[0:1], v[0:1], v[10:11]
	v_accvgpr_read_b32 v5, a129
	s_waitcnt lgkmcnt(2)
	v_mul_f64 v[10:11], v[120:121], v[6:7]
	v_fmac_f64_e32 v[10:11], v[122:123], v[4:5]
	v_accvgpr_read_b32 v4, a132
	v_accvgpr_read_b32 v6, a134
	;; [unrolled: 1-line block ×3, first 2 shown]
	v_add_f64 v[0:1], v[0:1], v[10:11]
	v_accvgpr_read_b32 v5, a133
	s_waitcnt lgkmcnt(1)
	v_mul_f64 v[10:11], v[124:125], v[6:7]
	ds_read_b128 v[132:135], v2 offset:1632
	v_fmac_f64_e32 v[10:11], v[126:127], v[4:5]
	v_add_f64 v[0:1], v[0:1], v[10:11]
	s_waitcnt vmcnt(14) lgkmcnt(1)
	v_mul_f64 v[10:11], v[128:129], v[38:39]
	v_fmac_f64_e32 v[10:11], v[130:131], v[36:37]
	v_add_f64 v[0:1], v[0:1], v[10:11]
	v_mul_f64 v[10:11], v[146:147], v[138:139]
	v_fma_f64 v[22:23], v[144:145], v[136:137], -v[10:11]
	ds_read_b128 v[136:139], v2 offset:1648
	s_waitcnt vmcnt(13) lgkmcnt(1)
	v_mul_f64 v[10:11], v[132:133], v[42:43]
	v_fmac_f64_e32 v[10:11], v[134:135], v[40:41]
	v_add_f64 v[0:1], v[0:1], v[10:11]
	v_mul_f64 v[10:11], v[170:171], v[142:143]
	v_fma_f64 v[8:9], v[168:169], v[140:141], -v[10:11]
	ds_read_b128 v[140:143], v2 offset:1664
	ds_read_b128 v[144:147], v2 offset:1680
	s_waitcnt vmcnt(12) lgkmcnt(2)
	v_mul_f64 v[10:11], v[136:137], v[46:47]
	v_fmac_f64_e32 v[10:11], v[138:139], v[44:45]
	v_add_f64 v[0:1], v[0:1], v[10:11]
	s_waitcnt vmcnt(11) lgkmcnt(1)
	v_mul_f64 v[10:11], v[140:141], v[54:55]
	v_fmac_f64_e32 v[10:11], v[142:143], v[52:53]
	v_add_f64 v[0:1], v[0:1], v[10:11]
	v_mul_f64 v[10:11], v[214:215], v[150:151]
	v_fma_f64 v[26:27], v[212:213], v[148:149], -v[10:11]
	ds_read_b128 v[148:151], v2 offset:1696
	v_mul_f64 v[154:155], v[218:219], v[154:155]
	v_fma_f64 v[6:7], v[216:217], v[152:153], -v[154:155]
	ds_read_b128 v[152:155], v2 offset:1712
	s_waitcnt vmcnt(10) lgkmcnt(2)
	v_mul_f64 v[10:11], v[144:145], v[50:51]
	v_fmac_f64_e32 v[10:11], v[146:147], v[48:49]
	v_add_f64 v[0:1], v[0:1], v[10:11]
	s_waitcnt vmcnt(9) lgkmcnt(1)
	v_mul_f64 v[10:11], v[148:149], v[58:59]
	ds_read_b128 v[156:159], v2 offset:1728
	v_fmac_f64_e32 v[10:11], v[150:151], v[56:57]
	v_add_f64 v[0:1], v[0:1], v[10:11]
	s_waitcnt vmcnt(8) lgkmcnt(1)
	v_mul_f64 v[10:11], v[152:153], v[62:63]
	v_fmac_f64_e32 v[10:11], v[154:155], v[60:61]
	v_add_f64 v[0:1], v[0:1], v[10:11]
	v_mul_f64 v[10:11], v[222:223], v[162:163]
	v_fma_f64 v[30:31], v[220:221], v[160:161], -v[10:11]
	ds_read_b128 v[160:163], v2 offset:1744
	s_waitcnt vmcnt(7) lgkmcnt(1)
	v_mul_f64 v[10:11], v[156:157], v[66:67]
	v_fmac_f64_e32 v[10:11], v[158:159], v[64:65]
	v_add_f64 v[0:1], v[0:1], v[10:11]
	v_mul_f64 v[10:11], v[226:227], v[166:167]
	v_fma_f64 v[4:5], v[224:225], v[164:165], -v[10:11]
	ds_read_b128 v[164:167], v2 offset:1760
	ds_read_b128 v[168:171], v2 offset:1776
	s_waitcnt vmcnt(6) lgkmcnt(2)
	v_mul_f64 v[10:11], v[160:161], v[70:71]
	v_fmac_f64_e32 v[10:11], v[162:163], v[68:69]
	v_add_f64 v[0:1], v[0:1], v[10:11]
	s_waitcnt vmcnt(5) lgkmcnt(1)
	v_mul_f64 v[10:11], v[164:165], v[74:75]
	v_fmac_f64_e32 v[10:11], v[166:167], v[72:73]
	v_add_f64 v[10:11], v[0:1], v[10:11]
	v_mul_f64 v[0:1], v[230:231], v[174:175]
	v_fma_f64 v[34:35], v[228:229], v[172:173], -v[0:1]
	ds_read_b128 v[172:175], v2 offset:1792
	s_waitcnt vmcnt(4) lgkmcnt(1)
	v_mul_f64 v[180:181], v[168:169], v[78:79]
	v_fmac_f64_e32 v[180:181], v[170:171], v[76:77]
	v_mul_f64 v[0:1], v[234:235], v[178:179]
	v_fma_f64 v[0:1], v[232:233], v[176:177], -v[0:1]
	ds_read_b128 v[176:179], v2 offset:1808
	v_add_f64 v[10:11], v[10:11], v[180:181]
	s_waitcnt vmcnt(3) lgkmcnt(1)
	v_mul_f64 v[180:181], v[172:173], v[90:91]
	v_fmac_f64_e32 v[180:181], v[174:175], v[88:89]
	v_add_f64 v[188:189], v[10:11], v[180:181]
	ds_read_b128 v[180:183], v2 offset:1824
	v_mul_f64 v[10:11], v[238:239], v[186:187]
	v_fma_f64 v[10:11], v[236:237], v[184:185], -v[10:11]
	ds_read_b128 v[184:187], v2 offset:1840
	s_waitcnt vmcnt(2) lgkmcnt(2)
	v_mul_f64 v[190:191], v[176:177], v[86:87]
	v_fmac_f64_e32 v[190:191], v[178:179], v[84:85]
	v_add_f64 v[188:189], v[188:189], v[190:191]
	s_waitcnt vmcnt(1) lgkmcnt(1)
	v_mul_f64 v[190:191], v[180:181], v[94:95]
	v_fmac_f64_e32 v[190:191], v[182:183], v[92:93]
	v_add_f64 v[188:189], v[188:189], v[190:191]
	;; [unrolled: 4-line block ×3, first 2 shown]
	scratch_load_dwordx4 v[188:191], off, off offset:896
	scratch_load_dwordx4 v[232:235], off, off offset:976
	ds_read_b128 v[192:195], v2 offset:1856
	ds_read_b128 v[200:203], v2 offset:1872
	;; [unrolled: 1-line block ×5, first 2 shown]
	s_waitcnt vmcnt(1) lgkmcnt(4)
	v_mul_f64 v[198:199], v[192:193], v[190:191]
	v_fmac_f64_e32 v[198:199], v[194:195], v[188:189]
	v_add_f64 v[204:205], v[196:197], v[198:199]
	scratch_load_dwordx4 v[196:199], off, off offset:912
	s_waitcnt vmcnt(0) lgkmcnt(3)
	v_mul_f64 v[206:207], v[200:201], v[198:199]
	v_fmac_f64_e32 v[206:207], v[202:203], v[196:197]
	v_add_f64 v[212:213], v[204:205], v[206:207]
	scratch_load_dwordx4 v[204:207], off, off offset:928
	;; [unrolled: 5-line block ×4, first 2 shown]
	s_waitcnt vmcnt(0) lgkmcnt(0)
	v_mul_f64 v[230:231], v[224:225], v[222:223]
	v_fmac_f64_e32 v[230:231], v[226:227], v[220:221]
	v_add_f64 v[236:237], v[228:229], v[230:231]
	ds_read_b128 v[228:231], v2 offset:1936
	s_waitcnt lgkmcnt(0)
	v_mul_f64 v[2:3], v[228:229], v[234:235]
	v_fmac_f64_e32 v[2:3], v[230:231], v[232:233]
	v_add_f64 v[2:3], v[236:237], v[2:3]
	v_add_f64 v[236:237], v[240:241], 0
	;; [unrolled: 1-line block ×11, first 2 shown]
	scratch_load_dwordx4 v[236:239], off, off offset:112
	v_add_f64 v[24:25], v[24:25], v[252:253]
	v_add_f64 v[20:21], v[24:25], v[20:21]
	;; [unrolled: 1-line block ×12, first 2 shown]
	v_accvgpr_read_b32 v6, a136
	v_accvgpr_read_b32 v8, a138
	;; [unrolled: 1-line block ×3, first 2 shown]
	v_add_f64 v[254:255], v[4:5], v[34:35]
	v_accvgpr_read_b32 v7, a137
	v_mul_f64 v[4:5], v[82:83], v[8:9]
	v_add_f64 v[0:1], v[254:255], v[0:1]
	v_fma_f64 v[4:5], v[80:81], v[6:7], -v[4:5]
	v_accvgpr_read_b32 v6, a140
	v_add_f64 v[0:1], v[0:1], v[10:11]
	v_accvgpr_read_b32 v8, a142
	v_accvgpr_read_b32 v9, a143
	v_add_f64 v[0:1], v[0:1], v[4:5]
	v_accvgpr_read_b32 v7, a141
	v_mul_f64 v[4:5], v[102:103], v[8:9]
	v_fma_f64 v[4:5], v[100:101], v[6:7], -v[4:5]
	v_accvgpr_read_b32 v6, a144
	v_accvgpr_read_b32 v8, a146
	v_accvgpr_read_b32 v9, a147
	v_add_f64 v[0:1], v[0:1], v[4:5]
	v_accvgpr_read_b32 v7, a145
	v_mul_f64 v[4:5], v[106:107], v[8:9]
	v_fma_f64 v[4:5], v[104:105], v[6:7], -v[4:5]
	v_accvgpr_read_b32 v6, a148
	;; [unrolled: 7-line block ×6, first 2 shown]
	v_accvgpr_read_b32 v8, a134
	v_accvgpr_read_b32 v9, a135
	v_add_f64 v[0:1], v[0:1], v[4:5]
	v_accvgpr_read_b32 v7, a133
	v_mul_f64 v[4:5], v[126:127], v[8:9]
	v_fma_f64 v[4:5], v[124:125], v[6:7], -v[4:5]
	v_add_f64 v[0:1], v[0:1], v[4:5]
	v_mul_f64 v[4:5], v[130:131], v[38:39]
	v_fma_f64 v[4:5], v[128:129], v[36:37], -v[4:5]
	v_add_f64 v[0:1], v[0:1], v[4:5]
	;; [unrolled: 3-line block ×22, first 2 shown]
	s_waitcnt vmcnt(0)
	v_add_f64 v[4:5], v[236:237], -v[0:1]
	v_accvgpr_read_b32 v0, a122
	v_add_f64 v[6:7], v[238:239], -v[2:3]
	v_cmp_lt_u32_e32 vcc, 5, v0
	scratch_store_dwordx4 off, v[4:7], off offset:112
	s_and_saveexec_b64 s[0:1], vcc
	s_cbranch_execz .LBB60_381
; %bb.380:
	scratch_load_dwordx4 v[2:5], off, s28
	v_mov_b32_e32 v6, 0
	v_mov_b32_e32 v7, v6
	;; [unrolled: 1-line block ×4, first 2 shown]
	v_accvgpr_read_b32 v0, a123
	scratch_store_dwordx4 off, v[6:9], off offset:96
	s_waitcnt vmcnt(1)
	ds_write_b128 v0, v[2:5]
.LBB60_381:
	s_or_b64 exec, exec, s[0:1]
	s_waitcnt lgkmcnt(0)
	; wave barrier
	scratch_load_dwordx4 v[16:19], off, off offset:112
	scratch_load_dwordx4 v[20:23], off, off offset:128
	;; [unrolled: 1-line block ×30, first 2 shown]
	v_mov_b32_e32 v2, 0
	ds_read_b128 v[84:87], v2 offset:1072
	ds_read_b128 v[96:99], v2 offset:1088
	;; [unrolled: 1-line block ×17, first 2 shown]
	scratch_load_dwordx4 a[124:127], off, off offset:592
	scratch_load_dwordx4 a[128:131], off, off offset:608
	scratch_load_dwordx4 a[132:135], off, off offset:624
	scratch_load_dwordx4 a[136:139], off, off offset:640
	ds_read_b128 v[228:231], v2 offset:1440
	ds_read_b128 v[236:239], v2 offset:1456
	scratch_load_dwordx4 a[140:143], off, off offset:656
	ds_read_b128 v[250:253], v2 offset:1472
	ds_read_b128 v[240:243], v2 offset:1488
	;; [unrolled: 1-line block ×3, first 2 shown]
	s_waitcnt vmcnt(34) lgkmcnt(14)
	v_mul_f64 v[0:1], v[84:85], v[18:19]
	s_waitcnt vmcnt(33)
	v_mul_f64 v[40:41], v[96:97], v[22:23]
	v_fmac_f64_e32 v[0:1], v[86:87], v[16:17]
	s_waitcnt vmcnt(32)
	v_mul_f64 v[42:43], v[104:105], v[26:27]
	v_fmac_f64_e32 v[40:41], v[98:99], v[20:21]
	v_add_f64 v[0:1], v[0:1], 0
	s_waitcnt vmcnt(31)
	v_mul_f64 v[48:49], v[108:109], v[30:31]
	v_fmac_f64_e32 v[42:43], v[106:107], v[24:25]
	v_add_f64 v[0:1], v[0:1], v[40:41]
	s_waitcnt vmcnt(30)
	v_mul_f64 v[50:51], v[112:113], v[34:35]
	v_fmac_f64_e32 v[48:49], v[110:111], v[28:29]
	v_add_f64 v[0:1], v[0:1], v[42:43]
	s_waitcnt vmcnt(29)
	v_mul_f64 v[56:57], v[116:117], v[38:39]
	v_fmac_f64_e32 v[50:51], v[114:115], v[32:33]
	v_add_f64 v[0:1], v[0:1], v[48:49]
	s_waitcnt vmcnt(28)
	v_mul_f64 v[58:59], v[120:121], v[46:47]
	v_fmac_f64_e32 v[56:57], v[118:119], v[36:37]
	v_add_f64 v[0:1], v[0:1], v[50:51]
	s_waitcnt vmcnt(27)
	v_mul_f64 v[204:205], v[124:125], v[54:55]
	v_fmac_f64_e32 v[58:59], v[122:123], v[44:45]
	v_add_f64 v[0:1], v[0:1], v[56:57]
	s_waitcnt vmcnt(26) lgkmcnt(13)
	v_mul_f64 v[206:207], v[140:141], v[62:63]
	v_fmac_f64_e32 v[204:205], v[126:127], v[52:53]
	v_add_f64 v[0:1], v[0:1], v[58:59]
	s_waitcnt vmcnt(25) lgkmcnt(12)
	v_mul_f64 v[208:209], v[152:153], v[66:67]
	v_fmac_f64_e32 v[206:207], v[142:143], v[60:61]
	v_add_f64 v[0:1], v[0:1], v[204:205]
	;; [unrolled: 4-line block ×6, first 2 shown]
	ds_read_b128 v[204:207], v2 offset:1344
	ds_read_b128 v[208:211], v2 offset:1360
	s_waitcnt vmcnt(20) lgkmcnt(9)
	v_mul_f64 v[218:219], v[192:193], v[90:91]
	v_fmac_f64_e32 v[216:217], v[190:191], v[80:81]
	v_add_f64 v[0:1], v[0:1], v[214:215]
	s_waitcnt vmcnt(19) lgkmcnt(8)
	v_mul_f64 v[220:221], v[196:197], v[94:95]
	v_fmac_f64_e32 v[218:219], v[194:195], v[88:89]
	v_add_f64 v[0:1], v[0:1], v[216:217]
	v_fmac_f64_e32 v[220:221], v[198:199], v[92:93]
	v_add_f64 v[0:1], v[0:1], v[218:219]
	s_waitcnt vmcnt(18) lgkmcnt(7)
	v_mul_f64 v[40:41], v[200:201], v[102:103]
	ds_read_b128 v[212:215], v2 offset:1376
	ds_read_b128 v[216:219], v2 offset:1392
	v_add_f64 v[0:1], v[0:1], v[220:221]
	v_fmac_f64_e32 v[40:41], v[202:203], v[100:101]
	v_add_f64 v[0:1], v[0:1], v[40:41]
	s_waitcnt vmcnt(17) lgkmcnt(3)
	v_mul_f64 v[40:41], v[204:205], v[130:131]
	v_fmac_f64_e32 v[40:41], v[206:207], v[128:129]
	ds_read_b128 v[220:223], v2 offset:1408
	v_add_f64 v[0:1], v[0:1], v[40:41]
	s_waitcnt vmcnt(16) lgkmcnt(3)
	v_mul_f64 v[40:41], v[208:209], v[134:135]
	v_fmac_f64_e32 v[40:41], v[210:211], v[132:133]
	s_waitcnt vmcnt(15) lgkmcnt(2)
	v_mul_f64 v[48:49], v[212:213], v[138:139]
	v_add_f64 v[0:1], v[0:1], v[40:41]
	v_fmac_f64_e32 v[48:49], v[214:215], v[136:137]
	s_waitcnt vmcnt(14) lgkmcnt(1)
	v_mul_f64 v[56:57], v[216:217], v[146:147]
	v_add_f64 v[0:1], v[0:1], v[48:49]
	v_fmac_f64_e32 v[56:57], v[218:219], v[144:145]
	v_add_f64 v[0:1], v[0:1], v[56:57]
	s_waitcnt vmcnt(13) lgkmcnt(0)
	v_mul_f64 v[56:57], v[220:221], v[150:151]
	v_fmac_f64_e32 v[56:57], v[222:223], v[148:149]
	v_add_f64 v[0:1], v[0:1], v[56:57]
	s_waitcnt vmcnt(12)
	v_mul_f64 v[56:57], v[224:225], v[158:159]
	v_fmac_f64_e32 v[56:57], v[226:227], v[156:157]
	s_waitcnt vmcnt(11)
	v_mul_f64 v[232:233], v[228:229], v[162:163]
	v_add_f64 v[0:1], v[0:1], v[56:57]
	v_fmac_f64_e32 v[232:233], v[230:231], v[160:161]
	v_add_f64 v[0:1], v[0:1], v[232:233]
	s_waitcnt vmcnt(10)
	v_mul_f64 v[232:233], v[236:237], v[170:171]
	v_mul_f64 v[18:19], v[86:87], v[18:19]
	v_fmac_f64_e32 v[232:233], v[238:239], v[168:169]
	v_fma_f64 v[244:245], v[84:85], v[16:17], -v[18:19]
	s_waitcnt vmcnt(9)
	v_mul_f64 v[84:85], v[250:251], v[174:175]
	v_add_f64 v[0:1], v[0:1], v[232:233]
	v_fmac_f64_e32 v[84:85], v[252:253], v[172:173]
	v_add_f64 v[0:1], v[0:1], v[84:85]
	ds_read_b128 v[84:87], v2 offset:1504
	scratch_load_dwordx4 v[56:59], off, off offset:672
	scratch_load_dwordx4 v[40:43], off, off offset:688
	;; [unrolled: 1-line block ×3, first 2 shown]
	v_mul_f64 v[30:31], v[110:111], v[30:31]
	v_mul_f64 v[22:23], v[98:99], v[22:23]
	;; [unrolled: 1-line block ×3, first 2 shown]
	v_fma_f64 v[254:255], v[108:109], v[28:29], -v[30:31]
	s_waitcnt vmcnt(11)
	v_mul_f64 v[28:29], v[240:241], v[182:183]
	v_fma_f64 v[246:247], v[96:97], v[20:21], -v[22:23]
	v_fma_f64 v[248:249], v[104:105], v[24:25], -v[26:27]
	v_fmac_f64_e32 v[28:29], v[242:243], v[180:181]
	ds_read_b128 v[104:107], v2 offset:1536
	s_waitcnt vmcnt(10) lgkmcnt(1)
	v_mul_f64 v[96:97], v[84:85], v[6:7]
	v_add_f64 v[0:1], v[0:1], v[28:29]
	v_fmac_f64_e32 v[96:97], v[86:87], v[4:5]
	v_add_f64 v[0:1], v[0:1], v[96:97]
	ds_read_b128 v[96:99], v2 offset:1520
	v_mul_f64 v[34:35], v[114:115], v[34:35]
	v_accvgpr_write_b32 a147, v7
	v_mul_f64 v[38:39], v[118:119], v[38:39]
	v_fma_f64 v[232:233], v[112:113], v[32:33], -v[34:35]
	v_accvgpr_write_b32 a146, v6
	v_accvgpr_write_b32 a145, v5
	;; [unrolled: 1-line block ×3, first 2 shown]
	v_fma_f64 v[32:33], v[116:117], v[36:37], -v[38:39]
	scratch_load_dwordx4 v[36:39], off, off offset:720
	v_mul_f64 v[6:7], v[122:123], v[46:47]
	v_mul_f64 v[46:47], v[126:127], v[54:55]
	v_fma_f64 v[28:29], v[120:121], v[44:45], -v[6:7]
	v_fma_f64 v[24:25], v[124:125], v[52:53], -v[46:47]
	scratch_load_dwordx4 v[52:55], off, off offset:736
	ds_read_b128 v[112:115], v2 offset:1568
	s_waitcnt vmcnt(11) lgkmcnt(1)
	v_mul_f64 v[44:45], v[96:97], v[10:11]
	v_fmac_f64_e32 v[44:45], v[98:99], v[8:9]
	v_add_f64 v[0:1], v[0:1], v[44:45]
	scratch_load_dwordx4 v[44:47], off, off offset:752
	s_waitcnt vmcnt(11)
	v_mov_b64_e32 v[4:5], v[12:13]
	v_mov_b64_e32 v[6:7], v[14:15]
	v_accvgpr_write_b32 a151, v11
	v_mul_f64 v[108:109], v[104:105], v[6:7]
	v_accvgpr_write_b32 a150, v10
	v_accvgpr_write_b32 a149, v9
	;; [unrolled: 1-line block ×3, first 2 shown]
	v_mul_f64 v[10:11], v[142:143], v[62:63]
	v_fmac_f64_e32 v[108:109], v[106:107], v[4:5]
	v_fma_f64 v[20:21], v[140:141], v[60:61], -v[10:11]
	scratch_load_dwordx4 v[60:63], off, off offset:768
	v_add_f64 v[0:1], v[0:1], v[108:109]
	ds_read_b128 v[108:111], v2 offset:1552
	v_mul_f64 v[66:67], v[154:155], v[66:67]
	v_fma_f64 v[16:17], v[152:153], v[64:65], -v[66:67]
	scratch_load_dwordx4 v[64:67], off, off offset:784
	s_waitcnt vmcnt(12)
	v_accvgpr_read_b32 v4, a124
	v_accvgpr_write_b32 a155, v15
	v_accvgpr_read_b32 v6, a126
	v_accvgpr_read_b32 v7, a127
	v_accvgpr_write_b32 a154, v14
	v_accvgpr_write_b32 a153, v13
	;; [unrolled: 1-line block ×3, first 2 shown]
	v_mul_f64 v[14:15], v[166:167], v[70:71]
	v_accvgpr_read_b32 v5, a125
	s_waitcnt lgkmcnt(0)
	v_mul_f64 v[116:117], v[108:109], v[6:7]
	v_fma_f64 v[14:15], v[164:165], v[68:69], -v[14:15]
	v_mul_f64 v[68:69], v[178:179], v[74:75]
	v_fmac_f64_e32 v[116:117], v[110:111], v[4:5]
	s_waitcnt vmcnt(11)
	v_accvgpr_read_b32 v4, a128
	v_fma_f64 v[12:13], v[176:177], v[72:73], -v[68:69]
	scratch_load_dwordx4 v[68:71], off, off offset:800
	v_accvgpr_read_b32 v6, a130
	v_accvgpr_read_b32 v7, a131
	;; [unrolled: 1-line block ×3, first 2 shown]
	v_mul_f64 v[18:19], v[112:113], v[6:7]
	v_add_f64 v[0:1], v[0:1], v[116:117]
	v_fmac_f64_e32 v[18:19], v[114:115], v[4:5]
	scratch_load_dwordx4 v[72:75], off, off offset:816
	v_add_f64 v[0:1], v[0:1], v[18:19]
	v_mul_f64 v[18:19], v[186:187], v[78:79]
	v_fma_f64 v[18:19], v[184:185], v[76:77], -v[18:19]
	ds_read_b128 v[116:119], v2 offset:1584
	v_mul_f64 v[76:77], v[190:191], v[82:83]
	v_fma_f64 v[184:185], v[188:189], v[80:81], -v[76:77]
	scratch_load_dwordx4 v[80:83], off, off offset:832
	scratch_load_dwordx4 v[76:79], off, off offset:848
	ds_read_b128 v[120:123], v2 offset:1600
	s_waitcnt vmcnt(14)
	v_accvgpr_read_b32 v4, a132
	v_mul_f64 v[90:91], v[194:195], v[90:91]
	v_accvgpr_read_b32 v6, a134
	v_accvgpr_read_b32 v7, a135
	v_fma_f64 v[186:187], v[192:193], v[88:89], -v[90:91]
	v_accvgpr_read_b32 v5, a133
	s_waitcnt lgkmcnt(1)
	v_mul_f64 v[88:89], v[116:117], v[6:7]
	v_fmac_f64_e32 v[88:89], v[118:119], v[4:5]
	s_waitcnt vmcnt(13)
	v_accvgpr_read_b32 v4, a136
	v_add_f64 v[0:1], v[0:1], v[88:89]
	v_mul_f64 v[88:89], v[198:199], v[94:95]
	v_mul_f64 v[22:23], v[202:203], v[102:103]
	v_accvgpr_read_b32 v6, a138
	v_accvgpr_read_b32 v7, a139
	v_fma_f64 v[10:11], v[196:197], v[92:93], -v[88:89]
	scratch_load_dwordx4 v[92:95], off, off offset:864
	scratch_load_dwordx4 v[88:91], off, off offset:880
	v_fma_f64 v[22:23], v[200:201], v[100:101], -v[22:23]
	v_accvgpr_read_b32 v5, a137
	s_waitcnt lgkmcnt(0)
	v_mul_f64 v[100:101], v[120:121], v[6:7]
	v_fmac_f64_e32 v[100:101], v[122:123], v[4:5]
	v_add_f64 v[0:1], v[0:1], v[100:101]
	v_mul_f64 v[100:101], v[206:207], v[130:131]
	v_fma_f64 v[8:9], v[204:205], v[128:129], -v[100:101]
	scratch_load_dwordx4 v[100:103], off, off offset:896
	ds_read_b128 v[124:127], v2 offset:1616
	ds_read_b128 v[128:131], v2 offset:1632
	s_waitcnt vmcnt(15)
	v_accvgpr_read_b32 v4, a140
	v_accvgpr_read_b32 v6, a142
	v_accvgpr_read_b32 v7, a143
	v_accvgpr_read_b32 v5, a141
	s_waitcnt lgkmcnt(1)
	v_mul_f64 v[26:27], v[124:125], v[6:7]
	v_fmac_f64_e32 v[26:27], v[126:127], v[4:5]
	v_add_f64 v[0:1], v[0:1], v[26:27]
	v_mul_f64 v[26:27], v[210:211], v[134:135]
	v_fma_f64 v[26:27], v[208:209], v[132:133], -v[26:27]
	ds_read_b128 v[132:135], v2 offset:1648
	v_mul_f64 v[138:139], v[214:215], v[138:139]
	v_fma_f64 v[6:7], v[212:213], v[136:137], -v[138:139]
	ds_read_b128 v[136:139], v2 offset:1664
	s_waitcnt vmcnt(14) lgkmcnt(2)
	v_mul_f64 v[140:141], v[128:129], v[58:59]
	v_fmac_f64_e32 v[140:141], v[130:131], v[56:57]
	s_waitcnt vmcnt(13) lgkmcnt(1)
	v_mul_f64 v[30:31], v[132:133], v[42:43]
	v_add_f64 v[0:1], v[0:1], v[140:141]
	v_fmac_f64_e32 v[30:31], v[134:135], v[40:41]
	v_add_f64 v[0:1], v[0:1], v[30:31]
	s_waitcnt vmcnt(12) lgkmcnt(0)
	v_mul_f64 v[30:31], v[136:137], v[50:51]
	v_fmac_f64_e32 v[30:31], v[138:139], v[48:49]
	ds_read_b128 v[140:143], v2 offset:1680
	v_add_f64 v[0:1], v[0:1], v[30:31]
	v_mul_f64 v[30:31], v[218:219], v[146:147]
	v_fma_f64 v[30:31], v[216:217], v[144:145], -v[30:31]
	ds_read_b128 v[144:147], v2 offset:1696
	v_mul_f64 v[150:151], v[222:223], v[150:151]
	v_fma_f64 v[4:5], v[220:221], v[148:149], -v[150:151]
	ds_read_b128 v[148:151], v2 offset:1712
	s_waitcnt vmcnt(11) lgkmcnt(2)
	v_mul_f64 v[152:153], v[140:141], v[38:39]
	v_fmac_f64_e32 v[152:153], v[142:143], v[36:37]
	s_waitcnt vmcnt(10) lgkmcnt(1)
	v_mul_f64 v[34:35], v[144:145], v[54:55]
	v_add_f64 v[0:1], v[0:1], v[152:153]
	v_fmac_f64_e32 v[34:35], v[146:147], v[52:53]
	v_add_f64 v[0:1], v[0:1], v[34:35]
	ds_read_b128 v[152:155], v2 offset:1728
	s_waitcnt vmcnt(9) lgkmcnt(1)
	v_mul_f64 v[34:35], v[148:149], v[46:47]
	v_fmac_f64_e32 v[34:35], v[150:151], v[44:45]
	v_add_f64 v[0:1], v[0:1], v[34:35]
	v_mul_f64 v[34:35], v[226:227], v[158:159]
	v_fma_f64 v[34:35], v[224:225], v[156:157], -v[34:35]
	ds_read_b128 v[156:159], v2 offset:1744
	s_waitcnt vmcnt(8) lgkmcnt(1)
	v_mul_f64 v[164:165], v[152:153], v[62:63]
	v_fmac_f64_e32 v[164:165], v[154:155], v[60:61]
	v_mul_f64 v[162:163], v[230:231], v[162:163]
	v_fma_f64 v[234:235], v[228:229], v[160:161], -v[162:163]
	ds_read_b128 v[160:163], v2 offset:1760
	v_add_f64 v[0:1], v[0:1], v[164:165]
	s_waitcnt vmcnt(7) lgkmcnt(1)
	v_mul_f64 v[164:165], v[156:157], v[66:67]
	v_fmac_f64_e32 v[164:165], v[158:159], v[64:65]
	v_add_f64 v[0:1], v[0:1], v[164:165]
	ds_read_b128 v[164:167], v2 offset:1776
	v_mul_f64 v[170:171], v[238:239], v[170:171]
	v_fma_f64 v[236:237], v[236:237], v[168:169], -v[170:171]
	ds_read_b128 v[168:171], v2 offset:1792
	s_waitcnt vmcnt(6) lgkmcnt(2)
	v_mul_f64 v[176:177], v[160:161], v[70:71]
	v_fmac_f64_e32 v[176:177], v[162:163], v[68:69]
	v_add_f64 v[0:1], v[0:1], v[176:177]
	s_waitcnt vmcnt(5) lgkmcnt(1)
	v_mul_f64 v[176:177], v[164:165], v[74:75]
	v_fmac_f64_e32 v[176:177], v[166:167], v[72:73]
	v_mul_f64 v[174:175], v[252:253], v[174:175]
	v_add_f64 v[0:1], v[0:1], v[176:177]
	v_fma_f64 v[238:239], v[250:251], v[172:173], -v[174:175]
	ds_read_b128 v[172:175], v2 offset:1808
	s_waitcnt vmcnt(4) lgkmcnt(1)
	v_mul_f64 v[176:177], v[168:169], v[82:83]
	v_fmac_f64_e32 v[176:177], v[170:171], v[80:81]
	v_add_f64 v[0:1], v[0:1], v[176:177]
	ds_read_b128 v[176:179], v2 offset:1824
	v_mul_f64 v[182:183], v[242:243], v[182:183]
	v_fma_f64 v[250:251], v[240:241], v[180:181], -v[182:183]
	ds_read_b128 v[180:183], v2 offset:1840
	ds_read_b128 v[240:243], v2 offset:1856
	s_waitcnt vmcnt(3) lgkmcnt(3)
	v_mul_f64 v[188:189], v[172:173], v[78:79]
	v_fmac_f64_e32 v[188:189], v[174:175], v[76:77]
	v_add_f64 v[0:1], v[0:1], v[188:189]
	s_waitcnt vmcnt(2) lgkmcnt(2)
	v_mul_f64 v[188:189], v[176:177], v[94:95]
	v_fmac_f64_e32 v[188:189], v[178:179], v[92:93]
	v_add_f64 v[0:1], v[0:1], v[188:189]
	;; [unrolled: 4-line block ×4, first 2 shown]
	scratch_load_dwordx4 v[188:191], off, off offset:912
	ds_read_b128 v[192:195], v2 offset:1872
	ds_read_b128 v[200:203], v2 offset:1888
	;; [unrolled: 1-line block ×5, first 2 shown]
	s_waitcnt vmcnt(0) lgkmcnt(4)
	v_mul_f64 v[196:197], v[192:193], v[190:191]
	v_fmac_f64_e32 v[196:197], v[194:195], v[188:189]
	v_add_f64 v[0:1], v[0:1], v[196:197]
	scratch_load_dwordx4 v[196:199], off, off offset:928
	s_waitcnt vmcnt(0) lgkmcnt(3)
	v_mul_f64 v[204:205], v[200:201], v[198:199]
	v_fmac_f64_e32 v[204:205], v[202:203], v[196:197]
	v_add_f64 v[0:1], v[0:1], v[204:205]
	scratch_load_dwordx4 v[204:207], off, off offset:944
	;; [unrolled: 5-line block ×4, first 2 shown]
	s_waitcnt vmcnt(0) lgkmcnt(0)
	v_mul_f64 v[228:229], v[224:225], v[222:223]
	v_fmac_f64_e32 v[228:229], v[226:227], v[220:221]
	v_add_f64 v[0:1], v[0:1], v[228:229]
	v_add_f64 v[228:229], v[244:245], 0
	v_add_f64 v[228:229], v[228:229], v[246:247]
	v_add_f64 v[228:229], v[228:229], v[248:249]
	v_add_f64 v[228:229], v[228:229], v[254:255]
	v_add_f64 v[228:229], v[228:229], v[232:233]
	v_add_f64 v[32:33], v[228:229], v[32:33]
	v_add_f64 v[28:29], v[32:33], v[28:29]
	v_add_f64 v[24:25], v[28:29], v[24:25]
	scratch_load_dwordx4 v[228:231], off, off offset:96
	v_add_f64 v[20:21], v[24:25], v[20:21]
	v_add_f64 v[16:17], v[20:21], v[16:17]
	;; [unrolled: 1-line block ×15, first 2 shown]
	v_accvgpr_read_b32 v8, a144
	v_add_f64 v[4:5], v[252:253], v[234:235]
	v_accvgpr_read_b32 v10, a146
	v_accvgpr_read_b32 v11, a147
	v_add_f64 v[4:5], v[4:5], v[236:237]
	v_accvgpr_read_b32 v9, a145
	v_mul_f64 v[6:7], v[86:87], v[10:11]
	v_add_f64 v[4:5], v[4:5], v[238:239]
	v_fma_f64 v[6:7], v[84:85], v[8:9], -v[6:7]
	v_accvgpr_read_b32 v8, a148
	v_add_f64 v[4:5], v[4:5], v[250:251]
	v_accvgpr_read_b32 v10, a150
	v_accvgpr_read_b32 v11, a151
	v_add_f64 v[4:5], v[4:5], v[6:7]
	v_accvgpr_read_b32 v9, a149
	v_mul_f64 v[6:7], v[98:99], v[10:11]
	v_fma_f64 v[6:7], v[96:97], v[8:9], -v[6:7]
	v_accvgpr_read_b32 v8, a152
	v_accvgpr_read_b32 v10, a154
	v_accvgpr_read_b32 v11, a155
	v_add_f64 v[4:5], v[4:5], v[6:7]
	v_accvgpr_read_b32 v9, a153
	v_mul_f64 v[6:7], v[106:107], v[10:11]
	v_fma_f64 v[6:7], v[104:105], v[8:9], -v[6:7]
	v_accvgpr_read_b32 v8, a124
	v_accvgpr_read_b32 v10, a126
	v_accvgpr_read_b32 v11, a127
	v_add_f64 v[4:5], v[4:5], v[6:7]
	v_accvgpr_read_b32 v9, a125
	v_mul_f64 v[6:7], v[110:111], v[10:11]
	v_fma_f64 v[6:7], v[108:109], v[8:9], -v[6:7]
	v_accvgpr_read_b32 v8, a128
	v_accvgpr_read_b32 v10, a130
	v_accvgpr_read_b32 v11, a131
	v_add_f64 v[4:5], v[4:5], v[6:7]
	v_accvgpr_read_b32 v9, a129
	v_mul_f64 v[6:7], v[114:115], v[10:11]
	v_fma_f64 v[6:7], v[112:113], v[8:9], -v[6:7]
	v_accvgpr_read_b32 v8, a132
	v_accvgpr_read_b32 v10, a134
	v_accvgpr_read_b32 v11, a135
	v_add_f64 v[4:5], v[4:5], v[6:7]
	v_accvgpr_read_b32 v9, a133
	v_mul_f64 v[6:7], v[118:119], v[10:11]
	v_fma_f64 v[6:7], v[116:117], v[8:9], -v[6:7]
	v_accvgpr_read_b32 v8, a136
	v_accvgpr_read_b32 v10, a138
	v_accvgpr_read_b32 v11, a139
	v_add_f64 v[4:5], v[4:5], v[6:7]
	v_accvgpr_read_b32 v9, a137
	v_mul_f64 v[6:7], v[122:123], v[10:11]
	v_fma_f64 v[6:7], v[120:121], v[8:9], -v[6:7]
	v_accvgpr_read_b32 v8, a140
	v_accvgpr_read_b32 v10, a142
	v_accvgpr_read_b32 v11, a143
	v_add_f64 v[4:5], v[4:5], v[6:7]
	v_accvgpr_read_b32 v9, a141
	v_mul_f64 v[6:7], v[126:127], v[10:11]
	v_fma_f64 v[6:7], v[124:125], v[8:9], -v[6:7]
	v_add_f64 v[4:5], v[4:5], v[6:7]
	v_mul_f64 v[6:7], v[130:131], v[58:59]
	v_fma_f64 v[6:7], v[128:129], v[56:57], -v[6:7]
	v_add_f64 v[4:5], v[4:5], v[6:7]
	;; [unrolled: 3-line block ×21, first 2 shown]
	s_waitcnt vmcnt(0)
	v_add_f64 v[6:7], v[230:231], -v[0:1]
	v_accvgpr_read_b32 v0, a122
	v_add_f64 v[4:5], v[228:229], -v[4:5]
	v_cmp_lt_u32_e32 vcc, 4, v0
	scratch_store_dwordx4 off, v[4:7], off offset:96
	s_and_saveexec_b64 s[0:1], vcc
	s_cbranch_execz .LBB60_383
; %bb.382:
	scratch_load_dwordx4 v[6:9], off, s29
	v_mov_b32_e32 v3, v2
	v_mov_b32_e32 v4, v2
	;; [unrolled: 1-line block ×3, first 2 shown]
	v_accvgpr_read_b32 v0, a123
	scratch_store_dwordx4 off, v[2:5], off offset:80
	s_waitcnt vmcnt(1)
	ds_write_b128 v0, v[6:9]
.LBB60_383:
	s_or_b64 exec, exec, s[0:1]
	s_waitcnt lgkmcnt(0)
	; wave barrier
	scratch_load_dwordx4 v[16:19], off, off offset:96
	scratch_load_dwordx4 v[20:23], off, off offset:112
	;; [unrolled: 1-line block ×17, first 2 shown]
	ds_read_b128 v[112:115], v2 offset:1056
	ds_read_b128 v[96:99], v2 offset:1072
	ds_read_b128 v[84:87], v2 offset:1088
	scratch_load_dwordx4 v[120:123], off, off offset:368
	ds_read_b128 v[184:187], v2 offset:1104
	ds_read_b128 v[140:143], v2 offset:1120
	ds_read_b128 v[104:107], v2 offset:1136
	scratch_load_dwordx4 v[132:135], off, off offset:384
	;; [unrolled: 4-line block ×3, first 2 shown]
	ds_read_b128 v[200:203], v2 offset:1200
	ds_read_b128 v[192:195], v2 offset:1216
	;; [unrolled: 1-line block ×5, first 2 shown]
	scratch_load_dwordx4 v[144:147], off, off offset:416
	ds_read_b128 v[180:183], v2 offset:1280
	ds_read_b128 v[152:155], v2 offset:1296
	;; [unrolled: 1-line block ×3, first 2 shown]
	scratch_load_dwordx4 v[148:151], off, off offset:432
	scratch_load_dwordx4 v[156:159], off, off offset:448
	scratch_load_dwordx4 v[160:163], off, off offset:464
	scratch_load_dwordx4 v[168:171], off, off offset:480
	scratch_load_dwordx4 v[172:175], off, off offset:496
	scratch_load_dwordx4 v[196:199], off, off offset:512
	scratch_load_dwordx4 v[4:7], off, off offset:528
	scratch_load_dwordx4 v[8:11], off, off offset:544
	scratch_load_dwordx4 v[12:15], off, off offset:560
	scratch_load_dwordx4 a[124:127], off, off offset:576
	scratch_load_dwordx4 a[128:131], off, off offset:592
	scratch_load_dwordx4 a[132:135], off, off offset:608
	scratch_load_dwordx4 a[136:139], off, off offset:624
	ds_read_b128 v[204:207], v2 offset:1328
	ds_read_b128 v[228:231], v2 offset:1424
	ds_read_b128 v[232:235], v2 offset:1440
	scratch_load_dwordx4 a[140:143], off, off offset:640
	scratch_load_dwordx4 a[144:147], off, off offset:656
	ds_read_b128 v[236:239], v2 offset:1456
	s_waitcnt vmcnt(35) lgkmcnt(14)
	v_mul_f64 v[0:1], v[112:113], v[18:19]
	s_waitcnt vmcnt(34)
	v_mul_f64 v[48:49], v[96:97], v[22:23]
	v_fmac_f64_e32 v[0:1], v[114:115], v[16:17]
	s_waitcnt vmcnt(33)
	v_mul_f64 v[50:51], v[84:85], v[26:27]
	v_fmac_f64_e32 v[48:49], v[98:99], v[20:21]
	v_add_f64 v[0:1], v[0:1], 0
	s_waitcnt vmcnt(32)
	v_mul_f64 v[56:57], v[184:185], v[30:31]
	v_fmac_f64_e32 v[50:51], v[86:87], v[24:25]
	v_add_f64 v[0:1], v[0:1], v[48:49]
	;; [unrolled: 4-line block ×5, first 2 shown]
	s_waitcnt vmcnt(28) lgkmcnt(13)
	v_mul_f64 v[208:209], v[164:165], v[46:47]
	v_fmac_f64_e32 v[66:67], v[190:191], v[40:41]
	v_add_f64 v[0:1], v[0:1], v[64:65]
	s_waitcnt vmcnt(27) lgkmcnt(12)
	v_mul_f64 v[210:211], v[108:109], v[54:55]
	v_fmac_f64_e32 v[208:209], v[166:167], v[44:45]
	v_add_f64 v[0:1], v[0:1], v[66:67]
	;; [unrolled: 4-line block ×9, first 2 shown]
	ds_read_b128 v[208:211], v2 offset:1344
	v_fmac_f64_e32 v[224:225], v[154:155], v[92:93]
	v_add_f64 v[0:1], v[0:1], v[222:223]
	s_waitcnt vmcnt(19) lgkmcnt(5)
	v_mul_f64 v[48:49], v[128:129], v[102:103]
	ds_read_b128 v[212:215], v2 offset:1360
	ds_read_b128 v[216:219], v2 offset:1376
	v_add_f64 v[0:1], v[0:1], v[224:225]
	v_fmac_f64_e32 v[48:49], v[130:131], v[100:101]
	v_add_f64 v[0:1], v[0:1], v[48:49]
	s_waitcnt vmcnt(18) lgkmcnt(6)
	v_mul_f64 v[48:49], v[204:205], v[122:123]
	v_fmac_f64_e32 v[48:49], v[206:207], v[120:121]
	ds_read_b128 v[220:223], v2 offset:1392
	ds_read_b128 v[224:227], v2 offset:1408
	v_add_f64 v[0:1], v[0:1], v[48:49]
	s_waitcnt vmcnt(17) lgkmcnt(4)
	v_mul_f64 v[48:49], v[208:209], v[134:135]
	v_fmac_f64_e32 v[48:49], v[210:211], v[132:133]
	s_waitcnt vmcnt(16) lgkmcnt(3)
	v_mul_f64 v[56:57], v[212:213], v[138:139]
	v_add_f64 v[0:1], v[0:1], v[48:49]
	v_fmac_f64_e32 v[56:57], v[214:215], v[136:137]
	s_waitcnt vmcnt(15) lgkmcnt(2)
	v_mul_f64 v[64:65], v[216:217], v[146:147]
	v_add_f64 v[0:1], v[0:1], v[56:57]
	v_fmac_f64_e32 v[64:65], v[218:219], v[144:145]
	v_add_f64 v[0:1], v[0:1], v[64:65]
	s_waitcnt vmcnt(14) lgkmcnt(1)
	v_mul_f64 v[64:65], v[220:221], v[150:151]
	v_fmac_f64_e32 v[64:65], v[222:223], v[148:149]
	v_add_f64 v[0:1], v[0:1], v[64:65]
	s_waitcnt vmcnt(13) lgkmcnt(0)
	v_mul_f64 v[64:65], v[224:225], v[158:159]
	v_fmac_f64_e32 v[64:65], v[226:227], v[156:157]
	s_waitcnt vmcnt(12)
	v_mul_f64 v[240:241], v[228:229], v[162:163]
	v_add_f64 v[0:1], v[0:1], v[64:65]
	v_fmac_f64_e32 v[240:241], v[230:231], v[160:161]
	v_add_f64 v[0:1], v[0:1], v[240:241]
	s_waitcnt vmcnt(11)
	v_mul_f64 v[240:241], v[232:233], v[170:171]
	v_mul_f64 v[30:31], v[186:187], v[30:31]
	v_fmac_f64_e32 v[240:241], v[234:235], v[168:169]
	v_fma_f64 v[254:255], v[184:185], v[28:29], -v[30:31]
	scratch_load_dwordx4 v[64:67], off, off offset:672
	scratch_load_dwordx4 v[184:187], off, off offset:688
	v_add_f64 v[0:1], v[0:1], v[240:241]
	ds_read_b128 v[240:243], v2 offset:1472
	v_mul_f64 v[26:27], v[86:87], v[26:27]
	v_fma_f64 v[248:249], v[84:85], v[24:25], -v[26:27]
	ds_read_b128 v[84:87], v2 offset:1488
	v_mul_f64 v[18:19], v[114:115], v[18:19]
	v_fma_f64 v[244:245], v[112:113], v[16:17], -v[18:19]
	s_waitcnt vmcnt(12)
	v_mul_f64 v[112:113], v[236:237], v[174:175]
	v_fmac_f64_e32 v[112:113], v[238:239], v[172:173]
	v_mul_f64 v[22:23], v[98:99], v[22:23]
	s_waitcnt vmcnt(11) lgkmcnt(1)
	v_mul_f64 v[28:29], v[240:241], v[198:199]
	v_mul_f64 v[38:39], v[106:107], v[38:39]
	v_add_f64 v[0:1], v[0:1], v[112:113]
	v_fma_f64 v[246:247], v[96:97], v[20:21], -v[22:23]
	v_fmac_f64_e32 v[28:29], v[242:243], v[196:197]
	v_fma_f64 v[252:253], v[104:105], v[36:37], -v[38:39]
	ds_read_b128 v[104:107], v2 offset:1520
	s_waitcnt vmcnt(10) lgkmcnt(1)
	v_mul_f64 v[96:97], v[84:85], v[6:7]
	v_add_f64 v[0:1], v[0:1], v[28:29]
	v_fmac_f64_e32 v[96:97], v[86:87], v[4:5]
	scratch_load_dwordx4 v[56:59], off, off offset:704
	v_mul_f64 v[42:43], v[190:191], v[42:43]
	v_add_f64 v[0:1], v[0:1], v[96:97]
	ds_read_b128 v[96:99], v2 offset:1504
	ds_read_b128 v[112:115], v2 offset:1552
	v_fma_f64 v[42:43], v[188:189], v[40:41], -v[42:43]
	v_mul_f64 v[40:41], v[166:167], v[46:47]
	v_fma_f64 v[36:37], v[164:165], v[44:45], -v[40:41]
	scratch_load_dwordx4 v[44:47], off, off offset:720
	v_accvgpr_write_b32 a151, v7
	v_accvgpr_write_b32 a150, v6
	;; [unrolled: 1-line block ×4, first 2 shown]
	s_waitcnt vmcnt(11) lgkmcnt(1)
	v_mul_f64 v[6:7], v[96:97], v[10:11]
	v_fmac_f64_e32 v[6:7], v[98:99], v[8:9]
	v_accvgpr_write_b32 a155, v11
	v_mul_f64 v[34:35], v[142:143], v[34:35]
	v_accvgpr_write_b32 a154, v10
	v_accvgpr_write_b32 a153, v9
	;; [unrolled: 1-line block ×3, first 2 shown]
	v_add_f64 v[0:1], v[0:1], v[6:7]
	scratch_load_dwordx4 v[48:51], off, off offset:736
	v_mul_f64 v[6:7], v[110:111], v[54:55]
	s_waitcnt vmcnt(11)
	v_mul_f64 v[10:11], v[104:105], v[14:15]
	v_fma_f64 v[250:251], v[140:141], v[32:33], -v[34:35]
	v_fma_f64 v[32:33], v[108:109], v[52:53], -v[6:7]
	v_fmac_f64_e32 v[10:11], v[106:107], v[12:13]
	scratch_load_dwordx4 v[52:55], off, off offset:752
	v_add_f64 v[0:1], v[0:1], v[10:11]
	v_mul_f64 v[10:11], v[202:203], v[62:63]
	ds_read_b128 v[108:111], v2 offset:1536
	v_fma_f64 v[28:29], v[200:201], v[60:61], -v[10:11]
	scratch_load_dwordx4 v[60:63], off, off offset:768
	v_mul_f64 v[70:71], v[194:195], v[70:71]
	v_fma_f64 v[24:25], v[192:193], v[68:69], -v[70:71]
	v_mul_f64 v[68:69], v[178:179], v[74:75]
	s_waitcnt vmcnt(12)
	v_accvgpr_read_b32 v4, a124
	v_fma_f64 v[20:21], v[176:177], v[72:73], -v[68:69]
	scratch_load_dwordx4 v[68:71], off, off offset:784
	v_accvgpr_write_b32 a159, v15
	v_accvgpr_read_b32 v6, a126
	v_accvgpr_read_b32 v7, a127
	v_accvgpr_write_b32 a158, v14
	v_accvgpr_write_b32 a157, v13
	;; [unrolled: 1-line block ×3, first 2 shown]
	v_accvgpr_read_b32 v5, a125
	s_waitcnt lgkmcnt(0)
	v_mul_f64 v[14:15], v[108:109], v[6:7]
	v_fmac_f64_e32 v[14:15], v[110:111], v[4:5]
	s_waitcnt vmcnt(12)
	v_accvgpr_read_b32 v4, a128
	v_accvgpr_read_b32 v6, a130
	;; [unrolled: 1-line block ×3, first 2 shown]
	v_add_f64 v[0:1], v[0:1], v[14:15]
	v_accvgpr_read_b32 v5, a129
	v_mul_f64 v[14:15], v[112:113], v[6:7]
	scratch_load_dwordx4 v[72:75], off, off offset:800
	v_fmac_f64_e32 v[14:15], v[114:115], v[4:5]
	v_add_f64 v[0:1], v[0:1], v[14:15]
	v_mul_f64 v[14:15], v[118:119], v[78:79]
	v_fma_f64 v[16:17], v[116:117], v[76:77], -v[14:15]
	ds_read_b128 v[116:119], v2 offset:1568
	v_mul_f64 v[18:19], v[126:127], v[82:83]
	v_fma_f64 v[18:19], v[124:125], v[80:81], -v[18:19]
	scratch_load_dwordx4 v[80:83], off, off offset:816
	scratch_load_dwordx4 v[76:79], off, off offset:832
	s_waitcnt vmcnt(14)
	v_accvgpr_read_b32 v4, a132
	v_accvgpr_read_b32 v6, a134
	v_accvgpr_read_b32 v7, a135
	v_accvgpr_read_b32 v5, a133
	s_waitcnt lgkmcnt(0)
	v_mul_f64 v[22:23], v[116:117], v[6:7]
	v_fmac_f64_e32 v[22:23], v[118:119], v[4:5]
	v_mul_f64 v[90:91], v[182:183], v[90:91]
	v_add_f64 v[0:1], v[0:1], v[22:23]
	v_mul_f64 v[22:23], v[154:155], v[94:95]
	v_fma_f64 v[14:15], v[180:181], v[88:89], -v[90:91]
	ds_read_b128 v[124:127], v2 offset:1584
	v_fma_f64 v[22:23], v[152:153], v[92:93], -v[22:23]
	scratch_load_dwordx4 v[92:95], off, off offset:848
	scratch_load_dwordx4 v[88:91], off, off offset:864
	v_mul_f64 v[102:103], v[130:131], v[102:103]
	v_fma_f64 v[12:13], v[128:129], v[100:101], -v[102:103]
	scratch_load_dwordx4 v[100:103], off, off offset:880
	s_waitcnt vmcnt(16)
	v_accvgpr_read_b32 v4, a136
	v_accvgpr_read_b32 v6, a138
	;; [unrolled: 1-line block ×3, first 2 shown]
	ds_read_b128 v[128:131], v2 offset:1600
	v_accvgpr_read_b32 v5, a137
	s_waitcnt lgkmcnt(1)
	v_mul_f64 v[26:27], v[124:125], v[6:7]
	v_fmac_f64_e32 v[26:27], v[126:127], v[4:5]
	v_add_f64 v[0:1], v[0:1], v[26:27]
	v_mul_f64 v[26:27], v[206:207], v[122:123]
	v_fma_f64 v[26:27], v[204:205], v[120:121], -v[26:27]
	ds_read_b128 v[120:123], v2 offset:1616
	s_waitcnt vmcnt(15)
	v_accvgpr_read_b32 v4, a140
	v_accvgpr_read_b32 v6, a142
	;; [unrolled: 1-line block ×3, first 2 shown]
	v_mul_f64 v[134:135], v[210:211], v[134:135]
	v_accvgpr_read_b32 v5, a141
	s_waitcnt lgkmcnt(1)
	v_mul_f64 v[140:141], v[128:129], v[6:7]
	v_fma_f64 v[10:11], v[208:209], v[132:133], -v[134:135]
	ds_read_b128 v[132:135], v2 offset:1632
	v_fmac_f64_e32 v[140:141], v[130:131], v[4:5]
	s_waitcnt vmcnt(14)
	v_accvgpr_read_b32 v4, a144
	v_mul_f64 v[138:139], v[214:215], v[138:139]
	v_accvgpr_read_b32 v6, a146
	v_accvgpr_read_b32 v7, a147
	v_fma_f64 v[8:9], v[212:213], v[136:137], -v[138:139]
	ds_read_b128 v[136:139], v2 offset:1648
	v_accvgpr_read_b32 v5, a145
	s_waitcnt lgkmcnt(2)
	v_mul_f64 v[30:31], v[120:121], v[6:7]
	v_add_f64 v[0:1], v[0:1], v[140:141]
	v_fmac_f64_e32 v[30:31], v[122:123], v[4:5]
	v_add_f64 v[0:1], v[0:1], v[30:31]
	s_waitcnt vmcnt(13) lgkmcnt(1)
	v_mul_f64 v[30:31], v[132:133], v[66:67]
	s_waitcnt vmcnt(12)
	v_mov_b64_e32 v[4:5], v[184:185]
	v_fmac_f64_e32 v[30:31], v[134:135], v[64:65]
	v_mov_b64_e32 v[6:7], v[186:187]
	v_add_f64 v[0:1], v[0:1], v[30:31]
	s_waitcnt lgkmcnt(0)
	v_mul_f64 v[30:31], v[136:137], v[6:7]
	v_fmac_f64_e32 v[30:31], v[138:139], v[4:5]
	ds_read_b128 v[140:143], v2 offset:1664
	v_add_f64 v[0:1], v[0:1], v[30:31]
	v_mul_f64 v[30:31], v[218:219], v[146:147]
	v_fma_f64 v[30:31], v[216:217], v[144:145], -v[30:31]
	ds_read_b128 v[144:147], v2 offset:1680
	s_waitcnt vmcnt(11) lgkmcnt(1)
	v_mul_f64 v[34:35], v[140:141], v[58:59]
	v_fmac_f64_e32 v[34:35], v[142:143], v[56:57]
	v_add_f64 v[0:1], v[0:1], v[34:35]
	v_mul_f64 v[34:35], v[222:223], v[150:151]
	s_waitcnt vmcnt(10) lgkmcnt(0)
	v_mul_f64 v[152:153], v[144:145], v[46:47]
	v_fma_f64 v[34:35], v[220:221], v[148:149], -v[34:35]
	ds_read_b128 v[148:151], v2 offset:1696
	v_fmac_f64_e32 v[152:153], v[146:147], v[44:45]
	v_add_f64 v[0:1], v[0:1], v[152:153]
	ds_read_b128 v[152:155], v2 offset:1712
	v_mul_f64 v[158:159], v[226:227], v[158:159]
	v_fma_f64 v[6:7], v[224:225], v[156:157], -v[158:159]
	ds_read_b128 v[156:159], v2 offset:1728
	v_mul_f64 v[162:163], v[230:231], v[162:163]
	s_waitcnt vmcnt(9) lgkmcnt(2)
	v_mul_f64 v[164:165], v[148:149], v[50:51]
	v_fma_f64 v[4:5], v[228:229], v[160:161], -v[162:163]
	ds_read_b128 v[160:163], v2 offset:1744
	v_fmac_f64_e32 v[164:165], v[150:151], v[48:49]
	s_waitcnt vmcnt(8) lgkmcnt(2)
	v_mul_f64 v[38:39], v[152:153], v[54:55]
	v_add_f64 v[0:1], v[0:1], v[164:165]
	v_fmac_f64_e32 v[38:39], v[154:155], v[52:53]
	v_add_f64 v[0:1], v[0:1], v[38:39]
	s_waitcnt vmcnt(7) lgkmcnt(1)
	v_mul_f64 v[38:39], v[156:157], v[62:63]
	v_fmac_f64_e32 v[38:39], v[158:159], v[60:61]
	v_add_f64 v[0:1], v[0:1], v[38:39]
	s_waitcnt vmcnt(6) lgkmcnt(0)
	v_mul_f64 v[38:39], v[160:161], v[70:71]
	ds_read_b128 v[164:167], v2 offset:1760
	v_fmac_f64_e32 v[38:39], v[162:163], v[68:69]
	v_add_f64 v[0:1], v[0:1], v[38:39]
	v_mul_f64 v[38:39], v[234:235], v[170:171]
	v_fma_f64 v[38:39], v[232:233], v[168:169], -v[38:39]
	ds_read_b128 v[168:171], v2 offset:1776
	s_waitcnt vmcnt(5) lgkmcnt(1)
	v_mul_f64 v[40:41], v[164:165], v[74:75]
	v_fmac_f64_e32 v[40:41], v[166:167], v[72:73]
	v_add_f64 v[40:41], v[0:1], v[40:41]
	v_mul_f64 v[0:1], v[238:239], v[174:175]
	v_fma_f64 v[0:1], v[236:237], v[172:173], -v[0:1]
	ds_read_b128 v[172:175], v2 offset:1792
	s_waitcnt vmcnt(4) lgkmcnt(1)
	v_mul_f64 v[176:177], v[168:169], v[82:83]
	v_fmac_f64_e32 v[176:177], v[170:171], v[80:81]
	v_add_f64 v[40:41], v[40:41], v[176:177]
	ds_read_b128 v[176:179], v2 offset:1808
	v_mul_f64 v[180:181], v[242:243], v[198:199]
	v_accvgpr_write_b32 a160, v184
	v_fma_f64 v[240:241], v[240:241], v[196:197], -v[180:181]
	ds_read_b128 v[180:183], v2 offset:1824
	ds_read_b128 v[192:195], v2 offset:1856
	v_accvgpr_write_b32 a161, v185
	v_accvgpr_write_b32 a162, v186
	;; [unrolled: 1-line block ×3, first 2 shown]
	s_waitcnt vmcnt(3) lgkmcnt(3)
	v_mul_f64 v[184:185], v[172:173], v[78:79]
	v_fmac_f64_e32 v[184:185], v[174:175], v[76:77]
	v_add_f64 v[40:41], v[40:41], v[184:185]
	s_waitcnt vmcnt(2) lgkmcnt(2)
	v_mul_f64 v[184:185], v[176:177], v[94:95]
	v_fmac_f64_e32 v[184:185], v[178:179], v[92:93]
	v_add_f64 v[40:41], v[40:41], v[184:185]
	;; [unrolled: 4-line block ×3, first 2 shown]
	ds_read_b128 v[184:187], v2 offset:1840
	ds_read_b128 v[200:203], v2 offset:1872
	scratch_load_dwordx4 v[236:239], off, off offset:80
	scratch_load_dwordx4 v[232:235], off, off offset:976
	ds_read_b128 v[208:211], v2 offset:1888
	ds_read_b128 v[216:219], v2 offset:1904
	s_waitcnt vmcnt(2) lgkmcnt(3)
	v_mul_f64 v[188:189], v[184:185], v[102:103]
	v_fmac_f64_e32 v[188:189], v[186:187], v[100:101]
	v_add_f64 v[40:41], v[40:41], v[188:189]
	scratch_load_dwordx4 v[188:191], off, off offset:896
	ds_read_b128 v[224:227], v2 offset:1920
	s_waitcnt vmcnt(0)
	v_mul_f64 v[196:197], v[192:193], v[190:191]
	v_fmac_f64_e32 v[196:197], v[194:195], v[188:189]
	v_add_f64 v[40:41], v[40:41], v[196:197]
	scratch_load_dwordx4 v[196:199], off, off offset:912
	s_waitcnt vmcnt(0) lgkmcnt(3)
	v_mul_f64 v[204:205], v[200:201], v[198:199]
	v_fmac_f64_e32 v[204:205], v[202:203], v[196:197]
	v_add_f64 v[40:41], v[40:41], v[204:205]
	scratch_load_dwordx4 v[204:207], off, off offset:928
	s_waitcnt vmcnt(0) lgkmcnt(2)
	;; [unrolled: 5-line block ×4, first 2 shown]
	v_mul_f64 v[228:229], v[224:225], v[222:223]
	v_fmac_f64_e32 v[228:229], v[226:227], v[220:221]
	v_add_f64 v[40:41], v[40:41], v[228:229]
	ds_read_b128 v[228:231], v2 offset:1936
	s_waitcnt lgkmcnt(0)
	v_mul_f64 v[2:3], v[228:229], v[234:235]
	v_fmac_f64_e32 v[2:3], v[230:231], v[232:233]
	v_add_f64 v[2:3], v[40:41], v[2:3]
	v_add_f64 v[40:41], v[244:245], 0
	;; [unrolled: 1-line block ×25, first 2 shown]
	v_accvgpr_read_b32 v6, a148
	v_accvgpr_read_b32 v8, a150
	;; [unrolled: 1-line block ×3, first 2 shown]
	v_add_f64 v[254:255], v[4:5], v[38:39]
	v_accvgpr_read_b32 v7, a149
	v_mul_f64 v[4:5], v[86:87], v[8:9]
	v_add_f64 v[0:1], v[254:255], v[0:1]
	v_fma_f64 v[4:5], v[84:85], v[6:7], -v[4:5]
	v_accvgpr_read_b32 v6, a152
	v_add_f64 v[0:1], v[0:1], v[240:241]
	v_accvgpr_read_b32 v8, a154
	v_accvgpr_read_b32 v9, a155
	v_add_f64 v[0:1], v[0:1], v[4:5]
	v_accvgpr_read_b32 v7, a153
	v_mul_f64 v[4:5], v[98:99], v[8:9]
	v_fma_f64 v[4:5], v[96:97], v[6:7], -v[4:5]
	v_accvgpr_read_b32 v6, a156
	v_accvgpr_read_b32 v8, a158
	v_accvgpr_read_b32 v9, a159
	v_add_f64 v[0:1], v[0:1], v[4:5]
	v_accvgpr_read_b32 v7, a157
	v_mul_f64 v[4:5], v[106:107], v[8:9]
	v_fma_f64 v[4:5], v[104:105], v[6:7], -v[4:5]
	v_accvgpr_read_b32 v6, a124
	;; [unrolled: 7-line block ×7, first 2 shown]
	v_accvgpr_read_b32 v8, a146
	v_accvgpr_read_b32 v9, a147
	v_add_f64 v[0:1], v[0:1], v[4:5]
	v_accvgpr_read_b32 v7, a145
	v_mul_f64 v[4:5], v[122:123], v[8:9]
	v_fma_f64 v[4:5], v[120:121], v[6:7], -v[4:5]
	v_add_f64 v[0:1], v[0:1], v[4:5]
	v_mul_f64 v[4:5], v[134:135], v[66:67]
	v_accvgpr_read_b32 v6, a160
	v_fma_f64 v[4:5], v[132:133], v[64:65], -v[4:5]
	v_accvgpr_read_b32 v8, a162
	v_accvgpr_read_b32 v9, a163
	v_add_f64 v[0:1], v[0:1], v[4:5]
	v_accvgpr_read_b32 v7, a161
	v_mul_f64 v[4:5], v[138:139], v[8:9]
	v_fma_f64 v[4:5], v[136:137], v[6:7], -v[4:5]
	v_add_f64 v[0:1], v[0:1], v[4:5]
	v_mul_f64 v[4:5], v[142:143], v[58:59]
	v_fma_f64 v[4:5], v[140:141], v[56:57], -v[4:5]
	v_add_f64 v[0:1], v[0:1], v[4:5]
	v_mul_f64 v[4:5], v[146:147], v[46:47]
	v_fma_f64 v[4:5], v[144:145], v[44:45], -v[4:5]
	v_add_f64 v[0:1], v[0:1], v[4:5]
	v_mul_f64 v[4:5], v[150:151], v[50:51]
	v_fma_f64 v[4:5], v[148:149], v[48:49], -v[4:5]
	v_add_f64 v[0:1], v[0:1], v[4:5]
	v_mul_f64 v[4:5], v[154:155], v[54:55]
	v_fma_f64 v[4:5], v[152:153], v[52:53], -v[4:5]
	v_add_f64 v[0:1], v[0:1], v[4:5]
	v_mul_f64 v[4:5], v[158:159], v[62:63]
	v_fma_f64 v[4:5], v[156:157], v[60:61], -v[4:5]
	v_add_f64 v[0:1], v[0:1], v[4:5]
	v_mul_f64 v[4:5], v[162:163], v[70:71]
	v_fma_f64 v[4:5], v[160:161], v[68:69], -v[4:5]
	v_add_f64 v[0:1], v[0:1], v[4:5]
	v_mul_f64 v[4:5], v[166:167], v[74:75]
	v_fma_f64 v[4:5], v[164:165], v[72:73], -v[4:5]
	v_add_f64 v[0:1], v[0:1], v[4:5]
	v_mul_f64 v[4:5], v[170:171], v[82:83]
	v_fma_f64 v[4:5], v[168:169], v[80:81], -v[4:5]
	v_add_f64 v[0:1], v[0:1], v[4:5]
	v_mul_f64 v[4:5], v[174:175], v[78:79]
	v_fma_f64 v[4:5], v[172:173], v[76:77], -v[4:5]
	v_add_f64 v[0:1], v[0:1], v[4:5]
	v_mul_f64 v[4:5], v[178:179], v[94:95]
	v_fma_f64 v[4:5], v[176:177], v[92:93], -v[4:5]
	v_add_f64 v[0:1], v[0:1], v[4:5]
	v_mul_f64 v[4:5], v[182:183], v[90:91]
	v_fma_f64 v[4:5], v[180:181], v[88:89], -v[4:5]
	v_add_f64 v[0:1], v[0:1], v[4:5]
	v_mul_f64 v[4:5], v[186:187], v[102:103]
	v_fma_f64 v[4:5], v[184:185], v[100:101], -v[4:5]
	v_add_f64 v[0:1], v[0:1], v[4:5]
	v_mul_f64 v[4:5], v[194:195], v[190:191]
	v_fma_f64 v[4:5], v[192:193], v[188:189], -v[4:5]
	v_add_f64 v[0:1], v[0:1], v[4:5]
	v_mul_f64 v[4:5], v[202:203], v[198:199]
	v_fma_f64 v[4:5], v[200:201], v[196:197], -v[4:5]
	v_add_f64 v[0:1], v[0:1], v[4:5]
	v_mul_f64 v[4:5], v[210:211], v[206:207]
	v_fma_f64 v[4:5], v[208:209], v[204:205], -v[4:5]
	v_add_f64 v[0:1], v[0:1], v[4:5]
	v_mul_f64 v[4:5], v[218:219], v[214:215]
	v_fma_f64 v[4:5], v[216:217], v[212:213], -v[4:5]
	v_add_f64 v[0:1], v[0:1], v[4:5]
	v_mul_f64 v[4:5], v[226:227], v[222:223]
	v_fma_f64 v[4:5], v[224:225], v[220:221], -v[4:5]
	v_add_f64 v[0:1], v[0:1], v[4:5]
	v_mul_f64 v[4:5], v[230:231], v[234:235]
	v_fma_f64 v[4:5], v[228:229], v[232:233], -v[4:5]
	v_add_f64 v[0:1], v[0:1], v[4:5]
	v_add_f64 v[4:5], v[236:237], -v[0:1]
	v_accvgpr_read_b32 v0, a122
	v_add_f64 v[6:7], v[238:239], -v[2:3]
	v_cmp_lt_u32_e32 vcc, 3, v0
	scratch_store_dwordx4 off, v[4:7], off offset:80
	s_and_saveexec_b64 s[0:1], vcc
	s_cbranch_execz .LBB60_385
; %bb.384:
	scratch_load_dwordx4 v[2:5], off, s30
	v_mov_b32_e32 v6, 0
	v_mov_b32_e32 v7, v6
	;; [unrolled: 1-line block ×4, first 2 shown]
	v_accvgpr_read_b32 v0, a123
	scratch_store_dwordx4 off, v[6:9], off offset:64
	s_waitcnt vmcnt(1)
	ds_write_b128 v0, v[2:5]
.LBB60_385:
	s_or_b64 exec, exec, s[0:1]
	s_waitcnt lgkmcnt(0)
	; wave barrier
	scratch_load_dwordx4 v[24:27], off, off offset:80
	scratch_load_dwordx4 v[28:31], off, off offset:96
	;; [unrolled: 1-line block ×30, first 2 shown]
	v_mov_b32_e32 v2, 0
	ds_read_b128 v[80:83], v2 offset:1040
	ds_read_b128 v[96:99], v2 offset:1056
	;; [unrolled: 1-line block ×17, first 2 shown]
	scratch_load_dwordx4 a[128:131], off, off offset:560
	scratch_load_dwordx4 a[132:135], off, off offset:576
	;; [unrolled: 1-line block ×6, first 2 shown]
	ds_read_b128 v[224:227], v2 offset:1376
	ds_read_b128 v[228:231], v2 offset:1392
	;; [unrolled: 1-line block ×6, first 2 shown]
	scratch_load_dwordx4 a[152:155], off, off offset:656
	ds_read_b128 v[244:247], v2 offset:1472
	ds_read_b128 v[220:223], v2 offset:1360
	s_waitcnt vmcnt(36) lgkmcnt(14)
	v_mul_f64 v[0:1], v[80:81], v[26:27]
	s_waitcnt vmcnt(35)
	v_mul_f64 v[4:5], v[96:97], v[30:31]
	v_fmac_f64_e32 v[0:1], v[82:83], v[24:25]
	s_waitcnt vmcnt(34)
	v_mul_f64 v[6:7], v[100:101], v[34:35]
	v_fmac_f64_e32 v[4:5], v[98:99], v[28:29]
	v_add_f64 v[0:1], v[0:1], 0
	s_waitcnt vmcnt(33)
	v_mul_f64 v[8:9], v[104:105], v[38:39]
	v_fmac_f64_e32 v[6:7], v[102:103], v[32:33]
	v_add_f64 v[0:1], v[0:1], v[4:5]
	;; [unrolled: 4-line block ×9, first 2 shown]
	s_waitcnt vmcnt(25) lgkmcnt(13)
	v_mul_f64 v[208:209], v[184:185], v[70:71]
	v_fmac_f64_e32 v[22:23], v[182:183], v[64:65]
	v_add_f64 v[0:1], v[0:1], v[20:21]
	s_waitcnt vmcnt(24) lgkmcnt(12)
	v_mul_f64 v[210:211], v[188:189], v[74:75]
	v_fmac_f64_e32 v[208:209], v[186:187], v[68:69]
	v_add_f64 v[0:1], v[0:1], v[22:23]
	;; [unrolled: 4-line block ×4, first 2 shown]
	ds_read_b128 v[208:211], v2 offset:1312
	v_fmac_f64_e32 v[214:215], v[198:199], v[84:85]
	v_add_f64 v[0:1], v[0:1], v[212:213]
	s_waitcnt vmcnt(21) lgkmcnt(10)
	v_mul_f64 v[216:217], v[200:201], v[90:91]
	v_add_f64 v[0:1], v[0:1], v[214:215]
	ds_read_b128 v[212:215], v2 offset:1328
	v_fmac_f64_e32 v[216:217], v[202:203], v[88:89]
	s_waitcnt vmcnt(20) lgkmcnt(10)
	v_mul_f64 v[4:5], v[204:205], v[94:95]
	v_add_f64 v[0:1], v[0:1], v[216:217]
	v_fmac_f64_e32 v[4:5], v[206:207], v[92:93]
	ds_read_b128 v[216:219], v2 offset:1344
	v_add_f64 v[0:1], v[0:1], v[4:5]
	s_waitcnt vmcnt(19) lgkmcnt(2)
	v_mul_f64 v[4:5], v[208:209], v[122:123]
	v_fmac_f64_e32 v[4:5], v[210:211], v[120:121]
	v_add_f64 v[0:1], v[0:1], v[4:5]
	s_waitcnt vmcnt(18) lgkmcnt(1)
	v_mul_f64 v[4:5], v[212:213], v[126:127]
	v_fmac_f64_e32 v[4:5], v[214:215], v[124:125]
	;; [unrolled: 4-line block ×3, first 2 shown]
	v_add_f64 v[0:1], v[0:1], v[4:5]
	s_waitcnt vmcnt(16)
	v_mul_f64 v[4:5], v[220:221], v[134:135]
	v_fmac_f64_e32 v[4:5], v[222:223], v[132:133]
	v_add_f64 v[0:1], v[0:1], v[4:5]
	s_waitcnt vmcnt(15)
	v_mul_f64 v[4:5], v[224:225], v[138:139]
	v_fmac_f64_e32 v[4:5], v[226:227], v[136:137]
	;; [unrolled: 4-line block ×3, first 2 shown]
	v_add_f64 v[0:1], v[0:1], v[4:5]
	v_mul_f64 v[4:5], v[82:83], v[26:27]
	v_fma_f64 v[248:249], v[80:81], v[24:25], -v[4:5]
	s_waitcnt vmcnt(13)
	v_mul_f64 v[4:5], v[232:233], v[146:147]
	v_fmac_f64_e32 v[4:5], v[234:235], v[144:145]
	v_add_f64 v[0:1], v[0:1], v[4:5]
	s_waitcnt vmcnt(12)
	v_mul_f64 v[4:5], v[236:237], v[154:155]
	v_fmac_f64_e32 v[4:5], v[238:239], v[152:153]
	v_add_f64 v[0:1], v[0:1], v[4:5]
	;; [unrolled: 4-line block ×3, first 2 shown]
	v_mul_f64 v[4:5], v[98:99], v[30:31]
	v_fma_f64 v[254:255], v[96:97], v[28:29], -v[4:5]
	v_mul_f64 v[4:5], v[102:103], v[34:35]
	v_fma_f64 v[32:33], v[100:101], v[32:33], -v[4:5]
	;; [unrolled: 2-line block ×3, first 2 shown]
	s_waitcnt vmcnt(10)
	v_mul_f64 v[4:5], v[250:251], v[166:167]
	v_fmac_f64_e32 v[4:5], v[252:253], v[164:165]
	v_add_f64 v[0:1], v[0:1], v[4:5]
	ds_read_b128 v[80:83], v2 offset:1504
	s_waitcnt vmcnt(9)
	v_mul_f64 v[4:5], v[244:245], v[170:171]
	v_fmac_f64_e32 v[4:5], v[246:247], v[168:169]
	scratch_load_dwordx4 v[36:39], off, off offset:672
	v_add_f64 v[0:1], v[0:1], v[4:5]
	v_mul_f64 v[4:5], v[110:111], v[42:43]
	v_fma_f64 v[24:25], v[108:109], v[40:41], -v[4:5]
	v_mul_f64 v[40:41], v[118:119], v[50:51]
	ds_read_b128 v[4:7], v2 offset:1488
	ds_read_b128 v[96:99], v2 offset:1520
	v_fma_f64 v[16:17], v[116:117], v[48:49], -v[40:41]
	scratch_load_dwordx4 v[40:43], off, off offset:688
	v_mul_f64 v[14:15], v[114:115], v[46:47]
	v_fma_f64 v[20:21], v[112:113], v[44:45], -v[14:15]
	v_mul_f64 v[44:45], v[150:151], v[54:55]
	s_waitcnt vmcnt(10) lgkmcnt(1)
	v_mul_f64 v[18:19], v[4:5], v[178:179]
	s_waitcnt vmcnt(9)
	v_accvgpr_read_b32 v8, a124
	v_fma_f64 v[14:15], v[148:149], v[52:53], -v[44:45]
	scratch_load_dwordx4 v[44:47], off, off offset:704
	v_fmac_f64_e32 v[18:19], v[6:7], v[176:177]
	v_accvgpr_read_b32 v10, a126
	v_accvgpr_read_b32 v11, a127
	v_add_f64 v[0:1], v[0:1], v[18:19]
	v_accvgpr_read_b32 v9, a125
	v_mul_f64 v[18:19], v[80:81], v[10:11]
	scratch_load_dwordx4 v[48:51], off, off offset:720
	scratch_load_dwordx4 v[52:55], off, off offset:736
	v_fmac_f64_e32 v[18:19], v[82:83], v[8:9]
	ds_read_b128 v[100:103], v2 offset:1536
	ds_read_b128 v[104:107], v2 offset:1552
	s_waitcnt vmcnt(11)
	v_accvgpr_read_b32 v8, a128
	v_add_f64 v[0:1], v[0:1], v[18:19]
	v_mul_f64 v[18:19], v[162:163], v[58:59]
	v_accvgpr_read_b32 v10, a130
	v_accvgpr_read_b32 v11, a131
	v_fma_f64 v[18:19], v[160:161], v[56:57], -v[18:19]
	v_accvgpr_read_b32 v9, a129
	s_waitcnt lgkmcnt(2)
	v_mul_f64 v[56:57], v[96:97], v[10:11]
	v_fmac_f64_e32 v[56:57], v[98:99], v[8:9]
	s_waitcnt vmcnt(10)
	v_accvgpr_read_b32 v8, a132
	v_mul_f64 v[22:23], v[174:175], v[62:63]
	v_accvgpr_read_b32 v10, a134
	v_accvgpr_read_b32 v11, a135
	v_fma_f64 v[22:23], v[172:173], v[60:61], -v[22:23]
	v_add_f64 v[0:1], v[0:1], v[56:57]
	v_mul_f64 v[56:57], v[182:183], v[66:67]
	v_accvgpr_read_b32 v9, a133
	s_waitcnt lgkmcnt(1)
	v_mul_f64 v[60:61], v[100:101], v[10:11]
	v_fma_f64 v[160:161], v[180:181], v[64:65], -v[56:57]
	scratch_load_dwordx4 v[56:59], off, off offset:752
	v_fmac_f64_e32 v[60:61], v[102:103], v[8:9]
	ds_read_b128 v[108:111], v2 offset:1568
	s_waitcnt vmcnt(10)
	v_accvgpr_read_b32 v8, a136
	v_add_f64 v[0:1], v[0:1], v[60:61]
	v_mul_f64 v[60:61], v[186:187], v[70:71]
	v_mul_f64 v[64:65], v[190:191], v[74:75]
	v_accvgpr_read_b32 v10, a138
	v_accvgpr_read_b32 v11, a139
	v_fma_f64 v[162:163], v[184:185], v[68:69], -v[60:61]
	scratch_load_dwordx4 v[60:63], off, off offset:768
	v_fma_f64 v[172:173], v[188:189], v[72:73], -v[64:65]
	v_accvgpr_read_b32 v9, a137
	s_waitcnt lgkmcnt(1)
	v_mul_f64 v[72:73], v[104:105], v[10:11]
	v_fmac_f64_e32 v[72:73], v[106:107], v[8:9]
	s_waitcnt vmcnt(10)
	v_accvgpr_read_b32 v8, a140
	scratch_load_dwordx4 v[64:67], off, off offset:784
	v_mul_f64 v[68:69], v[194:195], v[78:79]
	v_accvgpr_read_b32 v10, a142
	v_accvgpr_read_b32 v11, a143
	v_fma_f64 v[174:175], v[192:193], v[76:77], -v[68:69]
	v_accvgpr_read_b32 v9, a141
	s_waitcnt lgkmcnt(0)
	v_mul_f64 v[76:77], v[108:109], v[10:11]
	scratch_load_dwordx4 v[68:71], off, off offset:800
	v_add_f64 v[0:1], v[0:1], v[72:73]
	v_fmac_f64_e32 v[76:77], v[110:111], v[8:9]
	v_mul_f64 v[72:73], v[198:199], v[86:87]
	v_add_f64 v[0:1], v[0:1], v[76:77]
	v_mul_f64 v[76:77], v[202:203], v[90:91]
	v_fma_f64 v[180:181], v[196:197], v[84:85], -v[72:73]
	scratch_load_dwordx4 v[72:75], off, off offset:816
	v_fma_f64 v[182:183], v[200:201], v[88:89], -v[76:77]
	scratch_load_dwordx4 v[76:79], off, off offset:832
	ds_read_b128 v[116:119], v2 offset:1584
	ds_read_b128 v[112:115], v2 offset:1600
	s_waitcnt vmcnt(13)
	v_accvgpr_read_b32 v8, a144
	v_mul_f64 v[84:85], v[206:207], v[94:95]
	scratch_load_dwordx4 v[88:91], off, off offset:848
	v_accvgpr_read_b32 v10, a146
	v_accvgpr_read_b32 v11, a147
	v_fma_f64 v[12:13], v[204:205], v[92:93], -v[84:85]
	v_accvgpr_read_b32 v9, a145
	s_waitcnt lgkmcnt(1)
	v_mul_f64 v[92:93], v[116:117], v[10:11]
	scratch_load_dwordx4 v[84:87], off, off offset:864
	v_fmac_f64_e32 v[92:93], v[118:119], v[8:9]
	v_add_f64 v[0:1], v[0:1], v[92:93]
	v_mul_f64 v[92:93], v[214:215], v[126:127]
	v_fma_f64 v[10:11], v[212:213], v[124:125], -v[92:93]
	scratch_load_dwordx4 v[92:95], off, off offset:880
	v_mul_f64 v[26:27], v[210:211], v[122:123]
	v_fma_f64 v[26:27], v[208:209], v[120:121], -v[26:27]
	v_mul_f64 v[30:31], v[218:219], v[130:131]
	ds_read_b128 v[120:123], v2 offset:1616
	v_fma_f64 v[30:31], v[216:217], v[128:129], -v[30:31]
	s_waitcnt vmcnt(15)
	v_accvgpr_read_b32 v126, a148
	v_accvgpr_read_b32 v128, a150
	;; [unrolled: 1-line block ×4, first 2 shown]
	s_waitcnt lgkmcnt(1)
	v_mul_f64 v[124:125], v[112:113], v[128:129]
	s_waitcnt vmcnt(14)
	v_accvgpr_read_b32 v148, a152
	v_fmac_f64_e32 v[124:125], v[114:115], v[126:127]
	v_accvgpr_read_b32 v150, a154
	v_accvgpr_read_b32 v151, a155
	v_add_f64 v[0:1], v[0:1], v[124:125]
	ds_read_b128 v[124:127], v2 offset:1632
	v_accvgpr_read_b32 v149, a153
	s_waitcnt lgkmcnt(1)
	v_mul_f64 v[128:129], v[120:121], v[150:151]
	v_fmac_f64_e32 v[128:129], v[122:123], v[148:149]
	v_add_f64 v[0:1], v[0:1], v[128:129]
	v_mul_f64 v[128:129], v[222:223], v[134:135]
	v_fma_f64 v[8:9], v[220:221], v[132:133], -v[128:129]
	ds_read_b128 v[128:131], v2 offset:1648
	ds_read_b128 v[132:135], v2 offset:1664
	s_waitcnt vmcnt(13) lgkmcnt(2)
	v_mul_f64 v[34:35], v[124:125], v[38:39]
	v_fmac_f64_e32 v[34:35], v[126:127], v[36:37]
	v_add_f64 v[0:1], v[0:1], v[34:35]
	v_mul_f64 v[34:35], v[226:227], v[138:139]
	v_fma_f64 v[34:35], v[224:225], v[136:137], -v[34:35]
	s_waitcnt vmcnt(12) lgkmcnt(1)
	v_mul_f64 v[136:137], v[128:129], v[42:43]
	v_fmac_f64_e32 v[136:137], v[130:131], v[40:41]
	v_add_f64 v[0:1], v[0:1], v[136:137]
	ds_read_b128 v[136:139], v2 offset:1680
	v_add_f64 v[248:249], v[248:249], 0
	v_mul_f64 v[142:143], v[230:231], v[142:143]
	v_add_f64 v[248:249], v[248:249], v[254:255]
	v_fma_f64 v[228:229], v[228:229], v[140:141], -v[142:143]
	ds_read_b128 v[140:143], v2 offset:1696
	v_add_f64 v[32:33], v[248:249], v[32:33]
	s_waitcnt vmcnt(11) lgkmcnt(2)
	v_mul_f64 v[148:149], v[132:133], v[46:47]
	v_add_f64 v[28:29], v[32:33], v[28:29]
	v_fmac_f64_e32 v[148:149], v[134:135], v[44:45]
	v_add_f64 v[24:25], v[28:29], v[24:25]
	v_add_f64 v[0:1], v[0:1], v[148:149]
	s_waitcnt vmcnt(10) lgkmcnt(1)
	v_mul_f64 v[148:149], v[136:137], v[50:51]
	v_add_f64 v[20:21], v[24:25], v[20:21]
	v_fmac_f64_e32 v[148:149], v[138:139], v[48:49]
	v_mul_f64 v[146:147], v[234:235], v[146:147]
	v_add_f64 v[16:17], v[20:21], v[16:17]
	v_add_f64 v[0:1], v[0:1], v[148:149]
	v_fma_f64 v[230:231], v[232:233], v[144:145], -v[146:147]
	ds_read_b128 v[144:147], v2 offset:1712
	s_waitcnt vmcnt(9) lgkmcnt(1)
	v_mul_f64 v[148:149], v[140:141], v[54:55]
	v_add_f64 v[14:15], v[16:17], v[14:15]
	v_fmac_f64_e32 v[148:149], v[142:143], v[52:53]
	v_add_f64 v[14:15], v[14:15], v[18:19]
	v_add_f64 v[0:1], v[0:1], v[148:149]
	ds_read_b128 v[148:151], v2 offset:1728
	v_add_f64 v[14:15], v[14:15], v[22:23]
	v_mul_f64 v[154:155], v[238:239], v[154:155]
	v_add_f64 v[14:15], v[14:15], v[160:161]
	v_fma_f64 v[232:233], v[236:237], v[152:153], -v[154:155]
	ds_read_b128 v[152:155], v2 offset:1744
	v_add_f64 v[14:15], v[14:15], v[162:163]
	s_waitcnt vmcnt(8) lgkmcnt(2)
	v_mul_f64 v[184:185], v[144:145], v[58:59]
	v_mul_f64 v[158:159], v[242:243], v[158:159]
	v_add_f64 v[14:15], v[14:15], v[172:173]
	v_fmac_f64_e32 v[184:185], v[146:147], v[56:57]
	v_fma_f64 v[234:235], v[240:241], v[156:157], -v[158:159]
	ds_read_b128 v[156:159], v2 offset:1760
	v_add_f64 v[14:15], v[14:15], v[174:175]
	v_add_f64 v[0:1], v[0:1], v[184:185]
	s_waitcnt vmcnt(7) lgkmcnt(2)
	v_mul_f64 v[184:185], v[148:149], v[62:63]
	v_add_f64 v[14:15], v[14:15], v[180:181]
	v_fmac_f64_e32 v[184:185], v[150:151], v[60:61]
	ds_read_b128 v[240:243], v2 offset:1776
	v_add_f64 v[14:15], v[14:15], v[182:183]
	v_add_f64 v[0:1], v[0:1], v[184:185]
	s_waitcnt vmcnt(6) lgkmcnt(2)
	v_mul_f64 v[184:185], v[152:153], v[66:67]
	v_mul_f64 v[166:167], v[252:253], v[166:167]
	v_add_f64 v[12:13], v[14:15], v[12:13]
	v_fmac_f64_e32 v[184:185], v[154:155], v[64:65]
	v_fma_f64 v[236:237], v[250:251], v[164:165], -v[166:167]
	ds_read_b128 v[164:167], v2 offset:1792
	v_mul_f64 v[170:171], v[246:247], v[170:171]
	v_add_f64 v[12:13], v[12:13], v[26:27]
	v_add_f64 v[0:1], v[0:1], v[184:185]
	s_waitcnt vmcnt(5) lgkmcnt(2)
	v_mul_f64 v[184:185], v[156:157], v[70:71]
	v_fma_f64 v[238:239], v[244:245], v[168:169], -v[170:171]
	ds_read_b128 v[168:171], v2 offset:1808
	ds_read_b128 v[244:247], v2 offset:1824
	v_add_f64 v[10:11], v[12:13], v[10:11]
	v_fmac_f64_e32 v[184:185], v[158:159], v[68:69]
	v_add_f64 v[10:11], v[10:11], v[30:31]
	v_add_f64 v[0:1], v[0:1], v[184:185]
	s_waitcnt vmcnt(4) lgkmcnt(3)
	v_mul_f64 v[184:185], v[240:241], v[74:75]
	v_add_f64 v[8:9], v[10:11], v[8:9]
	v_fmac_f64_e32 v[184:185], v[242:243], v[72:73]
	v_mul_f64 v[6:7], v[6:7], v[178:179]
	v_add_f64 v[8:9], v[8:9], v[34:35]
	v_add_f64 v[0:1], v[0:1], v[184:185]
	s_waitcnt vmcnt(3) lgkmcnt(2)
	v_mul_f64 v[184:185], v[164:165], v[78:79]
	v_fma_f64 v[250:251], v[4:5], v[176:177], -v[6:7]
	ds_read_b128 v[176:179], v2 offset:1840
	v_add_f64 v[8:9], v[8:9], v[228:229]
	v_fmac_f64_e32 v[184:185], v[166:167], v[76:77]
	v_add_f64 v[8:9], v[8:9], v[230:231]
	scratch_load_dwordx4 v[228:231], off, off offset:64
	s_waitcnt vmcnt(3) lgkmcnt(2)
	v_mul_f64 v[4:5], v[168:169], v[90:91]
	v_add_f64 v[0:1], v[0:1], v[184:185]
	v_fmac_f64_e32 v[4:5], v[170:171], v[88:89]
	v_add_f64 v[0:1], v[0:1], v[4:5]
	s_waitcnt vmcnt(2) lgkmcnt(1)
	v_mul_f64 v[4:5], v[244:245], v[86:87]
	v_fmac_f64_e32 v[4:5], v[246:247], v[84:85]
	v_add_f64 v[0:1], v[0:1], v[4:5]
	ds_read_b128 v[184:187], v2 offset:1856
	s_waitcnt vmcnt(1) lgkmcnt(1)
	v_mul_f64 v[4:5], v[176:177], v[94:95]
	v_fmac_f64_e32 v[4:5], v[178:179], v[92:93]
	v_add_f64 v[0:1], v[0:1], v[4:5]
	scratch_load_dwordx4 v[4:7], off, off offset:896
	ds_read_b128 v[192:195], v2 offset:1872
	ds_read_b128 v[200:203], v2 offset:1888
	;; [unrolled: 1-line block ×5, first 2 shown]
	v_accvgpr_read_b32 v12, a124
	v_accvgpr_read_b32 v14, a126
	;; [unrolled: 1-line block ×4, first 2 shown]
	v_mul_f64 v[10:11], v[82:83], v[14:15]
	v_fma_f64 v[10:11], v[80:81], v[12:13], -v[10:11]
	v_accvgpr_read_b32 v12, a128
	v_accvgpr_read_b32 v14, a130
	;; [unrolled: 1-line block ×4, first 2 shown]
	s_waitcnt vmcnt(0) lgkmcnt(5)
	v_mul_f64 v[188:189], v[184:185], v[6:7]
	v_fmac_f64_e32 v[188:189], v[186:187], v[4:5]
	v_add_f64 v[0:1], v[0:1], v[188:189]
	scratch_load_dwordx4 v[188:191], off, off offset:912
	v_mul_f64 v[6:7], v[186:187], v[6:7]
	v_fma_f64 v[4:5], v[184:185], v[4:5], -v[6:7]
	s_waitcnt vmcnt(0) lgkmcnt(4)
	v_mul_f64 v[196:197], v[192:193], v[190:191]
	v_fmac_f64_e32 v[196:197], v[194:195], v[188:189]
	v_add_f64 v[0:1], v[0:1], v[196:197]
	scratch_load_dwordx4 v[196:199], off, off offset:928
	v_mul_f64 v[6:7], v[194:195], v[190:191]
	v_fma_f64 v[6:7], v[192:193], v[188:189], -v[6:7]
	s_waitcnt vmcnt(0) lgkmcnt(3)
	v_mul_f64 v[204:205], v[200:201], v[198:199]
	v_fmac_f64_e32 v[204:205], v[202:203], v[196:197]
	v_add_f64 v[0:1], v[0:1], v[204:205]
	scratch_load_dwordx4 v[204:207], off, off offset:944
	s_waitcnt vmcnt(0) lgkmcnt(2)
	v_mul_f64 v[212:213], v[208:209], v[206:207]
	v_fmac_f64_e32 v[212:213], v[210:211], v[204:205]
	v_add_f64 v[0:1], v[0:1], v[212:213]
	scratch_load_dwordx4 v[212:215], off, off offset:960
	;; [unrolled: 5-line block ×3, first 2 shown]
	s_waitcnt vmcnt(0) lgkmcnt(0)
	v_mul_f64 v[252:253], v[224:225], v[222:223]
	v_fmac_f64_e32 v[252:253], v[226:227], v[220:221]
	v_add_f64 v[0:1], v[0:1], v[252:253]
	v_add_f64 v[252:253], v[8:9], v[232:233]
	;; [unrolled: 1-line block ×7, first 2 shown]
	v_mul_f64 v[10:11], v[98:99], v[14:15]
	v_fma_f64 v[10:11], v[96:97], v[12:13], -v[10:11]
	v_accvgpr_read_b32 v12, a132
	v_accvgpr_read_b32 v14, a134
	v_accvgpr_read_b32 v15, a135
	v_add_f64 v[8:9], v[8:9], v[10:11]
	v_accvgpr_read_b32 v13, a133
	v_mul_f64 v[10:11], v[102:103], v[14:15]
	v_fma_f64 v[10:11], v[100:101], v[12:13], -v[10:11]
	v_accvgpr_read_b32 v12, a136
	v_accvgpr_read_b32 v14, a138
	v_accvgpr_read_b32 v15, a139
	v_add_f64 v[8:9], v[8:9], v[10:11]
	v_accvgpr_read_b32 v13, a137
	;; [unrolled: 7-line block ×6, first 2 shown]
	v_mul_f64 v[10:11], v[122:123], v[14:15]
	v_fma_f64 v[10:11], v[120:121], v[12:13], -v[10:11]
	v_add_f64 v[8:9], v[8:9], v[10:11]
	v_mul_f64 v[10:11], v[126:127], v[38:39]
	v_fma_f64 v[10:11], v[124:125], v[36:37], -v[10:11]
	v_add_f64 v[8:9], v[8:9], v[10:11]
	v_mul_f64 v[10:11], v[130:131], v[42:43]
	v_fma_f64 v[10:11], v[128:129], v[40:41], -v[10:11]
	v_add_f64 v[8:9], v[8:9], v[10:11]
	v_mul_f64 v[10:11], v[134:135], v[46:47]
	v_fma_f64 v[10:11], v[132:133], v[44:45], -v[10:11]
	v_add_f64 v[8:9], v[8:9], v[10:11]
	v_mul_f64 v[10:11], v[138:139], v[50:51]
	v_fma_f64 v[10:11], v[136:137], v[48:49], -v[10:11]
	v_add_f64 v[8:9], v[8:9], v[10:11]
	v_mul_f64 v[10:11], v[142:143], v[54:55]
	v_fma_f64 v[10:11], v[140:141], v[52:53], -v[10:11]
	v_add_f64 v[8:9], v[8:9], v[10:11]
	v_mul_f64 v[10:11], v[146:147], v[58:59]
	v_fma_f64 v[10:11], v[144:145], v[56:57], -v[10:11]
	v_add_f64 v[8:9], v[8:9], v[10:11]
	v_mul_f64 v[10:11], v[150:151], v[62:63]
	v_fma_f64 v[10:11], v[148:149], v[60:61], -v[10:11]
	v_add_f64 v[8:9], v[8:9], v[10:11]
	v_mul_f64 v[10:11], v[154:155], v[66:67]
	v_fma_f64 v[10:11], v[152:153], v[64:65], -v[10:11]
	v_add_f64 v[8:9], v[8:9], v[10:11]
	v_mul_f64 v[10:11], v[158:159], v[70:71]
	v_fma_f64 v[10:11], v[156:157], v[68:69], -v[10:11]
	v_add_f64 v[8:9], v[8:9], v[10:11]
	v_mul_f64 v[10:11], v[242:243], v[74:75]
	v_fma_f64 v[10:11], v[240:241], v[72:73], -v[10:11]
	v_add_f64 v[8:9], v[8:9], v[10:11]
	v_mul_f64 v[10:11], v[166:167], v[78:79]
	v_fma_f64 v[10:11], v[164:165], v[76:77], -v[10:11]
	v_add_f64 v[8:9], v[8:9], v[10:11]
	v_mul_f64 v[10:11], v[170:171], v[90:91]
	v_fma_f64 v[10:11], v[168:169], v[88:89], -v[10:11]
	v_add_f64 v[8:9], v[8:9], v[10:11]
	v_mul_f64 v[10:11], v[246:247], v[86:87]
	v_fma_f64 v[10:11], v[244:245], v[84:85], -v[10:11]
	v_add_f64 v[8:9], v[8:9], v[10:11]
	v_mul_f64 v[10:11], v[178:179], v[94:95]
	v_fma_f64 v[10:11], v[176:177], v[92:93], -v[10:11]
	v_add_f64 v[8:9], v[8:9], v[10:11]
	v_add_f64 v[4:5], v[8:9], v[4:5]
	v_add_f64 v[4:5], v[4:5], v[6:7]
	v_mul_f64 v[6:7], v[202:203], v[198:199]
	v_fma_f64 v[6:7], v[200:201], v[196:197], -v[6:7]
	v_add_f64 v[4:5], v[4:5], v[6:7]
	v_mul_f64 v[6:7], v[210:211], v[206:207]
	v_fma_f64 v[6:7], v[208:209], v[204:205], -v[6:7]
	;; [unrolled: 3-line block ×4, first 2 shown]
	v_add_f64 v[4:5], v[4:5], v[6:7]
	v_add_f64 v[6:7], v[230:231], -v[0:1]
	v_accvgpr_read_b32 v0, a122
	v_add_f64 v[4:5], v[228:229], -v[4:5]
	v_cmp_lt_u32_e32 vcc, 2, v0
	scratch_store_dwordx4 off, v[4:7], off offset:64
	s_and_saveexec_b64 s[0:1], vcc
	s_cbranch_execz .LBB60_387
; %bb.386:
	scratch_load_dwordx4 v[6:9], off, s31
	v_mov_b32_e32 v3, v2
	v_mov_b32_e32 v4, v2
	;; [unrolled: 1-line block ×3, first 2 shown]
	v_accvgpr_read_b32 v0, a123
	scratch_store_dwordx4 off, v[2:5], off offset:48
	s_waitcnt vmcnt(1)
	ds_write_b128 v0, v[6:9]
.LBB60_387:
	s_or_b64 exec, exec, s[0:1]
	s_waitcnt lgkmcnt(0)
	; wave barrier
	scratch_load_dwordx4 v[8:11], off, off offset:64
	scratch_load_dwordx4 v[12:15], off, off offset:80
	scratch_load_dwordx4 v[16:19], off, off offset:96
	scratch_load_dwordx4 v[20:23], off, off offset:112
	scratch_load_dwordx4 v[30:33], off, off offset:128
	scratch_load_dwordx4 v[4:7], off, off offset:144
	scratch_load_dwordx4 v[26:29], off, off offset:160
	scratch_load_dwordx4 v[34:37], off, off offset:176
	scratch_load_dwordx4 v[40:43], off, off offset:192
	scratch_load_dwordx4 v[44:47], off, off offset:208
	scratch_load_dwordx4 v[48:51], off, off offset:224
	scratch_load_dwordx4 v[52:55], off, off offset:240
	scratch_load_dwordx4 v[64:67], off, off offset:256
	scratch_load_dwordx4 v[76:79], off, off offset:272
	scratch_load_dwordx4 v[80:83], off, off offset:288
	scratch_load_dwordx4 v[84:87], off, off offset:304
	scratch_load_dwordx4 v[88:91], off, off offset:320
	ds_read_b128 v[180:183], v2 offset:1024
	ds_read_b128 v[108:111], v2 offset:1040
	scratch_load_dwordx4 v[92:95], off, off offset:336
	ds_read_b128 v[184:187], v2 offset:1056
	ds_read_b128 v[172:175], v2 offset:1072
	;; [unrolled: 1-line block ×5, first 2 shown]
	scratch_load_dwordx4 v[100:103], off, off offset:352
	ds_read_b128 v[160:163], v2 offset:1136
	ds_read_b128 v[128:131], v2 offset:1152
	scratch_load_dwordx4 v[116:119], off, off offset:368
	ds_read_b128 v[196:199], v2 offset:1168
	ds_read_b128 v[176:179], v2 offset:1184
	;; [unrolled: 1-line block ×5, first 2 shown]
	scratch_load_dwordx4 v[124:127], off, off offset:384
	ds_read_b128 v[168:171], v2 offset:1248
	ds_read_b128 v[156:159], v2 offset:1264
	;; [unrolled: 1-line block ×3, first 2 shown]
	scratch_load_dwordx4 v[136:139], off, off offset:400
	scratch_load_dwordx4 v[140:143], off, off offset:416
	;; [unrolled: 1-line block ×14, first 2 shown]
	ds_read_b128 v[208:211], v2 offset:1296
	ds_read_b128 v[232:235], v2 offset:1392
	;; [unrolled: 1-line block ×3, first 2 shown]
	scratch_load_dwordx4 a[152:155], off, off offset:640
	scratch_load_dwordx4 a[156:159], off, off offset:656
	ds_read_b128 v[240:243], v2 offset:1440
	ds_read_b128 v[228:231], v2 offset:1376
	;; [unrolled: 1-line block ×3, first 2 shown]
	s_waitcnt vmcnt(36) lgkmcnt(14)
	v_mul_f64 v[0:1], v[180:181], v[10:11]
	s_waitcnt vmcnt(35)
	v_mul_f64 v[56:57], v[108:109], v[14:15]
	v_fmac_f64_e32 v[0:1], v[182:183], v[8:9]
	s_waitcnt vmcnt(34)
	v_mul_f64 v[58:59], v[184:185], v[18:19]
	v_fmac_f64_e32 v[56:57], v[110:111], v[12:13]
	v_add_f64 v[0:1], v[0:1], 0
	s_waitcnt vmcnt(33)
	v_mul_f64 v[60:61], v[172:173], v[22:23]
	v_fmac_f64_e32 v[58:59], v[186:187], v[16:17]
	v_add_f64 v[0:1], v[0:1], v[56:57]
	;; [unrolled: 4-line block ×7, first 2 shown]
	s_waitcnt vmcnt(27) lgkmcnt(13)
	v_mul_f64 v[212:213], v[196:197], v[46:47]
	v_fmac_f64_e32 v[74:75], v[130:131], v[40:41]
	v_add_f64 v[0:1], v[0:1], v[72:73]
	s_waitcnt vmcnt(26) lgkmcnt(12)
	v_mul_f64 v[214:215], v[176:177], v[50:51]
	v_fmac_f64_e32 v[212:213], v[198:199], v[44:45]
	v_add_f64 v[0:1], v[0:1], v[74:75]
	;; [unrolled: 4-line block ×6, first 2 shown]
	ds_read_b128 v[212:215], v2 offset:1312
	s_waitcnt vmcnt(21) lgkmcnt(8)
	v_mul_f64 v[224:225], v[156:157], v[86:87]
	v_fmac_f64_e32 v[222:223], v[170:171], v[80:81]
	v_add_f64 v[0:1], v[0:1], v[220:221]
	ds_read_b128 v[216:219], v2 offset:1328
	v_fmac_f64_e32 v[224:225], v[158:159], v[84:85]
	v_add_f64 v[0:1], v[0:1], v[222:223]
	s_waitcnt vmcnt(20) lgkmcnt(8)
	v_mul_f64 v[56:57], v[132:133], v[90:91]
	v_add_f64 v[0:1], v[0:1], v[224:225]
	v_fmac_f64_e32 v[56:57], v[134:135], v[88:89]
	ds_read_b128 v[220:223], v2 offset:1344
	v_add_f64 v[0:1], v[0:1], v[56:57]
	s_waitcnt vmcnt(19) lgkmcnt(8)
	v_mul_f64 v[56:57], v[208:209], v[94:95]
	v_fmac_f64_e32 v[56:57], v[210:211], v[92:93]
	s_waitcnt vmcnt(18) lgkmcnt(2)
	v_mul_f64 v[60:61], v[212:213], v[102:103]
	ds_read_b128 v[224:227], v2 offset:1360
	v_add_f64 v[0:1], v[0:1], v[56:57]
	v_fmac_f64_e32 v[60:61], v[214:215], v[100:101]
	s_waitcnt vmcnt(17) lgkmcnt(2)
	v_mul_f64 v[68:69], v[216:217], v[118:119]
	v_add_f64 v[0:1], v[0:1], v[60:61]
	v_fmac_f64_e32 v[68:69], v[218:219], v[116:117]
	v_add_f64 v[0:1], v[0:1], v[68:69]
	s_waitcnt vmcnt(16) lgkmcnt(1)
	v_mul_f64 v[68:69], v[220:221], v[126:127]
	v_fmac_f64_e32 v[68:69], v[222:223], v[124:125]
	v_add_f64 v[0:1], v[0:1], v[68:69]
	s_waitcnt vmcnt(15) lgkmcnt(0)
	v_mul_f64 v[68:69], v[224:225], v[138:139]
	v_mul_f64 v[10:11], v[182:183], v[10:11]
	v_fmac_f64_e32 v[68:69], v[226:227], v[136:137]
	s_waitcnt vmcnt(14)
	v_mul_f64 v[72:73], v[228:229], v[142:143]
	v_fma_f64 v[248:249], v[180:181], v[8:9], -v[10:11]
	ds_read_b128 v[180:183], v2 offset:1424
	v_add_f64 v[0:1], v[0:1], v[68:69]
	v_fmac_f64_e32 v[72:73], v[230:231], v[140:141]
	s_waitcnt vmcnt(13)
	v_mul_f64 v[8:9], v[232:233], v[146:147]
	v_add_f64 v[0:1], v[0:1], v[72:73]
	v_fmac_f64_e32 v[8:9], v[234:235], v[144:145]
	v_add_f64 v[0:1], v[0:1], v[8:9]
	s_waitcnt vmcnt(12)
	v_mul_f64 v[8:9], v[236:237], v[154:155]
	v_fmac_f64_e32 v[8:9], v[238:239], v[152:153]
	v_add_f64 v[0:1], v[0:1], v[8:9]
	s_waitcnt vmcnt(11) lgkmcnt(0)
	v_mul_f64 v[8:9], v[180:181], v[190:191]
	v_fmac_f64_e32 v[8:9], v[182:183], v[188:189]
	v_add_f64 v[0:1], v[0:1], v[8:9]
	v_mul_f64 v[8:9], v[110:111], v[14:15]
	v_fma_f64 v[254:255], v[108:109], v[12:13], -v[8:9]
	v_mul_f64 v[12:13], v[186:187], v[18:19]
	v_fma_f64 v[250:251], v[184:185], v[16:17], -v[12:13]
	;; [unrolled: 2-line block ×3, first 2 shown]
	scratch_load_dwordx4 v[172:175], off, off offset:624
	ds_read_b128 v[184:187], v2 offset:1456
	v_mul_f64 v[6:7], v[98:99], v[6:7]
	scratch_load_dwordx4 v[72:75], off, off offset:672
	scratch_load_dwordx4 v[68:71], off, off offset:688
	s_waitcnt vmcnt(13)
	v_mul_f64 v[16:17], v[240:241], v[194:195]
	v_mul_f64 v[20:21], v[114:115], v[32:33]
	v_fma_f64 v[32:33], v[96:97], v[4:5], -v[6:7]
	ds_read_b128 v[96:99], v2 offset:1488
	v_fmac_f64_e32 v[16:17], v[242:243], v[192:193]
	v_add_f64 v[0:1], v[0:1], v[16:17]
	s_waitcnt vmcnt(12) lgkmcnt(1)
	v_mul_f64 v[16:17], v[184:185], v[202:203]
	v_fmac_f64_e32 v[16:17], v[186:187], v[200:201]
	s_waitcnt vmcnt(11)
	v_mul_f64 v[10:11], v[244:245], v[206:207]
	s_waitcnt vmcnt(10)
	v_accvgpr_read_b32 v4, a124
	v_accvgpr_write_b32 a131, v37
	v_add_f64 v[0:1], v[0:1], v[16:17]
	v_mul_f64 v[24:25], v[106:107], v[28:29]
	v_fmac_f64_e32 v[10:11], v[246:247], v[204:205]
	v_accvgpr_read_b32 v6, a126
	v_accvgpr_read_b32 v7, a127
	v_accvgpr_write_b32 a130, v36
	v_accvgpr_write_b32 a129, v35
	;; [unrolled: 1-line block ×3, first 2 shown]
	v_fma_f64 v[36:37], v[112:113], v[30:31], -v[20:21]
	v_fma_f64 v[30:31], v[104:105], v[26:27], -v[24:25]
	v_add_f64 v[0:1], v[0:1], v[10:11]
	v_accvgpr_read_b32 v5, a125
	ds_read_b128 v[104:107], v2 offset:1504
	s_waitcnt lgkmcnt(1)
	v_mul_f64 v[10:11], v[96:97], v[6:7]
	v_fmac_f64_e32 v[10:11], v[98:99], v[4:5]
	v_accvgpr_read_b32 v4, a128
	scratch_load_dwordx4 v[56:59], off, off offset:704
	scratch_load_dwordx4 v[60:63], off, off offset:720
	v_accvgpr_read_b32 v6, a130
	v_accvgpr_read_b32 v7, a131
	;; [unrolled: 1-line block ×3, first 2 shown]
	v_mul_f64 v[28:29], v[162:163], v[6:7]
	v_fma_f64 v[26:27], v[160:161], v[4:5], -v[28:29]
	s_waitcnt vmcnt(11)
	v_accvgpr_read_b32 v4, a132
	v_add_f64 v[0:1], v[0:1], v[10:11]
	v_mul_f64 v[10:11], v[130:131], v[42:43]
	ds_read_b128 v[108:111], v2 offset:1520
	ds_read_b128 v[112:115], v2 offset:1536
	v_accvgpr_read_b32 v6, a134
	v_accvgpr_read_b32 v7, a135
	v_fma_f64 v[20:21], v[128:129], v[40:41], -v[10:11]
	v_accvgpr_read_b32 v5, a133
	s_waitcnt lgkmcnt(2)
	v_mul_f64 v[40:41], v[104:105], v[6:7]
	v_fmac_f64_e32 v[40:41], v[106:107], v[4:5]
	v_add_f64 v[0:1], v[0:1], v[40:41]
	v_mul_f64 v[40:41], v[178:179], v[50:51]
	s_waitcnt vmcnt(10)
	v_accvgpr_read_b32 v4, a136
	v_mul_f64 v[14:15], v[198:199], v[46:47]
	v_fma_f64 v[176:177], v[176:177], v[48:49], -v[40:41]
	scratch_load_dwordx4 v[40:43], off, off offset:736
	v_accvgpr_read_b32 v6, a138
	v_accvgpr_read_b32 v7, a139
	v_fma_f64 v[16:17], v[196:197], v[44:45], -v[14:15]
	v_accvgpr_read_b32 v5, a137
	s_waitcnt lgkmcnt(1)
	v_mul_f64 v[44:45], v[108:109], v[6:7]
	v_fmac_f64_e32 v[44:45], v[110:111], v[4:5]
	v_add_f64 v[0:1], v[0:1], v[44:45]
	v_mul_f64 v[44:45], v[166:167], v[54:55]
	v_fma_f64 v[178:179], v[164:165], v[52:53], -v[44:45]
	scratch_load_dwordx4 v[44:47], off, off offset:752
	v_mul_f64 v[48:49], v[150:151], v[66:67]
	v_fma_f64 v[14:15], v[148:149], v[64:65], -v[48:49]
	scratch_load_dwordx4 v[48:51], off, off offset:768
	scratch_load_dwordx4 v[52:55], off, off offset:784
	s_waitcnt vmcnt(13)
	v_accvgpr_read_b32 v4, a140
	v_accvgpr_read_b32 v6, a142
	;; [unrolled: 1-line block ×4, first 2 shown]
	s_waitcnt lgkmcnt(0)
	v_mul_f64 v[64:65], v[112:113], v[6:7]
	v_mul_f64 v[18:19], v[122:123], v[78:79]
	v_fmac_f64_e32 v[64:65], v[114:115], v[4:5]
	v_fma_f64 v[18:19], v[120:121], v[76:77], -v[18:19]
	ds_read_b128 v[120:123], v2 offset:1552
	v_add_f64 v[0:1], v[0:1], v[64:65]
	v_mul_f64 v[64:65], v[170:171], v[82:83]
	v_fma_f64 v[12:13], v[168:169], v[80:81], -v[64:65]
	scratch_load_dwordx4 v[64:67], off, off offset:800
	scratch_load_dwordx4 v[76:79], off, off offset:816
	s_waitcnt vmcnt(14)
	v_accvgpr_read_b32 v4, a144
	v_accvgpr_read_b32 v6, a146
	v_accvgpr_read_b32 v7, a147
	v_mul_f64 v[80:81], v[134:135], v[90:91]
	v_accvgpr_read_b32 v5, a145
	s_waitcnt lgkmcnt(0)
	v_mul_f64 v[22:23], v[120:121], v[6:7]
	v_fma_f64 v[10:11], v[132:133], v[88:89], -v[80:81]
	ds_read_b128 v[132:135], v2 offset:1568
	ds_read_b128 v[128:131], v2 offset:1584
	v_fmac_f64_e32 v[22:23], v[122:123], v[4:5]
	v_add_f64 v[0:1], v[0:1], v[22:23]
	v_mul_f64 v[22:23], v[158:159], v[86:87]
	s_waitcnt vmcnt(13)
	v_accvgpr_read_b32 v4, a148
	v_fma_f64 v[22:23], v[156:157], v[84:85], -v[22:23]
	scratch_load_dwordx4 v[84:87], off, off offset:832
	scratch_load_dwordx4 v[80:83], off, off offset:848
	v_accvgpr_read_b32 v6, a150
	v_accvgpr_read_b32 v7, a151
	;; [unrolled: 1-line block ×3, first 2 shown]
	s_waitcnt lgkmcnt(1)
	v_mul_f64 v[88:89], v[132:133], v[6:7]
	v_fmac_f64_e32 v[88:89], v[134:135], v[4:5]
	v_add_f64 v[0:1], v[0:1], v[88:89]
	v_mul_f64 v[88:89], v[214:215], v[102:103]
	v_fma_f64 v[8:9], v[212:213], v[100:101], -v[88:89]
	scratch_load_dwordx4 v[88:91], off, off offset:864
	v_mul_f64 v[24:25], v[210:211], v[94:95]
	v_fma_f64 v[24:25], v[208:209], v[92:93], -v[24:25]
	ds_read_b128 v[92:95], v2 offset:1600
	s_waitcnt vmcnt(13)
	v_mov_b64_e32 v[4:5], v[172:173]
	v_mov_b64_e32 v[6:7], v[174:175]
	s_waitcnt lgkmcnt(1)
	v_mul_f64 v[100:101], v[128:129], v[6:7]
	v_fmac_f64_e32 v[100:101], v[130:131], v[4:5]
	v_accvgpr_read_b32 v4, a152
	v_mul_f64 v[28:29], v[218:219], v[118:119]
	v_accvgpr_read_b32 v6, a154
	v_accvgpr_read_b32 v7, a155
	v_fma_f64 v[28:29], v[216:217], v[116:117], -v[28:29]
	v_add_f64 v[0:1], v[0:1], v[100:101]
	ds_read_b128 v[100:103], v2 offset:1616
	v_accvgpr_read_b32 v5, a153
	s_waitcnt lgkmcnt(1)
	v_mul_f64 v[116:117], v[92:93], v[6:7]
	v_fmac_f64_e32 v[116:117], v[94:95], v[4:5]
	v_add_f64 v[0:1], v[0:1], v[116:117]
	v_mul_f64 v[116:117], v[222:223], v[126:127]
	v_fma_f64 v[6:7], v[220:221], v[124:125], -v[116:117]
	ds_read_b128 v[116:119], v2 offset:1632
	v_accvgpr_read_b32 v124, a156
	v_accvgpr_read_b32 v126, a158
	;; [unrolled: 1-line block ×4, first 2 shown]
	s_waitcnt lgkmcnt(1)
	v_mul_f64 v[34:35], v[100:101], v[126:127]
	v_fmac_f64_e32 v[34:35], v[102:103], v[124:125]
	v_add_f64 v[0:1], v[0:1], v[34:35]
	v_mul_f64 v[34:35], v[226:227], v[138:139]
	v_fma_f64 v[34:35], v[224:225], v[136:137], -v[34:35]
	ds_read_b128 v[124:127], v2 offset:1648
	s_waitcnt vmcnt(12) lgkmcnt(1)
	v_mul_f64 v[136:137], v[116:117], v[74:75]
	v_fmac_f64_e32 v[136:137], v[118:119], v[72:73]
	v_add_f64 v[0:1], v[0:1], v[136:137]
	ds_read_b128 v[136:139], v2 offset:1664
	s_waitcnt vmcnt(11) lgkmcnt(1)
	v_mul_f64 v[38:39], v[124:125], v[70:71]
	v_mul_f64 v[142:143], v[230:231], v[142:143]
	v_fmac_f64_e32 v[38:39], v[126:127], v[68:69]
	v_fma_f64 v[4:5], v[228:229], v[140:141], -v[142:143]
	ds_read_b128 v[140:143], v2 offset:1680
	v_add_f64 v[0:1], v[0:1], v[38:39]
	s_waitcnt vmcnt(10) lgkmcnt(1)
	v_mul_f64 v[38:39], v[136:137], v[58:59]
	v_fmac_f64_e32 v[38:39], v[138:139], v[56:57]
	v_add_f64 v[0:1], v[0:1], v[38:39]
	v_mul_f64 v[38:39], v[234:235], v[146:147]
	v_fma_f64 v[38:39], v[232:233], v[144:145], -v[38:39]
	ds_read_b128 v[144:147], v2 offset:1696
	s_waitcnt vmcnt(9) lgkmcnt(1)
	v_mul_f64 v[148:149], v[140:141], v[62:63]
	v_fmac_f64_e32 v[148:149], v[142:143], v[60:61]
	v_add_f64 v[0:1], v[0:1], v[148:149]
	ds_read_b128 v[148:151], v2 offset:1712
	s_waitcnt vmcnt(8) lgkmcnt(1)
	v_mul_f64 v[156:157], v[144:145], v[42:43]
	v_mul_f64 v[154:155], v[238:239], v[154:155]
	v_fmac_f64_e32 v[156:157], v[146:147], v[40:41]
	v_fma_f64 v[236:237], v[236:237], v[152:153], -v[154:155]
	ds_read_b128 v[152:155], v2 offset:1728
	v_add_f64 v[0:1], v[0:1], v[156:157]
	v_mul_f64 v[156:157], v[182:183], v[190:191]
	v_fma_f64 v[238:239], v[180:181], v[188:189], -v[156:157]
	ds_read_b128 v[156:159], v2 offset:1744
	s_waitcnt vmcnt(7) lgkmcnt(2)
	v_mul_f64 v[160:161], v[148:149], v[46:47]
	v_fmac_f64_e32 v[160:161], v[150:151], v[44:45]
	v_add_f64 v[0:1], v[0:1], v[160:161]
	s_waitcnt vmcnt(6) lgkmcnt(1)
	v_mul_f64 v[160:161], v[152:153], v[50:51]
	v_fmac_f64_e32 v[160:161], v[154:155], v[48:49]
	v_add_f64 v[0:1], v[0:1], v[160:161]
	s_waitcnt vmcnt(5) lgkmcnt(0)
	v_mul_f64 v[164:165], v[156:157], v[54:55]
	ds_read_b128 v[160:163], v2 offset:1760
	v_fmac_f64_e32 v[164:165], v[158:159], v[52:53]
	v_add_f64 v[0:1], v[0:1], v[164:165]
	v_mul_f64 v[164:165], v[242:243], v[194:195]
	v_accvgpr_mov_b32 a128, a132
	v_fma_f64 v[240:241], v[240:241], v[192:193], -v[164:165]
	ds_read_b128 v[164:167], v2 offset:1776
	v_accvgpr_mov_b32 a129, a133
	v_accvgpr_mov_b32 a130, a134
	;; [unrolled: 1-line block ×8, first 2 shown]
	s_waitcnt vmcnt(4) lgkmcnt(1)
	v_mul_f64 v[168:169], v[160:161], v[66:67]
	v_accvgpr_mov_b32 a137, a141
	v_accvgpr_mov_b32 a138, a142
	;; [unrolled: 1-line block ×4, first 2 shown]
	v_fmac_f64_e32 v[168:169], v[162:163], v[64:65]
	v_accvgpr_mov_b32 a141, a145
	v_accvgpr_mov_b32 a142, a146
	;; [unrolled: 1-line block ×4, first 2 shown]
	v_add_f64 v[180:181], v[0:1], v[168:169]
	ds_read_b128 v[168:171], v2 offset:1792
	v_accvgpr_mov_b32 a145, a149
	v_accvgpr_mov_b32 a146, a150
	v_accvgpr_mov_b32 a147, a151
	v_accvgpr_write_b32 a148, v172
	s_waitcnt vmcnt(3) lgkmcnt(1)
	v_mul_f64 v[182:183], v[164:165], v[78:79]
	v_accvgpr_write_b32 a149, v173
	v_accvgpr_write_b32 a150, v174
	v_accvgpr_write_b32 a151, v175
	v_fmac_f64_e32 v[182:183], v[166:167], v[76:77]
	ds_read_b128 v[172:175], v2 offset:1808
	v_add_f64 v[180:181], v[180:181], v[182:183]
	v_mul_f64 v[182:183], v[246:247], v[206:207]
	v_fma_f64 v[246:247], v[244:245], v[204:205], -v[182:183]
	ds_read_b128 v[242:245], v2 offset:1824
	s_waitcnt vmcnt(2) lgkmcnt(2)
	v_mul_f64 v[182:183], v[168:169], v[86:87]
	v_fmac_f64_e32 v[182:183], v[170:171], v[84:85]
	v_add_f64 v[180:181], v[180:181], v[182:183]
	s_waitcnt vmcnt(1) lgkmcnt(1)
	v_mul_f64 v[182:183], v[172:173], v[82:83]
	v_mul_f64 v[0:1], v[186:187], v[202:203]
	v_fmac_f64_e32 v[182:183], v[174:175], v[80:81]
	v_fma_f64 v[0:1], v[184:185], v[200:201], -v[0:1]
	v_add_f64 v[180:181], v[180:181], v[182:183]
	ds_read_b128 v[184:187], v2 offset:1840
	scratch_load_dwordx4 v[232:235], off, off offset:976
	s_waitcnt vmcnt(1) lgkmcnt(1)
	v_mul_f64 v[182:183], v[242:243], v[90:91]
	v_fmac_f64_e32 v[182:183], v[244:245], v[88:89]
	v_add_f64 v[188:189], v[180:181], v[182:183]
	scratch_load_dwordx4 v[180:183], off, off offset:880
	ds_read_b128 v[192:195], v2 offset:1856
	ds_read_b128 v[200:203], v2 offset:1872
	;; [unrolled: 1-line block ×5, first 2 shown]
	v_accvgpr_write_b32 a161, v1
	v_accvgpr_write_b32 a160, v0
	s_waitcnt vmcnt(0) lgkmcnt(5)
	v_mul_f64 v[190:191], v[184:185], v[182:183]
	v_fmac_f64_e32 v[190:191], v[186:187], v[180:181]
	v_add_f64 v[196:197], v[188:189], v[190:191]
	scratch_load_dwordx4 v[188:191], off, off offset:896
	s_waitcnt vmcnt(0) lgkmcnt(4)
	v_mul_f64 v[198:199], v[192:193], v[190:191]
	v_fmac_f64_e32 v[198:199], v[194:195], v[188:189]
	v_add_f64 v[204:205], v[196:197], v[198:199]
	scratch_load_dwordx4 v[196:199], off, off offset:912
	;; [unrolled: 5-line block ×5, first 2 shown]
	s_waitcnt vmcnt(0) lgkmcnt(0)
	v_mul_f64 v[230:231], v[224:225], v[222:223]
	v_fmac_f64_e32 v[230:231], v[226:227], v[220:221]
	v_add_f64 v[0:1], v[228:229], v[230:231]
	ds_read_b128 v[228:231], v2 offset:1936
	s_waitcnt lgkmcnt(0)
	v_mul_f64 v[2:3], v[228:229], v[234:235]
	v_fmac_f64_e32 v[2:3], v[230:231], v[232:233]
	v_add_f64 v[2:3], v[0:1], v[2:3]
	v_add_f64 v[0:1], v[248:249], 0
	;; [unrolled: 1-line block ×27, first 2 shown]
	scratch_load_dwordx4 v[236:239], off, off offset:48
	v_accvgpr_read_b32 v6, a124
	v_add_f64 v[254:255], v[0:1], v[240:241]
	v_accvgpr_read_b32 v0, a160
	v_accvgpr_read_b32 v8, a126
	v_accvgpr_read_b32 v9, a127
	v_accvgpr_read_b32 v1, a161
	v_accvgpr_read_b32 v7, a125
	v_mul_f64 v[4:5], v[98:99], v[8:9]
	v_add_f64 v[0:1], v[254:255], v[0:1]
	v_fma_f64 v[4:5], v[96:97], v[6:7], -v[4:5]
	v_accvgpr_read_b32 v6, a128
	v_add_f64 v[0:1], v[0:1], v[246:247]
	v_accvgpr_read_b32 v8, a130
	v_accvgpr_read_b32 v9, a131
	v_add_f64 v[0:1], v[0:1], v[4:5]
	v_accvgpr_read_b32 v7, a129
	v_mul_f64 v[4:5], v[106:107], v[8:9]
	v_fma_f64 v[4:5], v[104:105], v[6:7], -v[4:5]
	v_accvgpr_read_b32 v6, a132
	v_accvgpr_read_b32 v8, a134
	v_accvgpr_read_b32 v9, a135
	v_add_f64 v[0:1], v[0:1], v[4:5]
	v_accvgpr_read_b32 v7, a133
	v_mul_f64 v[4:5], v[110:111], v[8:9]
	v_fma_f64 v[4:5], v[108:109], v[6:7], -v[4:5]
	v_accvgpr_read_b32 v6, a136
	;; [unrolled: 7-line block ×7, first 2 shown]
	v_accvgpr_read_b32 v8, a158
	v_accvgpr_read_b32 v9, a159
	v_add_f64 v[0:1], v[0:1], v[4:5]
	v_accvgpr_read_b32 v7, a157
	v_mul_f64 v[4:5], v[102:103], v[8:9]
	v_fma_f64 v[4:5], v[100:101], v[6:7], -v[4:5]
	v_add_f64 v[0:1], v[0:1], v[4:5]
	v_mul_f64 v[4:5], v[118:119], v[74:75]
	v_fma_f64 v[4:5], v[116:117], v[72:73], -v[4:5]
	v_add_f64 v[0:1], v[0:1], v[4:5]
	;; [unrolled: 3-line block ×21, first 2 shown]
	s_waitcnt vmcnt(0)
	v_add_f64 v[4:5], v[236:237], -v[0:1]
	v_accvgpr_read_b32 v0, a122
	v_add_f64 v[6:7], v[238:239], -v[2:3]
	v_cmp_lt_u32_e32 vcc, 1, v0
	scratch_store_dwordx4 off, v[4:7], off offset:48
	s_and_saveexec_b64 s[0:1], vcc
	s_cbranch_execz .LBB60_389
; %bb.388:
	scratch_load_dwordx4 v[2:5], off, s33
	v_mov_b32_e32 v6, 0
	v_mov_b32_e32 v7, v6
	;; [unrolled: 1-line block ×4, first 2 shown]
	v_accvgpr_read_b32 v0, a123
	scratch_store_dwordx4 off, v[6:9], off offset:32
	s_waitcnt vmcnt(1)
	ds_write_b128 v0, v[2:5]
.LBB60_389:
	s_or_b64 exec, exec, s[0:1]
	s_waitcnt lgkmcnt(0)
	; wave barrier
	scratch_load_dwordx4 v[16:19], off, off offset:48
	scratch_load_dwordx4 v[20:23], off, off offset:64
	;; [unrolled: 1-line block ×30, first 2 shown]
	v_mov_b32_e32 v2, 0
	ds_read_b128 v[88:91], v2 offset:1008
	ds_read_b128 v[96:99], v2 offset:1024
	;; [unrolled: 1-line block ×17, first 2 shown]
	scratch_load_dwordx4 a[124:127], off, off offset:560
	scratch_load_dwordx4 a[128:131], off, off offset:576
	;; [unrolled: 1-line block ×6, first 2 shown]
	ds_read_b128 v[224:227], v2 offset:1344
	ds_read_b128 v[228:231], v2 offset:1360
	;; [unrolled: 1-line block ×7, first 2 shown]
	scratch_load_dwordx4 a[148:151], off, off offset:656
	scratch_load_dwordx4 a[152:155], off, off offset:672
	s_waitcnt vmcnt(37) lgkmcnt(14)
	v_mul_f64 v[0:1], v[88:89], v[18:19]
	s_waitcnt vmcnt(36)
	v_mul_f64 v[4:5], v[96:97], v[22:23]
	v_fmac_f64_e32 v[0:1], v[90:91], v[16:17]
	s_waitcnt vmcnt(35)
	v_mul_f64 v[6:7], v[100:101], v[26:27]
	v_fmac_f64_e32 v[4:5], v[98:99], v[20:21]
	v_add_f64 v[0:1], v[0:1], 0
	s_waitcnt vmcnt(34)
	v_mul_f64 v[8:9], v[104:105], v[30:31]
	v_fmac_f64_e32 v[6:7], v[102:103], v[24:25]
	v_add_f64 v[0:1], v[0:1], v[4:5]
	;; [unrolled: 4-line block ×8, first 2 shown]
	s_waitcnt vmcnt(27) lgkmcnt(13)
	v_mul_f64 v[210:211], v[176:177], v[58:59]
	v_fmac_f64_e32 v[208:209], v[174:175], v[52:53]
	v_add_f64 v[0:1], v[0:1], v[206:207]
	s_waitcnt vmcnt(26) lgkmcnt(12)
	v_mul_f64 v[212:213], v[180:181], v[62:63]
	v_fmac_f64_e32 v[210:211], v[178:179], v[56:57]
	v_add_f64 v[0:1], v[0:1], v[208:209]
	;; [unrolled: 4-line block ×5, first 2 shown]
	v_fmac_f64_e32 v[218:219], v[194:195], v[72:73]
	v_add_f64 v[0:1], v[0:1], v[216:217]
	v_add_f64 v[0:1], v[0:1], v[218:219]
	scratch_load_dwordx4 v[216:219], off, off offset:528
	scratch_load_dwordx4 v[12:15], off, off offset:544
	ds_read_b128 v[204:207], v2 offset:1280
	ds_read_b128 v[208:211], v2 offset:1296
	s_waitcnt vmcnt(24) lgkmcnt(10)
	v_mul_f64 v[220:221], v[196:197], v[78:79]
	v_fmac_f64_e32 v[220:221], v[198:199], v[76:77]
	s_waitcnt vmcnt(23) lgkmcnt(9)
	v_mul_f64 v[4:5], v[200:201], v[82:83]
	v_add_f64 v[0:1], v[0:1], v[220:221]
	v_fmac_f64_e32 v[4:5], v[202:203], v[80:81]
	ds_read_b128 v[212:215], v2 offset:1312
	ds_read_b128 v[220:223], v2 offset:1328
	v_add_f64 v[0:1], v[0:1], v[4:5]
	s_waitcnt vmcnt(22) lgkmcnt(3)
	v_mul_f64 v[4:5], v[204:205], v[86:87]
	v_fmac_f64_e32 v[4:5], v[206:207], v[84:85]
	v_add_f64 v[0:1], v[0:1], v[4:5]
	s_waitcnt vmcnt(21) lgkmcnt(2)
	v_mul_f64 v[4:5], v[208:209], v[94:95]
	v_fmac_f64_e32 v[4:5], v[210:211], v[92:93]
	;; [unrolled: 4-line block ×4, first 2 shown]
	v_add_f64 v[0:1], v[0:1], v[4:5]
	s_waitcnt vmcnt(18)
	v_mul_f64 v[4:5], v[224:225], v[126:127]
	v_fmac_f64_e32 v[4:5], v[226:227], v[124:125]
	v_add_f64 v[0:1], v[0:1], v[4:5]
	s_waitcnt vmcnt(17)
	v_mul_f64 v[4:5], v[228:229], v[130:131]
	v_fmac_f64_e32 v[4:5], v[230:231], v[128:129]
	v_add_f64 v[0:1], v[0:1], v[4:5]
	v_mul_f64 v[4:5], v[90:91], v[18:19]
	v_fma_f64 v[248:249], v[88:89], v[16:17], -v[4:5]
	s_waitcnt vmcnt(16)
	v_mul_f64 v[4:5], v[232:233], v[134:135]
	v_fmac_f64_e32 v[4:5], v[234:235], v[132:133]
	v_add_f64 v[0:1], v[0:1], v[4:5]
	s_waitcnt vmcnt(15)
	v_mul_f64 v[4:5], v[236:237], v[138:139]
	v_fmac_f64_e32 v[4:5], v[238:239], v[136:137]
	v_add_f64 v[0:1], v[0:1], v[4:5]
	s_waitcnt vmcnt(14)
	v_mul_f64 v[4:5], v[240:241], v[142:143]
	v_fmac_f64_e32 v[4:5], v[242:243], v[140:141]
	v_mul_f64 v[6:7], v[98:99], v[22:23]
	v_add_f64 v[0:1], v[0:1], v[4:5]
	s_waitcnt vmcnt(13)
	v_mul_f64 v[4:5], v[244:245], v[150:151]
	v_fma_f64 v[254:255], v[96:97], v[20:21], -v[6:7]
	v_mul_f64 v[6:7], v[102:103], v[26:27]
	v_fmac_f64_e32 v[4:5], v[246:247], v[148:149]
	v_mul_f64 v[8:9], v[114:115], v[38:39]
	v_fma_f64 v[88:89], v[100:101], v[24:25], -v[6:7]
	v_add_f64 v[0:1], v[0:1], v[4:5]
	v_fma_f64 v[24:25], v[112:113], v[36:37], -v[8:9]
	ds_read_b128 v[8:11], v2 offset:1472
	s_waitcnt vmcnt(12)
	v_mul_f64 v[4:5], v[250:251], v[154:155]
	v_fmac_f64_e32 v[4:5], v[252:253], v[152:153]
	v_mul_f64 v[6:7], v[106:107], v[30:31]
	v_add_f64 v[0:1], v[0:1], v[4:5]
	v_mul_f64 v[4:5], v[110:111], v[34:35]
	v_fma_f64 v[30:31], v[104:105], v[28:29], -v[6:7]
	v_fma_f64 v[28:29], v[108:109], v[32:33], -v[4:5]
	ds_read_b128 v[4:7], v2 offset:1456
	v_mul_f64 v[32:33], v[146:147], v[42:43]
	v_fma_f64 v[20:21], v[144:145], v[40:41], -v[32:33]
	ds_read_b128 v[144:147], v2 offset:1488
	v_mul_f64 v[36:37], v[158:159], v[46:47]
	s_waitcnt vmcnt(11) lgkmcnt(1)
	v_mul_f64 v[22:23], v[4:5], v[162:163]
	v_fmac_f64_e32 v[22:23], v[6:7], v[160:161]
	v_add_f64 v[0:1], v[0:1], v[22:23]
	s_waitcnt vmcnt(10)
	v_mul_f64 v[22:23], v[8:9], v[166:167]
	v_fma_f64 v[156:157], v[156:157], v[44:45], -v[36:37]
	ds_read_b128 v[36:39], v2 offset:1504
	ds_read_b128 v[96:99], v2 offset:1520
	v_fmac_f64_e32 v[22:23], v[10:11], v[164:165]
	v_add_f64 v[0:1], v[0:1], v[22:23]
	v_mul_f64 v[22:23], v[170:171], v[50:51]
	v_fma_f64 v[22:23], v[168:169], v[48:49], -v[22:23]
	scratch_load_dwordx4 v[40:43], off, off offset:688
	v_mul_f64 v[44:45], v[174:175], v[54:55]
	v_fma_f64 v[158:159], v[172:173], v[52:53], -v[44:45]
	scratch_load_dwordx4 v[44:47], off, off offset:704
	ds_read_b128 v[100:103], v2 offset:1536
	v_mul_f64 v[26:27], v[206:207], v[86:87]
	s_waitcnt vmcnt(3) lgkmcnt(3)
	v_mul_f64 v[48:49], v[144:145], v[218:219]
	v_fmac_f64_e32 v[48:49], v[146:147], v[216:217]
	v_add_f64 v[0:1], v[0:1], v[48:49]
	v_mul_f64 v[48:49], v[178:179], v[58:59]
	s_waitcnt vmcnt(2) lgkmcnt(2)
	v_mul_f64 v[52:53], v[36:37], v[14:15]
	v_fma_f64 v[168:169], v[176:177], v[56:57], -v[48:49]
	scratch_load_dwordx4 v[48:51], off, off offset:720
	v_fmac_f64_e32 v[52:53], v[38:39], v[12:13]
	v_add_f64 v[0:1], v[0:1], v[52:53]
	v_mul_f64 v[52:53], v[182:183], v[62:63]
	v_accvgpr_write_b32 a159, v15
	v_fma_f64 v[170:171], v[180:181], v[60:61], -v[52:53]
	scratch_load_dwordx4 v[52:55], off, off offset:736
	v_accvgpr_write_b32 a158, v14
	v_accvgpr_write_b32 a157, v13
	;; [unrolled: 1-line block ×3, first 2 shown]
	v_accvgpr_read_b32 v12, a124
	v_mul_f64 v[56:57], v[186:187], v[66:67]
	v_accvgpr_read_b32 v14, a126
	v_accvgpr_read_b32 v15, a127
	v_fma_f64 v[172:173], v[184:185], v[64:65], -v[56:57]
	v_accvgpr_read_b32 v13, a125
	s_waitcnt lgkmcnt(1)
	v_mul_f64 v[64:65], v[96:97], v[14:15]
	v_fmac_f64_e32 v[64:65], v[98:99], v[12:13]
	v_accvgpr_read_b32 v12, a128
	v_mul_f64 v[60:61], v[190:191], v[70:71]
	v_accvgpr_read_b32 v14, a130
	v_accvgpr_read_b32 v15, a131
	scratch_load_dwordx4 v[56:59], off, off offset:752
	v_fma_f64 v[174:175], v[188:189], v[68:69], -v[60:61]
	v_accvgpr_read_b32 v13, a129
	s_waitcnt lgkmcnt(0)
	v_mul_f64 v[68:69], v[100:101], v[14:15]
	v_add_f64 v[0:1], v[0:1], v[64:65]
	v_fmac_f64_e32 v[68:69], v[102:103], v[12:13]
	scratch_load_dwordx4 v[60:63], off, off offset:768
	v_mul_f64 v[64:65], v[194:195], v[74:75]
	v_add_f64 v[0:1], v[0:1], v[68:69]
	v_mul_f64 v[68:69], v[198:199], v[78:79]
	v_fma_f64 v[176:177], v[192:193], v[72:73], -v[64:65]
	scratch_load_dwordx4 v[64:67], off, off offset:784
	v_fma_f64 v[178:179], v[196:197], v[76:77], -v[68:69]
	scratch_load_dwordx4 v[68:71], off, off offset:800
	ds_read_b128 v[108:111], v2 offset:1552
	ds_read_b128 v[104:107], v2 offset:1568
	v_accvgpr_read_b32 v12, a132
	v_mul_f64 v[72:73], v[202:203], v[82:83]
	v_accvgpr_read_b32 v14, a134
	v_accvgpr_read_b32 v15, a135
	v_fma_f64 v[18:19], v[200:201], v[80:81], -v[72:73]
	scratch_load_dwordx4 v[76:79], off, off offset:816
	v_accvgpr_read_b32 v13, a133
	s_waitcnt lgkmcnt(1)
	v_mul_f64 v[80:81], v[108:109], v[14:15]
	v_fmac_f64_e32 v[80:81], v[110:111], v[12:13]
	v_accvgpr_read_b32 v12, a136
	v_accvgpr_read_b32 v14, a138
	v_accvgpr_read_b32 v15, a139
	v_add_f64 v[0:1], v[0:1], v[80:81]
	v_accvgpr_read_b32 v13, a137
	s_waitcnt lgkmcnt(0)
	v_mul_f64 v[80:81], v[104:105], v[14:15]
	v_fmac_f64_e32 v[80:81], v[106:107], v[12:13]
	scratch_load_dwordx4 v[72:75], off, off offset:832
	v_add_f64 v[0:1], v[0:1], v[80:81]
	v_mul_f64 v[80:81], v[210:211], v[94:95]
	v_fma_f64 v[16:17], v[208:209], v[92:93], -v[80:81]
	v_mul_f64 v[80:81], v[214:215], v[118:119]
	ds_read_b128 v[112:115], v2 offset:1584
	v_fma_f64 v[90:91], v[212:213], v[116:117], -v[80:81]
	scratch_load_dwordx4 v[80:83], off, off offset:848
	v_fma_f64 v[26:27], v[204:205], v[84:85], -v[26:27]
	v_mul_f64 v[84:85], v[222:223], v[122:123]
	v_fma_f64 v[14:15], v[220:221], v[120:121], -v[84:85]
	scratch_load_dwordx4 v[84:87], off, off offset:864
	ds_read_b128 v[116:119], v2 offset:1600
	v_accvgpr_read_b32 v92, a140
	v_accvgpr_read_b32 v94, a142
	;; [unrolled: 1-line block ×4, first 2 shown]
	s_waitcnt lgkmcnt(1)
	v_mul_f64 v[34:35], v[112:113], v[94:95]
	v_fmac_f64_e32 v[34:35], v[114:115], v[92:93]
	v_accvgpr_read_b32 v92, a144
	v_add_f64 v[0:1], v[0:1], v[34:35]
	v_mul_f64 v[34:35], v[226:227], v[126:127]
	v_accvgpr_read_b32 v94, a146
	v_accvgpr_read_b32 v95, a147
	v_fma_f64 v[34:35], v[224:225], v[124:125], -v[34:35]
	v_accvgpr_read_b32 v93, a145
	s_waitcnt lgkmcnt(0)
	v_mul_f64 v[124:125], v[116:117], v[94:95]
	v_fmac_f64_e32 v[124:125], v[118:119], v[92:93]
	scratch_load_dwordx4 v[92:95], off, off offset:880
	ds_read_b128 v[120:123], v2 offset:1616
	v_accvgpr_read_b32 v183, a151
	v_add_f64 v[0:1], v[0:1], v[124:125]
	v_mul_f64 v[124:125], v[230:231], v[130:131]
	v_accvgpr_read_b32 v182, a150
	v_fma_f64 v[228:229], v[228:229], v[128:129], -v[124:125]
	ds_read_b128 v[124:127], v2 offset:1632
	v_accvgpr_read_b32 v181, a149
	v_accvgpr_read_b32 v180, a148
	s_waitcnt lgkmcnt(1)
	v_mul_f64 v[128:129], v[120:121], v[182:183]
	v_fmac_f64_e32 v[128:129], v[122:123], v[180:181]
	v_add_f64 v[0:1], v[0:1], v[128:129]
	v_mul_f64 v[128:129], v[234:235], v[134:135]
	v_fma_f64 v[230:231], v[232:233], v[132:133], -v[128:129]
	v_accvgpr_read_b32 v132, a152
	ds_read_b128 v[128:131], v2 offset:1648
	v_accvgpr_read_b32 v134, a154
	v_accvgpr_read_b32 v135, a155
	v_add_f64 v[248:249], v[248:249], 0
	v_accvgpr_read_b32 v133, a153
	s_waitcnt lgkmcnt(1)
	v_mul_f64 v[180:181], v[124:125], v[134:135]
	v_add_f64 v[248:249], v[248:249], v[254:255]
	v_fmac_f64_e32 v[180:181], v[126:127], v[132:133]
	ds_read_b128 v[132:135], v2 offset:1664
	v_mul_f64 v[138:139], v[238:239], v[138:139]
	v_add_f64 v[88:89], v[248:249], v[88:89]
	v_fma_f64 v[232:233], v[236:237], v[136:137], -v[138:139]
	ds_read_b128 v[136:139], v2 offset:1680
	v_add_f64 v[30:31], v[88:89], v[30:31]
	v_mul_f64 v[142:143], v[242:243], v[142:143]
	v_add_f64 v[28:29], v[30:31], v[28:29]
	v_add_f64 v[0:1], v[0:1], v[180:181]
	s_waitcnt vmcnt(12) lgkmcnt(2)
	v_mul_f64 v[180:181], v[128:129], v[42:43]
	v_fma_f64 v[12:13], v[240:241], v[140:141], -v[142:143]
	ds_read_b128 v[140:143], v2 offset:1696
	v_add_f64 v[24:25], v[28:29], v[24:25]
	v_fmac_f64_e32 v[180:181], v[130:131], v[40:41]
	v_add_f64 v[20:21], v[24:25], v[20:21]
	v_add_f64 v[0:1], v[0:1], v[180:181]
	s_waitcnt vmcnt(11) lgkmcnt(2)
	v_mul_f64 v[180:181], v[132:133], v[46:47]
	v_add_f64 v[20:21], v[20:21], v[156:157]
	v_fmac_f64_e32 v[180:181], v[134:135], v[44:45]
	s_waitcnt vmcnt(10) lgkmcnt(1)
	v_mul_f64 v[32:33], v[136:137], v[50:51]
	v_add_f64 v[20:21], v[20:21], v[22:23]
	v_add_f64 v[0:1], v[0:1], v[180:181]
	v_fmac_f64_e32 v[32:33], v[138:139], v[48:49]
	v_add_f64 v[20:21], v[20:21], v[158:159]
	v_add_f64 v[0:1], v[0:1], v[32:33]
	s_waitcnt vmcnt(9) lgkmcnt(0)
	v_mul_f64 v[32:33], v[140:141], v[54:55]
	v_add_f64 v[20:21], v[20:21], v[168:169]
	ds_read_b128 v[240:243], v2 offset:1712
	v_fmac_f64_e32 v[32:33], v[142:143], v[52:53]
	v_add_f64 v[20:21], v[20:21], v[170:171]
	v_add_f64 v[0:1], v[0:1], v[32:33]
	v_mul_f64 v[32:33], v[246:247], v[150:151]
	v_add_f64 v[20:21], v[20:21], v[172:173]
	v_fma_f64 v[32:33], v[244:245], v[148:149], -v[32:33]
	ds_read_b128 v[148:151], v2 offset:1728
	v_add_f64 v[20:21], v[20:21], v[174:175]
	v_mul_f64 v[154:155], v[252:253], v[154:155]
	v_add_f64 v[20:21], v[20:21], v[176:177]
	v_fma_f64 v[234:235], v[250:251], v[152:153], -v[154:155]
	ds_read_b128 v[152:155], v2 offset:1744
	ds_read_b128 v[244:247], v2 offset:1760
	v_add_f64 v[20:21], v[20:21], v[178:179]
	s_waitcnt vmcnt(8) lgkmcnt(3)
	v_mul_f64 v[180:181], v[240:241], v[58:59]
	v_add_f64 v[18:19], v[20:21], v[18:19]
	v_fmac_f64_e32 v[180:181], v[242:243], v[56:57]
	v_mul_f64 v[6:7], v[6:7], v[162:163]
	v_add_f64 v[18:19], v[18:19], v[26:27]
	v_add_f64 v[0:1], v[0:1], v[180:181]
	s_waitcnt vmcnt(7) lgkmcnt(2)
	v_mul_f64 v[180:181], v[148:149], v[62:63]
	v_fma_f64 v[236:237], v[4:5], v[160:161], -v[6:7]
	ds_read_b128 v[160:163], v2 offset:1776
	v_add_f64 v[16:17], v[18:19], v[16:17]
	v_fmac_f64_e32 v[180:181], v[150:151], v[60:61]
	v_add_f64 v[16:17], v[16:17], v[90:91]
	v_add_f64 v[0:1], v[0:1], v[180:181]
	s_waitcnt vmcnt(6) lgkmcnt(2)
	v_mul_f64 v[180:181], v[152:153], v[66:67]
	v_add_f64 v[14:15], v[16:17], v[14:15]
	v_fmac_f64_e32 v[180:181], v[154:155], v[64:65]
	s_waitcnt vmcnt(5) lgkmcnt(1)
	v_mul_f64 v[4:5], v[244:245], v[70:71]
	v_add_f64 v[14:15], v[14:15], v[34:35]
	v_add_f64 v[0:1], v[0:1], v[180:181]
	v_fmac_f64_e32 v[4:5], v[246:247], v[68:69]
	v_mul_f64 v[6:7], v[10:11], v[166:167]
	v_add_f64 v[14:15], v[14:15], v[228:229]
	v_fma_f64 v[238:239], v[8:9], v[164:165], -v[6:7]
	ds_read_b128 v[164:167], v2 offset:1792
	v_add_f64 v[0:1], v[0:1], v[4:5]
	v_add_f64 v[14:15], v[14:15], v[230:231]
	scratch_load_dwordx4 v[228:231], off, off offset:32
	s_waitcnt vmcnt(5) lgkmcnt(1)
	v_mul_f64 v[4:5], v[160:161], v[78:79]
	v_fmac_f64_e32 v[4:5], v[162:163], v[76:77]
	v_add_f64 v[0:1], v[0:1], v[4:5]
	ds_read_b128 v[4:7], v2 offset:1808
	v_mul_f64 v[8:9], v[146:147], v[218:219]
	v_fma_f64 v[250:251], v[144:145], v[216:217], -v[8:9]
	ds_read_b128 v[8:11], v2 offset:1824
	s_waitcnt vmcnt(4) lgkmcnt(2)
	v_mul_f64 v[144:145], v[164:165], v[74:75]
	v_fmac_f64_e32 v[144:145], v[166:167], v[72:73]
	v_add_f64 v[0:1], v[0:1], v[144:145]
	s_waitcnt vmcnt(3) lgkmcnt(1)
	v_mul_f64 v[144:145], v[4:5], v[82:83]
	v_fmac_f64_e32 v[144:145], v[6:7], v[80:81]
	v_add_f64 v[0:1], v[0:1], v[144:145]
	;; [unrolled: 4-line block ×3, first 2 shown]
	ds_read_b128 v[144:147], v2 offset:1840
	ds_read_b128 v[184:187], v2 offset:1856
	;; [unrolled: 1-line block ×6, first 2 shown]
	s_waitcnt vmcnt(1) lgkmcnt(5)
	v_mul_f64 v[180:181], v[144:145], v[94:95]
	v_fmac_f64_e32 v[180:181], v[146:147], v[92:93]
	v_add_f64 v[0:1], v[0:1], v[180:181]
	scratch_load_dwordx4 v[180:183], off, off offset:896
	ds_read_b128 v[224:227], v2 offset:1936
	v_add_f64 v[14:15], v[14:15], v[232:233]
	v_add_f64 v[12:13], v[14:15], v[12:13]
	v_accvgpr_read_b32 v16, a156
	v_accvgpr_read_b32 v18, a158
	;; [unrolled: 1-line block ×4, first 2 shown]
	v_mul_f64 v[14:15], v[38:39], v[18:19]
	v_fma_f64 v[14:15], v[36:37], v[16:17], -v[14:15]
	v_accvgpr_read_b32 v16, a124
	v_accvgpr_read_b32 v18, a126
	;; [unrolled: 1-line block ×4, first 2 shown]
	v_mul_f64 v[6:7], v[6:7], v[82:83]
	v_fma_f64 v[4:5], v[4:5], v[80:81], -v[6:7]
	v_mul_f64 v[6:7], v[10:11], v[86:87]
	v_fma_f64 v[6:7], v[8:9], v[84:85], -v[6:7]
	s_waitcnt vmcnt(0) lgkmcnt(5)
	v_mul_f64 v[188:189], v[184:185], v[182:183]
	v_fmac_f64_e32 v[188:189], v[186:187], v[180:181]
	v_add_f64 v[0:1], v[0:1], v[188:189]
	scratch_load_dwordx4 v[188:191], off, off offset:912
	s_waitcnt vmcnt(0) lgkmcnt(4)
	v_mul_f64 v[196:197], v[192:193], v[190:191]
	v_fmac_f64_e32 v[196:197], v[194:195], v[188:189]
	v_add_f64 v[0:1], v[0:1], v[196:197]
	scratch_load_dwordx4 v[196:199], off, off offset:928
	;; [unrolled: 5-line block ×5, first 2 shown]
	s_waitcnt vmcnt(0) lgkmcnt(0)
	v_mul_f64 v[252:253], v[224:225], v[222:223]
	v_fmac_f64_e32 v[252:253], v[226:227], v[220:221]
	v_add_f64 v[0:1], v[0:1], v[252:253]
	v_add_f64 v[252:253], v[12:13], v[32:33]
	;; [unrolled: 1-line block ×7, first 2 shown]
	v_mul_f64 v[14:15], v[98:99], v[18:19]
	v_fma_f64 v[14:15], v[96:97], v[16:17], -v[14:15]
	v_accvgpr_read_b32 v16, a128
	v_accvgpr_read_b32 v18, a130
	v_accvgpr_read_b32 v19, a131
	v_add_f64 v[12:13], v[12:13], v[14:15]
	v_accvgpr_read_b32 v17, a129
	v_mul_f64 v[14:15], v[102:103], v[18:19]
	v_fma_f64 v[14:15], v[100:101], v[16:17], -v[14:15]
	v_accvgpr_read_b32 v16, a132
	v_accvgpr_read_b32 v18, a134
	v_accvgpr_read_b32 v19, a135
	v_add_f64 v[12:13], v[12:13], v[14:15]
	v_accvgpr_read_b32 v17, a133
	;; [unrolled: 7-line block ×7, first 2 shown]
	v_mul_f64 v[14:15], v[126:127], v[18:19]
	v_fma_f64 v[14:15], v[124:125], v[16:17], -v[14:15]
	v_add_f64 v[12:13], v[12:13], v[14:15]
	v_mul_f64 v[14:15], v[130:131], v[42:43]
	v_fma_f64 v[14:15], v[128:129], v[40:41], -v[14:15]
	v_add_f64 v[12:13], v[12:13], v[14:15]
	;; [unrolled: 3-line block ×11, first 2 shown]
	v_add_f64 v[4:5], v[12:13], v[4:5]
	v_add_f64 v[4:5], v[4:5], v[6:7]
	v_mul_f64 v[6:7], v[146:147], v[94:95]
	v_fma_f64 v[6:7], v[144:145], v[92:93], -v[6:7]
	v_add_f64 v[4:5], v[4:5], v[6:7]
	v_mul_f64 v[6:7], v[186:187], v[182:183]
	v_fma_f64 v[6:7], v[184:185], v[180:181], -v[6:7]
	v_add_f64 v[4:5], v[4:5], v[6:7]
	v_mul_f64 v[6:7], v[194:195], v[190:191]
	v_fma_f64 v[6:7], v[192:193], v[188:189], -v[6:7]
	v_add_f64 v[4:5], v[4:5], v[6:7]
	v_mul_f64 v[6:7], v[202:203], v[198:199]
	v_fma_f64 v[6:7], v[200:201], v[196:197], -v[6:7]
	v_add_f64 v[4:5], v[4:5], v[6:7]
	v_mul_f64 v[6:7], v[210:211], v[206:207]
	v_fma_f64 v[6:7], v[208:209], v[204:205], -v[6:7]
	v_add_f64 v[4:5], v[4:5], v[6:7]
	v_mul_f64 v[6:7], v[218:219], v[214:215]
	v_fma_f64 v[6:7], v[216:217], v[212:213], -v[6:7]
	v_add_f64 v[4:5], v[4:5], v[6:7]
	v_mul_f64 v[6:7], v[226:227], v[222:223]
	v_fma_f64 v[6:7], v[224:225], v[220:221], -v[6:7]
	v_add_f64 v[4:5], v[4:5], v[6:7]
	v_add_f64 v[6:7], v[230:231], -v[0:1]
	v_accvgpr_read_b32 v0, a122
	v_add_f64 v[4:5], v[228:229], -v[4:5]
	v_cmp_ne_u32_e32 vcc, 0, v0
	scratch_store_dwordx4 off, v[4:7], off offset:32
	s_and_saveexec_b64 s[0:1], vcc
	s_cbranch_execz .LBB60_391
; %bb.390:
	scratch_load_dwordx4 v[6:9], off, off offset:16
	v_mov_b32_e32 v3, v2
	v_mov_b32_e32 v4, v2
	;; [unrolled: 1-line block ×3, first 2 shown]
	v_accvgpr_read_b32 v0, a123
	scratch_store_dwordx4 off, v[2:5], off offset:16
	s_waitcnt vmcnt(1)
	ds_write_b128 v0, v[6:9]
.LBB60_391:
	s_or_b64 exec, exec, s[0:1]
	s_waitcnt lgkmcnt(0)
	; wave barrier
	scratch_load_dwordx4 v[4:7], off, off offset:32
	scratch_load_dwordx4 v[8:11], off, off offset:48
	;; [unrolled: 1-line block ×17, first 2 shown]
	ds_read_b128 v[176:179], v2 offset:992
	ds_read_b128 v[148:151], v2 offset:1008
	;; [unrolled: 1-line block ×4, first 2 shown]
	scratch_load_dwordx4 v[88:91], off, off offset:304
	ds_read_b128 v[152:155], v2 offset:1056
	ds_read_b128 v[112:115], v2 offset:1072
	;; [unrolled: 1-line block ×3, first 2 shown]
	scratch_load_dwordx4 v[92:95], off, off offset:320
	ds_read_b128 v[160:163], v2 offset:1104
	ds_read_b128 v[140:143], v2 offset:1120
	;; [unrolled: 1-line block ×4, first 2 shown]
	scratch_load_dwordx4 v[116:119], off, off offset:336
	ds_read_b128 v[168:171], v2 offset:1168
	ds_read_b128 v[144:147], v2 offset:1184
	;; [unrolled: 1-line block ×3, first 2 shown]
	scratch_load_dwordx4 v[120:123], off, off offset:352
	ds_read_b128 v[172:175], v2 offset:1216
	ds_read_b128 v[156:159], v2 offset:1232
	;; [unrolled: 1-line block ×3, first 2 shown]
	scratch_load_dwordx4 v[124:127], off, off offset:368
	scratch_load_dwordx4 v[128:131], off, off offset:384
	;; [unrolled: 1-line block ×11, first 2 shown]
	ds_read_b128 v[204:207], v2 offset:1264
	ds_read_b128 v[232:235], v2 offset:1360
	;; [unrolled: 1-line block ×3, first 2 shown]
	scratch_load_dwordx4 a[130:133], off, off offset:576
	ds_read_b128 v[250:253], v2 offset:1456
	scratch_load_dwordx4 a[138:141], off, off offset:640
	scratch_load_dwordx4 a[142:145], off, off offset:656
	s_and_b64 vcc, exec, s[18:19]
	ds_read_b128 v[228:231], v2 offset:1344
	scratch_load_dwordx4 a[134:137], off, off offset:624
	scratch_load_dwordx4 a[146:149], off, off offset:688
	s_waitcnt vmcnt(36) lgkmcnt(14)
	v_mul_f64 v[0:1], v[176:177], v[6:7]
	s_waitcnt vmcnt(35)
	v_mul_f64 v[24:25], v[148:149], v[10:11]
	v_fmac_f64_e32 v[0:1], v[178:179], v[4:5]
	s_waitcnt vmcnt(34)
	v_mul_f64 v[26:27], v[132:133], v[14:15]
	v_fmac_f64_e32 v[24:25], v[150:151], v[8:9]
	v_add_f64 v[0:1], v[0:1], 0
	s_waitcnt vmcnt(33)
	v_mul_f64 v[36:37], v[100:101], v[242:243]
	v_fmac_f64_e32 v[26:27], v[134:135], v[12:13]
	v_add_f64 v[0:1], v[0:1], v[24:25]
	;; [unrolled: 4-line block ×6, first 2 shown]
	s_waitcnt vmcnt(28) lgkmcnt(13)
	v_mul_f64 v[210:211], v[140:141], v[50:51]
	v_fmac_f64_e32 v[208:209], v[162:163], v[28:29]
	v_add_f64 v[0:1], v[0:1], v[42:43]
	v_fmac_f64_e32 v[210:211], v[142:143], v[48:49]
	v_add_f64 v[0:1], v[0:1], v[208:209]
	v_add_f64 v[0:1], v[0:1], v[210:211]
	scratch_load_dwordx4 v[208:211], off, off offset:512
	scratch_load_dwordx4 v[40:43], off, off offset:528
	s_waitcnt vmcnt(29) lgkmcnt(12)
	v_mul_f64 v[212:213], v[108:109], v[54:55]
	s_waitcnt vmcnt(28) lgkmcnt(11)
	v_mul_f64 v[214:215], v[96:97], v[58:59]
	v_fmac_f64_e32 v[212:213], v[110:111], v[52:53]
	s_waitcnt vmcnt(27) lgkmcnt(10)
	v_mul_f64 v[216:217], v[168:169], v[62:63]
	v_fmac_f64_e32 v[214:215], v[98:99], v[56:57]
	v_add_f64 v[0:1], v[0:1], v[212:213]
	s_waitcnt vmcnt(26) lgkmcnt(9)
	v_mul_f64 v[218:219], v[144:145], v[66:67]
	v_fmac_f64_e32 v[216:217], v[170:171], v[60:61]
	v_add_f64 v[0:1], v[0:1], v[214:215]
	;; [unrolled: 4-line block ×5, first 2 shown]
	ds_read_b128 v[212:215], v2 offset:1280
	v_fmac_f64_e32 v[224:225], v[158:159], v[76:77]
	v_add_f64 v[0:1], v[0:1], v[222:223]
	s_waitcnt vmcnt(22) lgkmcnt(6)
	v_mul_f64 v[24:25], v[136:137], v[82:83]
	v_add_f64 v[0:1], v[0:1], v[224:225]
	v_fmac_f64_e32 v[24:25], v[138:139], v[80:81]
	ds_read_b128 v[216:219], v2 offset:1296
	ds_read_b128 v[220:223], v2 offset:1312
	v_add_f64 v[0:1], v[0:1], v[24:25]
	s_waitcnt vmcnt(21) lgkmcnt(7)
	v_mul_f64 v[24:25], v[204:205], v[90:91]
	v_fmac_f64_e32 v[24:25], v[206:207], v[88:89]
	v_add_f64 v[0:1], v[0:1], v[24:25]
	s_waitcnt vmcnt(20) lgkmcnt(2)
	v_mul_f64 v[24:25], v[212:213], v[94:95]
	v_fmac_f64_e32 v[24:25], v[214:215], v[92:93]
	ds_read_b128 v[224:227], v2 offset:1328
	v_add_f64 v[0:1], v[0:1], v[24:25]
	s_waitcnt vmcnt(19) lgkmcnt(2)
	v_mul_f64 v[24:25], v[216:217], v[118:119]
	v_fmac_f64_e32 v[24:25], v[218:219], v[116:117]
	v_add_f64 v[0:1], v[0:1], v[24:25]
	s_waitcnt vmcnt(18) lgkmcnt(1)
	v_mul_f64 v[24:25], v[220:221], v[122:123]
	v_fmac_f64_e32 v[24:25], v[222:223], v[120:121]
	;; [unrolled: 4-line block ×3, first 2 shown]
	v_add_f64 v[0:1], v[0:1], v[24:25]
	s_waitcnt vmcnt(16)
	v_mul_f64 v[24:25], v[228:229], v[130:131]
	v_fmac_f64_e32 v[24:25], v[230:231], v[128:129]
	v_add_f64 v[0:1], v[0:1], v[24:25]
	s_waitcnt vmcnt(15)
	v_mul_f64 v[24:25], v[232:233], v[166:167]
	v_mul_f64 v[6:7], v[178:179], v[6:7]
	v_fmac_f64_e32 v[24:25], v[234:235], v[164:165]
	v_fma_f64 v[248:249], v[176:177], v[4:5], -v[6:7]
	s_waitcnt vmcnt(14)
	v_mul_f64 v[4:5], v[236:237], v[182:183]
	v_add_f64 v[0:1], v[0:1], v[24:25]
	v_fmac_f64_e32 v[4:5], v[238:239], v[180:181]
	v_add_f64 v[0:1], v[0:1], v[4:5]
	v_mul_f64 v[4:5], v[150:151], v[10:11]
	v_fma_f64 v[254:255], v[148:149], v[8:9], -v[4:5]
	v_mul_f64 v[4:5], v[134:135], v[14:15]
	ds_read_b128 v[176:179], v2 offset:1392
	ds_read_b128 v[148:151], v2 offset:1408
	v_fma_f64 v[46:47], v[132:133], v[12:13], -v[4:5]
	scratch_load_dwordx4 v[12:15], off, off offset:592
	v_mul_f64 v[6:7], v[102:103], v[242:243]
	scratch_load_dwordx4 v[132:135], off, off offset:608
	v_fma_f64 v[38:39], v[100:101], v[240:241], -v[6:7]
	ds_read_b128 v[240:243], v2 offset:1424
	s_waitcnt vmcnt(15) lgkmcnt(2)
	v_mul_f64 v[4:5], v[176:177], v[186:187]
	v_mul_f64 v[6:7], v[154:155], v[246:247]
	v_fmac_f64_e32 v[4:5], v[178:179], v[184:185]
	v_fma_f64 v[152:153], v[152:153], v[244:245], -v[6:7]
	ds_read_b128 v[244:247], v2 offset:1440
	v_add_f64 v[0:1], v[0:1], v[4:5]
	s_waitcnt vmcnt(14) lgkmcnt(2)
	v_mul_f64 v[4:5], v[148:149], v[190:191]
	v_fmac_f64_e32 v[4:5], v[150:151], v[188:189]
	v_add_f64 v[0:1], v[0:1], v[4:5]
	s_waitcnt vmcnt(13) lgkmcnt(1)
	v_mul_f64 v[4:5], v[240:241], v[194:195]
	v_fmac_f64_e32 v[4:5], v[242:243], v[192:193]
	;; [unrolled: 4-line block ×3, first 2 shown]
	v_add_f64 v[0:1], v[0:1], v[4:5]
	ds_read_b128 v[100:103], v2 offset:1520
	s_waitcnt vmcnt(11)
	v_mul_f64 v[4:5], v[250:251], v[202:203]
	v_fmac_f64_e32 v[4:5], v[252:253], v[200:201]
	v_add_f64 v[0:1], v[0:1], v[4:5]
	v_mul_f64 v[4:5], v[86:87], v[22:23]
	v_fma_f64 v[36:37], v[84:85], v[20:21], -v[4:5]
	v_mul_f64 v[4:5], v[162:163], v[30:31]
	v_mul_f64 v[32:33], v[142:143], v[50:51]
	;; [unrolled: 1-line block ×3, first 2 shown]
	v_fma_f64 v[34:35], v[160:161], v[28:29], -v[4:5]
	v_fma_f64 v[160:161], v[140:141], v[48:49], -v[32:33]
	scratch_load_dwordx4 v[140:143], off, off offset:672
	v_fma_f64 v[154:155], v[112:113], v[16:17], -v[6:7]
	ds_read_b128 v[4:7], v2 offset:1472
	ds_read_b128 v[84:87], v2 offset:1488
	s_waitcnt vmcnt(3)
	v_mov_b64_e32 v[8:9], v[40:41]
	v_mov_b64_e32 v[10:11], v[42:43]
	v_mul_f64 v[32:33], v[110:111], v[54:55]
	s_waitcnt lgkmcnt(1)
	v_mul_f64 v[44:45], v[4:5], v[210:211]
	v_fmac_f64_e32 v[44:45], v[6:7], v[208:209]
	s_waitcnt lgkmcnt(0)
	v_mul_f64 v[48:49], v[84:85], v[10:11]
	v_add_f64 v[0:1], v[0:1], v[44:45]
	v_fmac_f64_e32 v[48:49], v[86:87], v[8:9]
	v_add_f64 v[0:1], v[0:1], v[48:49]
	v_mul_f64 v[48:49], v[98:99], v[58:59]
	v_fma_f64 v[28:29], v[96:97], v[56:57], -v[48:49]
	scratch_load_dwordx4 v[48:51], off, off offset:704
	ds_read_b128 v[96:99], v2 offset:1504
	v_fma_f64 v[162:163], v[108:109], v[52:53], -v[32:33]
	v_mul_f64 v[52:53], v[146:147], v[66:67]
	v_fma_f64 v[20:21], v[144:145], v[64:65], -v[52:53]
	scratch_load_dwordx4 v[52:55], off, off offset:720
	v_accvgpr_read_b32 v8, a122
	v_accvgpr_read_b32 v10, a124
	;; [unrolled: 1-line block ×3, first 2 shown]
	scratch_load_dwordx4 v[56:59], off, off offset:736
	v_accvgpr_read_b32 v9, a123
	ds_read_b128 v[108:111], v2 offset:1552
	s_waitcnt lgkmcnt(1)
	v_mul_f64 v[26:27], v[96:97], v[10:11]
	v_fmac_f64_e32 v[26:27], v[98:99], v[8:9]
	v_accvgpr_read_b32 v8, a126
	v_accvgpr_read_b32 v10, a128
	;; [unrolled: 1-line block ×4, first 2 shown]
	v_mul_f64 v[64:65], v[100:101], v[10:11]
	v_mul_f64 v[18:19], v[170:171], v[62:63]
	v_add_f64 v[0:1], v[0:1], v[26:27]
	v_fmac_f64_e32 v[64:65], v[102:103], v[8:9]
	v_fma_f64 v[22:23], v[168:169], v[60:61], -v[18:19]
	scratch_load_dwordx4 v[60:63], off, off offset:752
	v_add_f64 v[0:1], v[0:1], v[64:65]
	v_mul_f64 v[64:65], v[174:175], v[74:75]
	v_fma_f64 v[172:173], v[172:173], v[72:73], -v[64:65]
	v_mul_f64 v[64:65], v[158:159], v[78:79]
	v_fma_f64 v[174:175], v[156:157], v[76:77], -v[64:65]
	scratch_load_dwordx4 v[64:67], off, off offset:768
	v_mul_f64 v[26:27], v[106:107], v[70:71]
	v_fma_f64 v[26:27], v[104:105], v[68:69], -v[26:27]
	ds_read_b128 v[104:107], v2 offset:1536
	ds_read_b128 v[112:115], v2 offset:1568
	v_accvgpr_read_b32 v8, a130
	v_accvgpr_read_b32 v10, a132
	;; [unrolled: 1-line block ×4, first 2 shown]
	s_waitcnt lgkmcnt(1)
	v_mul_f64 v[24:25], v[104:105], v[10:11]
	v_fmac_f64_e32 v[24:25], v[106:107], v[8:9]
	s_waitcnt vmcnt(7)
	v_mov_b64_e32 v[8:9], v[12:13]
	v_mov_b64_e32 v[10:11], v[14:15]
	v_add_f64 v[0:1], v[0:1], v[24:25]
	v_mul_f64 v[24:25], v[108:109], v[10:11]
	v_mul_f64 v[30:31], v[218:219], v[118:119]
	v_fmac_f64_e32 v[24:25], v[110:111], v[8:9]
	v_fma_f64 v[30:31], v[216:217], v[116:117], -v[30:31]
	ds_read_b128 v[116:119], v2 offset:1584
	s_waitcnt vmcnt(6)
	v_mov_b64_e32 v[8:9], v[132:133]
	v_mov_b64_e32 v[10:11], v[134:135]
	s_waitcnt lgkmcnt(1)
	v_mul_f64 v[32:33], v[112:113], v[10:11]
	v_mul_f64 v[72:73], v[206:207], v[90:91]
	v_add_f64 v[0:1], v[0:1], v[24:25]
	v_fmac_f64_e32 v[32:33], v[114:115], v[8:9]
	v_accvgpr_read_b32 v8, a134
	v_accvgpr_write_b32 a157, v15
	v_fma_f64 v[16:17], v[204:205], v[88:89], -v[72:73]
	v_mul_f64 v[88:89], v[222:223], v[122:123]
	v_add_f64 v[0:1], v[0:1], v[32:33]
	v_mul_f64 v[32:33], v[226:227], v[126:127]
	v_accvgpr_read_b32 v10, a136
	v_accvgpr_read_b32 v11, a137
	v_accvgpr_write_b32 a156, v14
	v_accvgpr_write_b32 a155, v13
	;; [unrolled: 1-line block ×3, first 2 shown]
	v_fma_f64 v[14:15], v[220:221], v[120:121], -v[88:89]
	v_fma_f64 v[32:33], v[224:225], v[124:125], -v[32:33]
	ds_read_b128 v[120:123], v2 offset:1600
	v_accvgpr_read_b32 v9, a135
	s_waitcnt lgkmcnt(1)
	v_mul_f64 v[124:125], v[116:117], v[10:11]
	v_fmac_f64_e32 v[124:125], v[118:119], v[8:9]
	v_add_f64 v[0:1], v[0:1], v[124:125]
	v_mul_f64 v[124:125], v[230:231], v[130:131]
	v_fma_f64 v[12:13], v[228:229], v[128:129], -v[124:125]
	ds_read_b128 v[124:127], v2 offset:1616
	ds_read_b128 v[128:131], v2 offset:1632
	v_accvgpr_read_b32 v8, a138
	v_accvgpr_write_b32 a153, v43
	v_accvgpr_read_b32 v10, a140
	v_accvgpr_read_b32 v11, a141
	v_accvgpr_write_b32 a152, v42
	v_accvgpr_write_b32 a151, v41
	;; [unrolled: 1-line block ×3, first 2 shown]
	v_accvgpr_read_b32 v9, a139
	s_waitcnt lgkmcnt(2)
	v_mul_f64 v[42:43], v[120:121], v[10:11]
	v_fmac_f64_e32 v[42:43], v[122:123], v[8:9]
	v_accvgpr_read_b32 v8, a142
	v_mul_f64 v[68:69], v[138:139], v[82:83]
	v_accvgpr_read_b32 v10, a144
	v_accvgpr_read_b32 v11, a145
	v_fma_f64 v[18:19], v[136:137], v[80:81], -v[68:69]
	v_accvgpr_read_b32 v9, a143
	s_waitcnt lgkmcnt(1)
	v_mul_f64 v[136:137], v[124:125], v[10:11]
	v_fmac_f64_e32 v[136:137], v[126:127], v[8:9]
	s_waitcnt vmcnt(5)
	v_mov_b64_e32 v[8:9], v[140:141]
	v_add_f64 v[0:1], v[0:1], v[42:43]
	v_mov_b64_e32 v[10:11], v[142:143]
	v_accvgpr_write_b32 a161, v135
	v_add_f64 v[0:1], v[0:1], v[136:137]
	s_waitcnt lgkmcnt(0)
	v_mul_f64 v[136:137], v[128:129], v[10:11]
	v_accvgpr_write_b32 a160, v134
	v_accvgpr_write_b32 a159, v133
	;; [unrolled: 1-line block ×3, first 2 shown]
	ds_read_b128 v[132:135], v2 offset:1648
	v_fmac_f64_e32 v[136:137], v[130:131], v[8:9]
	v_mul_f64 v[42:43], v[234:235], v[166:167]
	v_add_f64 v[0:1], v[0:1], v[136:137]
	v_mul_f64 v[136:137], v[238:239], v[182:183]
	v_fma_f64 v[42:43], v[232:233], v[164:165], -v[42:43]
	v_fma_f64 v[232:233], v[236:237], v[180:181], -v[136:137]
	ds_read_b128 v[136:139], v2 offset:1664
	v_accvgpr_read_b32 v8, a146
	v_accvgpr_write_b32 a165, v143
	v_accvgpr_read_b32 v10, a148
	v_accvgpr_read_b32 v11, a149
	v_accvgpr_write_b32 a164, v142
	v_accvgpr_write_b32 a163, v141
	;; [unrolled: 1-line block ×3, first 2 shown]
	v_accvgpr_read_b32 v9, a147
	s_waitcnt lgkmcnt(1)
	v_mul_f64 v[140:141], v[132:133], v[10:11]
	v_fmac_f64_e32 v[140:141], v[134:135], v[8:9]
	v_add_f64 v[0:1], v[0:1], v[140:141]
	v_mul_f64 v[140:141], v[178:179], v[186:187]
	s_waitcnt vmcnt(4) lgkmcnt(0)
	v_mul_f64 v[144:145], v[136:137], v[50:51]
	scratch_load_dwordx4 v[68:71], off, off offset:784
	v_fma_f64 v[234:235], v[176:177], v[184:185], -v[140:141]
	ds_read_b128 v[140:143], v2 offset:1680
	v_fmac_f64_e32 v[144:145], v[138:139], v[48:49]
	v_add_f64 v[0:1], v[0:1], v[144:145]
	ds_read_b128 v[144:147], v2 offset:1696
	scratch_load_dwordx4 v[72:75], off, off offset:800
	scratch_load_dwordx4 v[76:79], off, off offset:816
	s_waitcnt vmcnt(6) lgkmcnt(1)
	v_mul_f64 v[156:157], v[140:141], v[54:55]
	v_fmac_f64_e32 v[156:157], v[142:143], v[52:53]
	v_mul_f64 v[150:151], v[150:151], v[190:191]
	s_waitcnt vmcnt(5) lgkmcnt(0)
	v_mul_f64 v[40:41], v[144:145], v[58:59]
	scratch_load_dwordx4 v[80:83], off, off offset:832
	scratch_load_dwordx4 v[88:91], off, off offset:848
	v_add_f64 v[0:1], v[0:1], v[156:157]
	v_fma_f64 v[10:11], v[148:149], v[188:189], -v[150:151]
	ds_read_b128 v[148:151], v2 offset:1712
	v_fmac_f64_e32 v[40:41], v[146:147], v[56:57]
	v_add_f64 v[0:1], v[0:1], v[40:41]
	v_mul_f64 v[40:41], v[242:243], v[194:195]
	v_fma_f64 v[40:41], v[240:241], v[192:193], -v[40:41]
	ds_read_b128 v[240:243], v2 offset:1728
	v_mul_f64 v[24:25], v[214:215], v[94:95]
	v_fma_f64 v[24:25], v[212:213], v[92:93], -v[24:25]
	scratch_load_dwordx4 v[92:95], off, off offset:864
	scratch_load_dwordx4 v[180:183], off, off offset:880
	s_waitcnt vmcnt(8) lgkmcnt(1)
	v_mul_f64 v[164:165], v[148:149], v[62:63]
	v_fmac_f64_e32 v[164:165], v[150:151], v[60:61]
	v_add_f64 v[0:1], v[0:1], v[164:165]
	s_waitcnt vmcnt(7) lgkmcnt(0)
	v_mul_f64 v[164:165], v[240:241], v[66:67]
	v_fmac_f64_e32 v[164:165], v[242:243], v[64:65]
	scratch_load_dwordx4 v[188:191], off, off offset:896
	v_add_f64 v[0:1], v[0:1], v[164:165]
	v_mul_f64 v[164:165], v[246:247], v[198:199]
	v_fma_f64 v[8:9], v[244:245], v[196:197], -v[164:165]
	scratch_load_dwordx4 v[196:199], off, off offset:912
	scratch_load_dwordx4 v[204:207], off, off offset:928
	;; [unrolled: 1-line block ×5, first 2 shown]
	ds_read_b128 v[156:159], v2 offset:1744
	ds_read_b128 v[244:247], v2 offset:1760
	;; [unrolled: 1-line block ×4, first 2 shown]
	v_mul_f64 v[6:7], v[6:7], v[210:211]
	ds_read_b128 v[176:179], v2 offset:1824
	ds_read_b128 v[184:187], v2 offset:1840
	;; [unrolled: 1-line block ×5, first 2 shown]
	s_waitcnt vmcnt(12) lgkmcnt(8)
	v_mul_f64 v[44:45], v[156:157], v[70:71]
	v_fmac_f64_e32 v[44:45], v[158:159], v[68:69]
	v_add_f64 v[0:1], v[0:1], v[44:45]
	v_mul_f64 v[44:45], v[252:253], v[202:203]
	v_fma_f64 v[238:239], v[250:251], v[200:201], -v[44:45]
	v_fma_f64 v[250:251], v[4:5], v[208:209], -v[6:7]
	s_waitcnt vmcnt(11) lgkmcnt(7)
	v_mul_f64 v[44:45], v[244:245], v[74:75]
	v_fmac_f64_e32 v[44:45], v[246:247], v[72:73]
	ds_read_b128 v[4:7], v2 offset:1808
	v_add_f64 v[0:1], v[0:1], v[44:45]
	s_waitcnt vmcnt(10) lgkmcnt(7)
	v_mul_f64 v[44:45], v[164:165], v[78:79]
	v_fmac_f64_e32 v[44:45], v[166:167], v[76:77]
	v_add_f64 v[0:1], v[0:1], v[44:45]
	s_waitcnt vmcnt(9) lgkmcnt(6)
	v_mul_f64 v[44:45], v[168:169], v[82:83]
	v_fmac_f64_e32 v[44:45], v[170:171], v[80:81]
	;; [unrolled: 4-line block ×3, first 2 shown]
	v_add_f64 v[0:1], v[0:1], v[44:45]
	ds_read_b128 v[200:203], v2 offset:1872
	ds_read_b128 v[208:211], v2 offset:1888
	v_mul_f64 v[6:7], v[6:7], v[90:91]
	v_fma_f64 v[4:5], v[4:5], v[88:89], -v[6:7]
	s_waitcnt vmcnt(7)
	v_mul_f64 v[44:45], v[176:177], v[94:95]
	v_fmac_f64_e32 v[44:45], v[178:179], v[92:93]
	v_add_f64 v[0:1], v[0:1], v[44:45]
	s_waitcnt vmcnt(6)
	v_mul_f64 v[44:45], v[184:185], v[182:183]
	v_fmac_f64_e32 v[44:45], v[186:187], v[180:181]
	v_add_f64 v[0:1], v[0:1], v[44:45]
	v_mul_f64 v[6:7], v[178:179], v[94:95]
	s_waitcnt vmcnt(5)
	v_mul_f64 v[44:45], v[192:193], v[190:191]
	v_fmac_f64_e32 v[44:45], v[194:195], v[188:189]
	v_add_f64 v[0:1], v[0:1], v[44:45]
	v_fma_f64 v[6:7], v[176:177], v[92:93], -v[6:7]
	s_waitcnt vmcnt(4) lgkmcnt(1)
	v_mul_f64 v[44:45], v[200:201], v[198:199]
	v_fmac_f64_e32 v[44:45], v[202:203], v[196:197]
	v_add_f64 v[0:1], v[0:1], v[44:45]
	s_waitcnt vmcnt(3) lgkmcnt(0)
	v_mul_f64 v[44:45], v[208:209], v[206:207]
	v_fmac_f64_e32 v[44:45], v[210:211], v[204:205]
	v_add_f64 v[0:1], v[0:1], v[44:45]
	s_waitcnt vmcnt(2)
	v_mul_f64 v[44:45], v[216:217], v[214:215]
	v_fmac_f64_e32 v[44:45], v[218:219], v[212:213]
	v_add_f64 v[0:1], v[0:1], v[44:45]
	s_waitcnt vmcnt(1)
	v_mul_f64 v[44:45], v[224:225], v[222:223]
	v_fmac_f64_e32 v[44:45], v[226:227], v[220:221]
	v_add_f64 v[44:45], v[0:1], v[44:45]
	ds_read_b128 v[0:3], v2 offset:1936
	s_waitcnt vmcnt(0) lgkmcnt(0)
	v_mul_f64 v[236:237], v[0:1], v[230:231]
	v_fmac_f64_e32 v[236:237], v[2:3], v[228:229]
	v_add_f64 v[236:237], v[44:45], v[236:237]
	v_add_f64 v[44:45], v[248:249], 0
	;; [unrolled: 1-line block ×27, first 2 shown]
	scratch_load_dwordx4 v[232:235], off, off offset:16
	v_add_f64 v[10:11], v[12:13], v[10:11]
	v_accvgpr_read_b32 v12, a150
	v_add_f64 v[10:11], v[10:11], v[40:41]
	v_accvgpr_read_b32 v14, a152
	v_accvgpr_read_b32 v15, a153
	v_add_f64 v[252:253], v[10:11], v[8:9]
	v_accvgpr_read_b32 v13, a151
	v_mul_f64 v[10:11], v[86:87], v[14:15]
	v_add_f64 v[8:9], v[252:253], v[238:239]
	v_fma_f64 v[10:11], v[84:85], v[12:13], -v[10:11]
	v_accvgpr_read_b32 v12, a122
	v_add_f64 v[8:9], v[8:9], v[250:251]
	v_accvgpr_read_b32 v14, a124
	v_accvgpr_read_b32 v15, a125
	v_add_f64 v[8:9], v[8:9], v[10:11]
	v_accvgpr_read_b32 v13, a123
	v_mul_f64 v[10:11], v[98:99], v[14:15]
	v_fma_f64 v[10:11], v[96:97], v[12:13], -v[10:11]
	v_accvgpr_read_b32 v12, a126
	v_accvgpr_read_b32 v14, a128
	v_accvgpr_read_b32 v15, a129
	v_add_f64 v[8:9], v[8:9], v[10:11]
	v_accvgpr_read_b32 v13, a127
	v_mul_f64 v[10:11], v[102:103], v[14:15]
	v_fma_f64 v[10:11], v[100:101], v[12:13], -v[10:11]
	v_accvgpr_read_b32 v12, a130
	v_accvgpr_read_b32 v14, a132
	v_accvgpr_read_b32 v15, a133
	v_add_f64 v[8:9], v[8:9], v[10:11]
	v_accvgpr_read_b32 v13, a131
	v_mul_f64 v[10:11], v[106:107], v[14:15]
	v_fma_f64 v[10:11], v[104:105], v[12:13], -v[10:11]
	v_accvgpr_read_b32 v12, a154
	v_accvgpr_read_b32 v14, a156
	v_accvgpr_read_b32 v15, a157
	v_add_f64 v[8:9], v[8:9], v[10:11]
	v_accvgpr_read_b32 v13, a155
	v_mul_f64 v[10:11], v[110:111], v[14:15]
	v_fma_f64 v[10:11], v[108:109], v[12:13], -v[10:11]
	v_accvgpr_read_b32 v12, a158
	v_accvgpr_read_b32 v14, a160
	v_accvgpr_read_b32 v15, a161
	v_add_f64 v[8:9], v[8:9], v[10:11]
	v_accvgpr_read_b32 v13, a159
	v_mul_f64 v[10:11], v[114:115], v[14:15]
	v_fma_f64 v[10:11], v[112:113], v[12:13], -v[10:11]
	v_accvgpr_read_b32 v12, a134
	v_accvgpr_read_b32 v14, a136
	v_accvgpr_read_b32 v15, a137
	v_add_f64 v[8:9], v[8:9], v[10:11]
	v_accvgpr_read_b32 v13, a135
	v_mul_f64 v[10:11], v[118:119], v[14:15]
	v_fma_f64 v[10:11], v[116:117], v[12:13], -v[10:11]
	v_accvgpr_read_b32 v12, a138
	v_accvgpr_read_b32 v14, a140
	v_accvgpr_read_b32 v15, a141
	v_add_f64 v[8:9], v[8:9], v[10:11]
	v_accvgpr_read_b32 v13, a139
	v_mul_f64 v[10:11], v[122:123], v[14:15]
	v_fma_f64 v[10:11], v[120:121], v[12:13], -v[10:11]
	v_accvgpr_read_b32 v12, a142
	v_accvgpr_read_b32 v14, a144
	v_accvgpr_read_b32 v15, a145
	v_add_f64 v[8:9], v[8:9], v[10:11]
	v_accvgpr_read_b32 v13, a143
	v_mul_f64 v[10:11], v[126:127], v[14:15]
	v_fma_f64 v[10:11], v[124:125], v[12:13], -v[10:11]
	v_accvgpr_read_b32 v12, a162
	v_accvgpr_read_b32 v14, a164
	v_accvgpr_read_b32 v15, a165
	v_add_f64 v[8:9], v[8:9], v[10:11]
	v_accvgpr_read_b32 v13, a163
	v_mul_f64 v[10:11], v[130:131], v[14:15]
	v_fma_f64 v[10:11], v[128:129], v[12:13], -v[10:11]
	v_accvgpr_read_b32 v12, a146
	v_accvgpr_read_b32 v14, a148
	v_accvgpr_read_b32 v15, a149
	v_add_f64 v[8:9], v[8:9], v[10:11]
	v_accvgpr_read_b32 v13, a147
	v_mul_f64 v[10:11], v[134:135], v[14:15]
	v_fma_f64 v[10:11], v[132:133], v[12:13], -v[10:11]
	v_add_f64 v[8:9], v[8:9], v[10:11]
	v_mul_f64 v[10:11], v[138:139], v[50:51]
	v_fma_f64 v[10:11], v[136:137], v[48:49], -v[10:11]
	v_add_f64 v[8:9], v[8:9], v[10:11]
	;; [unrolled: 3-line block ×10, first 2 shown]
	v_add_f64 v[4:5], v[8:9], v[4:5]
	v_add_f64 v[4:5], v[4:5], v[6:7]
	v_mul_f64 v[6:7], v[186:187], v[182:183]
	v_fma_f64 v[6:7], v[184:185], v[180:181], -v[6:7]
	v_add_f64 v[4:5], v[4:5], v[6:7]
	v_mul_f64 v[6:7], v[194:195], v[190:191]
	v_fma_f64 v[6:7], v[192:193], v[188:189], -v[6:7]
	;; [unrolled: 3-line block ×6, first 2 shown]
	v_mul_f64 v[2:3], v[2:3], v[230:231]
	v_add_f64 v[4:5], v[4:5], v[6:7]
	v_fma_f64 v[0:1], v[0:1], v[228:229], -v[2:3]
	v_add_f64 v[0:1], v[4:5], v[0:1]
	s_waitcnt vmcnt(0)
	v_add_f64 v[0:1], v[232:233], -v[0:1]
	v_add_f64 v[2:3], v[234:235], -v[236:237]
	scratch_store_dwordx4 off, v[0:3], off offset:16
	s_cbranch_vccz .LBB60_512
; %bb.392:
	s_nop 0
	v_mov_b32_e32 v0, 0
	global_load_dword v1, v0, s[16:17] offset:236
	s_waitcnt vmcnt(0)
	v_readfirstlane_b32 s0, v1
	s_add_i32 s0, s0, -1
	s_cmp_lg_u32 s0, 59
	s_cbranch_scc0 .LBB60_394
; %bb.393:
	s_lshl_b32 s0, s0, 4
	s_add_i32 s0, s0, 16
	scratch_load_dwordx4 v[2:5], off, s0
	scratch_load_dwordx4 v[6:9], off, s85
	s_waitcnt vmcnt(1)
	scratch_store_dwordx4 off, v[2:5], s85
	s_waitcnt vmcnt(1)
	scratch_store_dwordx4 off, v[6:9], s0
.LBB60_394:
	global_load_dword v0, v0, s[16:17] offset:232
	s_waitcnt vmcnt(0)
	v_readfirstlane_b32 s0, v0
	s_add_i32 s0, s0, -1
	s_cmp_eq_u32 s0, 58
	s_cbranch_scc1 .LBB60_396
; %bb.395:
	s_lshl_b32 s0, s0, 4
	s_add_i32 s0, s0, 16
	scratch_load_dwordx4 v[0:3], off, s0
	scratch_load_dwordx4 v[4:7], off, s84
	s_waitcnt vmcnt(1)
	scratch_store_dwordx4 off, v[0:3], s84
	s_waitcnt vmcnt(1)
	scratch_store_dwordx4 off, v[4:7], s0
.LBB60_396:
	v_mov_b32_e32 v0, 0
	global_load_dword v1, v0, s[16:17] offset:228
	s_waitcnt vmcnt(0)
	v_readfirstlane_b32 s0, v1
	s_add_i32 s0, s0, -1
	s_cmp_eq_u32 s0, 57
	s_cbranch_scc1 .LBB60_398
; %bb.397:
	s_lshl_b32 s0, s0, 4
	s_add_i32 s0, s0, 16
	scratch_load_dwordx4 v[2:5], off, s0
	scratch_load_dwordx4 v[6:9], off, s83
	s_waitcnt vmcnt(1)
	scratch_store_dwordx4 off, v[2:5], s83
	s_waitcnt vmcnt(1)
	scratch_store_dwordx4 off, v[6:9], s0
.LBB60_398:
	global_load_dword v0, v0, s[16:17] offset:224
	s_waitcnt vmcnt(0)
	v_readfirstlane_b32 s0, v0
	s_add_i32 s0, s0, -1
	s_cmp_eq_u32 s0, 56
	s_cbranch_scc1 .LBB60_400
; %bb.399:
	s_lshl_b32 s0, s0, 4
	s_add_i32 s0, s0, 16
	scratch_load_dwordx4 v[0:3], off, s0
	scratch_load_dwordx4 v[4:7], off, s82
	s_waitcnt vmcnt(1)
	scratch_store_dwordx4 off, v[0:3], s82
	s_waitcnt vmcnt(1)
	scratch_store_dwordx4 off, v[4:7], s0
.LBB60_400:
	v_mov_b32_e32 v0, 0
	global_load_dword v1, v0, s[16:17] offset:220
	s_waitcnt vmcnt(0)
	v_readfirstlane_b32 s0, v1
	s_add_i32 s0, s0, -1
	s_cmp_eq_u32 s0, 55
	s_cbranch_scc1 .LBB60_402
; %bb.401:
	s_lshl_b32 s0, s0, 4
	s_add_i32 s0, s0, 16
	scratch_load_dwordx4 v[2:5], off, s0
	scratch_load_dwordx4 v[6:9], off, s80
	s_waitcnt vmcnt(1)
	scratch_store_dwordx4 off, v[2:5], s80
	s_waitcnt vmcnt(1)
	scratch_store_dwordx4 off, v[6:9], s0
.LBB60_402:
	;; [unrolled: 33-line block ×29, first 2 shown]
	global_load_dword v0, v0, s[16:17]
	s_waitcnt vmcnt(0)
	v_readfirstlane_b32 s0, v0
	s_add_i32 s0, s0, -1
	s_cmp_eq_u32 s0, 0
	s_cbranch_scc1 .LBB60_512
; %bb.511:
	s_lshl_b32 s0, s0, 4
	s_add_i32 s0, s0, 16
	scratch_load_dwordx4 v[0:3], off, s0
	scratch_load_dwordx4 v[4:7], off, off offset:16
	s_waitcnt vmcnt(1)
	scratch_store_dwordx4 off, v[0:3], off offset:16
	s_waitcnt vmcnt(1)
	scratch_store_dwordx4 off, v[4:7], s0
.LBB60_512:
	scratch_load_dwordx4 v[0:3], off, off offset:16
	s_nop 0
	scratch_load_dwordx4 v[4:7], off, s33
	scratch_load_dwordx4 v[8:11], off, s31
	;; [unrolled: 1-line block ×30, first 2 shown]
	v_accvgpr_read_b32 v125, a1
	v_accvgpr_read_b32 v124, a0
	v_accvgpr_read_b32 v129, a3
	v_accvgpr_read_b32 v128, a2
	v_accvgpr_read_b32 v133, a5
	v_accvgpr_read_b32 v132, a4
	v_accvgpr_read_b32 v137, a7
	v_accvgpr_read_b32 v136, a6
	v_accvgpr_read_b32 v141, a13
	v_accvgpr_read_b32 v140, a12
	v_accvgpr_read_b32 v145, a15
	v_accvgpr_read_b32 v144, a14
	v_accvgpr_read_b32 v149, a21
	v_accvgpr_read_b32 v148, a20
	v_accvgpr_read_b32 v153, a23
	v_accvgpr_read_b32 v152, a22
	v_accvgpr_read_b32 v157, a29
	v_accvgpr_read_b32 v156, a28
	v_accvgpr_read_b32 v161, a31
	v_accvgpr_read_b32 v160, a30
	v_accvgpr_read_b32 v165, a37
	v_accvgpr_read_b32 v164, a36
	v_accvgpr_read_b32 v169, a39
	v_accvgpr_read_b32 v168, a38
	s_waitcnt vmcnt(30)
	global_store_dwordx4 v[124:125], v[0:3], off
	scratch_load_dwordx4 v[0:3], off, s57
	s_nop 0
	scratch_load_dwordx4 v[124:127], off, s58
	s_waitcnt vmcnt(32)
	global_store_dwordx4 v[128:129], v[4:7], off
	scratch_load_dwordx4 v[4:7], off, s59
	s_nop 0
	scratch_load_dwordx4 v[128:131], off, s60
	s_waitcnt vmcnt(34)
	global_store_dwordx4 v[132:133], v[8:11], off
	scratch_load_dwordx4 v[8:11], off, s61
	s_nop 0
	scratch_load_dwordx4 v[132:135], off, s63
	s_waitcnt vmcnt(36)
	global_store_dwordx4 v[136:137], v[12:15], off
	v_accvgpr_read_b32 v137, a11
	v_accvgpr_read_b32 v136, a10
	v_accvgpr_read_b32 v13, a9
	v_accvgpr_read_b32 v12, a8
	s_waitcnt vmcnt(36)
	global_store_dwordx4 v[12:13], v[16:19], off
	scratch_load_dwordx4 v[12:15], off, s62
	s_nop 0
	scratch_load_dwordx4 v[16:19], off, s64
	s_waitcnt vmcnt(38)
	global_store_dwordx4 v[136:137], v[20:23], off
	scratch_load_dwordx4 v[20:23], off, s65
	s_nop 0
	scratch_load_dwordx4 v[136:139], off, s66
	s_waitcnt vmcnt(40)
	global_store_dwordx4 v[140:141], v[24:27], off
	scratch_load_dwordx4 v[24:27], off, s67
	s_nop 0
	scratch_load_dwordx4 v[140:143], off, s69
	s_waitcnt vmcnt(42)
	global_store_dwordx4 v[144:145], v[28:31], off
	v_accvgpr_read_b32 v145, a19
	v_accvgpr_read_b32 v144, a18
	v_accvgpr_read_b32 v29, a17
	v_accvgpr_read_b32 v28, a16
	;; [unrolled: 21-line block ×4, first 2 shown]
	s_waitcnt vmcnt(54)
	global_store_dwordx4 v[60:61], v[64:67], off
	scratch_load_dwordx4 v[60:63], off, s80
	s_nop 0
	scratch_load_dwordx4 v[64:67], off, s82
	s_waitcnt vmcnt(56)
	global_store_dwordx4 v[160:161], v[68:71], off
	scratch_load_dwordx4 v[68:71], off, s83
	s_nop 0
	scratch_load_dwordx4 v[160:163], off, s84
	;; [unrolled: 5-line block ×3, first 2 shown]
	s_waitcnt vmcnt(60)
	global_store_dwordx4 v[168:169], v[76:79], off
	s_nop 1
	v_accvgpr_read_b32 v77, a41
	v_accvgpr_read_b32 v76, a40
	s_waitcnt vmcnt(60)
	global_store_dwordx4 v[76:77], v[80:83], off
	v_accvgpr_read_b32 v77, a43
	v_accvgpr_read_b32 v76, a42
	s_waitcnt vmcnt(60)
	global_store_dwordx4 v[76:77], v[84:87], off
	;; [unrolled: 4-line block ×12, first 2 shown]
	s_nop 1
	v_accvgpr_read_b32 v0, a64
	v_accvgpr_read_b32 v1, a65
	s_waitcnt vmcnt(59)
	global_store_dwordx4 v[0:1], v[124:127], off
	v_accvgpr_read_b32 v0, a66
	v_accvgpr_read_b32 v1, a67
	s_waitcnt vmcnt(58)
	global_store_dwordx4 v[0:1], v[4:7], off
	v_accvgpr_read_b32 v0, a68
	v_accvgpr_read_b32 v1, a69
	s_waitcnt vmcnt(58)
	global_store_dwordx4 v[0:1], v[128:131], off
	v_accvgpr_read_b32 v0, a70
	v_accvgpr_read_b32 v1, a71
	s_waitcnt vmcnt(57)
	global_store_dwordx4 v[0:1], v[8:11], off
	v_accvgpr_read_b32 v0, a72
	v_accvgpr_read_b32 v1, a73
	s_waitcnt vmcnt(57)
	global_store_dwordx4 v[0:1], v[132:135], off
	v_accvgpr_read_b32 v0, a74
	v_accvgpr_read_b32 v1, a75
	s_waitcnt vmcnt(55)
	global_store_dwordx4 v[0:1], v[12:15], off
	v_accvgpr_read_b32 v0, a76
	v_accvgpr_read_b32 v1, a77
	s_waitcnt vmcnt(55)
	global_store_dwordx4 v[0:1], v[16:19], off
	v_accvgpr_read_b32 v0, a78
	v_accvgpr_read_b32 v1, a79
	s_waitcnt vmcnt(54)
	global_store_dwordx4 v[0:1], v[20:23], off
	v_accvgpr_read_b32 v0, a80
	v_accvgpr_read_b32 v1, a81
	s_waitcnt vmcnt(54)
	global_store_dwordx4 v[0:1], v[136:139], off
	v_accvgpr_read_b32 v0, a82
	v_accvgpr_read_b32 v1, a83
	s_waitcnt vmcnt(53)
	global_store_dwordx4 v[0:1], v[24:27], off
	v_accvgpr_read_b32 v0, a84
	v_accvgpr_read_b32 v1, a85
	s_waitcnt vmcnt(53)
	global_store_dwordx4 v[0:1], v[140:143], off
	v_accvgpr_read_b32 v0, a86
	v_accvgpr_read_b32 v1, a87
	s_waitcnt vmcnt(51)
	global_store_dwordx4 v[0:1], v[28:31], off
	v_accvgpr_read_b32 v0, a88
	v_accvgpr_read_b32 v1, a89
	s_waitcnt vmcnt(51)
	global_store_dwordx4 v[0:1], v[32:35], off
	v_accvgpr_read_b32 v0, a90
	v_accvgpr_read_b32 v1, a91
	s_waitcnt vmcnt(50)
	global_store_dwordx4 v[0:1], v[36:39], off
	v_accvgpr_read_b32 v0, a92
	v_accvgpr_read_b32 v1, a93
	s_waitcnt vmcnt(50)
	global_store_dwordx4 v[0:1], v[144:147], off
	v_accvgpr_read_b32 v0, a94
	v_accvgpr_read_b32 v1, a95
	s_waitcnt vmcnt(49)
	global_store_dwordx4 v[0:1], v[40:43], off
	v_accvgpr_read_b32 v0, a96
	v_accvgpr_read_b32 v1, a97
	s_waitcnt vmcnt(49)
	global_store_dwordx4 v[0:1], v[148:151], off
	v_accvgpr_read_b32 v0, a98
	v_accvgpr_read_b32 v1, a99
	s_waitcnt vmcnt(47)
	global_store_dwordx4 v[0:1], v[44:47], off
	v_accvgpr_read_b32 v0, a100
	v_accvgpr_read_b32 v1, a101
	s_waitcnt vmcnt(47)
	global_store_dwordx4 v[0:1], v[48:51], off
	v_accvgpr_read_b32 v0, a102
	v_accvgpr_read_b32 v1, a103
	s_waitcnt vmcnt(46)
	global_store_dwordx4 v[0:1], v[52:55], off
	v_accvgpr_read_b32 v0, a104
	v_accvgpr_read_b32 v1, a105
	s_waitcnt vmcnt(46)
	global_store_dwordx4 v[0:1], v[152:155], off
	v_accvgpr_read_b32 v0, a106
	v_accvgpr_read_b32 v1, a107
	s_waitcnt vmcnt(45)
	global_store_dwordx4 v[0:1], v[56:59], off
	v_accvgpr_read_b32 v0, a108
	v_accvgpr_read_b32 v1, a109
	s_waitcnt vmcnt(45)
	global_store_dwordx4 v[0:1], v[156:159], off
	v_accvgpr_read_b32 v0, a110
	v_accvgpr_read_b32 v1, a111
	s_waitcnt vmcnt(43)
	global_store_dwordx4 v[0:1], v[60:63], off
	v_accvgpr_read_b32 v0, a112
	v_accvgpr_read_b32 v1, a113
	s_waitcnt vmcnt(43)
	global_store_dwordx4 v[0:1], v[64:67], off
	v_accvgpr_read_b32 v0, a114
	v_accvgpr_read_b32 v1, a115
	s_waitcnt vmcnt(42)
	global_store_dwordx4 v[0:1], v[68:71], off
	v_accvgpr_read_b32 v0, a116
	v_accvgpr_read_b32 v1, a117
	s_waitcnt vmcnt(42)
	global_store_dwordx4 v[0:1], v[160:163], off
	v_accvgpr_read_b32 v0, a118
	v_accvgpr_read_b32 v1, a119
	s_waitcnt vmcnt(41)
	global_store_dwordx4 v[0:1], v[72:75], off
	v_accvgpr_read_b32 v0, a120
	v_accvgpr_read_b32 v1, a121
	s_waitcnt vmcnt(41)
	global_store_dwordx4 v[0:1], v[164:167], off
	s_endpgm
	.section	.rodata,"a",@progbits
	.p2align	6, 0x0
	.amdhsa_kernel _ZN9rocsolver6v33100L18getri_kernel_smallILi61E19rocblas_complex_numIdEPS3_EEvT1_iilPiilS6_bb
		.amdhsa_group_segment_fixed_size 1960
		.amdhsa_private_segment_fixed_size 1008
		.amdhsa_kernarg_size 60
		.amdhsa_user_sgpr_count 2
		.amdhsa_user_sgpr_dispatch_ptr 0
		.amdhsa_user_sgpr_queue_ptr 0
		.amdhsa_user_sgpr_kernarg_segment_ptr 1
		.amdhsa_user_sgpr_dispatch_id 0
		.amdhsa_user_sgpr_kernarg_preload_length 0
		.amdhsa_user_sgpr_kernarg_preload_offset 0
		.amdhsa_user_sgpr_private_segment_size 0
		.amdhsa_uses_dynamic_stack 0
		.amdhsa_enable_private_segment 1
		.amdhsa_system_sgpr_workgroup_id_x 1
		.amdhsa_system_sgpr_workgroup_id_y 0
		.amdhsa_system_sgpr_workgroup_id_z 0
		.amdhsa_system_sgpr_workgroup_info 0
		.amdhsa_system_vgpr_workitem_id 0
		.amdhsa_next_free_vgpr 422
		.amdhsa_next_free_sgpr 87
		.amdhsa_accum_offset 256
		.amdhsa_reserve_vcc 1
		.amdhsa_float_round_mode_32 0
		.amdhsa_float_round_mode_16_64 0
		.amdhsa_float_denorm_mode_32 3
		.amdhsa_float_denorm_mode_16_64 3
		.amdhsa_dx10_clamp 1
		.amdhsa_ieee_mode 1
		.amdhsa_fp16_overflow 0
		.amdhsa_tg_split 0
		.amdhsa_exception_fp_ieee_invalid_op 0
		.amdhsa_exception_fp_denorm_src 0
		.amdhsa_exception_fp_ieee_div_zero 0
		.amdhsa_exception_fp_ieee_overflow 0
		.amdhsa_exception_fp_ieee_underflow 0
		.amdhsa_exception_fp_ieee_inexact 0
		.amdhsa_exception_int_div_zero 0
	.end_amdhsa_kernel
	.section	.text._ZN9rocsolver6v33100L18getri_kernel_smallILi61E19rocblas_complex_numIdEPS3_EEvT1_iilPiilS6_bb,"axG",@progbits,_ZN9rocsolver6v33100L18getri_kernel_smallILi61E19rocblas_complex_numIdEPS3_EEvT1_iilPiilS6_bb,comdat
.Lfunc_end60:
	.size	_ZN9rocsolver6v33100L18getri_kernel_smallILi61E19rocblas_complex_numIdEPS3_EEvT1_iilPiilS6_bb, .Lfunc_end60-_ZN9rocsolver6v33100L18getri_kernel_smallILi61E19rocblas_complex_numIdEPS3_EEvT1_iilPiilS6_bb
                                        ; -- End function
	.set _ZN9rocsolver6v33100L18getri_kernel_smallILi61E19rocblas_complex_numIdEPS3_EEvT1_iilPiilS6_bb.num_vgpr, 256
	.set _ZN9rocsolver6v33100L18getri_kernel_smallILi61E19rocblas_complex_numIdEPS3_EEvT1_iilPiilS6_bb.num_agpr, 166
	.set _ZN9rocsolver6v33100L18getri_kernel_smallILi61E19rocblas_complex_numIdEPS3_EEvT1_iilPiilS6_bb.numbered_sgpr, 87
	.set _ZN9rocsolver6v33100L18getri_kernel_smallILi61E19rocblas_complex_numIdEPS3_EEvT1_iilPiilS6_bb.num_named_barrier, 0
	.set _ZN9rocsolver6v33100L18getri_kernel_smallILi61E19rocblas_complex_numIdEPS3_EEvT1_iilPiilS6_bb.private_seg_size, 1008
	.set _ZN9rocsolver6v33100L18getri_kernel_smallILi61E19rocblas_complex_numIdEPS3_EEvT1_iilPiilS6_bb.uses_vcc, 1
	.set _ZN9rocsolver6v33100L18getri_kernel_smallILi61E19rocblas_complex_numIdEPS3_EEvT1_iilPiilS6_bb.uses_flat_scratch, 0
	.set _ZN9rocsolver6v33100L18getri_kernel_smallILi61E19rocblas_complex_numIdEPS3_EEvT1_iilPiilS6_bb.has_dyn_sized_stack, 0
	.set _ZN9rocsolver6v33100L18getri_kernel_smallILi61E19rocblas_complex_numIdEPS3_EEvT1_iilPiilS6_bb.has_recursion, 0
	.set _ZN9rocsolver6v33100L18getri_kernel_smallILi61E19rocblas_complex_numIdEPS3_EEvT1_iilPiilS6_bb.has_indirect_call, 0
	.section	.AMDGPU.csdata,"",@progbits
; Kernel info:
; codeLenInByte = 156992
; TotalNumSgprs: 93
; NumVgprs: 256
; NumAgprs: 166
; TotalNumVgprs: 422
; ScratchSize: 1008
; MemoryBound: 0
; FloatMode: 240
; IeeeMode: 1
; LDSByteSize: 1960 bytes/workgroup (compile time only)
; SGPRBlocks: 11
; VGPRBlocks: 52
; NumSGPRsForWavesPerEU: 93
; NumVGPRsForWavesPerEU: 422
; AccumOffset: 256
; Occupancy: 1
; WaveLimiterHint : 1
; COMPUTE_PGM_RSRC2:SCRATCH_EN: 1
; COMPUTE_PGM_RSRC2:USER_SGPR: 2
; COMPUTE_PGM_RSRC2:TRAP_HANDLER: 0
; COMPUTE_PGM_RSRC2:TGID_X_EN: 1
; COMPUTE_PGM_RSRC2:TGID_Y_EN: 0
; COMPUTE_PGM_RSRC2:TGID_Z_EN: 0
; COMPUTE_PGM_RSRC2:TIDIG_COMP_CNT: 0
; COMPUTE_PGM_RSRC3_GFX90A:ACCUM_OFFSET: 63
; COMPUTE_PGM_RSRC3_GFX90A:TG_SPLIT: 0
	.section	.text._ZN9rocsolver6v33100L18getri_kernel_smallILi62E19rocblas_complex_numIdEPS3_EEvT1_iilPiilS6_bb,"axG",@progbits,_ZN9rocsolver6v33100L18getri_kernel_smallILi62E19rocblas_complex_numIdEPS3_EEvT1_iilPiilS6_bb,comdat
	.globl	_ZN9rocsolver6v33100L18getri_kernel_smallILi62E19rocblas_complex_numIdEPS3_EEvT1_iilPiilS6_bb ; -- Begin function _ZN9rocsolver6v33100L18getri_kernel_smallILi62E19rocblas_complex_numIdEPS3_EEvT1_iilPiilS6_bb
	.p2align	8
	.type	_ZN9rocsolver6v33100L18getri_kernel_smallILi62E19rocblas_complex_numIdEPS3_EEvT1_iilPiilS6_bb,@function
_ZN9rocsolver6v33100L18getri_kernel_smallILi62E19rocblas_complex_numIdEPS3_EEvT1_iilPiilS6_bb: ; @_ZN9rocsolver6v33100L18getri_kernel_smallILi62E19rocblas_complex_numIdEPS3_EEvT1_iilPiilS6_bb
; %bb.0:
	v_mov_b32_e32 v248, v0
	v_cmp_gt_u32_e32 vcc, 62, v248
	s_and_saveexec_b64 s[4:5], vcc
	s_cbranch_execz .LBB61_274
; %bb.1:
	s_load_dword s4, s[0:1], 0x38
	s_load_dwordx4 s[12:15], s[0:1], 0x10
	s_load_dwordx4 s[8:11], s[0:1], 0x28
                                        ; implicit-def: $sgpr16_sgpr17
	s_waitcnt lgkmcnt(0)
	s_bitcmp1_b32 s4, 8
	s_cselect_b64 s[18:19], -1, 0
	s_ashr_i32 s3, s2, 31
	s_bfe_u32 s4, s4, 0x10008
	s_cmp_eq_u32 s4, 0
	s_cbranch_scc1 .LBB61_3
; %bb.2:
	s_load_dword s4, s[0:1], 0x20
	s_mul_i32 s5, s8, s3
	s_mul_hi_u32 s6, s8, s2
	s_mul_i32 s7, s9, s2
	s_add_i32 s6, s6, s5
	s_add_i32 s7, s6, s7
	s_mul_i32 s6, s8, s2
	s_waitcnt lgkmcnt(0)
	s_ashr_i32 s5, s4, 31
	s_lshl_b64 s[6:7], s[6:7], 2
	s_add_u32 s6, s14, s6
	s_addc_u32 s7, s15, s7
	s_lshl_b64 s[4:5], s[4:5], 2
	s_add_u32 s16, s6, s4
	s_addc_u32 s17, s7, s5
.LBB61_3:
	s_load_dwordx4 s[4:7], s[0:1], 0x0
	s_load_dword s8, s[0:1], 0x38
	s_mul_i32 s9, s12, s3
	s_mul_hi_u32 s14, s12, s2
	s_mul_i32 s12, s12, s2
	s_waitcnt lgkmcnt(0)
	s_ashr_i32 s1, s6, 31
	s_mov_b32 s0, s6
	s_add_i32 s6, s14, s9
	s_mul_i32 s9, s13, s2
	s_add_i32 s13, s6, s9
	s_lshl_b64 s[12:13], s[12:13], 4
	s_add_u32 s4, s4, s12
	s_addc_u32 s5, s5, s13
	s_lshl_b64 s[0:1], s[0:1], 4
	s_add_u32 s0, s4, s0
	s_addc_u32 s1, s5, s1
	v_lshlrev_b32_e32 v30, 4, v248
	v_mov_b32_e32 v31, 0
	v_lshl_add_u64 v[0:1], s[0:1], 0, v[30:31]
	s_ashr_i32 s5, s7, 31
	s_mov_b32 s4, s7
	v_accvgpr_write_b32 a0, v0
	v_accvgpr_write_b32 a1, v1
	v_lshl_add_u64 v[0:1], s[4:5], 4, v[0:1]
	s_add_i32 s4, s7, s7
	v_add_u32_e32 v14, s4, v248
	v_ashrrev_i32_e32 v15, 31, v14
	v_lshl_add_u64 v[10:11], v[14:15], 4, s[0:1]
	v_add_u32_e32 v14, s7, v14
	v_add_u32_e32 v22, s7, v14
	v_ashrrev_i32_e32 v23, 31, v22
	v_accvgpr_write_b32 a3, v1
	v_ashrrev_i32_e32 v15, 31, v14
	v_lshl_add_u64 v[18:19], v[22:23], 4, s[0:1]
	v_add_u32_e32 v22, s7, v22
	global_load_dwordx4 v[2:5], v30, s[0:1]
	global_load_dwordx4 v[6:9], v[0:1], off
	v_accvgpr_write_b32 a2, v0
	v_lshl_add_u64 v[0:1], v[14:15], 4, s[0:1]
	v_add_u32_e32 v32, s7, v22
	v_accvgpr_write_b32 a4, v10
	v_accvgpr_write_b32 a7, v1
	v_ashrrev_i32_e32 v23, 31, v22
	v_ashrrev_i32_e32 v33, 31, v32
	v_accvgpr_write_b32 a5, v11
	global_load_dwordx4 v[10:13], v[10:11], off
	v_accvgpr_write_b32 a6, v0
	global_load_dwordx4 v[14:17], v[0:1], off
	v_lshl_add_u64 v[0:1], v[22:23], 4, s[0:1]
	v_lshl_add_u64 v[26:27], v[32:33], 4, s[0:1]
	v_add_u32_e32 v32, s7, v32
	v_accvgpr_write_b32 a8, v18
	v_accvgpr_write_b32 a11, v1
	v_ashrrev_i32_e32 v33, 31, v32
	v_accvgpr_write_b32 a9, v19
	global_load_dwordx4 v[18:21], v[18:19], off
	v_accvgpr_write_b32 a10, v0
	global_load_dwordx4 v[22:25], v[0:1], off
	v_lshl_add_u64 v[0:1], v[32:33], 4, s[0:1]
	v_add_u32_e32 v32, s7, v32
	v_add_u32_e32 v40, s7, v32
	v_accvgpr_write_b32 a12, v26
	v_ashrrev_i32_e32 v33, 31, v32
	v_ashrrev_i32_e32 v41, 31, v40
	v_add_u32_e32 v42, s7, v40
	v_accvgpr_write_b32 a15, v1
	v_accvgpr_write_b32 a13, v27
	global_load_dwordx4 v[26:29], v[26:27], off
	v_lshl_add_u64 v[36:37], v[32:33], 4, s[0:1]
	v_accvgpr_write_b32 a14, v0
	global_load_dwordx4 v[32:35], v[0:1], off
	v_lshl_add_u64 v[0:1], v[40:41], 4, s[0:1]
	v_add_u32_e32 v48, s7, v42
	v_accvgpr_write_b32 a16, v36
	v_ashrrev_i32_e32 v43, 31, v42
	v_ashrrev_i32_e32 v49, 31, v48
	v_add_u32_e32 v50, s7, v48
	v_accvgpr_write_b32 a19, v1
	v_accvgpr_write_b32 a17, v37
	global_load_dwordx4 v[36:39], v[36:37], off
	v_lshl_add_u64 v[44:45], v[42:43], 4, s[0:1]
	v_accvgpr_write_b32 a18, v0
	global_load_dwordx4 v[40:43], v[0:1], off
	v_lshl_add_u64 v[0:1], v[48:49], 4, s[0:1]
	v_add_u32_e32 v56, s7, v50
	v_accvgpr_write_b32 a20, v44
	v_ashrrev_i32_e32 v51, 31, v50
	v_ashrrev_i32_e32 v57, 31, v56
	v_accvgpr_write_b32 a23, v1
	v_accvgpr_write_b32 a21, v45
	global_load_dwordx4 v[44:47], v[44:45], off
	v_lshl_add_u64 v[52:53], v[50:51], 4, s[0:1]
	v_accvgpr_write_b32 a22, v0
	global_load_dwordx4 v[48:51], v[0:1], off
	v_lshl_add_u64 v[0:1], v[56:57], 4, s[0:1]
	v_add_u32_e32 v56, s7, v56
	v_add_u32_e32 v64, s7, v56
	v_add_u32_e32 v66, s7, v64
	v_add_u32_e32 v72, s7, v66
	v_add_u32_e32 v80, s7, v72
	v_ashrrev_i32_e32 v81, 31, v80
	v_lshl_add_u64 v[76:77], v[80:81], 4, s[0:1]
	v_add_u32_e32 v80, s7, v80
	v_accvgpr_write_b32 a24, v52
	v_ashrrev_i32_e32 v57, 31, v56
	v_add_u32_e32 v88, s7, v80
	v_accvgpr_write_b32 a25, v53
	global_load_dwordx4 v[52:55], v[52:53], off
	v_lshl_add_u64 v[60:61], v[56:57], 4, s[0:1]
	v_ashrrev_i32_e32 v89, 31, v88
	v_ashrrev_i32_e32 v65, 31, v64
	v_accvgpr_write_b32 a27, v1
	global_load_dwordx4 v[56:59], v[0:1], off
	v_accvgpr_write_b32 a28, v60
	v_ashrrev_i32_e32 v67, 31, v66
	v_lshl_add_u64 v[84:85], v[88:89], 4, s[0:1]
	v_add_u32_e32 v88, s7, v88
	v_accvgpr_write_b32 a26, v0
	v_accvgpr_write_b32 a29, v61
	global_load_dwordx4 v[60:63], v[60:61], off
	v_lshl_add_u64 v[0:1], v[64:65], 4, s[0:1]
	v_lshl_add_u64 v[68:69], v[66:67], 4, s[0:1]
	v_add_u32_e32 v96, s7, v88
	v_ashrrev_i32_e32 v73, 31, v72
	v_accvgpr_write_b32 a31, v1
	global_load_dwordx4 v[64:67], v[0:1], off
	v_accvgpr_write_b32 a32, v68
	v_ashrrev_i32_e32 v97, 31, v96
	v_accvgpr_write_b32 a30, v0
	v_accvgpr_write_b32 a33, v69
	global_load_dwordx4 v[68:71], v[68:69], off
	v_lshl_add_u64 v[0:1], v[72:73], 4, s[0:1]
	v_lshl_add_u64 v[92:93], v[96:97], 4, s[0:1]
	v_add_u32_e32 v96, s7, v96
	v_accvgpr_write_b32 a35, v1
	global_load_dwordx4 v[72:75], v[0:1], off
	v_accvgpr_write_b32 a36, v76
	v_ashrrev_i32_e32 v81, 31, v80
	v_add_u32_e32 v104, s7, v96
	v_accvgpr_write_b32 a34, v0
	v_accvgpr_write_b32 a37, v77
	global_load_dwordx4 v[76:79], v[76:77], off
	v_lshl_add_u64 v[0:1], v[80:81], 4, s[0:1]
	v_ashrrev_i32_e32 v105, 31, v104
	v_accvgpr_write_b32 a39, v1
	global_load_dwordx4 v[80:83], v[0:1], off
	v_accvgpr_write_b32 a40, v84
	v_ashrrev_i32_e32 v89, 31, v88
	v_lshl_add_u64 v[100:101], v[104:105], 4, s[0:1]
	v_add_u32_e32 v104, s7, v104
	v_accvgpr_write_b32 a38, v0
	v_accvgpr_write_b32 a41, v85
	global_load_dwordx4 v[84:87], v[84:85], off
	v_lshl_add_u64 v[0:1], v[88:89], 4, s[0:1]
	v_add_u32_e32 v112, s7, v104
	v_accvgpr_write_b32 a43, v1
	global_load_dwordx4 v[88:91], v[0:1], off
	v_accvgpr_write_b32 a44, v92
	v_ashrrev_i32_e32 v97, 31, v96
	v_ashrrev_i32_e32 v113, 31, v112
	v_accvgpr_write_b32 a42, v0
	v_accvgpr_write_b32 a45, v93
	global_load_dwordx4 v[92:95], v[92:93], off
	v_lshl_add_u64 v[0:1], v[96:97], 4, s[0:1]
	v_lshl_add_u64 v[108:109], v[112:113], 4, s[0:1]
	v_add_u32_e32 v112, s7, v112
	v_accvgpr_write_b32 a47, v1
	global_load_dwordx4 v[96:99], v[0:1], off
	v_accvgpr_write_b32 a48, v100
	v_ashrrev_i32_e32 v105, 31, v104
	v_add_u32_e32 v120, s7, v112
	v_accvgpr_write_b32 a46, v0
	v_accvgpr_write_b32 a49, v101
	global_load_dwordx4 v[100:103], v[100:101], off
	v_lshl_add_u64 v[0:1], v[104:105], 4, s[0:1]
	v_ashrrev_i32_e32 v121, 31, v120
	v_accvgpr_write_b32 a51, v1
	global_load_dwordx4 v[104:107], v[0:1], off
	v_accvgpr_write_b32 a52, v108
	v_ashrrev_i32_e32 v113, 31, v112
	v_lshl_add_u64 v[116:117], v[120:121], 4, s[0:1]
	v_add_u32_e32 v120, s7, v120
	v_accvgpr_write_b32 a50, v0
	v_accvgpr_write_b32 a53, v109
	global_load_dwordx4 v[108:111], v[108:109], off
	v_lshl_add_u64 v[0:1], v[112:113], 4, s[0:1]
	v_add_u32_e32 v128, s7, v120
	v_accvgpr_write_b32 a55, v1
	global_load_dwordx4 v[112:115], v[0:1], off
	v_accvgpr_write_b32 a56, v116
	v_ashrrev_i32_e32 v121, 31, v120
	v_ashrrev_i32_e32 v129, 31, v128
	v_accvgpr_write_b32 a54, v0
	v_accvgpr_write_b32 a57, v117
	global_load_dwordx4 v[116:119], v[116:117], off
	v_lshl_add_u64 v[0:1], v[120:121], 4, s[0:1]
	v_lshl_add_u64 v[124:125], v[128:129], 4, s[0:1]
	global_load_dwordx4 v[120:123], v[0:1], off
	v_accvgpr_write_b32 a60, v124
	v_accvgpr_write_b32 a61, v125
	global_load_dwordx4 v[124:127], v[124:125], off
	s_waitcnt vmcnt(30)
	scratch_store_dwordx4 off, v[2:5], off offset:16
	s_waitcnt vmcnt(30)
	scratch_store_dwordx4 off, v[6:9], off offset:32
	;; [unrolled: 2-line block ×31, first 2 shown]
	v_add_u32_e32 v2, s7, v128
	v_add_u32_e32 v10, s7, v2
	v_ashrrev_i32_e32 v11, 31, v10
	v_lshl_add_u64 v[6:7], v[10:11], 4, s[0:1]
	v_add_u32_e32 v10, s7, v10
	v_add_u32_e32 v18, s7, v10
	v_ashrrev_i32_e32 v19, 31, v18
	v_lshl_add_u64 v[14:15], v[18:19], 4, s[0:1]
	;; [unrolled: 4-line block ×5, first 2 shown]
	v_add_u32_e32 v44, s7, v44
	v_accvgpr_write_b32 a59, v1
	v_ashrrev_i32_e32 v3, 31, v2
	v_add_u32_e32 v52, s7, v44
	v_accvgpr_write_b32 a58, v0
	v_lshl_add_u64 v[0:1], v[2:3], 4, s[0:1]
	v_ashrrev_i32_e32 v53, 31, v52
	v_accvgpr_write_b32 a63, v1
	v_accvgpr_write_b32 a65, v7
	v_ashrrev_i32_e32 v11, 31, v10
	v_lshl_add_u64 v[48:49], v[52:53], 4, s[0:1]
	v_add_u32_e32 v52, s7, v52
	v_accvgpr_write_b32 a62, v0
	global_load_dwordx4 v[2:5], v[0:1], off
	v_accvgpr_write_b32 a64, v6
	global_load_dwordx4 v[6:9], v[6:7], off
	v_lshl_add_u64 v[0:1], v[10:11], 4, s[0:1]
	v_add_u32_e32 v60, s7, v52
	v_accvgpr_write_b32 a67, v1
	v_accvgpr_write_b32 a69, v15
	v_ashrrev_i32_e32 v19, 31, v18
	v_ashrrev_i32_e32 v61, 31, v60
	v_accvgpr_write_b32 a66, v0
	global_load_dwordx4 v[10:13], v[0:1], off
	v_accvgpr_write_b32 a68, v14
	global_load_dwordx4 v[14:17], v[14:15], off
	v_lshl_add_u64 v[0:1], v[18:19], 4, s[0:1]
	v_lshl_add_u64 v[56:57], v[60:61], 4, s[0:1]
	v_add_u32_e32 v60, s7, v60
	v_accvgpr_write_b32 a71, v1
	v_accvgpr_write_b32 a73, v23
	v_ashrrev_i32_e32 v27, 31, v26
	v_add_u32_e32 v68, s7, v60
	v_accvgpr_write_b32 a70, v0
	global_load_dwordx4 v[18:21], v[0:1], off
	v_accvgpr_write_b32 a72, v22
	global_load_dwordx4 v[22:25], v[22:23], off
	v_lshl_add_u64 v[0:1], v[26:27], 4, s[0:1]
	v_ashrrev_i32_e32 v69, 31, v68
	v_accvgpr_write_b32 a75, v1
	v_accvgpr_write_b32 a77, v33
	v_ashrrev_i32_e32 v37, 31, v36
	v_lshl_add_u64 v[64:65], v[68:69], 4, s[0:1]
	v_add_u32_e32 v68, s7, v68
	v_accvgpr_write_b32 a74, v0
	global_load_dwordx4 v[26:29], v[0:1], off
	v_accvgpr_write_b32 a76, v32
	global_load_dwordx4 v[32:35], v[32:33], off
	v_lshl_add_u64 v[0:1], v[36:37], 4, s[0:1]
	v_add_u32_e32 v76, s7, v68
	v_accvgpr_write_b32 a79, v1
	v_accvgpr_write_b32 a81, v41
	v_ashrrev_i32_e32 v45, 31, v44
	v_ashrrev_i32_e32 v77, 31, v76
	v_accvgpr_write_b32 a78, v0
	global_load_dwordx4 v[36:39], v[0:1], off
	v_accvgpr_write_b32 a80, v40
	global_load_dwordx4 v[40:43], v[40:41], off
	v_lshl_add_u64 v[0:1], v[44:45], 4, s[0:1]
	v_lshl_add_u64 v[72:73], v[76:77], 4, s[0:1]
	v_add_u32_e32 v76, s7, v76
	v_accvgpr_write_b32 a83, v1
	v_accvgpr_write_b32 a85, v49
	v_ashrrev_i32_e32 v53, 31, v52
	v_add_u32_e32 v84, s7, v76
	v_accvgpr_write_b32 a82, v0
	global_load_dwordx4 v[44:47], v[0:1], off
	v_accvgpr_write_b32 a84, v48
	global_load_dwordx4 v[48:51], v[48:49], off
	;; [unrolled: 32-line block ×4, first 2 shown]
	v_lshl_add_u64 v[0:1], v[100:101], 4, s[0:1]
	v_ashrrev_i32_e32 v117, 31, v116
	v_accvgpr_write_b32 a111, v1
	v_accvgpr_write_b32 a113, v105
	v_ashrrev_i32_e32 v109, 31, v108
	v_lshl_add_u64 v[112:113], v[116:117], 4, s[0:1]
	v_add_u32_e32 v116, s7, v116
	v_accvgpr_write_b32 a110, v0
	global_load_dwordx4 v[100:103], v[0:1], off
	v_accvgpr_write_b32 a112, v104
	global_load_dwordx4 v[104:107], v[104:105], off
	v_lshl_add_u64 v[0:1], v[108:109], 4, s[0:1]
	v_add_u32_e32 v124, s7, v116
	v_accvgpr_write_b32 a115, v1
	v_accvgpr_write_b32 a117, v113
	v_ashrrev_i32_e32 v117, 31, v116
	v_ashrrev_i32_e32 v125, 31, v124
	v_accvgpr_write_b32 a114, v0
	global_load_dwordx4 v[108:111], v[0:1], off
	v_accvgpr_write_b32 a116, v112
	global_load_dwordx4 v[112:115], v[112:113], off
	v_lshl_add_u64 v[0:1], v[116:117], 4, s[0:1]
	v_lshl_add_u64 v[120:121], v[124:125], 4, s[0:1]
	v_add_u32_e32 v124, s7, v124
	v_accvgpr_write_b32 a119, v1
	v_accvgpr_write_b32 a120, v120
	v_ashrrev_i32_e32 v125, 31, v124
	v_accvgpr_write_b32 a118, v0
	global_load_dwordx4 v[116:119], v[0:1], off
	v_accvgpr_write_b32 a121, v121
	global_load_dwordx4 v[120:123], v[120:121], off
	v_lshl_add_u64 v[0:1], v[124:125], 4, s[0:1]
	s_movk_i32 s0, 0x50
	s_add_i32 s58, s0, 16
	s_movk_i32 s0, 0x60
	s_add_i32 s59, s0, 16
	;; [unrolled: 2-line block ×8, first 2 shown]
	s_movk_i32 s0, 0xd0
	global_load_dwordx4 v[124:127], v[0:1], off
	s_add_i32 s66, s0, 16
	s_movk_i32 s0, 0xe0
	s_add_i32 s67, s0, 16
	s_movk_i32 s0, 0xf0
	;; [unrolled: 2-line block ×48, first 2 shown]
	v_accvgpr_write_b32 a123, v1
	s_add_i32 s84, s0, 16
	v_accvgpr_write_b32 a122, v0
	s_mov_b32 s87, 32
	s_mov_b32 s86, 48
	;; [unrolled: 1-line block ×3, first 2 shown]
	s_movk_i32 s57, 0x50
	s_bitcmp0_b32 s8, 0
	s_mov_b64 s[4:5], -1
	s_waitcnt vmcnt(30)
	scratch_store_dwordx4 off, v[2:5], off offset:512
	s_waitcnt vmcnt(30)
	scratch_store_dwordx4 off, v[6:9], off offset:528
	;; [unrolled: 2-line block ×31, first 2 shown]
	s_cbranch_scc1 .LBB61_272
; %bb.4:
	v_cmp_eq_u32_e64 s[0:1], 0, v248
	s_and_saveexec_b64 s[4:5], s[0:1]
; %bb.5:
	v_mov_b32_e32 v0, 0
	ds_write_b32 v0, v0 offset:1984
; %bb.6:
	s_or_b64 exec, exec, s[4:5]
	s_waitcnt lgkmcnt(0)
	; wave barrier
	scratch_load_dwordx4 v[2:5], v30, off offset:16
	s_waitcnt vmcnt(0)
	v_cmp_eq_f64_e32 vcc, 0, v[2:3]
	v_cmp_eq_f64_e64 s[4:5], 0, v[4:5]
	s_and_b64 s[4:5], vcc, s[4:5]
	s_and_saveexec_b64 s[6:7], s[4:5]
	s_cbranch_execz .LBB61_10
; %bb.7:
	v_mov_b32_e32 v1, 0
	ds_read_b32 v0, v1 offset:1984
	v_add_u32_e32 v2, 1, v248
	s_waitcnt lgkmcnt(0)
	v_readfirstlane_b32 s4, v0
	s_cmp_eq_u32 s4, 0
	s_cselect_b64 s[8:9], -1, 0
	v_cmp_gt_i32_e32 vcc, s4, v2
	s_or_b64 s[8:9], s[8:9], vcc
	s_and_b64 exec, exec, s[8:9]
	s_cbranch_execz .LBB61_10
; %bb.8:
	s_mov_b64 s[8:9], 0
	v_mov_b32_e32 v3, s4
.LBB61_9:                               ; =>This Inner Loop Header: Depth=1
	ds_cmpst_rtn_b32 v3, v1, v3, v2 offset:1984
	s_waitcnt lgkmcnt(0)
	v_cmp_ne_u32_e32 vcc, 0, v3
	v_cmp_le_i32_e64 s[4:5], v3, v2
	s_and_b64 s[4:5], vcc, s[4:5]
	s_and_b64 s[4:5], exec, s[4:5]
	s_or_b64 s[8:9], s[4:5], s[8:9]
	s_andn2_b64 exec, exec, s[8:9]
	s_cbranch_execnz .LBB61_9
.LBB61_10:
	s_or_b64 exec, exec, s[6:7]
	v_mov_b32_e32 v2, 0
	; wave barrier
	ds_read_b32 v1, v2 offset:1984
	s_and_saveexec_b64 s[4:5], s[0:1]
	s_cbranch_execz .LBB61_12
; %bb.11:
	s_lshl_b64 s[6:7], s[2:3], 2
	s_add_u32 s6, s10, s6
	s_addc_u32 s7, s11, s7
	s_waitcnt lgkmcnt(0)
	global_store_dword v2, v1, s[6:7]
.LBB61_12:
	s_or_b64 exec, exec, s[4:5]
	s_waitcnt lgkmcnt(0)
	v_cmp_ne_u32_e32 vcc, 0, v1
	s_mov_b64 s[4:5], 0
	s_cbranch_vccnz .LBB61_272
; %bb.13:
	v_add_u32_e32 v14, 16, v30
	scratch_load_dwordx4 v[2:5], v14, off
                                        ; implicit-def: $vgpr6_vgpr7
                                        ; implicit-def: $vgpr10_vgpr11
	s_waitcnt vmcnt(0)
	v_cmp_ngt_f64_e64 s[4:5], |v[2:3]|, |v[4:5]|
	s_and_saveexec_b64 s[6:7], s[4:5]
	s_xor_b64 s[4:5], exec, s[6:7]
	s_cbranch_execz .LBB61_15
; %bb.14:
	v_div_scale_f64 v[6:7], s[6:7], v[4:5], v[4:5], v[2:3]
	v_rcp_f64_e32 v[8:9], v[6:7]
	v_div_scale_f64 v[10:11], vcc, v[2:3], v[4:5], v[2:3]
	v_fma_f64 v[12:13], -v[6:7], v[8:9], 1.0
	v_fmac_f64_e32 v[8:9], v[8:9], v[12:13]
	v_fma_f64 v[12:13], -v[6:7], v[8:9], 1.0
	v_fmac_f64_e32 v[8:9], v[8:9], v[12:13]
	v_mul_f64 v[12:13], v[10:11], v[8:9]
	v_fma_f64 v[6:7], -v[6:7], v[12:13], v[10:11]
	v_div_fmas_f64 v[6:7], v[6:7], v[8:9], v[12:13]
	v_div_fixup_f64 v[6:7], v[6:7], v[4:5], v[2:3]
	v_fmac_f64_e32 v[4:5], v[2:3], v[6:7]
	v_div_scale_f64 v[2:3], s[6:7], v[4:5], v[4:5], 1.0
	v_rcp_f64_e32 v[8:9], v[2:3]
	s_nop 0
	v_fma_f64 v[10:11], -v[2:3], v[8:9], 1.0
	v_fmac_f64_e32 v[8:9], v[8:9], v[10:11]
	v_fma_f64 v[10:11], -v[2:3], v[8:9], 1.0
	v_fmac_f64_e32 v[8:9], v[8:9], v[10:11]
	v_div_scale_f64 v[10:11], vcc, 1.0, v[4:5], 1.0
	v_mul_f64 v[12:13], v[10:11], v[8:9]
	v_fma_f64 v[2:3], -v[2:3], v[12:13], v[10:11]
	s_nop 1
	v_div_fmas_f64 v[2:3], v[2:3], v[8:9], v[12:13]
	v_div_fixup_f64 v[8:9], v[2:3], v[4:5], 1.0
	v_mul_f64 v[6:7], v[6:7], v[8:9]
	v_xor_b32_e32 v9, 0x80000000, v9
	v_xor_b32_e32 v11, 0x80000000, v7
	v_mov_b32_e32 v10, v6
                                        ; implicit-def: $vgpr2_vgpr3
.LBB61_15:
	s_andn2_saveexec_b64 s[4:5], s[4:5]
	s_cbranch_execz .LBB61_17
; %bb.16:
	v_div_scale_f64 v[6:7], s[6:7], v[2:3], v[2:3], v[4:5]
	v_rcp_f64_e32 v[8:9], v[6:7]
	v_div_scale_f64 v[10:11], vcc, v[4:5], v[2:3], v[4:5]
	v_fma_f64 v[12:13], -v[6:7], v[8:9], 1.0
	v_fmac_f64_e32 v[8:9], v[8:9], v[12:13]
	v_fma_f64 v[12:13], -v[6:7], v[8:9], 1.0
	v_fmac_f64_e32 v[8:9], v[8:9], v[12:13]
	v_mul_f64 v[12:13], v[10:11], v[8:9]
	v_fma_f64 v[6:7], -v[6:7], v[12:13], v[10:11]
	v_div_fmas_f64 v[6:7], v[6:7], v[8:9], v[12:13]
	v_div_fixup_f64 v[8:9], v[6:7], v[2:3], v[4:5]
	v_fmac_f64_e32 v[2:3], v[4:5], v[8:9]
	v_div_scale_f64 v[4:5], s[6:7], v[2:3], v[2:3], 1.0
	v_rcp_f64_e32 v[6:7], v[4:5]
	s_nop 0
	v_fma_f64 v[10:11], -v[4:5], v[6:7], 1.0
	v_fmac_f64_e32 v[6:7], v[6:7], v[10:11]
	v_fma_f64 v[10:11], -v[4:5], v[6:7], 1.0
	v_fmac_f64_e32 v[6:7], v[6:7], v[10:11]
	v_div_scale_f64 v[10:11], vcc, 1.0, v[2:3], 1.0
	v_mul_f64 v[12:13], v[10:11], v[6:7]
	v_fma_f64 v[4:5], -v[4:5], v[12:13], v[10:11]
	s_nop 1
	v_div_fmas_f64 v[4:5], v[4:5], v[6:7], v[12:13]
	v_div_fixup_f64 v[6:7], v[4:5], v[2:3], 1.0
	v_xor_b32_e32 v11, 0x80000000, v7
	v_mov_b32_e32 v10, v6
	v_mul_f64 v[8:9], v[8:9], -v[6:7]
.LBB61_17:
	s_or_b64 exec, exec, s[4:5]
	scratch_store_dwordx4 v14, v[6:9], off
	scratch_load_dwordx4 v[2:5], off, s87
	v_xor_b32_e32 v13, 0x80000000, v9
	v_mov_b32_e32 v12, v8
	v_add_u32_e32 v1, 0x3e0, v30
	ds_write_b128 v30, v[10:13]
	s_waitcnt vmcnt(0)
	ds_write_b128 v30, v[2:5] offset:992
	s_waitcnt lgkmcnt(0)
	; wave barrier
	s_and_saveexec_b64 s[4:5], s[0:1]
	s_cbranch_execz .LBB61_19
; %bb.18:
	scratch_load_dwordx4 v[2:5], v14, off
	ds_read_b128 v[6:9], v1
	v_mov_b32_e32 v0, 0
	ds_read_b128 v[10:13], v0 offset:16
	s_waitcnt vmcnt(0) lgkmcnt(1)
	v_mul_f64 v[16:17], v[8:9], v[4:5]
	v_mul_f64 v[4:5], v[6:7], v[4:5]
	v_fma_f64 v[6:7], v[6:7], v[2:3], -v[16:17]
	v_fmac_f64_e32 v[4:5], v[8:9], v[2:3]
	v_add_f64 v[2:3], v[6:7], 0
	v_add_f64 v[6:7], v[4:5], 0
	s_waitcnt lgkmcnt(0)
	v_mul_f64 v[8:9], v[6:7], v[12:13]
	v_mul_f64 v[4:5], v[2:3], v[12:13]
	v_fma_f64 v[2:3], v[2:3], v[10:11], -v[8:9]
	v_fmac_f64_e32 v[4:5], v[6:7], v[10:11]
	scratch_store_dwordx4 off, v[2:5], off offset:32
.LBB61_19:
	s_or_b64 exec, exec, s[4:5]
	; wave barrier
	scratch_load_dwordx4 v[2:5], off, s86
	v_cmp_gt_u32_e32 vcc, 2, v248
	s_waitcnt vmcnt(0)
	ds_write_b128 v1, v[2:5]
	s_waitcnt lgkmcnt(0)
	; wave barrier
	s_and_saveexec_b64 s[4:5], vcc
	s_cbranch_execz .LBB61_23
; %bb.20:
	scratch_load_dwordx4 v[2:5], v14, off
	ds_read_b128 v[6:9], v1
	s_waitcnt vmcnt(0) lgkmcnt(0)
	v_mul_f64 v[10:11], v[8:9], v[4:5]
	v_mul_f64 v[12:13], v[6:7], v[4:5]
	v_fma_f64 v[4:5], v[6:7], v[2:3], -v[10:11]
	v_fmac_f64_e32 v[12:13], v[8:9], v[2:3]
	v_add_f64 v[4:5], v[4:5], 0
	v_add_f64 v[2:3], v[12:13], 0
	s_and_saveexec_b64 s[6:7], s[0:1]
	s_cbranch_execz .LBB61_22
; %bb.21:
	scratch_load_dwordx4 v[6:9], off, off offset:32
	v_mov_b32_e32 v0, 0
	ds_read_b128 v[10:13], v0 offset:1008
	s_waitcnt vmcnt(0) lgkmcnt(0)
	v_mul_f64 v[16:17], v[10:11], v[8:9]
	v_mul_f64 v[8:9], v[12:13], v[8:9]
	v_fmac_f64_e32 v[16:17], v[12:13], v[6:7]
	v_fma_f64 v[6:7], v[10:11], v[6:7], -v[8:9]
	v_add_f64 v[2:3], v[2:3], v[16:17]
	v_add_f64 v[4:5], v[4:5], v[6:7]
.LBB61_22:
	s_or_b64 exec, exec, s[6:7]
	v_mov_b32_e32 v0, 0
	ds_read_b128 v[6:9], v0 offset:32
	s_waitcnt lgkmcnt(0)
	v_mul_f64 v[12:13], v[2:3], v[8:9]
	v_mul_f64 v[10:11], v[4:5], v[8:9]
	v_fma_f64 v[8:9], v[4:5], v[6:7], -v[12:13]
	v_fmac_f64_e32 v[10:11], v[2:3], v[6:7]
	scratch_store_dwordx4 off, v[8:11], off offset:48
.LBB61_23:
	s_or_b64 exec, exec, s[4:5]
	; wave barrier
	scratch_load_dwordx4 v[2:5], off, s85
	v_cmp_gt_u32_e64 s[4:5], 3, v248
	v_add_u32_e32 v6, -1, v248
	s_waitcnt vmcnt(0)
	ds_write_b128 v1, v[2:5]
	s_waitcnt lgkmcnt(0)
	; wave barrier
	s_and_saveexec_b64 s[6:7], s[4:5]
	s_cbranch_execz .LBB61_27
; %bb.24:
	v_add_u32_e32 v7, -1, v248
	v_add_u32_e32 v8, 0x3e0, v30
	v_add_u32_e32 v9, 16, v30
	v_mov_b64_e32 v[2:3], 0
	s_mov_b64 s[8:9], 0
	v_mov_b64_e32 v[4:5], 0
.LBB61_25:                              ; =>This Inner Loop Header: Depth=1
	scratch_load_dwordx4 v[10:13], v9, off
	ds_read_b128 v[16:19], v8
	v_add_u32_e32 v7, 1, v7
	v_cmp_lt_u32_e64 s[4:5], 1, v7
	v_add_u32_e32 v8, 16, v8
	v_add_u32_e32 v9, 16, v9
	s_or_b64 s[8:9], s[4:5], s[8:9]
	s_waitcnt vmcnt(0) lgkmcnt(0)
	v_mul_f64 v[20:21], v[18:19], v[12:13]
	v_mul_f64 v[12:13], v[16:17], v[12:13]
	v_fma_f64 v[16:17], v[16:17], v[10:11], -v[20:21]
	v_fmac_f64_e32 v[12:13], v[18:19], v[10:11]
	v_add_f64 v[4:5], v[4:5], v[16:17]
	v_add_f64 v[2:3], v[2:3], v[12:13]
	s_andn2_b64 exec, exec, s[8:9]
	s_cbranch_execnz .LBB61_25
; %bb.26:
	s_or_b64 exec, exec, s[8:9]
	v_mov_b32_e32 v0, 0
	ds_read_b128 v[8:11], v0 offset:48
	s_waitcnt lgkmcnt(0)
	v_mul_f64 v[16:17], v[2:3], v[10:11]
	v_mul_f64 v[12:13], v[4:5], v[10:11]
	v_fma_f64 v[10:11], v[4:5], v[8:9], -v[16:17]
	v_fmac_f64_e32 v[12:13], v[2:3], v[8:9]
	scratch_store_dwordx4 off, v[10:13], off offset:64
.LBB61_27:
	s_or_b64 exec, exec, s[6:7]
	; wave barrier
	scratch_load_dwordx4 v[2:5], off, s57
	v_cmp_gt_u32_e64 s[4:5], 4, v248
	s_waitcnt vmcnt(0)
	ds_write_b128 v1, v[2:5]
	s_waitcnt lgkmcnt(0)
	; wave barrier
	s_and_saveexec_b64 s[8:9], s[4:5]
	s_cbranch_execz .LBB61_31
; %bb.28:
	v_add_u32_e32 v7, -1, v248
	v_add_u32_e32 v8, 0x3e0, v30
	v_add_u32_e32 v9, 16, v30
	v_mov_b64_e32 v[2:3], 0
	s_mov_b64 s[12:13], 0
	v_mov_b64_e32 v[4:5], 0
.LBB61_29:                              ; =>This Inner Loop Header: Depth=1
	scratch_load_dwordx4 v[10:13], v9, off
	ds_read_b128 v[16:19], v8
	v_add_u32_e32 v7, 1, v7
	v_cmp_lt_u32_e64 s[6:7], 2, v7
	v_add_u32_e32 v8, 16, v8
	v_add_u32_e32 v9, 16, v9
	s_or_b64 s[12:13], s[6:7], s[12:13]
	s_waitcnt vmcnt(0) lgkmcnt(0)
	v_mul_f64 v[20:21], v[18:19], v[12:13]
	v_mul_f64 v[12:13], v[16:17], v[12:13]
	v_fma_f64 v[16:17], v[16:17], v[10:11], -v[20:21]
	v_fmac_f64_e32 v[12:13], v[18:19], v[10:11]
	v_add_f64 v[4:5], v[4:5], v[16:17]
	v_add_f64 v[2:3], v[2:3], v[12:13]
	s_andn2_b64 exec, exec, s[12:13]
	s_cbranch_execnz .LBB61_29
; %bb.30:
	s_or_b64 exec, exec, s[12:13]
	v_mov_b32_e32 v0, 0
	ds_read_b128 v[8:11], v0 offset:64
	s_waitcnt lgkmcnt(0)
	v_mul_f64 v[16:17], v[2:3], v[10:11]
	v_mul_f64 v[12:13], v[4:5], v[10:11]
	v_fma_f64 v[10:11], v[4:5], v[8:9], -v[16:17]
	v_fmac_f64_e32 v[12:13], v[2:3], v[8:9]
	scratch_store_dwordx4 off, v[10:13], off offset:80
.LBB61_31:
	s_or_b64 exec, exec, s[8:9]
	; wave barrier
	scratch_load_dwordx4 v[2:5], off, s58
	v_cmp_gt_u32_e64 s[6:7], 5, v248
	;; [unrolled: 45-line block ×5, first 2 shown]
	s_waitcnt vmcnt(0)
	ds_write_b128 v1, v[2:5]
	s_waitcnt lgkmcnt(0)
	; wave barrier
	s_and_saveexec_b64 s[12:13], s[8:9]
	s_cbranch_execz .LBB61_59
; %bb.44:
	scratch_load_dwordx4 v[2:5], v14, off
	ds_read_b128 v[8:11], v1
	v_cmp_ne_u32_e64 s[8:9], 7, v248
	s_waitcnt vmcnt(0) lgkmcnt(0)
	v_mul_f64 v[12:13], v[10:11], v[4:5]
	v_mul_f64 v[16:17], v[8:9], v[4:5]
	v_fma_f64 v[4:5], v[8:9], v[2:3], -v[12:13]
	v_fmac_f64_e32 v[16:17], v[10:11], v[2:3]
	v_add_f64 v[4:5], v[4:5], 0
	v_add_f64 v[2:3], v[16:17], 0
	s_and_saveexec_b64 s[14:15], s[8:9]
	s_cbranch_execz .LBB61_58
; %bb.45:
	scratch_load_dwordx4 v[8:11], v14, off offset:16
	ds_read_b128 v[16:19], v1 offset:16
	s_waitcnt vmcnt(0) lgkmcnt(0)
	v_mul_f64 v[12:13], v[18:19], v[10:11]
	v_mul_f64 v[10:11], v[16:17], v[10:11]
	v_fma_f64 v[12:13], v[16:17], v[8:9], -v[12:13]
	v_fmac_f64_e32 v[10:11], v[18:19], v[8:9]
	v_add_f64 v[4:5], v[4:5], v[12:13]
	v_add_f64 v[2:3], v[2:3], v[10:11]
	s_and_saveexec_b64 s[8:9], s[6:7]
	s_cbranch_execz .LBB61_57
; %bb.46:
	scratch_load_dwordx4 v[8:11], v14, off offset:32
	ds_read_b128 v[16:19], v1 offset:32
	v_cmp_ne_u32_e64 s[6:7], 5, v248
	s_waitcnt vmcnt(0) lgkmcnt(0)
	v_mul_f64 v[12:13], v[18:19], v[10:11]
	v_mul_f64 v[10:11], v[16:17], v[10:11]
	v_fma_f64 v[12:13], v[16:17], v[8:9], -v[12:13]
	v_fmac_f64_e32 v[10:11], v[18:19], v[8:9]
	v_add_f64 v[4:5], v[4:5], v[12:13]
	v_add_f64 v[2:3], v[2:3], v[10:11]
	s_and_saveexec_b64 s[20:21], s[6:7]
	s_cbranch_execz .LBB61_56
; %bb.47:
	scratch_load_dwordx4 v[8:11], v14, off offset:48
	ds_read_b128 v[16:19], v1 offset:48
	s_waitcnt vmcnt(0) lgkmcnt(0)
	v_mul_f64 v[12:13], v[18:19], v[10:11]
	v_mul_f64 v[10:11], v[16:17], v[10:11]
	v_fma_f64 v[12:13], v[16:17], v[8:9], -v[12:13]
	v_fmac_f64_e32 v[10:11], v[18:19], v[8:9]
	v_add_f64 v[4:5], v[4:5], v[12:13]
	v_add_f64 v[2:3], v[2:3], v[10:11]
	s_and_saveexec_b64 s[6:7], s[4:5]
	s_cbranch_execz .LBB61_55
; %bb.48:
	scratch_load_dwordx4 v[8:11], v14, off offset:64
	ds_read_b128 v[16:19], v1 offset:64
	v_cmp_ne_u32_e64 s[4:5], 3, v248
	s_waitcnt vmcnt(0) lgkmcnt(0)
	v_mul_f64 v[12:13], v[18:19], v[10:11]
	v_mul_f64 v[10:11], v[16:17], v[10:11]
	v_fma_f64 v[12:13], v[16:17], v[8:9], -v[12:13]
	v_fmac_f64_e32 v[10:11], v[18:19], v[8:9]
	v_add_f64 v[4:5], v[4:5], v[12:13]
	v_add_f64 v[2:3], v[2:3], v[10:11]
	s_and_saveexec_b64 s[22:23], s[4:5]
	s_cbranch_execz .LBB61_54
; %bb.49:
	scratch_load_dwordx4 v[8:11], v14, off offset:80
	ds_read_b128 v[16:19], v1 offset:80
	s_waitcnt vmcnt(0) lgkmcnt(0)
	v_mul_f64 v[12:13], v[18:19], v[10:11]
	v_mul_f64 v[10:11], v[16:17], v[10:11]
	v_fma_f64 v[12:13], v[16:17], v[8:9], -v[12:13]
	v_fmac_f64_e32 v[10:11], v[18:19], v[8:9]
	v_add_f64 v[4:5], v[4:5], v[12:13]
	v_add_f64 v[2:3], v[2:3], v[10:11]
	s_and_saveexec_b64 s[4:5], vcc
	s_cbranch_execz .LBB61_53
; %bb.50:
	scratch_load_dwordx4 v[8:11], v14, off offset:96
	ds_read_b128 v[16:19], v1 offset:96
	s_waitcnt vmcnt(0) lgkmcnt(0)
	v_mul_f64 v[12:13], v[18:19], v[10:11]
	v_mul_f64 v[10:11], v[16:17], v[10:11]
	v_fma_f64 v[12:13], v[16:17], v[8:9], -v[12:13]
	v_fmac_f64_e32 v[10:11], v[18:19], v[8:9]
	v_add_f64 v[4:5], v[4:5], v[12:13]
	v_add_f64 v[2:3], v[2:3], v[10:11]
	s_and_saveexec_b64 s[24:25], s[0:1]
	s_cbranch_execz .LBB61_52
; %bb.51:
	scratch_load_dwordx4 v[8:11], v14, off offset:112
	ds_read_b128 v[12:15], v1 offset:112
	s_waitcnt vmcnt(0) lgkmcnt(0)
	v_mul_f64 v[16:17], v[14:15], v[10:11]
	v_mul_f64 v[10:11], v[12:13], v[10:11]
	v_fma_f64 v[12:13], v[12:13], v[8:9], -v[16:17]
	v_fmac_f64_e32 v[10:11], v[14:15], v[8:9]
	v_add_f64 v[4:5], v[4:5], v[12:13]
	v_add_f64 v[2:3], v[2:3], v[10:11]
.LBB61_52:
	s_or_b64 exec, exec, s[24:25]
.LBB61_53:
	s_or_b64 exec, exec, s[4:5]
.LBB61_54:
	s_or_b64 exec, exec, s[22:23]
.LBB61_55:
	s_or_b64 exec, exec, s[6:7]
.LBB61_56:
	s_or_b64 exec, exec, s[20:21]
.LBB61_57:
	s_or_b64 exec, exec, s[8:9]
.LBB61_58:
	s_or_b64 exec, exec, s[14:15]
	v_mov_b32_e32 v0, 0
	ds_read_b128 v[8:11], v0 offset:128
	s_waitcnt lgkmcnt(0)
	v_mul_f64 v[14:15], v[2:3], v[10:11]
	v_mul_f64 v[12:13], v[4:5], v[10:11]
	v_fma_f64 v[10:11], v[4:5], v[8:9], -v[14:15]
	v_fmac_f64_e32 v[12:13], v[2:3], v[8:9]
	scratch_store_dwordx4 off, v[10:13], off offset:144
.LBB61_59:
	s_or_b64 exec, exec, s[12:13]
	; wave barrier
	scratch_load_dwordx4 v[2:5], off, s62
	v_cmp_gt_u32_e32 vcc, 9, v248
	s_waitcnt vmcnt(0)
	ds_write_b128 v1, v[2:5]
	s_waitcnt lgkmcnt(0)
	; wave barrier
	s_and_saveexec_b64 s[0:1], vcc
	s_cbranch_execz .LBB61_63
; %bb.60:
	v_add_u32_e32 v7, -1, v248
	v_add_u32_e32 v8, 0x3e0, v30
	v_add_u32_e32 v9, 16, v30
	v_mov_b64_e32 v[2:3], 0
	s_mov_b64 s[4:5], 0
	v_mov_b64_e32 v[4:5], 0
.LBB61_61:                              ; =>This Inner Loop Header: Depth=1
	scratch_load_dwordx4 v[10:13], v9, off
	ds_read_b128 v[14:17], v8
	v_add_u32_e32 v7, 1, v7
	v_cmp_lt_u32_e32 vcc, 7, v7
	v_add_u32_e32 v8, 16, v8
	v_add_u32_e32 v9, 16, v9
	s_or_b64 s[4:5], vcc, s[4:5]
	s_waitcnt vmcnt(0) lgkmcnt(0)
	v_mul_f64 v[18:19], v[16:17], v[12:13]
	v_mul_f64 v[12:13], v[14:15], v[12:13]
	v_fma_f64 v[14:15], v[14:15], v[10:11], -v[18:19]
	v_fmac_f64_e32 v[12:13], v[16:17], v[10:11]
	v_add_f64 v[4:5], v[4:5], v[14:15]
	v_add_f64 v[2:3], v[2:3], v[12:13]
	s_andn2_b64 exec, exec, s[4:5]
	s_cbranch_execnz .LBB61_61
; %bb.62:
	s_or_b64 exec, exec, s[4:5]
	v_mov_b32_e32 v0, 0
	ds_read_b128 v[8:11], v0 offset:144
	s_waitcnt lgkmcnt(0)
	v_mul_f64 v[14:15], v[2:3], v[10:11]
	v_mul_f64 v[12:13], v[4:5], v[10:11]
	v_fma_f64 v[10:11], v[4:5], v[8:9], -v[14:15]
	v_fmac_f64_e32 v[12:13], v[2:3], v[8:9]
	scratch_store_dwordx4 off, v[10:13], off offset:160
.LBB61_63:
	s_or_b64 exec, exec, s[0:1]
	; wave barrier
	scratch_load_dwordx4 v[2:5], off, s63
	v_cmp_gt_u32_e32 vcc, 10, v248
	s_waitcnt vmcnt(0)
	ds_write_b128 v1, v[2:5]
	s_waitcnt lgkmcnt(0)
	; wave barrier
	s_and_saveexec_b64 s[0:1], vcc
	s_cbranch_execz .LBB61_67
; %bb.64:
	v_add_u32_e32 v7, -1, v248
	v_add_u32_e32 v8, 0x3e0, v30
	v_add_u32_e32 v9, 16, v30
	v_mov_b64_e32 v[2:3], 0
	s_mov_b64 s[4:5], 0
	v_mov_b64_e32 v[4:5], 0
.LBB61_65:                              ; =>This Inner Loop Header: Depth=1
	scratch_load_dwordx4 v[10:13], v9, off
	ds_read_b128 v[14:17], v8
	v_add_u32_e32 v7, 1, v7
	v_cmp_lt_u32_e32 vcc, 8, v7
	v_add_u32_e32 v8, 16, v8
	v_add_u32_e32 v9, 16, v9
	s_or_b64 s[4:5], vcc, s[4:5]
	s_waitcnt vmcnt(0) lgkmcnt(0)
	v_mul_f64 v[18:19], v[16:17], v[12:13]
	v_mul_f64 v[12:13], v[14:15], v[12:13]
	v_fma_f64 v[14:15], v[14:15], v[10:11], -v[18:19]
	v_fmac_f64_e32 v[12:13], v[16:17], v[10:11]
	v_add_f64 v[4:5], v[4:5], v[14:15]
	v_add_f64 v[2:3], v[2:3], v[12:13]
	s_andn2_b64 exec, exec, s[4:5]
	s_cbranch_execnz .LBB61_65
; %bb.66:
	s_or_b64 exec, exec, s[4:5]
	v_mov_b32_e32 v0, 0
	ds_read_b128 v[8:11], v0 offset:160
	s_waitcnt lgkmcnt(0)
	v_mul_f64 v[14:15], v[2:3], v[10:11]
	v_mul_f64 v[12:13], v[4:5], v[10:11]
	v_fma_f64 v[10:11], v[4:5], v[8:9], -v[14:15]
	v_fmac_f64_e32 v[12:13], v[2:3], v[8:9]
	scratch_store_dwordx4 off, v[10:13], off offset:176
.LBB61_67:
	;; [unrolled: 45-line block ×10, first 2 shown]
	s_or_b64 exec, exec, s[0:1]
	; wave barrier
	scratch_load_dwordx4 v[2:5], off, s72
	v_cmp_gt_u32_e32 vcc, 19, v248
	s_waitcnt vmcnt(0)
	ds_write_b128 v1, v[2:5]
	s_waitcnt lgkmcnt(0)
	; wave barrier
	s_and_saveexec_b64 s[0:1], vcc
	s_cbranch_execz .LBB61_103
; %bb.100:
	v_add_u32_e32 v7, -1, v248
	v_add_u32_e32 v8, 0x3e0, v30
	v_add_u32_e32 v9, 16, v30
	v_mov_b64_e32 v[2:3], 0
	s_mov_b64 s[4:5], 0
	v_mov_b64_e32 v[4:5], 0
.LBB61_101:                             ; =>This Inner Loop Header: Depth=1
	scratch_load_dwordx4 v[10:13], v9, off
	ds_read_b128 v[14:17], v8
	v_add_u32_e32 v7, 1, v7
	v_cmp_lt_u32_e32 vcc, 17, v7
	v_add_u32_e32 v8, 16, v8
	v_add_u32_e32 v9, 16, v9
	s_or_b64 s[4:5], vcc, s[4:5]
	s_waitcnt vmcnt(0) lgkmcnt(0)
	v_mul_f64 v[18:19], v[16:17], v[12:13]
	v_mul_f64 v[12:13], v[14:15], v[12:13]
	v_fma_f64 v[14:15], v[14:15], v[10:11], -v[18:19]
	v_fmac_f64_e32 v[12:13], v[16:17], v[10:11]
	v_add_f64 v[4:5], v[4:5], v[14:15]
	v_add_f64 v[2:3], v[2:3], v[12:13]
	s_andn2_b64 exec, exec, s[4:5]
	s_cbranch_execnz .LBB61_101
; %bb.102:
	s_or_b64 exec, exec, s[4:5]
	v_mov_b32_e32 v0, 0
	ds_read_b128 v[8:11], v0 offset:304
	s_waitcnt lgkmcnt(0)
	v_mul_f64 v[14:15], v[2:3], v[10:11]
	v_mul_f64 v[12:13], v[4:5], v[10:11]
	v_fma_f64 v[10:11], v[4:5], v[8:9], -v[14:15]
	v_fmac_f64_e32 v[12:13], v[2:3], v[8:9]
	scratch_store_dwordx4 off, v[10:13], off offset:320
.LBB61_103:
	s_or_b64 exec, exec, s[0:1]
	; wave barrier
	scratch_load_dwordx4 v[2:5], off, s73
	v_cmp_gt_u32_e32 vcc, 20, v248
	s_waitcnt vmcnt(0)
	ds_write_b128 v1, v[2:5]
	s_waitcnt lgkmcnt(0)
	; wave barrier
	s_and_saveexec_b64 s[0:1], vcc
	s_cbranch_execz .LBB61_107
; %bb.104:
	v_add_u32_e32 v7, -1, v248
	v_add_u32_e32 v8, 0x3e0, v30
	v_add_u32_e32 v9, 16, v30
	v_mov_b64_e32 v[2:3], 0
	s_mov_b64 s[4:5], 0
	v_mov_b64_e32 v[4:5], 0
.LBB61_105:                             ; =>This Inner Loop Header: Depth=1
	scratch_load_dwordx4 v[10:13], v9, off
	ds_read_b128 v[14:17], v8
	v_add_u32_e32 v7, 1, v7
	v_cmp_lt_u32_e32 vcc, 18, v7
	v_add_u32_e32 v8, 16, v8
	v_add_u32_e32 v9, 16, v9
	s_or_b64 s[4:5], vcc, s[4:5]
	s_waitcnt vmcnt(0) lgkmcnt(0)
	v_mul_f64 v[18:19], v[16:17], v[12:13]
	v_mul_f64 v[12:13], v[14:15], v[12:13]
	v_fma_f64 v[14:15], v[14:15], v[10:11], -v[18:19]
	v_fmac_f64_e32 v[12:13], v[16:17], v[10:11]
	v_add_f64 v[4:5], v[4:5], v[14:15]
	v_add_f64 v[2:3], v[2:3], v[12:13]
	s_andn2_b64 exec, exec, s[4:5]
	s_cbranch_execnz .LBB61_105
; %bb.106:
	s_or_b64 exec, exec, s[4:5]
	v_mov_b32_e32 v0, 0
	ds_read_b128 v[8:11], v0 offset:320
	s_waitcnt lgkmcnt(0)
	v_mul_f64 v[14:15], v[2:3], v[10:11]
	v_mul_f64 v[12:13], v[4:5], v[10:11]
	v_fma_f64 v[10:11], v[4:5], v[8:9], -v[14:15]
	v_fmac_f64_e32 v[12:13], v[2:3], v[8:9]
	scratch_store_dwordx4 off, v[10:13], off offset:336
.LBB61_107:
	;; [unrolled: 45-line block ×42, first 2 shown]
	s_or_b64 exec, exec, s[0:1]
	; wave barrier
	scratch_load_dwordx4 v[2:5], off, s84
	v_cmp_ne_u32_e32 vcc, 61, v248
	s_waitcnt vmcnt(0)
	ds_write_b128 v1, v[2:5]
	s_waitcnt lgkmcnt(0)
	; wave barrier
	s_and_saveexec_b64 s[0:1], vcc
	s_cbranch_execz .LBB61_271
; %bb.268:
	v_add_u32_e32 v1, 0x3e0, v30
	v_add_u32_e32 v7, 16, v30
	v_mov_b64_e32 v[2:3], 0
	s_mov_b64 s[4:5], 0
	v_mov_b64_e32 v[4:5], 0
.LBB61_269:                             ; =>This Inner Loop Header: Depth=1
	scratch_load_dwordx4 v[8:11], v7, off
	ds_read_b128 v[12:15], v1
	v_add_u32_e32 v6, 1, v6
	v_cmp_lt_u32_e32 vcc, 59, v6
	v_add_u32_e32 v1, 16, v1
	v_add_u32_e32 v7, 16, v7
	s_or_b64 s[4:5], vcc, s[4:5]
	s_waitcnt vmcnt(0) lgkmcnt(0)
	v_mul_f64 v[16:17], v[14:15], v[10:11]
	v_mul_f64 v[10:11], v[12:13], v[10:11]
	v_fma_f64 v[12:13], v[12:13], v[8:9], -v[16:17]
	v_fmac_f64_e32 v[10:11], v[14:15], v[8:9]
	v_add_f64 v[4:5], v[4:5], v[12:13]
	v_add_f64 v[2:3], v[2:3], v[10:11]
	s_andn2_b64 exec, exec, s[4:5]
	s_cbranch_execnz .LBB61_269
; %bb.270:
	s_or_b64 exec, exec, s[4:5]
	v_mov_b32_e32 v0, 0
	ds_read_b128 v[6:9], v0 offset:976
	s_waitcnt lgkmcnt(0)
	v_mul_f64 v[12:13], v[2:3], v[8:9]
	v_mul_f64 v[10:11], v[4:5], v[8:9]
	v_fma_f64 v[8:9], v[4:5], v[6:7], -v[12:13]
	v_fmac_f64_e32 v[10:11], v[2:3], v[6:7]
	scratch_store_dwordx4 off, v[8:11], off offset:992
.LBB61_271:
	s_or_b64 exec, exec, s[0:1]
	s_mov_b64 s[4:5], -1
	; wave barrier
.LBB61_272:
	s_and_b64 vcc, exec, s[4:5]
	s_cbranch_vccz .LBB61_274
; %bb.273:
	s_lshl_b64 s[0:1], s[2:3], 2
	s_add_u32 s0, s10, s0
	s_addc_u32 s1, s11, s1
	v_mov_b32_e32 v0, 0
	global_load_dword v0, v0, s[0:1]
	s_waitcnt vmcnt(0)
	v_cmp_ne_u32_e32 vcc, 0, v0
	s_cbranch_vccz .LBB61_275
.LBB61_274:
	s_endpgm
.LBB61_275:
	v_mov_b32_e32 v0, 0x3e0
	v_lshl_add_u32 v0, v248, 4, v0
	v_accvgpr_write_b32 a125, v0
	v_cmp_eq_u32_e32 vcc, 61, v248
	s_and_saveexec_b64 s[0:1], vcc
	s_cbranch_execz .LBB61_277
; %bb.276:
	scratch_load_dwordx4 v[2:5], off, s56
	v_mov_b32_e32 v6, 0
	v_mov_b32_e32 v7, v6
	;; [unrolled: 1-line block ×4, first 2 shown]
	v_accvgpr_read_b32 v0, a125
	scratch_store_dwordx4 off, v[6:9], off offset:976
	s_waitcnt vmcnt(1)
	ds_write_b128 v0, v[2:5]
.LBB61_277:
	s_or_b64 exec, exec, s[0:1]
	s_waitcnt lgkmcnt(0)
	; wave barrier
	scratch_load_dwordx4 v[4:7], off, off offset:992
	scratch_load_dwordx4 v[8:11], off, off offset:976
	v_mov_b32_e32 v2, 0
	ds_read_b128 v[12:15], v2 offset:1968
	v_cmp_lt_u32_e32 vcc, 59, v248
	s_waitcnt vmcnt(1) lgkmcnt(0)
	v_mul_f64 v[16:17], v[12:13], v[6:7]
	v_mul_f64 v[6:7], v[14:15], v[6:7]
	v_fmac_f64_e32 v[16:17], v[14:15], v[4:5]
	v_fma_f64 v[4:5], v[12:13], v[4:5], -v[6:7]
	v_add_f64 v[6:7], v[16:17], 0
	v_add_f64 v[4:5], v[4:5], 0
	s_waitcnt vmcnt(0)
	v_add_f64 v[4:5], v[8:9], -v[4:5]
	v_add_f64 v[6:7], v[10:11], -v[6:7]
	scratch_store_dwordx4 off, v[4:7], off offset:976
	s_and_saveexec_b64 s[0:1], vcc
	s_cbranch_execz .LBB61_279
; %bb.278:
	scratch_load_dwordx4 v[6:9], off, s55
	v_mov_b32_e32 v3, v2
	v_mov_b32_e32 v4, v2
	;; [unrolled: 1-line block ×3, first 2 shown]
	v_accvgpr_read_b32 v0, a125
	scratch_store_dwordx4 off, v[2:5], off offset:960
	s_waitcnt vmcnt(1)
	ds_write_b128 v0, v[6:9]
.LBB61_279:
	s_or_b64 exec, exec, s[0:1]
	s_waitcnt lgkmcnt(0)
	; wave barrier
	scratch_load_dwordx4 v[4:7], off, off offset:976
	scratch_load_dwordx4 v[8:11], off, off offset:992
	;; [unrolled: 1-line block ×3, first 2 shown]
	ds_read_b128 v[16:19], v2 offset:1952
	ds_read_b128 v[20:23], v2 offset:1968
	v_cmp_lt_u32_e32 vcc, 58, v248
	s_waitcnt vmcnt(2) lgkmcnt(1)
	v_mul_f64 v[2:3], v[16:17], v[6:7]
	v_mul_f64 v[6:7], v[18:19], v[6:7]
	s_waitcnt vmcnt(1) lgkmcnt(0)
	v_mul_f64 v[24:25], v[20:21], v[10:11]
	v_mul_f64 v[10:11], v[22:23], v[10:11]
	v_fmac_f64_e32 v[2:3], v[18:19], v[4:5]
	v_fma_f64 v[4:5], v[16:17], v[4:5], -v[6:7]
	v_fmac_f64_e32 v[24:25], v[22:23], v[8:9]
	v_fma_f64 v[6:7], v[20:21], v[8:9], -v[10:11]
	v_add_f64 v[2:3], v[2:3], 0
	v_add_f64 v[4:5], v[4:5], 0
	;; [unrolled: 1-line block ×4, first 2 shown]
	s_waitcnt vmcnt(0)
	v_add_f64 v[2:3], v[12:13], -v[2:3]
	v_add_f64 v[4:5], v[14:15], -v[8:9]
	scratch_store_dwordx4 off, v[2:5], off offset:960
	s_and_saveexec_b64 s[0:1], vcc
	s_cbranch_execz .LBB61_281
; %bb.280:
	scratch_load_dwordx4 v[2:5], off, s54
	v_mov_b32_e32 v6, 0
	v_mov_b32_e32 v7, v6
	;; [unrolled: 1-line block ×4, first 2 shown]
	v_accvgpr_read_b32 v0, a125
	scratch_store_dwordx4 off, v[6:9], off offset:944
	s_waitcnt vmcnt(1)
	ds_write_b128 v0, v[2:5]
.LBB61_281:
	s_or_b64 exec, exec, s[0:1]
	s_waitcnt lgkmcnt(0)
	; wave barrier
	scratch_load_dwordx4 v[4:7], off, off offset:960
	scratch_load_dwordx4 v[8:11], off, off offset:976
	;; [unrolled: 1-line block ×4, first 2 shown]
	v_mov_b32_e32 v2, 0
	ds_read_b128 v[20:23], v2 offset:1936
	ds_read_b128 v[24:27], v2 offset:1952
	;; [unrolled: 1-line block ×3, first 2 shown]
	v_cmp_lt_u32_e32 vcc, 57, v248
	s_waitcnt vmcnt(3) lgkmcnt(2)
	v_mul_f64 v[32:33], v[20:21], v[6:7]
	v_mul_f64 v[6:7], v[22:23], v[6:7]
	s_waitcnt vmcnt(2) lgkmcnt(1)
	v_mul_f64 v[34:35], v[24:25], v[10:11]
	v_mul_f64 v[10:11], v[26:27], v[10:11]
	v_fmac_f64_e32 v[32:33], v[22:23], v[4:5]
	v_fma_f64 v[4:5], v[20:21], v[4:5], -v[6:7]
	s_waitcnt vmcnt(1) lgkmcnt(0)
	v_mul_f64 v[36:37], v[28:29], v[14:15]
	v_mul_f64 v[14:15], v[30:31], v[14:15]
	v_fmac_f64_e32 v[34:35], v[26:27], v[8:9]
	v_fma_f64 v[6:7], v[24:25], v[8:9], -v[10:11]
	v_add_f64 v[10:11], v[32:33], 0
	v_add_f64 v[4:5], v[4:5], 0
	v_fmac_f64_e32 v[36:37], v[30:31], v[12:13]
	v_fma_f64 v[8:9], v[28:29], v[12:13], -v[14:15]
	v_add_f64 v[10:11], v[10:11], v[34:35]
	v_add_f64 v[4:5], v[4:5], v[6:7]
	;; [unrolled: 1-line block ×4, first 2 shown]
	s_waitcnt vmcnt(0)
	v_add_f64 v[4:5], v[16:17], -v[4:5]
	v_add_f64 v[6:7], v[18:19], -v[6:7]
	scratch_store_dwordx4 off, v[4:7], off offset:944
	s_and_saveexec_b64 s[0:1], vcc
	s_cbranch_execz .LBB61_283
; %bb.282:
	scratch_load_dwordx4 v[6:9], off, s53
	v_mov_b32_e32 v3, v2
	v_mov_b32_e32 v4, v2
	;; [unrolled: 1-line block ×3, first 2 shown]
	v_accvgpr_read_b32 v0, a125
	scratch_store_dwordx4 off, v[2:5], off offset:928
	s_waitcnt vmcnt(1)
	ds_write_b128 v0, v[6:9]
.LBB61_283:
	s_or_b64 exec, exec, s[0:1]
	s_waitcnt lgkmcnt(0)
	; wave barrier
	ds_read_b128 v[4:7], v2 offset:1920
	ds_read_b128 v[8:11], v2 offset:1936
	;; [unrolled: 1-line block ×4, first 2 shown]
	scratch_load_dwordx4 v[20:23], off, off offset:944
	scratch_load_dwordx4 v[24:27], off, off offset:960
	v_cmp_lt_u32_e32 vcc, 56, v248
	s_waitcnt vmcnt(1) lgkmcnt(3)
	v_mul_f64 v[2:3], v[4:5], v[22:23]
	v_fmac_f64_e32 v[2:3], v[6:7], v[20:21]
	s_waitcnt vmcnt(0) lgkmcnt(2)
	v_mul_f64 v[28:29], v[8:9], v[26:27]
	v_add_f64 v[2:3], v[2:3], 0
	v_fmac_f64_e32 v[28:29], v[10:11], v[24:25]
	v_add_f64 v[2:3], v[2:3], v[28:29]
	scratch_load_dwordx4 v[28:31], off, off offset:976
	s_waitcnt vmcnt(0) lgkmcnt(1)
	v_mul_f64 v[32:33], v[12:13], v[30:31]
	v_fmac_f64_e32 v[32:33], v[14:15], v[28:29]
	v_add_f64 v[2:3], v[2:3], v[32:33]
	scratch_load_dwordx4 v[32:35], off, off offset:992
	s_waitcnt vmcnt(0) lgkmcnt(0)
	v_mul_f64 v[36:37], v[16:17], v[34:35]
	v_fmac_f64_e32 v[36:37], v[18:19], v[32:33]
	v_add_f64 v[36:37], v[2:3], v[36:37]
	v_mul_f64 v[2:3], v[6:7], v[22:23]
	v_fma_f64 v[2:3], v[4:5], v[20:21], -v[2:3]
	v_mul_f64 v[4:5], v[10:11], v[26:27]
	v_add_f64 v[2:3], v[2:3], 0
	v_fma_f64 v[4:5], v[8:9], v[24:25], -v[4:5]
	v_add_f64 v[2:3], v[2:3], v[4:5]
	v_mul_f64 v[4:5], v[14:15], v[30:31]
	v_fma_f64 v[4:5], v[12:13], v[28:29], -v[4:5]
	v_add_f64 v[2:3], v[2:3], v[4:5]
	v_mul_f64 v[4:5], v[18:19], v[34:35]
	v_fma_f64 v[4:5], v[16:17], v[32:33], -v[4:5]
	v_add_f64 v[6:7], v[2:3], v[4:5]
	scratch_load_dwordx4 v[2:5], off, off offset:928
	s_waitcnt vmcnt(0)
	v_add_f64 v[2:3], v[2:3], -v[6:7]
	v_add_f64 v[4:5], v[4:5], -v[36:37]
	scratch_store_dwordx4 off, v[2:5], off offset:928
	s_and_saveexec_b64 s[0:1], vcc
	s_cbranch_execz .LBB61_285
; %bb.284:
	scratch_load_dwordx4 v[2:5], off, s52
	v_mov_b32_e32 v6, 0
	v_mov_b32_e32 v7, v6
	;; [unrolled: 1-line block ×4, first 2 shown]
	v_accvgpr_read_b32 v0, a125
	scratch_store_dwordx4 off, v[6:9], off offset:912
	s_waitcnt vmcnt(1)
	ds_write_b128 v0, v[2:5]
.LBB61_285:
	s_or_b64 exec, exec, s[0:1]
	s_waitcnt lgkmcnt(0)
	; wave barrier
	scratch_load_dwordx4 v[4:7], off, off offset:928
	scratch_load_dwordx4 v[8:11], off, off offset:944
	;; [unrolled: 1-line block ×6, first 2 shown]
	v_mov_b32_e32 v2, 0
	ds_read_b128 v[28:31], v2 offset:1904
	ds_read_b128 v[32:35], v2 offset:1920
	ds_read_b128 v[36:39], v2 offset:1936
	ds_read_b128 v[40:43], v2 offset:1952
	ds_read_b128 v[44:47], v2 offset:1968
	v_cmp_lt_u32_e32 vcc, 55, v248
	s_waitcnt vmcnt(5) lgkmcnt(4)
	v_mul_f64 v[48:49], v[28:29], v[6:7]
	v_mul_f64 v[6:7], v[30:31], v[6:7]
	s_waitcnt vmcnt(4) lgkmcnt(3)
	v_mul_f64 v[50:51], v[32:33], v[10:11]
	s_waitcnt vmcnt(3) lgkmcnt(2)
	v_mul_f64 v[52:53], v[36:37], v[14:15]
	v_mul_f64 v[10:11], v[34:35], v[10:11]
	;; [unrolled: 1-line block ×3, first 2 shown]
	v_fmac_f64_e32 v[48:49], v[30:31], v[4:5]
	v_fma_f64 v[4:5], v[28:29], v[4:5], -v[6:7]
	v_fmac_f64_e32 v[50:51], v[34:35], v[8:9]
	v_fma_f64 v[6:7], v[32:33], v[8:9], -v[10:11]
	v_fma_f64 v[8:9], v[36:37], v[12:13], -v[14:15]
	v_add_f64 v[14:15], v[48:49], 0
	v_add_f64 v[4:5], v[4:5], 0
	s_waitcnt vmcnt(2) lgkmcnt(1)
	v_mul_f64 v[54:55], v[40:41], v[18:19]
	v_mul_f64 v[18:19], v[42:43], v[18:19]
	v_fmac_f64_e32 v[52:53], v[38:39], v[12:13]
	v_add_f64 v[14:15], v[14:15], v[50:51]
	v_add_f64 v[4:5], v[4:5], v[6:7]
	s_waitcnt vmcnt(1) lgkmcnt(0)
	v_mul_f64 v[56:57], v[44:45], v[22:23]
	v_mul_f64 v[22:23], v[46:47], v[22:23]
	v_fmac_f64_e32 v[54:55], v[42:43], v[16:17]
	v_fma_f64 v[10:11], v[40:41], v[16:17], -v[18:19]
	v_add_f64 v[6:7], v[14:15], v[52:53]
	v_add_f64 v[4:5], v[4:5], v[8:9]
	v_fmac_f64_e32 v[56:57], v[46:47], v[20:21]
	v_fma_f64 v[12:13], v[44:45], v[20:21], -v[22:23]
	v_add_f64 v[6:7], v[6:7], v[54:55]
	v_add_f64 v[4:5], v[4:5], v[10:11]
	;; [unrolled: 1-line block ×4, first 2 shown]
	s_waitcnt vmcnt(0)
	v_add_f64 v[4:5], v[24:25], -v[4:5]
	v_add_f64 v[6:7], v[26:27], -v[6:7]
	scratch_store_dwordx4 off, v[4:7], off offset:912
	s_and_saveexec_b64 s[0:1], vcc
	s_cbranch_execz .LBB61_287
; %bb.286:
	scratch_load_dwordx4 v[6:9], off, s50
	v_mov_b32_e32 v3, v2
	v_mov_b32_e32 v4, v2
	v_mov_b32_e32 v5, v2
	v_accvgpr_read_b32 v0, a125
	scratch_store_dwordx4 off, v[2:5], off offset:896
	s_waitcnt vmcnt(1)
	ds_write_b128 v0, v[6:9]
.LBB61_287:
	s_or_b64 exec, exec, s[0:1]
	s_waitcnt lgkmcnt(0)
	; wave barrier
	scratch_load_dwordx4 v[4:7], off, off offset:912
	scratch_load_dwordx4 v[8:11], off, off offset:928
	;; [unrolled: 1-line block ×7, first 2 shown]
	ds_read_b128 v[32:35], v2 offset:1888
	ds_read_b128 v[36:39], v2 offset:1904
	ds_read_b128 v[40:43], v2 offset:1920
	ds_read_b128 v[44:47], v2 offset:1936
	ds_read_b128 v[48:51], v2 offset:1952
	ds_read_b128 v[52:55], v2 offset:1968
	v_cmp_lt_u32_e32 vcc, 54, v248
	s_waitcnt vmcnt(6) lgkmcnt(5)
	v_mul_f64 v[2:3], v[32:33], v[6:7]
	v_mul_f64 v[6:7], v[34:35], v[6:7]
	s_waitcnt vmcnt(5) lgkmcnt(4)
	v_mul_f64 v[56:57], v[36:37], v[10:11]
	v_mul_f64 v[10:11], v[38:39], v[10:11]
	v_fmac_f64_e32 v[2:3], v[34:35], v[4:5]
	v_fma_f64 v[4:5], v[32:33], v[4:5], -v[6:7]
	s_waitcnt vmcnt(4) lgkmcnt(3)
	v_mul_f64 v[58:59], v[40:41], v[14:15]
	v_mul_f64 v[14:15], v[42:43], v[14:15]
	v_fmac_f64_e32 v[56:57], v[38:39], v[8:9]
	v_fma_f64 v[6:7], v[36:37], v[8:9], -v[10:11]
	v_add_f64 v[2:3], v[2:3], 0
	v_add_f64 v[4:5], v[4:5], 0
	s_waitcnt vmcnt(3) lgkmcnt(2)
	v_mul_f64 v[60:61], v[44:45], v[18:19]
	v_mul_f64 v[18:19], v[46:47], v[18:19]
	v_fmac_f64_e32 v[58:59], v[42:43], v[12:13]
	v_fma_f64 v[8:9], v[40:41], v[12:13], -v[14:15]
	v_add_f64 v[2:3], v[2:3], v[56:57]
	v_add_f64 v[4:5], v[4:5], v[6:7]
	;; [unrolled: 7-line block ×4, first 2 shown]
	v_fmac_f64_e32 v[64:65], v[54:55], v[24:25]
	v_fma_f64 v[14:15], v[52:53], v[24:25], -v[26:27]
	v_add_f64 v[2:3], v[2:3], v[62:63]
	v_add_f64 v[4:5], v[4:5], v[12:13]
	;; [unrolled: 1-line block ×4, first 2 shown]
	s_waitcnt vmcnt(0)
	v_add_f64 v[2:3], v[28:29], -v[2:3]
	v_add_f64 v[4:5], v[30:31], -v[6:7]
	scratch_store_dwordx4 off, v[2:5], off offset:896
	s_and_saveexec_b64 s[0:1], vcc
	s_cbranch_execz .LBB61_289
; %bb.288:
	scratch_load_dwordx4 v[2:5], off, s51
	v_mov_b32_e32 v6, 0
	v_mov_b32_e32 v7, v6
	;; [unrolled: 1-line block ×4, first 2 shown]
	v_accvgpr_read_b32 v0, a125
	scratch_store_dwordx4 off, v[6:9], off offset:880
	s_waitcnt vmcnt(1)
	ds_write_b128 v0, v[2:5]
.LBB61_289:
	s_or_b64 exec, exec, s[0:1]
	s_waitcnt lgkmcnt(0)
	; wave barrier
	scratch_load_dwordx4 v[4:7], off, off offset:896
	scratch_load_dwordx4 v[8:11], off, off offset:912
	;; [unrolled: 1-line block ×8, first 2 shown]
	v_mov_b32_e32 v2, 0
	ds_read_b128 v[36:39], v2 offset:1872
	ds_read_b128 v[40:43], v2 offset:1888
	;; [unrolled: 1-line block ×7, first 2 shown]
	v_cmp_lt_u32_e32 vcc, 53, v248
	s_waitcnt vmcnt(7) lgkmcnt(6)
	v_mul_f64 v[64:65], v[36:37], v[6:7]
	v_mul_f64 v[6:7], v[38:39], v[6:7]
	s_waitcnt vmcnt(6) lgkmcnt(5)
	v_mul_f64 v[66:67], v[40:41], v[10:11]
	s_waitcnt vmcnt(4) lgkmcnt(3)
	v_mul_f64 v[70:71], v[48:49], v[18:19]
	v_mul_f64 v[10:11], v[42:43], v[10:11]
	;; [unrolled: 1-line block ×3, first 2 shown]
	v_fmac_f64_e32 v[64:65], v[38:39], v[4:5]
	v_fma_f64 v[4:5], v[36:37], v[4:5], -v[6:7]
	v_mul_f64 v[68:69], v[44:45], v[14:15]
	v_mul_f64 v[14:15], v[46:47], v[14:15]
	v_fmac_f64_e32 v[66:67], v[42:43], v[8:9]
	v_fma_f64 v[6:7], v[40:41], v[8:9], -v[10:11]
	v_fma_f64 v[10:11], v[48:49], v[16:17], -v[18:19]
	v_add_f64 v[18:19], v[64:65], 0
	v_add_f64 v[4:5], v[4:5], 0
	v_fmac_f64_e32 v[68:69], v[46:47], v[12:13]
	v_fma_f64 v[8:9], v[44:45], v[12:13], -v[14:15]
	v_add_f64 v[18:19], v[18:19], v[66:67]
	v_add_f64 v[4:5], v[4:5], v[6:7]
	s_waitcnt vmcnt(3) lgkmcnt(2)
	v_mul_f64 v[72:73], v[52:53], v[22:23]
	v_mul_f64 v[22:23], v[54:55], v[22:23]
	v_fmac_f64_e32 v[70:71], v[50:51], v[16:17]
	v_add_f64 v[6:7], v[18:19], v[68:69]
	v_add_f64 v[4:5], v[4:5], v[8:9]
	s_waitcnt vmcnt(2) lgkmcnt(1)
	v_mul_f64 v[74:75], v[56:57], v[26:27]
	v_mul_f64 v[26:27], v[58:59], v[26:27]
	v_fmac_f64_e32 v[72:73], v[54:55], v[20:21]
	v_fma_f64 v[12:13], v[52:53], v[20:21], -v[22:23]
	v_add_f64 v[6:7], v[6:7], v[70:71]
	v_add_f64 v[4:5], v[4:5], v[10:11]
	s_waitcnt vmcnt(1) lgkmcnt(0)
	v_mul_f64 v[76:77], v[60:61], v[30:31]
	v_mul_f64 v[30:31], v[62:63], v[30:31]
	v_fmac_f64_e32 v[74:75], v[58:59], v[24:25]
	v_fma_f64 v[14:15], v[56:57], v[24:25], -v[26:27]
	v_add_f64 v[6:7], v[6:7], v[72:73]
	v_add_f64 v[4:5], v[4:5], v[12:13]
	v_fmac_f64_e32 v[76:77], v[62:63], v[28:29]
	v_fma_f64 v[16:17], v[60:61], v[28:29], -v[30:31]
	v_add_f64 v[6:7], v[6:7], v[74:75]
	v_add_f64 v[4:5], v[4:5], v[14:15]
	;; [unrolled: 1-line block ×4, first 2 shown]
	s_waitcnt vmcnt(0)
	v_add_f64 v[4:5], v[32:33], -v[4:5]
	v_add_f64 v[6:7], v[34:35], -v[6:7]
	scratch_store_dwordx4 off, v[4:7], off offset:880
	s_and_saveexec_b64 s[0:1], vcc
	s_cbranch_execz .LBB61_291
; %bb.290:
	scratch_load_dwordx4 v[6:9], off, s49
	v_mov_b32_e32 v3, v2
	v_mov_b32_e32 v4, v2
	;; [unrolled: 1-line block ×3, first 2 shown]
	v_accvgpr_read_b32 v0, a125
	scratch_store_dwordx4 off, v[2:5], off offset:864
	s_waitcnt vmcnt(1)
	ds_write_b128 v0, v[6:9]
.LBB61_291:
	s_or_b64 exec, exec, s[0:1]
	s_waitcnt lgkmcnt(0)
	; wave barrier
	scratch_load_dwordx4 v[4:7], off, off offset:880
	scratch_load_dwordx4 v[8:11], off, off offset:896
	;; [unrolled: 1-line block ×9, first 2 shown]
	ds_read_b128 v[40:43], v2 offset:1856
	ds_read_b128 v[44:47], v2 offset:1872
	ds_read_b128 v[48:51], v2 offset:1888
	ds_read_b128 v[52:55], v2 offset:1904
	ds_read_b128 v[56:59], v2 offset:1920
	ds_read_b128 v[60:63], v2 offset:1936
	ds_read_b128 v[64:67], v2 offset:1952
	ds_read_b128 v[68:71], v2 offset:1968
	v_cmp_lt_u32_e32 vcc, 52, v248
	s_waitcnt vmcnt(8) lgkmcnt(7)
	v_mul_f64 v[2:3], v[40:41], v[6:7]
	v_mul_f64 v[6:7], v[42:43], v[6:7]
	s_waitcnt vmcnt(7) lgkmcnt(6)
	v_mul_f64 v[72:73], v[44:45], v[10:11]
	v_mul_f64 v[10:11], v[46:47], v[10:11]
	v_fmac_f64_e32 v[2:3], v[42:43], v[4:5]
	v_fma_f64 v[4:5], v[40:41], v[4:5], -v[6:7]
	s_waitcnt vmcnt(6) lgkmcnt(5)
	v_mul_f64 v[74:75], v[48:49], v[14:15]
	v_mul_f64 v[14:15], v[50:51], v[14:15]
	v_fmac_f64_e32 v[72:73], v[46:47], v[8:9]
	v_fma_f64 v[6:7], v[44:45], v[8:9], -v[10:11]
	v_add_f64 v[2:3], v[2:3], 0
	v_add_f64 v[4:5], v[4:5], 0
	s_waitcnt vmcnt(5) lgkmcnt(4)
	v_mul_f64 v[76:77], v[52:53], v[18:19]
	v_mul_f64 v[18:19], v[54:55], v[18:19]
	v_fmac_f64_e32 v[74:75], v[50:51], v[12:13]
	v_fma_f64 v[8:9], v[48:49], v[12:13], -v[14:15]
	v_add_f64 v[2:3], v[2:3], v[72:73]
	v_add_f64 v[4:5], v[4:5], v[6:7]
	;; [unrolled: 7-line block ×6, first 2 shown]
	v_fmac_f64_e32 v[84:85], v[70:71], v[32:33]
	v_fma_f64 v[18:19], v[68:69], v[32:33], -v[34:35]
	v_add_f64 v[2:3], v[2:3], v[82:83]
	v_add_f64 v[4:5], v[4:5], v[16:17]
	;; [unrolled: 1-line block ×4, first 2 shown]
	s_waitcnt vmcnt(0)
	v_add_f64 v[2:3], v[36:37], -v[2:3]
	v_add_f64 v[4:5], v[38:39], -v[6:7]
	scratch_store_dwordx4 off, v[2:5], off offset:864
	s_and_saveexec_b64 s[0:1], vcc
	s_cbranch_execz .LBB61_293
; %bb.292:
	scratch_load_dwordx4 v[2:5], off, s48
	v_mov_b32_e32 v6, 0
	v_mov_b32_e32 v7, v6
	;; [unrolled: 1-line block ×4, first 2 shown]
	v_accvgpr_read_b32 v0, a125
	scratch_store_dwordx4 off, v[6:9], off offset:848
	s_waitcnt vmcnt(1)
	ds_write_b128 v0, v[2:5]
.LBB61_293:
	s_or_b64 exec, exec, s[0:1]
	s_waitcnt lgkmcnt(0)
	; wave barrier
	scratch_load_dwordx4 v[4:7], off, off offset:864
	scratch_load_dwordx4 v[8:11], off, off offset:880
	;; [unrolled: 1-line block ×10, first 2 shown]
	v_mov_b32_e32 v2, 0
	ds_read_b128 v[44:47], v2 offset:1840
	ds_read_b128 v[48:51], v2 offset:1856
	;; [unrolled: 1-line block ×9, first 2 shown]
	v_cmp_lt_u32_e32 vcc, 51, v248
	s_waitcnt vmcnt(9) lgkmcnt(8)
	v_mul_f64 v[80:81], v[44:45], v[6:7]
	v_mul_f64 v[6:7], v[46:47], v[6:7]
	s_waitcnt vmcnt(8) lgkmcnt(7)
	v_mul_f64 v[82:83], v[48:49], v[10:11]
	s_waitcnt vmcnt(7) lgkmcnt(6)
	;; [unrolled: 2-line block ×3, first 2 shown]
	v_mul_f64 v[88:89], v[60:61], v[22:23]
	v_mul_f64 v[10:11], v[50:51], v[10:11]
	;; [unrolled: 1-line block ×4, first 2 shown]
	v_fmac_f64_e32 v[80:81], v[46:47], v[4:5]
	v_fma_f64 v[4:5], v[44:45], v[4:5], -v[6:7]
	v_fmac_f64_e32 v[82:83], v[50:51], v[8:9]
	v_fmac_f64_e32 v[84:85], v[54:55], v[12:13]
	v_fma_f64 v[6:7], v[48:49], v[8:9], -v[10:11]
	v_fma_f64 v[8:9], v[52:53], v[12:13], -v[14:15]
	;; [unrolled: 1-line block ×3, first 2 shown]
	v_add_f64 v[22:23], v[80:81], 0
	v_add_f64 v[4:5], v[4:5], 0
	v_mul_f64 v[86:87], v[56:57], v[18:19]
	v_mul_f64 v[18:19], v[58:59], v[18:19]
	v_add_f64 v[22:23], v[22:23], v[82:83]
	v_add_f64 v[4:5], v[4:5], v[6:7]
	v_fmac_f64_e32 v[86:87], v[58:59], v[16:17]
	v_fma_f64 v[10:11], v[56:57], v[16:17], -v[18:19]
	v_add_f64 v[6:7], v[22:23], v[84:85]
	v_add_f64 v[4:5], v[4:5], v[8:9]
	s_waitcnt vmcnt(4) lgkmcnt(3)
	v_mul_f64 v[90:91], v[64:65], v[26:27]
	v_mul_f64 v[26:27], v[66:67], v[26:27]
	v_fmac_f64_e32 v[88:89], v[62:63], v[20:21]
	v_add_f64 v[6:7], v[6:7], v[86:87]
	v_add_f64 v[4:5], v[4:5], v[10:11]
	s_waitcnt vmcnt(3) lgkmcnt(2)
	v_mul_f64 v[92:93], v[68:69], v[30:31]
	v_mul_f64 v[30:31], v[70:71], v[30:31]
	v_fmac_f64_e32 v[90:91], v[66:67], v[24:25]
	v_fma_f64 v[14:15], v[64:65], v[24:25], -v[26:27]
	v_add_f64 v[6:7], v[6:7], v[88:89]
	v_add_f64 v[4:5], v[4:5], v[12:13]
	s_waitcnt vmcnt(2) lgkmcnt(1)
	v_mul_f64 v[94:95], v[72:73], v[34:35]
	v_mul_f64 v[34:35], v[74:75], v[34:35]
	v_fmac_f64_e32 v[92:93], v[70:71], v[28:29]
	v_fma_f64 v[16:17], v[68:69], v[28:29], -v[30:31]
	;; [unrolled: 7-line block ×3, first 2 shown]
	v_add_f64 v[6:7], v[6:7], v[92:93]
	v_add_f64 v[4:5], v[4:5], v[16:17]
	v_fmac_f64_e32 v[96:97], v[78:79], v[36:37]
	v_fma_f64 v[20:21], v[76:77], v[36:37], -v[38:39]
	v_add_f64 v[6:7], v[6:7], v[94:95]
	v_add_f64 v[4:5], v[4:5], v[18:19]
	;; [unrolled: 1-line block ×4, first 2 shown]
	s_waitcnt vmcnt(0)
	v_add_f64 v[4:5], v[40:41], -v[4:5]
	v_add_f64 v[6:7], v[42:43], -v[6:7]
	scratch_store_dwordx4 off, v[4:7], off offset:848
	s_and_saveexec_b64 s[0:1], vcc
	s_cbranch_execz .LBB61_295
; %bb.294:
	scratch_load_dwordx4 v[6:9], off, s47
	v_mov_b32_e32 v3, v2
	v_mov_b32_e32 v4, v2
	v_mov_b32_e32 v5, v2
	v_accvgpr_read_b32 v0, a125
	scratch_store_dwordx4 off, v[2:5], off offset:832
	s_waitcnt vmcnt(1)
	ds_write_b128 v0, v[6:9]
.LBB61_295:
	s_or_b64 exec, exec, s[0:1]
	s_waitcnt lgkmcnt(0)
	; wave barrier
	scratch_load_dwordx4 v[4:7], off, off offset:848
	scratch_load_dwordx4 v[8:11], off, off offset:864
	;; [unrolled: 1-line block ×11, first 2 shown]
	ds_read_b128 v[48:51], v2 offset:1824
	ds_read_b128 v[52:55], v2 offset:1840
	;; [unrolled: 1-line block ×10, first 2 shown]
	v_cmp_lt_u32_e32 vcc, 50, v248
	s_waitcnt vmcnt(10) lgkmcnt(9)
	v_mul_f64 v[2:3], v[48:49], v[6:7]
	v_mul_f64 v[6:7], v[50:51], v[6:7]
	s_waitcnt vmcnt(9) lgkmcnt(8)
	v_mul_f64 v[88:89], v[52:53], v[10:11]
	v_mul_f64 v[10:11], v[54:55], v[10:11]
	v_fmac_f64_e32 v[2:3], v[50:51], v[4:5]
	v_fma_f64 v[4:5], v[48:49], v[4:5], -v[6:7]
	s_waitcnt vmcnt(8) lgkmcnt(7)
	v_mul_f64 v[90:91], v[56:57], v[14:15]
	v_mul_f64 v[14:15], v[58:59], v[14:15]
	v_fmac_f64_e32 v[88:89], v[54:55], v[8:9]
	v_fma_f64 v[6:7], v[52:53], v[8:9], -v[10:11]
	v_add_f64 v[2:3], v[2:3], 0
	v_add_f64 v[4:5], v[4:5], 0
	s_waitcnt vmcnt(7) lgkmcnt(6)
	v_mul_f64 v[92:93], v[60:61], v[18:19]
	v_mul_f64 v[18:19], v[62:63], v[18:19]
	v_fmac_f64_e32 v[90:91], v[58:59], v[12:13]
	v_fma_f64 v[8:9], v[56:57], v[12:13], -v[14:15]
	v_add_f64 v[2:3], v[2:3], v[88:89]
	v_add_f64 v[4:5], v[4:5], v[6:7]
	;; [unrolled: 7-line block ×8, first 2 shown]
	v_fmac_f64_e32 v[104:105], v[86:87], v[40:41]
	v_fma_f64 v[22:23], v[84:85], v[40:41], -v[42:43]
	v_add_f64 v[2:3], v[2:3], v[102:103]
	v_add_f64 v[4:5], v[4:5], v[20:21]
	v_add_f64 v[6:7], v[2:3], v[104:105]
	v_add_f64 v[2:3], v[4:5], v[22:23]
	s_waitcnt vmcnt(0)
	v_add_f64 v[2:3], v[44:45], -v[2:3]
	v_add_f64 v[4:5], v[46:47], -v[6:7]
	scratch_store_dwordx4 off, v[2:5], off offset:832
	s_and_saveexec_b64 s[0:1], vcc
	s_cbranch_execz .LBB61_297
; %bb.296:
	scratch_load_dwordx4 v[2:5], off, s46
	v_mov_b32_e32 v6, 0
	v_mov_b32_e32 v7, v6
	v_mov_b32_e32 v8, v6
	v_mov_b32_e32 v9, v6
	v_accvgpr_read_b32 v0, a125
	scratch_store_dwordx4 off, v[6:9], off offset:816
	s_waitcnt vmcnt(1)
	ds_write_b128 v0, v[2:5]
.LBB61_297:
	s_or_b64 exec, exec, s[0:1]
	s_waitcnt lgkmcnt(0)
	; wave barrier
	scratch_load_dwordx4 v[4:7], off, off offset:832
	scratch_load_dwordx4 v[8:11], off, off offset:848
	;; [unrolled: 1-line block ×12, first 2 shown]
	v_mov_b32_e32 v2, 0
	ds_read_b128 v[52:55], v2 offset:1808
	ds_read_b128 v[56:59], v2 offset:1824
	;; [unrolled: 1-line block ×11, first 2 shown]
	v_cmp_lt_u32_e32 vcc, 49, v248
	s_waitcnt vmcnt(11) lgkmcnt(10)
	v_mul_f64 v[96:97], v[52:53], v[6:7]
	v_mul_f64 v[6:7], v[54:55], v[6:7]
	s_waitcnt vmcnt(10) lgkmcnt(9)
	v_mul_f64 v[98:99], v[56:57], v[10:11]
	s_waitcnt vmcnt(9) lgkmcnt(8)
	v_mul_f64 v[100:101], v[60:61], v[14:15]
	v_mul_f64 v[10:11], v[58:59], v[10:11]
	s_waitcnt vmcnt(6) lgkmcnt(5)
	v_mul_f64 v[106:107], v[72:73], v[26:27]
	v_mul_f64 v[14:15], v[62:63], v[14:15]
	;; [unrolled: 1-line block ×3, first 2 shown]
	v_fmac_f64_e32 v[96:97], v[54:55], v[4:5]
	v_fma_f64 v[4:5], v[52:53], v[4:5], -v[6:7]
	v_fmac_f64_e32 v[98:99], v[58:59], v[8:9]
	v_fma_f64 v[6:7], v[56:57], v[8:9], -v[10:11]
	v_fma_f64 v[8:9], v[60:61], v[12:13], -v[14:15]
	;; [unrolled: 1-line block ×3, first 2 shown]
	v_add_f64 v[26:27], v[96:97], 0
	v_add_f64 v[4:5], v[4:5], 0
	v_mul_f64 v[102:103], v[64:65], v[18:19]
	v_mul_f64 v[18:19], v[66:67], v[18:19]
	v_fmac_f64_e32 v[100:101], v[62:63], v[12:13]
	v_add_f64 v[26:27], v[26:27], v[98:99]
	v_add_f64 v[4:5], v[4:5], v[6:7]
	v_mul_f64 v[104:105], v[68:69], v[22:23]
	v_mul_f64 v[22:23], v[70:71], v[22:23]
	v_fmac_f64_e32 v[102:103], v[66:67], v[16:17]
	v_fma_f64 v[10:11], v[64:65], v[16:17], -v[18:19]
	v_add_f64 v[6:7], v[26:27], v[100:101]
	v_add_f64 v[4:5], v[4:5], v[8:9]
	v_fmac_f64_e32 v[104:105], v[70:71], v[20:21]
	v_fma_f64 v[12:13], v[68:69], v[20:21], -v[22:23]
	v_add_f64 v[6:7], v[6:7], v[102:103]
	v_add_f64 v[4:5], v[4:5], v[10:11]
	s_waitcnt vmcnt(5) lgkmcnt(4)
	v_mul_f64 v[108:109], v[76:77], v[30:31]
	v_mul_f64 v[30:31], v[78:79], v[30:31]
	v_fmac_f64_e32 v[106:107], v[74:75], v[24:25]
	v_add_f64 v[6:7], v[6:7], v[104:105]
	v_add_f64 v[4:5], v[4:5], v[12:13]
	s_waitcnt vmcnt(4) lgkmcnt(3)
	v_mul_f64 v[110:111], v[80:81], v[34:35]
	v_mul_f64 v[34:35], v[82:83], v[34:35]
	v_fmac_f64_e32 v[108:109], v[78:79], v[28:29]
	v_fma_f64 v[16:17], v[76:77], v[28:29], -v[30:31]
	v_add_f64 v[6:7], v[6:7], v[106:107]
	v_add_f64 v[4:5], v[4:5], v[14:15]
	s_waitcnt vmcnt(3) lgkmcnt(2)
	v_mul_f64 v[112:113], v[84:85], v[38:39]
	v_mul_f64 v[38:39], v[86:87], v[38:39]
	v_fmac_f64_e32 v[110:111], v[82:83], v[32:33]
	v_fma_f64 v[18:19], v[80:81], v[32:33], -v[34:35]
	;; [unrolled: 7-line block ×4, first 2 shown]
	v_add_f64 v[6:7], v[6:7], v[112:113]
	v_add_f64 v[4:5], v[4:5], v[20:21]
	v_fmac_f64_e32 v[116:117], v[94:95], v[44:45]
	v_fma_f64 v[24:25], v[92:93], v[44:45], -v[46:47]
	v_add_f64 v[6:7], v[6:7], v[114:115]
	v_add_f64 v[4:5], v[4:5], v[22:23]
	;; [unrolled: 1-line block ×4, first 2 shown]
	s_waitcnt vmcnt(0)
	v_add_f64 v[4:5], v[48:49], -v[4:5]
	v_add_f64 v[6:7], v[50:51], -v[6:7]
	scratch_store_dwordx4 off, v[4:7], off offset:816
	s_and_saveexec_b64 s[0:1], vcc
	s_cbranch_execz .LBB61_299
; %bb.298:
	scratch_load_dwordx4 v[6:9], off, s44
	v_mov_b32_e32 v3, v2
	v_mov_b32_e32 v4, v2
	;; [unrolled: 1-line block ×3, first 2 shown]
	v_accvgpr_read_b32 v0, a125
	scratch_store_dwordx4 off, v[2:5], off offset:800
	s_waitcnt vmcnt(1)
	ds_write_b128 v0, v[6:9]
.LBB61_299:
	s_or_b64 exec, exec, s[0:1]
	s_waitcnt lgkmcnt(0)
	; wave barrier
	scratch_load_dwordx4 v[4:7], off, off offset:816
	scratch_load_dwordx4 v[8:11], off, off offset:832
	;; [unrolled: 1-line block ×12, first 2 shown]
	ds_read_b128 v[52:55], v2 offset:1792
	ds_read_b128 v[56:59], v2 offset:1808
	;; [unrolled: 1-line block ×4, first 2 shown]
	scratch_load_dwordx4 v[68:71], off, off offset:800
	ds_read_b128 v[72:75], v2 offset:1856
	ds_read_b128 v[76:79], v2 offset:1872
	;; [unrolled: 1-line block ×8, first 2 shown]
	v_cmp_lt_u32_e32 vcc, 48, v248
	s_waitcnt vmcnt(12) lgkmcnt(11)
	v_mul_f64 v[2:3], v[52:53], v[6:7]
	s_waitcnt vmcnt(11) lgkmcnt(10)
	v_mul_f64 v[104:105], v[56:57], v[10:11]
	v_fmac_f64_e32 v[2:3], v[54:55], v[4:5]
	s_waitcnt vmcnt(10) lgkmcnt(9)
	v_mul_f64 v[106:107], v[60:61], v[14:15]
	v_mul_f64 v[6:7], v[54:55], v[6:7]
	v_fmac_f64_e32 v[104:105], v[58:59], v[8:9]
	v_add_f64 v[2:3], v[2:3], 0
	s_waitcnt vmcnt(9) lgkmcnt(8)
	v_mul_f64 v[108:109], v[64:65], v[18:19]
	v_mul_f64 v[10:11], v[58:59], v[10:11]
	v_fmac_f64_e32 v[106:107], v[62:63], v[12:13]
	v_fma_f64 v[4:5], v[52:53], v[4:5], -v[6:7]
	v_add_f64 v[2:3], v[2:3], v[104:105]
	s_waitcnt vmcnt(8) lgkmcnt(7)
	v_mul_f64 v[110:111], v[72:73], v[22:23]
	v_mul_f64 v[14:15], v[62:63], v[14:15]
	v_fmac_f64_e32 v[108:109], v[66:67], v[16:17]
	v_fma_f64 v[6:7], v[56:57], v[8:9], -v[10:11]
	v_add_f64 v[4:5], v[4:5], 0
	v_add_f64 v[2:3], v[2:3], v[106:107]
	s_waitcnt vmcnt(7) lgkmcnt(6)
	v_mul_f64 v[112:113], v[76:77], v[26:27]
	v_mul_f64 v[18:19], v[66:67], v[18:19]
	v_fmac_f64_e32 v[110:111], v[74:75], v[20:21]
	v_fma_f64 v[8:9], v[60:61], v[12:13], -v[14:15]
	v_add_f64 v[4:5], v[4:5], v[6:7]
	;; [unrolled: 7-line block ×8, first 2 shown]
	v_add_f64 v[2:3], v[2:3], v[120:121]
	v_mul_f64 v[46:47], v[98:99], v[46:47]
	v_fmac_f64_e32 v[124:125], v[102:103], v[48:49]
	v_fma_f64 v[22:23], v[92:93], v[40:41], -v[42:43]
	v_add_f64 v[4:5], v[4:5], v[20:21]
	v_add_f64 v[2:3], v[2:3], v[122:123]
	;; [unrolled: 1-line block ×4, first 2 shown]
	v_fma_f64 v[2:3], v[96:97], v[44:45], -v[46:47]
	v_add_f64 v[2:3], v[4:5], v[2:3]
	v_mul_f64 v[4:5], v[102:103], v[50:51]
	v_fma_f64 v[4:5], v[100:101], v[48:49], -v[4:5]
	v_add_f64 v[2:3], v[2:3], v[4:5]
	s_waitcnt vmcnt(0)
	v_add_f64 v[2:3], v[68:69], -v[2:3]
	v_add_f64 v[4:5], v[70:71], -v[6:7]
	scratch_store_dwordx4 off, v[2:5], off offset:800
	s_and_saveexec_b64 s[0:1], vcc
	s_cbranch_execz .LBB61_301
; %bb.300:
	scratch_load_dwordx4 v[2:5], off, s45
	v_mov_b32_e32 v6, 0
	v_mov_b32_e32 v7, v6
	;; [unrolled: 1-line block ×4, first 2 shown]
	v_accvgpr_read_b32 v0, a125
	scratch_store_dwordx4 off, v[6:9], off offset:784
	s_waitcnt vmcnt(1)
	ds_write_b128 v0, v[2:5]
.LBB61_301:
	s_or_b64 exec, exec, s[0:1]
	v_mov_b32_e32 v2, 0
	s_waitcnt lgkmcnt(0)
	; wave barrier
	ds_read_b128 v[16:19], v2 offset:1776
	ds_read_b128 v[12:15], v2 offset:1792
	;; [unrolled: 1-line block ×4, first 2 shown]
	scratch_load_dwordx4 v[20:23], off, off offset:800
	scratch_load_dwordx4 v[42:45], off, off offset:864
	;; [unrolled: 1-line block ×7, first 2 shown]
	v_cmp_lt_u32_e32 vcc, 47, v248
	scratch_load_dwordx4 v[50:53], off, off offset:880
	scratch_load_dwordx4 v[58:61], off, off offset:896
	scratch_load_dwordx4 v[66:69], off, off offset:912
	s_waitcnt vmcnt(9) lgkmcnt(3)
	v_mul_f64 v[24:25], v[16:17], v[22:23]
	v_fmac_f64_e32 v[24:25], v[18:19], v[20:21]
	v_add_f64 v[28:29], v[24:25], 0
	scratch_load_dwordx4 v[24:27], off, off offset:816
	v_mul_f64 v[18:19], v[18:19], v[22:23]
	v_fma_f64 v[16:17], v[16:17], v[20:21], -v[18:19]
	v_add_f64 v[16:17], v[16:17], 0
	s_waitcnt vmcnt(0) lgkmcnt(2)
	v_mul_f64 v[30:31], v[12:13], v[26:27]
	v_fmac_f64_e32 v[30:31], v[14:15], v[24:25]
	v_add_f64 v[32:33], v[28:29], v[30:31]
	scratch_load_dwordx4 v[28:31], off, off offset:832
	v_mul_f64 v[14:15], v[14:15], v[26:27]
	v_fma_f64 v[12:13], v[12:13], v[24:25], -v[14:15]
	v_add_f64 v[12:13], v[16:17], v[12:13]
	;; [unrolled: 8-line block ×3, first 2 shown]
	s_waitcnt vmcnt(0) lgkmcnt(0)
	v_mul_f64 v[38:39], v[4:5], v[36:37]
	v_fmac_f64_e32 v[38:39], v[6:7], v[34:35]
	v_add_f64 v[32:33], v[32:33], v[38:39]
	ds_read_b128 v[38:41], v2 offset:1840
	v_mul_f64 v[6:7], v[6:7], v[36:37]
	v_fma_f64 v[4:5], v[4:5], v[34:35], -v[6:7]
	v_add_f64 v[4:5], v[8:9], v[4:5]
	s_waitcnt lgkmcnt(0)
	v_mul_f64 v[46:47], v[38:39], v[44:45]
	v_fmac_f64_e32 v[46:47], v[40:41], v[42:43]
	v_add_f64 v[32:33], v[32:33], v[46:47]
	ds_read_b128 v[46:49], v2 offset:1856
	v_mul_f64 v[6:7], v[40:41], v[44:45]
	v_fma_f64 v[6:7], v[38:39], v[42:43], -v[6:7]
	v_add_f64 v[4:5], v[4:5], v[6:7]
	s_waitcnt lgkmcnt(0)
	;; [unrolled: 8-line block ×9, first 2 shown]
	v_mul_f64 v[6:7], v[104:105], v[108:109]
	v_fma_f64 v[6:7], v[102:103], v[106:107], -v[6:7]
	v_add_f64 v[8:9], v[4:5], v[6:7]
	scratch_load_dwordx4 v[4:7], off, off offset:784
	v_mul_f64 v[110:111], v[102:103], v[108:109]
	v_fmac_f64_e32 v[110:111], v[104:105], v[106:107]
	v_add_f64 v[32:33], v[32:33], v[110:111]
	s_waitcnt vmcnt(0)
	v_add_f64 v[4:5], v[4:5], -v[8:9]
	v_add_f64 v[6:7], v[6:7], -v[32:33]
	scratch_store_dwordx4 off, v[4:7], off offset:784
	s_and_saveexec_b64 s[0:1], vcc
	s_cbranch_execz .LBB61_303
; %bb.302:
	scratch_load_dwordx4 v[6:9], off, s43
	v_mov_b32_e32 v3, v2
	v_mov_b32_e32 v4, v2
	;; [unrolled: 1-line block ×3, first 2 shown]
	v_accvgpr_read_b32 v0, a125
	scratch_store_dwordx4 off, v[2:5], off offset:768
	s_waitcnt vmcnt(1)
	ds_write_b128 v0, v[6:9]
.LBB61_303:
	s_or_b64 exec, exec, s[0:1]
	s_waitcnt lgkmcnt(0)
	; wave barrier
	ds_read_b128 v[16:19], v2 offset:1760
	ds_read_b128 v[12:15], v2 offset:1776
	;; [unrolled: 1-line block ×4, first 2 shown]
	scratch_load_dwordx4 v[20:23], off, off offset:784
	scratch_load_dwordx4 v[42:45], off, off offset:848
	;; [unrolled: 1-line block ×8, first 2 shown]
	v_cmp_lt_u32_e32 vcc, 46, v248
	scratch_load_dwordx4 v[50:53], off, off offset:864
	scratch_load_dwordx4 v[58:61], off, off offset:880
	;; [unrolled: 1-line block ×3, first 2 shown]
	s_waitcnt vmcnt(10) lgkmcnt(3)
	v_mul_f64 v[24:25], v[16:17], v[22:23]
	v_fmac_f64_e32 v[24:25], v[18:19], v[20:21]
	v_add_f64 v[28:29], v[24:25], 0
	scratch_load_dwordx4 v[24:27], off, off offset:800
	s_waitcnt vmcnt(0) lgkmcnt(2)
	v_mul_f64 v[30:31], v[12:13], v[26:27]
	v_fmac_f64_e32 v[30:31], v[14:15], v[24:25]
	v_add_f64 v[32:33], v[28:29], v[30:31]
	scratch_load_dwordx4 v[28:31], off, off offset:816
	v_mul_f64 v[14:15], v[14:15], v[26:27]
	v_fma_f64 v[12:13], v[12:13], v[24:25], -v[14:15]
	s_waitcnt vmcnt(0) lgkmcnt(1)
	v_mul_f64 v[34:35], v[8:9], v[30:31]
	v_fmac_f64_e32 v[34:35], v[10:11], v[28:29]
	v_add_f64 v[36:37], v[32:33], v[34:35]
	scratch_load_dwordx4 v[32:35], off, off offset:832
	v_mul_f64 v[10:11], v[10:11], v[30:31]
	v_fma_f64 v[8:9], v[8:9], v[28:29], -v[10:11]
	s_waitcnt vmcnt(0) lgkmcnt(0)
	v_mul_f64 v[38:39], v[4:5], v[34:35]
	v_fmac_f64_e32 v[38:39], v[6:7], v[32:33]
	v_add_f64 v[40:41], v[36:37], v[38:39]
	ds_read_b128 v[36:39], v2 offset:1824
	v_mul_f64 v[6:7], v[6:7], v[34:35]
	v_fma_f64 v[4:5], v[4:5], v[32:33], -v[6:7]
	s_waitcnt lgkmcnt(0)
	v_mul_f64 v[46:47], v[36:37], v[44:45]
	v_fmac_f64_e32 v[46:47], v[38:39], v[42:43]
	v_add_f64 v[40:41], v[40:41], v[46:47]
	ds_read_b128 v[46:49], v2 offset:1840
	s_waitcnt lgkmcnt(0)
	v_mul_f64 v[54:55], v[46:47], v[52:53]
	v_fmac_f64_e32 v[54:55], v[48:49], v[50:51]
	v_add_f64 v[40:41], v[40:41], v[54:55]
	ds_read_b128 v[54:57], v2 offset:1856
	;; [unrolled: 5-line block ×9, first 2 shown]
	s_waitcnt lgkmcnt(0)
	v_mul_f64 v[2:3], v[110:111], v[116:117]
	v_fmac_f64_e32 v[2:3], v[112:113], v[114:115]
	v_add_f64 v[40:41], v[40:41], v[2:3]
	v_mul_f64 v[2:3], v[18:19], v[22:23]
	v_fma_f64 v[2:3], v[16:17], v[20:21], -v[2:3]
	v_add_f64 v[2:3], v[2:3], 0
	v_add_f64 v[2:3], v[2:3], v[12:13]
	;; [unrolled: 1-line block ×4, first 2 shown]
	v_mul_f64 v[4:5], v[38:39], v[44:45]
	v_fma_f64 v[4:5], v[36:37], v[42:43], -v[4:5]
	v_add_f64 v[2:3], v[2:3], v[4:5]
	v_mul_f64 v[4:5], v[48:49], v[52:53]
	v_fma_f64 v[4:5], v[46:47], v[50:51], -v[4:5]
	v_add_f64 v[2:3], v[2:3], v[4:5]
	;; [unrolled: 3-line block ×10, first 2 shown]
	scratch_load_dwordx4 v[2:5], off, off offset:768
	s_waitcnt vmcnt(0)
	v_add_f64 v[2:3], v[2:3], -v[6:7]
	v_add_f64 v[4:5], v[4:5], -v[40:41]
	scratch_store_dwordx4 off, v[2:5], off offset:768
	s_and_saveexec_b64 s[0:1], vcc
	s_cbranch_execz .LBB61_305
; %bb.304:
	scratch_load_dwordx4 v[2:5], off, s42
	v_mov_b32_e32 v6, 0
	v_mov_b32_e32 v7, v6
	;; [unrolled: 1-line block ×4, first 2 shown]
	v_accvgpr_read_b32 v0, a125
	scratch_store_dwordx4 off, v[6:9], off offset:752
	s_waitcnt vmcnt(1)
	ds_write_b128 v0, v[2:5]
.LBB61_305:
	s_or_b64 exec, exec, s[0:1]
	v_mov_b32_e32 v2, 0
	s_waitcnt lgkmcnt(0)
	; wave barrier
	ds_read_b128 v[16:19], v2 offset:1744
	ds_read_b128 v[12:15], v2 offset:1760
	;; [unrolled: 1-line block ×4, first 2 shown]
	scratch_load_dwordx4 v[20:23], off, off offset:768
	scratch_load_dwordx4 v[40:43], off, off offset:832
	;; [unrolled: 1-line block ×9, first 2 shown]
	v_cmp_lt_u32_e32 vcc, 45, v248
	scratch_load_dwordx4 v[50:53], off, off offset:848
	scratch_load_dwordx4 v[58:61], off, off offset:864
	;; [unrolled: 1-line block ×3, first 2 shown]
	s_waitcnt vmcnt(11) lgkmcnt(3)
	v_mul_f64 v[24:25], v[16:17], v[22:23]
	v_fmac_f64_e32 v[24:25], v[18:19], v[20:21]
	v_add_f64 v[28:29], v[24:25], 0
	scratch_load_dwordx4 v[24:27], off, off offset:784
	v_mul_f64 v[18:19], v[18:19], v[22:23]
	v_fma_f64 v[16:17], v[16:17], v[20:21], -v[18:19]
	v_add_f64 v[16:17], v[16:17], 0
	s_waitcnt vmcnt(0) lgkmcnt(2)
	v_mul_f64 v[30:31], v[12:13], v[26:27]
	v_fmac_f64_e32 v[30:31], v[14:15], v[24:25]
	v_add_f64 v[32:33], v[28:29], v[30:31]
	scratch_load_dwordx4 v[28:31], off, off offset:800
	v_mul_f64 v[14:15], v[14:15], v[26:27]
	v_fma_f64 v[12:13], v[12:13], v[24:25], -v[14:15]
	v_add_f64 v[12:13], v[16:17], v[12:13]
	;; [unrolled: 8-line block ×3, first 2 shown]
	s_waitcnt vmcnt(0) lgkmcnt(0)
	v_mul_f64 v[38:39], v[4:5], v[34:35]
	v_fmac_f64_e32 v[38:39], v[6:7], v[32:33]
	v_add_f64 v[44:45], v[36:37], v[38:39]
	ds_read_b128 v[36:39], v2 offset:1808
	v_mul_f64 v[6:7], v[6:7], v[34:35]
	v_fma_f64 v[4:5], v[4:5], v[32:33], -v[6:7]
	v_add_f64 v[4:5], v[8:9], v[4:5]
	s_waitcnt lgkmcnt(0)
	v_mul_f64 v[46:47], v[36:37], v[42:43]
	v_fmac_f64_e32 v[46:47], v[38:39], v[40:41]
	v_add_f64 v[48:49], v[44:45], v[46:47]
	ds_read_b128 v[44:47], v2 offset:1824
	v_mul_f64 v[6:7], v[38:39], v[42:43]
	v_fma_f64 v[6:7], v[36:37], v[40:41], -v[6:7]
	v_add_f64 v[4:5], v[4:5], v[6:7]
	s_waitcnt lgkmcnt(0)
	;; [unrolled: 8-line block ×11, first 2 shown]
	v_mul_f64 v[6:7], v[120:121], v[124:125]
	v_fma_f64 v[6:7], v[118:119], v[122:123], -v[6:7]
	v_add_f64 v[8:9], v[4:5], v[6:7]
	scratch_load_dwordx4 v[4:7], off, off offset:752
	v_mul_f64 v[126:127], v[118:119], v[124:125]
	v_fmac_f64_e32 v[126:127], v[120:121], v[122:123]
	v_add_f64 v[48:49], v[48:49], v[126:127]
	s_waitcnt vmcnt(0)
	v_add_f64 v[4:5], v[4:5], -v[8:9]
	v_add_f64 v[6:7], v[6:7], -v[48:49]
	scratch_store_dwordx4 off, v[4:7], off offset:752
	s_and_saveexec_b64 s[0:1], vcc
	s_cbranch_execz .LBB61_307
; %bb.306:
	scratch_load_dwordx4 v[6:9], off, s41
	v_mov_b32_e32 v3, v2
	v_mov_b32_e32 v4, v2
	;; [unrolled: 1-line block ×3, first 2 shown]
	v_accvgpr_read_b32 v0, a125
	scratch_store_dwordx4 off, v[2:5], off offset:736
	s_waitcnt vmcnt(1)
	ds_write_b128 v0, v[6:9]
.LBB61_307:
	s_or_b64 exec, exec, s[0:1]
	s_waitcnt lgkmcnt(0)
	; wave barrier
	ds_read_b128 v[16:19], v2 offset:1728
	ds_read_b128 v[12:15], v2 offset:1744
	;; [unrolled: 1-line block ×4, first 2 shown]
	scratch_load_dwordx4 v[20:23], off, off offset:752
	scratch_load_dwordx4 v[40:43], off, off offset:816
	;; [unrolled: 1-line block ×10, first 2 shown]
	v_cmp_lt_u32_e32 vcc, 44, v248
	scratch_load_dwordx4 v[48:51], off, off offset:832
	scratch_load_dwordx4 v[56:59], off, off offset:848
	;; [unrolled: 1-line block ×3, first 2 shown]
	s_waitcnt vmcnt(12) lgkmcnt(3)
	v_mul_f64 v[24:25], v[16:17], v[22:23]
	v_fmac_f64_e32 v[24:25], v[18:19], v[20:21]
	v_add_f64 v[28:29], v[24:25], 0
	scratch_load_dwordx4 v[24:27], off, off offset:768
	s_waitcnt vmcnt(0) lgkmcnt(2)
	v_mul_f64 v[30:31], v[12:13], v[26:27]
	v_fmac_f64_e32 v[30:31], v[14:15], v[24:25]
	v_add_f64 v[32:33], v[28:29], v[30:31]
	scratch_load_dwordx4 v[28:31], off, off offset:784
	v_mul_f64 v[14:15], v[14:15], v[26:27]
	v_fma_f64 v[12:13], v[12:13], v[24:25], -v[14:15]
	s_waitcnt vmcnt(0) lgkmcnt(1)
	v_mul_f64 v[34:35], v[8:9], v[30:31]
	v_fmac_f64_e32 v[34:35], v[10:11], v[28:29]
	v_add_f64 v[36:37], v[32:33], v[34:35]
	scratch_load_dwordx4 v[32:35], off, off offset:800
	v_mul_f64 v[10:11], v[10:11], v[30:31]
	v_fma_f64 v[8:9], v[8:9], v[28:29], -v[10:11]
	s_waitcnt vmcnt(0) lgkmcnt(0)
	v_mul_f64 v[38:39], v[4:5], v[34:35]
	v_fmac_f64_e32 v[38:39], v[6:7], v[32:33]
	v_add_f64 v[44:45], v[36:37], v[38:39]
	ds_read_b128 v[36:39], v2 offset:1792
	v_mul_f64 v[6:7], v[6:7], v[34:35]
	v_fma_f64 v[4:5], v[4:5], v[32:33], -v[6:7]
	s_waitcnt lgkmcnt(0)
	v_mul_f64 v[46:47], v[36:37], v[42:43]
	v_fmac_f64_e32 v[46:47], v[38:39], v[40:41]
	v_add_f64 v[52:53], v[44:45], v[46:47]
	ds_read_b128 v[44:47], v2 offset:1808
	s_waitcnt lgkmcnt(0)
	v_mul_f64 v[54:55], v[44:45], v[50:51]
	v_fmac_f64_e32 v[54:55], v[46:47], v[48:49]
	v_add_f64 v[60:61], v[52:53], v[54:55]
	ds_read_b128 v[52:55], v2 offset:1824
	;; [unrolled: 5-line block ×11, first 2 shown]
	s_waitcnt lgkmcnt(0)
	v_mul_f64 v[2:3], v[126:127], v[132:133]
	v_fmac_f64_e32 v[2:3], v[128:129], v[130:131]
	v_add_f64 v[64:65], v[64:65], v[2:3]
	v_mul_f64 v[2:3], v[18:19], v[22:23]
	v_fma_f64 v[2:3], v[16:17], v[20:21], -v[2:3]
	v_add_f64 v[2:3], v[2:3], 0
	v_add_f64 v[2:3], v[2:3], v[12:13]
	;; [unrolled: 1-line block ×4, first 2 shown]
	v_mul_f64 v[4:5], v[38:39], v[42:43]
	v_fma_f64 v[4:5], v[36:37], v[40:41], -v[4:5]
	v_add_f64 v[2:3], v[2:3], v[4:5]
	v_mul_f64 v[4:5], v[46:47], v[50:51]
	v_fma_f64 v[4:5], v[44:45], v[48:49], -v[4:5]
	v_add_f64 v[2:3], v[2:3], v[4:5]
	;; [unrolled: 3-line block ×12, first 2 shown]
	scratch_load_dwordx4 v[2:5], off, off offset:736
	s_waitcnt vmcnt(0)
	v_add_f64 v[2:3], v[2:3], -v[6:7]
	v_add_f64 v[4:5], v[4:5], -v[64:65]
	scratch_store_dwordx4 off, v[2:5], off offset:736
	s_and_saveexec_b64 s[0:1], vcc
	s_cbranch_execz .LBB61_309
; %bb.308:
	scratch_load_dwordx4 v[2:5], off, s40
	v_mov_b32_e32 v6, 0
	v_mov_b32_e32 v7, v6
	;; [unrolled: 1-line block ×4, first 2 shown]
	v_accvgpr_read_b32 v0, a125
	scratch_store_dwordx4 off, v[6:9], off offset:720
	s_waitcnt vmcnt(1)
	ds_write_b128 v0, v[2:5]
.LBB61_309:
	s_or_b64 exec, exec, s[0:1]
	v_mov_b32_e32 v2, 0
	s_waitcnt lgkmcnt(0)
	; wave barrier
	ds_read_b128 v[16:19], v2 offset:1712
	ds_read_b128 v[12:15], v2 offset:1728
	;; [unrolled: 1-line block ×4, first 2 shown]
	scratch_load_dwordx4 v[20:23], off, off offset:736
	scratch_load_dwordx4 v[40:43], off, off offset:800
	;; [unrolled: 1-line block ×11, first 2 shown]
	v_cmp_lt_u32_e32 vcc, 43, v248
	scratch_load_dwordx4 v[48:51], off, off offset:816
	scratch_load_dwordx4 v[56:59], off, off offset:832
	;; [unrolled: 1-line block ×3, first 2 shown]
	s_waitcnt vmcnt(13) lgkmcnt(3)
	v_mul_f64 v[24:25], v[16:17], v[22:23]
	v_fmac_f64_e32 v[24:25], v[18:19], v[20:21]
	v_add_f64 v[28:29], v[24:25], 0
	scratch_load_dwordx4 v[24:27], off, off offset:752
	v_mul_f64 v[18:19], v[18:19], v[22:23]
	v_fma_f64 v[16:17], v[16:17], v[20:21], -v[18:19]
	v_add_f64 v[16:17], v[16:17], 0
	s_waitcnt vmcnt(0) lgkmcnt(2)
	v_mul_f64 v[30:31], v[12:13], v[26:27]
	v_fmac_f64_e32 v[30:31], v[14:15], v[24:25]
	v_add_f64 v[32:33], v[28:29], v[30:31]
	scratch_load_dwordx4 v[28:31], off, off offset:768
	v_mul_f64 v[14:15], v[14:15], v[26:27]
	v_fma_f64 v[12:13], v[12:13], v[24:25], -v[14:15]
	v_add_f64 v[12:13], v[16:17], v[12:13]
	;; [unrolled: 8-line block ×3, first 2 shown]
	s_waitcnt vmcnt(0) lgkmcnt(0)
	v_mul_f64 v[38:39], v[4:5], v[34:35]
	v_fmac_f64_e32 v[38:39], v[6:7], v[32:33]
	v_add_f64 v[44:45], v[36:37], v[38:39]
	ds_read_b128 v[36:39], v2 offset:1776
	v_mul_f64 v[6:7], v[6:7], v[34:35]
	v_fma_f64 v[4:5], v[4:5], v[32:33], -v[6:7]
	v_add_f64 v[4:5], v[8:9], v[4:5]
	s_waitcnt lgkmcnt(0)
	v_mul_f64 v[46:47], v[36:37], v[42:43]
	v_fmac_f64_e32 v[46:47], v[38:39], v[40:41]
	v_add_f64 v[52:53], v[44:45], v[46:47]
	ds_read_b128 v[44:47], v2 offset:1792
	v_mul_f64 v[6:7], v[38:39], v[42:43]
	v_fma_f64 v[6:7], v[36:37], v[40:41], -v[6:7]
	v_add_f64 v[4:5], v[4:5], v[6:7]
	s_waitcnt lgkmcnt(0)
	v_mul_f64 v[54:55], v[44:45], v[50:51]
	v_fmac_f64_e32 v[54:55], v[46:47], v[48:49]
	v_add_f64 v[60:61], v[52:53], v[54:55]
	ds_read_b128 v[52:55], v2 offset:1808
	v_mul_f64 v[6:7], v[46:47], v[50:51]
	v_fma_f64 v[6:7], v[44:45], v[48:49], -v[6:7]
	v_add_f64 v[4:5], v[4:5], v[6:7]
	s_waitcnt lgkmcnt(0)
	v_mul_f64 v[62:63], v[52:53], v[58:59]
	v_fmac_f64_e32 v[62:63], v[54:55], v[56:57]
	v_add_f64 v[68:69], v[60:61], v[62:63]
	ds_read_b128 v[60:63], v2 offset:1824
	v_mul_f64 v[6:7], v[54:55], v[58:59]
	v_fma_f64 v[6:7], v[52:53], v[56:57], -v[6:7]
	v_add_f64 v[4:5], v[4:5], v[6:7]
	s_waitcnt lgkmcnt(0)
	v_mul_f64 v[70:71], v[60:61], v[66:67]
	v_fmac_f64_e32 v[70:71], v[62:63], v[64:65]
	v_add_f64 v[72:73], v[68:69], v[70:71]
	ds_read_b128 v[68:71], v2 offset:1840
	v_mul_f64 v[6:7], v[62:63], v[66:67]
	v_fma_f64 v[6:7], v[60:61], v[64:65], -v[6:7]
	v_add_f64 v[4:5], v[4:5], v[6:7]
	s_waitcnt lgkmcnt(0)
	v_mul_f64 v[78:79], v[68:69], v[76:77]
	v_fmac_f64_e32 v[78:79], v[70:71], v[74:75]
	v_add_f64 v[72:73], v[72:73], v[78:79]
	ds_read_b128 v[78:81], v2 offset:1856
	v_mul_f64 v[6:7], v[70:71], v[76:77]
	v_fma_f64 v[6:7], v[68:69], v[74:75], -v[6:7]
	v_add_f64 v[4:5], v[4:5], v[6:7]
	s_waitcnt lgkmcnt(0)
	v_mul_f64 v[86:87], v[78:79], v[84:85]
	v_fmac_f64_e32 v[86:87], v[80:81], v[82:83]
	v_add_f64 v[72:73], v[72:73], v[86:87]
	ds_read_b128 v[86:89], v2 offset:1872
	v_mul_f64 v[6:7], v[80:81], v[84:85]
	v_fma_f64 v[6:7], v[78:79], v[82:83], -v[6:7]
	v_add_f64 v[4:5], v[4:5], v[6:7]
	s_waitcnt lgkmcnt(0)
	v_mul_f64 v[94:95], v[86:87], v[92:93]
	v_fmac_f64_e32 v[94:95], v[88:89], v[90:91]
	v_add_f64 v[72:73], v[72:73], v[94:95]
	ds_read_b128 v[94:97], v2 offset:1888
	v_mul_f64 v[6:7], v[88:89], v[92:93]
	v_fma_f64 v[6:7], v[86:87], v[90:91], -v[6:7]
	v_add_f64 v[4:5], v[4:5], v[6:7]
	s_waitcnt lgkmcnt(0)
	v_mul_f64 v[102:103], v[94:95], v[100:101]
	v_fmac_f64_e32 v[102:103], v[96:97], v[98:99]
	v_add_f64 v[72:73], v[72:73], v[102:103]
	ds_read_b128 v[102:105], v2 offset:1904
	v_mul_f64 v[6:7], v[96:97], v[100:101]
	v_fma_f64 v[6:7], v[94:95], v[98:99], -v[6:7]
	v_add_f64 v[4:5], v[4:5], v[6:7]
	s_waitcnt lgkmcnt(0)
	v_mul_f64 v[110:111], v[102:103], v[108:109]
	v_fmac_f64_e32 v[110:111], v[104:105], v[106:107]
	v_add_f64 v[72:73], v[72:73], v[110:111]
	ds_read_b128 v[110:113], v2 offset:1920
	v_mul_f64 v[6:7], v[104:105], v[108:109]
	v_fma_f64 v[6:7], v[102:103], v[106:107], -v[6:7]
	v_add_f64 v[4:5], v[4:5], v[6:7]
	s_waitcnt lgkmcnt(0)
	v_mul_f64 v[118:119], v[110:111], v[116:117]
	v_fmac_f64_e32 v[118:119], v[112:113], v[114:115]
	v_add_f64 v[72:73], v[72:73], v[118:119]
	ds_read_b128 v[118:121], v2 offset:1936
	v_mul_f64 v[6:7], v[112:113], v[116:117]
	v_fma_f64 v[6:7], v[110:111], v[114:115], -v[6:7]
	v_add_f64 v[4:5], v[4:5], v[6:7]
	s_waitcnt lgkmcnt(0)
	v_mul_f64 v[126:127], v[118:119], v[124:125]
	v_fmac_f64_e32 v[126:127], v[120:121], v[122:123]
	v_add_f64 v[72:73], v[72:73], v[126:127]
	ds_read_b128 v[126:129], v2 offset:1952
	v_mul_f64 v[6:7], v[120:121], v[124:125]
	v_fma_f64 v[6:7], v[118:119], v[122:123], -v[6:7]
	v_add_f64 v[4:5], v[4:5], v[6:7]
	s_waitcnt lgkmcnt(0)
	v_mul_f64 v[134:135], v[126:127], v[132:133]
	v_fmac_f64_e32 v[134:135], v[128:129], v[130:131]
	v_add_f64 v[72:73], v[72:73], v[134:135]
	ds_read_b128 v[134:137], v2 offset:1968
	v_mul_f64 v[6:7], v[128:129], v[132:133]
	v_fma_f64 v[6:7], v[126:127], v[130:131], -v[6:7]
	v_add_f64 v[4:5], v[4:5], v[6:7]
	s_waitcnt lgkmcnt(0)
	v_mul_f64 v[6:7], v[136:137], v[140:141]
	v_fma_f64 v[6:7], v[134:135], v[138:139], -v[6:7]
	v_add_f64 v[8:9], v[4:5], v[6:7]
	scratch_load_dwordx4 v[4:7], off, off offset:720
	v_mul_f64 v[142:143], v[134:135], v[140:141]
	v_fmac_f64_e32 v[142:143], v[136:137], v[138:139]
	v_add_f64 v[72:73], v[72:73], v[142:143]
	s_waitcnt vmcnt(0)
	v_add_f64 v[4:5], v[4:5], -v[8:9]
	v_add_f64 v[6:7], v[6:7], -v[72:73]
	scratch_store_dwordx4 off, v[4:7], off offset:720
	s_and_saveexec_b64 s[0:1], vcc
	s_cbranch_execz .LBB61_311
; %bb.310:
	scratch_load_dwordx4 v[6:9], off, s38
	v_mov_b32_e32 v3, v2
	v_mov_b32_e32 v4, v2
	;; [unrolled: 1-line block ×3, first 2 shown]
	v_accvgpr_read_b32 v0, a125
	scratch_store_dwordx4 off, v[2:5], off offset:704
	s_waitcnt vmcnt(1)
	ds_write_b128 v0, v[6:9]
.LBB61_311:
	s_or_b64 exec, exec, s[0:1]
	s_waitcnt lgkmcnt(0)
	; wave barrier
	ds_read_b128 v[16:19], v2 offset:1696
	ds_read_b128 v[12:15], v2 offset:1712
	;; [unrolled: 1-line block ×4, first 2 shown]
	scratch_load_dwordx4 v[20:23], off, off offset:720
	scratch_load_dwordx4 v[40:43], off, off offset:784
	;; [unrolled: 1-line block ×12, first 2 shown]
	v_cmp_lt_u32_e32 vcc, 42, v248
	scratch_load_dwordx4 v[48:51], off, off offset:800
	scratch_load_dwordx4 v[56:59], off, off offset:816
	;; [unrolled: 1-line block ×3, first 2 shown]
	s_waitcnt vmcnt(14) lgkmcnt(3)
	v_mul_f64 v[24:25], v[16:17], v[22:23]
	v_fmac_f64_e32 v[24:25], v[18:19], v[20:21]
	v_add_f64 v[28:29], v[24:25], 0
	scratch_load_dwordx4 v[24:27], off, off offset:736
	s_waitcnt vmcnt(0) lgkmcnt(2)
	v_mul_f64 v[30:31], v[12:13], v[26:27]
	v_fmac_f64_e32 v[30:31], v[14:15], v[24:25]
	v_add_f64 v[32:33], v[28:29], v[30:31]
	scratch_load_dwordx4 v[28:31], off, off offset:752
	v_mul_f64 v[14:15], v[14:15], v[26:27]
	v_fma_f64 v[12:13], v[12:13], v[24:25], -v[14:15]
	s_waitcnt vmcnt(0) lgkmcnt(1)
	v_mul_f64 v[34:35], v[8:9], v[30:31]
	v_fmac_f64_e32 v[34:35], v[10:11], v[28:29]
	v_add_f64 v[36:37], v[32:33], v[34:35]
	scratch_load_dwordx4 v[32:35], off, off offset:768
	v_mul_f64 v[10:11], v[10:11], v[30:31]
	v_fma_f64 v[8:9], v[8:9], v[28:29], -v[10:11]
	s_waitcnt vmcnt(0) lgkmcnt(0)
	v_mul_f64 v[38:39], v[4:5], v[34:35]
	v_fmac_f64_e32 v[38:39], v[6:7], v[32:33]
	v_add_f64 v[44:45], v[36:37], v[38:39]
	ds_read_b128 v[36:39], v2 offset:1760
	v_mul_f64 v[6:7], v[6:7], v[34:35]
	v_fma_f64 v[4:5], v[4:5], v[32:33], -v[6:7]
	s_waitcnt lgkmcnt(0)
	v_mul_f64 v[46:47], v[36:37], v[42:43]
	v_fmac_f64_e32 v[46:47], v[38:39], v[40:41]
	v_add_f64 v[52:53], v[44:45], v[46:47]
	ds_read_b128 v[44:47], v2 offset:1776
	s_waitcnt lgkmcnt(0)
	v_mul_f64 v[54:55], v[44:45], v[50:51]
	v_fmac_f64_e32 v[54:55], v[46:47], v[48:49]
	v_add_f64 v[60:61], v[52:53], v[54:55]
	ds_read_b128 v[52:55], v2 offset:1792
	;; [unrolled: 5-line block ×13, first 2 shown]
	s_waitcnt lgkmcnt(0)
	v_mul_f64 v[2:3], v[142:143], v[148:149]
	v_fmac_f64_e32 v[2:3], v[144:145], v[146:147]
	v_add_f64 v[80:81], v[80:81], v[2:3]
	v_mul_f64 v[2:3], v[18:19], v[22:23]
	v_fma_f64 v[2:3], v[16:17], v[20:21], -v[2:3]
	v_add_f64 v[2:3], v[2:3], 0
	v_add_f64 v[2:3], v[2:3], v[12:13]
	;; [unrolled: 1-line block ×4, first 2 shown]
	v_mul_f64 v[4:5], v[38:39], v[42:43]
	v_fma_f64 v[4:5], v[36:37], v[40:41], -v[4:5]
	v_add_f64 v[2:3], v[2:3], v[4:5]
	v_mul_f64 v[4:5], v[46:47], v[50:51]
	v_fma_f64 v[4:5], v[44:45], v[48:49], -v[4:5]
	v_add_f64 v[2:3], v[2:3], v[4:5]
	v_mul_f64 v[4:5], v[54:55], v[58:59]
	v_fma_f64 v[4:5], v[52:53], v[56:57], -v[4:5]
	v_add_f64 v[2:3], v[2:3], v[4:5]
	v_mul_f64 v[4:5], v[62:63], v[66:67]
	v_fma_f64 v[4:5], v[60:61], v[64:65], -v[4:5]
	v_add_f64 v[2:3], v[2:3], v[4:5]
	v_mul_f64 v[4:5], v[70:71], v[74:75]
	v_fma_f64 v[4:5], v[68:69], v[72:73], -v[4:5]
	v_add_f64 v[2:3], v[2:3], v[4:5]
	v_mul_f64 v[4:5], v[78:79], v[84:85]
	v_fma_f64 v[4:5], v[76:77], v[82:83], -v[4:5]
	v_add_f64 v[2:3], v[2:3], v[4:5]
	v_mul_f64 v[4:5], v[88:89], v[92:93]
	v_fma_f64 v[4:5], v[86:87], v[90:91], -v[4:5]
	v_add_f64 v[2:3], v[2:3], v[4:5]
	v_mul_f64 v[4:5], v[96:97], v[100:101]
	v_fma_f64 v[4:5], v[94:95], v[98:99], -v[4:5]
	v_add_f64 v[2:3], v[2:3], v[4:5]
	v_mul_f64 v[4:5], v[104:105], v[108:109]
	v_fma_f64 v[4:5], v[102:103], v[106:107], -v[4:5]
	v_add_f64 v[2:3], v[2:3], v[4:5]
	v_mul_f64 v[4:5], v[112:113], v[116:117]
	v_fma_f64 v[4:5], v[110:111], v[114:115], -v[4:5]
	v_add_f64 v[2:3], v[2:3], v[4:5]
	v_mul_f64 v[4:5], v[120:121], v[124:125]
	v_fma_f64 v[4:5], v[118:119], v[122:123], -v[4:5]
	v_add_f64 v[2:3], v[2:3], v[4:5]
	v_mul_f64 v[4:5], v[128:129], v[132:133]
	v_fma_f64 v[4:5], v[126:127], v[130:131], -v[4:5]
	v_add_f64 v[2:3], v[2:3], v[4:5]
	v_mul_f64 v[4:5], v[136:137], v[140:141]
	v_fma_f64 v[4:5], v[134:135], v[138:139], -v[4:5]
	v_add_f64 v[2:3], v[2:3], v[4:5]
	v_mul_f64 v[4:5], v[144:145], v[148:149]
	v_fma_f64 v[4:5], v[142:143], v[146:147], -v[4:5]
	v_add_f64 v[6:7], v[2:3], v[4:5]
	scratch_load_dwordx4 v[2:5], off, off offset:704
	s_waitcnt vmcnt(0)
	v_add_f64 v[2:3], v[2:3], -v[6:7]
	v_add_f64 v[4:5], v[4:5], -v[80:81]
	scratch_store_dwordx4 off, v[2:5], off offset:704
	s_and_saveexec_b64 s[0:1], vcc
	s_cbranch_execz .LBB61_313
; %bb.312:
	scratch_load_dwordx4 v[2:5], off, s39
	v_mov_b32_e32 v6, 0
	v_mov_b32_e32 v7, v6
	;; [unrolled: 1-line block ×4, first 2 shown]
	v_accvgpr_read_b32 v0, a125
	scratch_store_dwordx4 off, v[6:9], off offset:688
	s_waitcnt vmcnt(1)
	ds_write_b128 v0, v[2:5]
.LBB61_313:
	s_or_b64 exec, exec, s[0:1]
	v_mov_b32_e32 v2, 0
	s_waitcnt lgkmcnt(0)
	; wave barrier
	ds_read_b128 v[16:19], v2 offset:1680
	ds_read_b128 v[12:15], v2 offset:1696
	ds_read_b128 v[8:11], v2 offset:1712
	ds_read_b128 v[4:7], v2 offset:1728
	scratch_load_dwordx4 v[20:23], off, off offset:704
	scratch_load_dwordx4 v[40:43], off, off offset:768
	;; [unrolled: 1-line block ×13, first 2 shown]
	v_cmp_lt_u32_e32 vcc, 41, v248
	scratch_load_dwordx4 v[48:51], off, off offset:784
	scratch_load_dwordx4 v[56:59], off, off offset:800
	;; [unrolled: 1-line block ×3, first 2 shown]
	s_waitcnt vmcnt(15) lgkmcnt(3)
	v_mul_f64 v[24:25], v[16:17], v[22:23]
	v_fmac_f64_e32 v[24:25], v[18:19], v[20:21]
	v_add_f64 v[28:29], v[24:25], 0
	scratch_load_dwordx4 v[24:27], off, off offset:720
	v_mul_f64 v[18:19], v[18:19], v[22:23]
	v_fma_f64 v[16:17], v[16:17], v[20:21], -v[18:19]
	v_add_f64 v[16:17], v[16:17], 0
	s_waitcnt vmcnt(0) lgkmcnt(2)
	v_mul_f64 v[30:31], v[12:13], v[26:27]
	v_fmac_f64_e32 v[30:31], v[14:15], v[24:25]
	v_add_f64 v[32:33], v[28:29], v[30:31]
	scratch_load_dwordx4 v[28:31], off, off offset:736
	v_mul_f64 v[14:15], v[14:15], v[26:27]
	v_fma_f64 v[12:13], v[12:13], v[24:25], -v[14:15]
	v_add_f64 v[12:13], v[16:17], v[12:13]
	;; [unrolled: 8-line block ×3, first 2 shown]
	s_waitcnt vmcnt(0) lgkmcnt(0)
	v_mul_f64 v[38:39], v[4:5], v[34:35]
	v_fmac_f64_e32 v[38:39], v[6:7], v[32:33]
	v_add_f64 v[44:45], v[36:37], v[38:39]
	ds_read_b128 v[36:39], v2 offset:1744
	v_mul_f64 v[6:7], v[6:7], v[34:35]
	v_fma_f64 v[4:5], v[4:5], v[32:33], -v[6:7]
	v_add_f64 v[4:5], v[8:9], v[4:5]
	s_waitcnt lgkmcnt(0)
	v_mul_f64 v[46:47], v[36:37], v[42:43]
	v_fmac_f64_e32 v[46:47], v[38:39], v[40:41]
	v_add_f64 v[52:53], v[44:45], v[46:47]
	ds_read_b128 v[44:47], v2 offset:1760
	v_mul_f64 v[6:7], v[38:39], v[42:43]
	v_fma_f64 v[6:7], v[36:37], v[40:41], -v[6:7]
	v_add_f64 v[4:5], v[4:5], v[6:7]
	s_waitcnt lgkmcnt(0)
	;; [unrolled: 8-line block ×15, first 2 shown]
	v_mul_f64 v[6:7], v[152:153], v[156:157]
	v_fma_f64 v[6:7], v[150:151], v[154:155], -v[6:7]
	v_add_f64 v[8:9], v[4:5], v[6:7]
	scratch_load_dwordx4 v[4:7], off, off offset:688
	v_mul_f64 v[158:159], v[150:151], v[156:157]
	v_fmac_f64_e32 v[158:159], v[152:153], v[154:155]
	v_add_f64 v[88:89], v[88:89], v[158:159]
	s_waitcnt vmcnt(0)
	v_add_f64 v[4:5], v[4:5], -v[8:9]
	v_add_f64 v[6:7], v[6:7], -v[88:89]
	scratch_store_dwordx4 off, v[4:7], off offset:688
	s_and_saveexec_b64 s[0:1], vcc
	s_cbranch_execz .LBB61_315
; %bb.314:
	scratch_load_dwordx4 v[6:9], off, s37
	v_mov_b32_e32 v3, v2
	v_mov_b32_e32 v4, v2
	;; [unrolled: 1-line block ×3, first 2 shown]
	v_accvgpr_read_b32 v0, a125
	scratch_store_dwordx4 off, v[2:5], off offset:672
	s_waitcnt vmcnt(1)
	ds_write_b128 v0, v[6:9]
.LBB61_315:
	s_or_b64 exec, exec, s[0:1]
	s_waitcnt lgkmcnt(0)
	; wave barrier
	ds_read_b128 v[16:19], v2 offset:1664
	ds_read_b128 v[12:15], v2 offset:1680
	;; [unrolled: 1-line block ×4, first 2 shown]
	scratch_load_dwordx4 v[20:23], off, off offset:688
	scratch_load_dwordx4 v[40:43], off, off offset:752
	;; [unrolled: 1-line block ×14, first 2 shown]
	v_cmp_lt_u32_e32 vcc, 40, v248
	scratch_load_dwordx4 v[48:51], off, off offset:768
	scratch_load_dwordx4 v[56:59], off, off offset:784
	;; [unrolled: 1-line block ×3, first 2 shown]
	s_waitcnt vmcnt(16) lgkmcnt(3)
	v_mul_f64 v[24:25], v[16:17], v[22:23]
	v_fmac_f64_e32 v[24:25], v[18:19], v[20:21]
	v_add_f64 v[28:29], v[24:25], 0
	scratch_load_dwordx4 v[24:27], off, off offset:704
	s_waitcnt vmcnt(0) lgkmcnt(2)
	v_mul_f64 v[30:31], v[12:13], v[26:27]
	v_fmac_f64_e32 v[30:31], v[14:15], v[24:25]
	v_add_f64 v[32:33], v[28:29], v[30:31]
	scratch_load_dwordx4 v[28:31], off, off offset:720
	v_mul_f64 v[14:15], v[14:15], v[26:27]
	v_fma_f64 v[12:13], v[12:13], v[24:25], -v[14:15]
	s_waitcnt vmcnt(0) lgkmcnt(1)
	v_mul_f64 v[34:35], v[8:9], v[30:31]
	v_fmac_f64_e32 v[34:35], v[10:11], v[28:29]
	v_add_f64 v[36:37], v[32:33], v[34:35]
	scratch_load_dwordx4 v[32:35], off, off offset:736
	v_mul_f64 v[10:11], v[10:11], v[30:31]
	v_fma_f64 v[8:9], v[8:9], v[28:29], -v[10:11]
	s_waitcnt vmcnt(0) lgkmcnt(0)
	v_mul_f64 v[38:39], v[4:5], v[34:35]
	v_fmac_f64_e32 v[38:39], v[6:7], v[32:33]
	v_add_f64 v[44:45], v[36:37], v[38:39]
	ds_read_b128 v[36:39], v2 offset:1728
	v_mul_f64 v[6:7], v[6:7], v[34:35]
	v_fma_f64 v[4:5], v[4:5], v[32:33], -v[6:7]
	s_waitcnt lgkmcnt(0)
	v_mul_f64 v[46:47], v[36:37], v[42:43]
	v_fmac_f64_e32 v[46:47], v[38:39], v[40:41]
	v_add_f64 v[52:53], v[44:45], v[46:47]
	ds_read_b128 v[44:47], v2 offset:1744
	s_waitcnt lgkmcnt(0)
	v_mul_f64 v[54:55], v[44:45], v[50:51]
	v_fmac_f64_e32 v[54:55], v[46:47], v[48:49]
	v_add_f64 v[60:61], v[52:53], v[54:55]
	ds_read_b128 v[52:55], v2 offset:1760
	;; [unrolled: 5-line block ×15, first 2 shown]
	s_waitcnt lgkmcnt(0)
	v_mul_f64 v[2:3], v[158:159], v[164:165]
	v_fmac_f64_e32 v[2:3], v[160:161], v[162:163]
	v_add_f64 v[96:97], v[96:97], v[2:3]
	v_mul_f64 v[2:3], v[18:19], v[22:23]
	v_fma_f64 v[2:3], v[16:17], v[20:21], -v[2:3]
	v_add_f64 v[2:3], v[2:3], 0
	v_add_f64 v[2:3], v[2:3], v[12:13]
	;; [unrolled: 1-line block ×4, first 2 shown]
	v_mul_f64 v[4:5], v[38:39], v[42:43]
	v_fma_f64 v[4:5], v[36:37], v[40:41], -v[4:5]
	v_add_f64 v[2:3], v[2:3], v[4:5]
	v_mul_f64 v[4:5], v[46:47], v[50:51]
	v_fma_f64 v[4:5], v[44:45], v[48:49], -v[4:5]
	v_add_f64 v[2:3], v[2:3], v[4:5]
	v_mul_f64 v[4:5], v[54:55], v[58:59]
	v_fma_f64 v[4:5], v[52:53], v[56:57], -v[4:5]
	v_add_f64 v[2:3], v[2:3], v[4:5]
	v_mul_f64 v[4:5], v[62:63], v[66:67]
	v_fma_f64 v[4:5], v[60:61], v[64:65], -v[4:5]
	v_add_f64 v[2:3], v[2:3], v[4:5]
	v_mul_f64 v[4:5], v[70:71], v[74:75]
	v_fma_f64 v[4:5], v[68:69], v[72:73], -v[4:5]
	v_add_f64 v[2:3], v[2:3], v[4:5]
	v_mul_f64 v[4:5], v[78:79], v[82:83]
	v_fma_f64 v[4:5], v[76:77], v[80:81], -v[4:5]
	v_add_f64 v[2:3], v[2:3], v[4:5]
	v_mul_f64 v[4:5], v[86:87], v[90:91]
	v_fma_f64 v[4:5], v[84:85], v[88:89], -v[4:5]
	v_add_f64 v[2:3], v[2:3], v[4:5]
	v_mul_f64 v[4:5], v[94:95], v[100:101]
	v_fma_f64 v[4:5], v[92:93], v[98:99], -v[4:5]
	v_add_f64 v[2:3], v[2:3], v[4:5]
	v_mul_f64 v[4:5], v[104:105], v[108:109]
	v_fma_f64 v[4:5], v[102:103], v[106:107], -v[4:5]
	v_add_f64 v[2:3], v[2:3], v[4:5]
	v_mul_f64 v[4:5], v[112:113], v[116:117]
	v_fma_f64 v[4:5], v[110:111], v[114:115], -v[4:5]
	v_add_f64 v[2:3], v[2:3], v[4:5]
	v_mul_f64 v[4:5], v[120:121], v[124:125]
	v_fma_f64 v[4:5], v[118:119], v[122:123], -v[4:5]
	v_add_f64 v[2:3], v[2:3], v[4:5]
	v_mul_f64 v[4:5], v[128:129], v[132:133]
	v_fma_f64 v[4:5], v[126:127], v[130:131], -v[4:5]
	v_add_f64 v[2:3], v[2:3], v[4:5]
	v_mul_f64 v[4:5], v[136:137], v[140:141]
	v_fma_f64 v[4:5], v[134:135], v[138:139], -v[4:5]
	v_add_f64 v[2:3], v[2:3], v[4:5]
	v_mul_f64 v[4:5], v[144:145], v[148:149]
	v_fma_f64 v[4:5], v[142:143], v[146:147], -v[4:5]
	v_add_f64 v[2:3], v[2:3], v[4:5]
	v_mul_f64 v[4:5], v[152:153], v[156:157]
	v_fma_f64 v[4:5], v[150:151], v[154:155], -v[4:5]
	v_add_f64 v[2:3], v[2:3], v[4:5]
	v_mul_f64 v[4:5], v[160:161], v[164:165]
	v_fma_f64 v[4:5], v[158:159], v[162:163], -v[4:5]
	v_add_f64 v[6:7], v[2:3], v[4:5]
	scratch_load_dwordx4 v[2:5], off, off offset:672
	s_waitcnt vmcnt(0)
	v_add_f64 v[2:3], v[2:3], -v[6:7]
	v_add_f64 v[4:5], v[4:5], -v[96:97]
	scratch_store_dwordx4 off, v[2:5], off offset:672
	s_and_saveexec_b64 s[0:1], vcc
	s_cbranch_execz .LBB61_317
; %bb.316:
	scratch_load_dwordx4 v[2:5], off, s36
	v_mov_b32_e32 v6, 0
	v_mov_b32_e32 v7, v6
	;; [unrolled: 1-line block ×4, first 2 shown]
	v_accvgpr_read_b32 v0, a125
	scratch_store_dwordx4 off, v[6:9], off offset:656
	s_waitcnt vmcnt(1)
	ds_write_b128 v0, v[2:5]
.LBB61_317:
	s_or_b64 exec, exec, s[0:1]
	v_mov_b32_e32 v2, 0
	s_waitcnt lgkmcnt(0)
	; wave barrier
	ds_read_b128 v[16:19], v2 offset:1648
	ds_read_b128 v[12:15], v2 offset:1664
	;; [unrolled: 1-line block ×4, first 2 shown]
	scratch_load_dwordx4 v[20:23], off, off offset:672
	scratch_load_dwordx4 v[40:43], off, off offset:736
	;; [unrolled: 1-line block ×15, first 2 shown]
	v_cmp_lt_u32_e32 vcc, 39, v248
	scratch_load_dwordx4 v[48:51], off, off offset:752
	scratch_load_dwordx4 v[56:59], off, off offset:768
	;; [unrolled: 1-line block ×3, first 2 shown]
	s_waitcnt vmcnt(17) lgkmcnt(3)
	v_mul_f64 v[24:25], v[16:17], v[22:23]
	v_fmac_f64_e32 v[24:25], v[18:19], v[20:21]
	v_add_f64 v[28:29], v[24:25], 0
	scratch_load_dwordx4 v[24:27], off, off offset:688
	v_mul_f64 v[18:19], v[18:19], v[22:23]
	v_fma_f64 v[16:17], v[16:17], v[20:21], -v[18:19]
	v_add_f64 v[16:17], v[16:17], 0
	s_waitcnt vmcnt(0) lgkmcnt(2)
	v_mul_f64 v[30:31], v[12:13], v[26:27]
	v_fmac_f64_e32 v[30:31], v[14:15], v[24:25]
	v_add_f64 v[32:33], v[28:29], v[30:31]
	scratch_load_dwordx4 v[28:31], off, off offset:704
	v_mul_f64 v[14:15], v[14:15], v[26:27]
	v_fma_f64 v[12:13], v[12:13], v[24:25], -v[14:15]
	v_add_f64 v[12:13], v[16:17], v[12:13]
	;; [unrolled: 8-line block ×3, first 2 shown]
	s_waitcnt vmcnt(0) lgkmcnt(0)
	v_mul_f64 v[38:39], v[4:5], v[34:35]
	v_fmac_f64_e32 v[38:39], v[6:7], v[32:33]
	v_add_f64 v[44:45], v[36:37], v[38:39]
	ds_read_b128 v[36:39], v2 offset:1712
	v_mul_f64 v[6:7], v[6:7], v[34:35]
	v_fma_f64 v[4:5], v[4:5], v[32:33], -v[6:7]
	v_add_f64 v[4:5], v[8:9], v[4:5]
	s_waitcnt lgkmcnt(0)
	v_mul_f64 v[46:47], v[36:37], v[42:43]
	v_fmac_f64_e32 v[46:47], v[38:39], v[40:41]
	v_add_f64 v[52:53], v[44:45], v[46:47]
	ds_read_b128 v[44:47], v2 offset:1728
	v_mul_f64 v[6:7], v[38:39], v[42:43]
	v_fma_f64 v[6:7], v[36:37], v[40:41], -v[6:7]
	v_add_f64 v[4:5], v[4:5], v[6:7]
	s_waitcnt lgkmcnt(0)
	;; [unrolled: 8-line block ×17, first 2 shown]
	v_mul_f64 v[6:7], v[168:169], v[172:173]
	v_fma_f64 v[6:7], v[166:167], v[170:171], -v[6:7]
	v_add_f64 v[8:9], v[4:5], v[6:7]
	scratch_load_dwordx4 v[4:7], off, off offset:656
	v_mul_f64 v[174:175], v[166:167], v[172:173]
	v_fmac_f64_e32 v[174:175], v[168:169], v[170:171]
	v_add_f64 v[104:105], v[104:105], v[174:175]
	s_waitcnt vmcnt(0)
	v_add_f64 v[4:5], v[4:5], -v[8:9]
	v_add_f64 v[6:7], v[6:7], -v[104:105]
	scratch_store_dwordx4 off, v[4:7], off offset:656
	s_and_saveexec_b64 s[0:1], vcc
	s_cbranch_execz .LBB61_319
; %bb.318:
	scratch_load_dwordx4 v[6:9], off, s35
	v_mov_b32_e32 v3, v2
	v_mov_b32_e32 v4, v2
	;; [unrolled: 1-line block ×3, first 2 shown]
	v_accvgpr_read_b32 v0, a125
	scratch_store_dwordx4 off, v[2:5], off offset:640
	s_waitcnt vmcnt(1)
	ds_write_b128 v0, v[6:9]
.LBB61_319:
	s_or_b64 exec, exec, s[0:1]
	s_waitcnt lgkmcnt(0)
	; wave barrier
	ds_read_b128 v[16:19], v2 offset:1632
	ds_read_b128 v[12:15], v2 offset:1648
	ds_read_b128 v[8:11], v2 offset:1664
	ds_read_b128 v[4:7], v2 offset:1680
	scratch_load_dwordx4 v[20:23], off, off offset:656
	scratch_load_dwordx4 v[40:43], off, off offset:720
	;; [unrolled: 1-line block ×16, first 2 shown]
	v_cmp_lt_u32_e32 vcc, 38, v248
	scratch_load_dwordx4 v[48:51], off, off offset:736
	scratch_load_dwordx4 v[56:59], off, off offset:752
	;; [unrolled: 1-line block ×3, first 2 shown]
	s_waitcnt vmcnt(18) lgkmcnt(3)
	v_mul_f64 v[24:25], v[16:17], v[22:23]
	v_fmac_f64_e32 v[24:25], v[18:19], v[20:21]
	v_add_f64 v[28:29], v[24:25], 0
	scratch_load_dwordx4 v[24:27], off, off offset:672
	s_waitcnt vmcnt(0) lgkmcnt(2)
	v_mul_f64 v[30:31], v[12:13], v[26:27]
	v_fmac_f64_e32 v[30:31], v[14:15], v[24:25]
	v_add_f64 v[32:33], v[28:29], v[30:31]
	scratch_load_dwordx4 v[28:31], off, off offset:688
	v_mul_f64 v[14:15], v[14:15], v[26:27]
	v_fma_f64 v[12:13], v[12:13], v[24:25], -v[14:15]
	s_waitcnt vmcnt(0) lgkmcnt(1)
	v_mul_f64 v[34:35], v[8:9], v[30:31]
	v_fmac_f64_e32 v[34:35], v[10:11], v[28:29]
	v_add_f64 v[36:37], v[32:33], v[34:35]
	scratch_load_dwordx4 v[32:35], off, off offset:704
	v_mul_f64 v[10:11], v[10:11], v[30:31]
	v_fma_f64 v[8:9], v[8:9], v[28:29], -v[10:11]
	s_waitcnt vmcnt(0) lgkmcnt(0)
	v_mul_f64 v[38:39], v[4:5], v[34:35]
	v_fmac_f64_e32 v[38:39], v[6:7], v[32:33]
	v_add_f64 v[44:45], v[36:37], v[38:39]
	ds_read_b128 v[36:39], v2 offset:1696
	v_mul_f64 v[6:7], v[6:7], v[34:35]
	v_fma_f64 v[4:5], v[4:5], v[32:33], -v[6:7]
	s_waitcnt lgkmcnt(0)
	v_mul_f64 v[46:47], v[36:37], v[42:43]
	v_fmac_f64_e32 v[46:47], v[38:39], v[40:41]
	v_add_f64 v[52:53], v[44:45], v[46:47]
	ds_read_b128 v[44:47], v2 offset:1712
	s_waitcnt lgkmcnt(0)
	v_mul_f64 v[54:55], v[44:45], v[50:51]
	v_fmac_f64_e32 v[54:55], v[46:47], v[48:49]
	v_add_f64 v[60:61], v[52:53], v[54:55]
	ds_read_b128 v[52:55], v2 offset:1728
	;; [unrolled: 5-line block ×17, first 2 shown]
	s_waitcnt lgkmcnt(0)
	v_mul_f64 v[2:3], v[174:175], v[180:181]
	v_fmac_f64_e32 v[2:3], v[176:177], v[178:179]
	v_add_f64 v[120:121], v[120:121], v[2:3]
	v_mul_f64 v[2:3], v[18:19], v[22:23]
	v_fma_f64 v[2:3], v[16:17], v[20:21], -v[2:3]
	v_add_f64 v[2:3], v[2:3], 0
	v_add_f64 v[2:3], v[2:3], v[12:13]
	;; [unrolled: 1-line block ×4, first 2 shown]
	v_mul_f64 v[4:5], v[38:39], v[42:43]
	v_fma_f64 v[4:5], v[36:37], v[40:41], -v[4:5]
	v_add_f64 v[2:3], v[2:3], v[4:5]
	v_mul_f64 v[4:5], v[46:47], v[50:51]
	v_fma_f64 v[4:5], v[44:45], v[48:49], -v[4:5]
	v_add_f64 v[2:3], v[2:3], v[4:5]
	;; [unrolled: 3-line block ×18, first 2 shown]
	scratch_load_dwordx4 v[2:5], off, off offset:640
	s_waitcnt vmcnt(0)
	v_add_f64 v[2:3], v[2:3], -v[6:7]
	v_add_f64 v[4:5], v[4:5], -v[120:121]
	scratch_store_dwordx4 off, v[2:5], off offset:640
	s_and_saveexec_b64 s[0:1], vcc
	s_cbranch_execz .LBB61_321
; %bb.320:
	scratch_load_dwordx4 v[2:5], off, s34
	v_mov_b32_e32 v6, 0
	v_mov_b32_e32 v7, v6
	v_mov_b32_e32 v8, v6
	v_mov_b32_e32 v9, v6
	v_accvgpr_read_b32 v0, a125
	scratch_store_dwordx4 off, v[6:9], off offset:624
	s_waitcnt vmcnt(1)
	ds_write_b128 v0, v[2:5]
.LBB61_321:
	s_or_b64 exec, exec, s[0:1]
	v_mov_b32_e32 v2, 0
	s_waitcnt lgkmcnt(0)
	; wave barrier
	ds_read_b128 v[16:19], v2 offset:1616
	ds_read_b128 v[12:15], v2 offset:1632
	;; [unrolled: 1-line block ×4, first 2 shown]
	scratch_load_dwordx4 v[20:23], off, off offset:640
	scratch_load_dwordx4 v[40:43], off, off offset:704
	scratch_load_dwordx4 v[72:75], off, off offset:768
	scratch_load_dwordx4 v[80:83], off, off offset:784
	scratch_load_dwordx4 v[88:91], off, off offset:800
	scratch_load_dwordx4 v[96:99], off, off offset:816
	scratch_load_dwordx4 v[104:107], off, off offset:832
	scratch_load_dwordx4 v[112:115], off, off offset:848
	scratch_load_dwordx4 v[120:123], off, off offset:864
	scratch_load_dwordx4 v[130:133], off, off offset:880
	scratch_load_dwordx4 v[138:141], off, off offset:896
	scratch_load_dwordx4 v[146:149], off, off offset:912
	scratch_load_dwordx4 v[154:157], off, off offset:928
	scratch_load_dwordx4 v[162:165], off, off offset:944
	scratch_load_dwordx4 v[170:173], off, off offset:960
	scratch_load_dwordx4 v[178:181], off, off offset:976
	scratch_load_dwordx4 v[186:189], off, off offset:992
	v_cmp_lt_u32_e32 vcc, 37, v248
	scratch_load_dwordx4 v[48:51], off, off offset:720
	scratch_load_dwordx4 v[56:59], off, off offset:736
	;; [unrolled: 1-line block ×3, first 2 shown]
	s_waitcnt vmcnt(19) lgkmcnt(3)
	v_mul_f64 v[24:25], v[16:17], v[22:23]
	v_fmac_f64_e32 v[24:25], v[18:19], v[20:21]
	v_add_f64 v[28:29], v[24:25], 0
	scratch_load_dwordx4 v[24:27], off, off offset:656
	v_mul_f64 v[18:19], v[18:19], v[22:23]
	v_fma_f64 v[16:17], v[16:17], v[20:21], -v[18:19]
	v_add_f64 v[16:17], v[16:17], 0
	s_waitcnt vmcnt(0) lgkmcnt(2)
	v_mul_f64 v[30:31], v[12:13], v[26:27]
	v_fmac_f64_e32 v[30:31], v[14:15], v[24:25]
	v_add_f64 v[32:33], v[28:29], v[30:31]
	scratch_load_dwordx4 v[28:31], off, off offset:672
	v_mul_f64 v[14:15], v[14:15], v[26:27]
	v_fma_f64 v[12:13], v[12:13], v[24:25], -v[14:15]
	v_add_f64 v[12:13], v[16:17], v[12:13]
	;; [unrolled: 8-line block ×3, first 2 shown]
	s_waitcnt vmcnt(0) lgkmcnt(0)
	v_mul_f64 v[38:39], v[4:5], v[34:35]
	v_fmac_f64_e32 v[38:39], v[6:7], v[32:33]
	v_add_f64 v[44:45], v[36:37], v[38:39]
	ds_read_b128 v[36:39], v2 offset:1680
	v_mul_f64 v[6:7], v[6:7], v[34:35]
	v_fma_f64 v[4:5], v[4:5], v[32:33], -v[6:7]
	v_add_f64 v[4:5], v[8:9], v[4:5]
	s_waitcnt lgkmcnt(0)
	v_mul_f64 v[46:47], v[36:37], v[42:43]
	v_fmac_f64_e32 v[46:47], v[38:39], v[40:41]
	v_add_f64 v[52:53], v[44:45], v[46:47]
	ds_read_b128 v[44:47], v2 offset:1696
	v_mul_f64 v[6:7], v[38:39], v[42:43]
	v_fma_f64 v[6:7], v[36:37], v[40:41], -v[6:7]
	v_add_f64 v[4:5], v[4:5], v[6:7]
	s_waitcnt lgkmcnt(0)
	;; [unrolled: 8-line block ×19, first 2 shown]
	v_mul_f64 v[6:7], v[184:185], v[188:189]
	v_fma_f64 v[6:7], v[182:183], v[186:187], -v[6:7]
	v_add_f64 v[8:9], v[4:5], v[6:7]
	scratch_load_dwordx4 v[4:7], off, off offset:624
	v_mul_f64 v[190:191], v[182:183], v[188:189]
	v_fmac_f64_e32 v[190:191], v[184:185], v[186:187]
	v_add_f64 v[128:129], v[128:129], v[190:191]
	s_waitcnt vmcnt(0)
	v_add_f64 v[4:5], v[4:5], -v[8:9]
	v_add_f64 v[6:7], v[6:7], -v[128:129]
	scratch_store_dwordx4 off, v[4:7], off offset:624
	s_and_saveexec_b64 s[0:1], vcc
	s_cbranch_execz .LBB61_323
; %bb.322:
	scratch_load_dwordx4 v[6:9], off, s31
	v_mov_b32_e32 v3, v2
	v_mov_b32_e32 v4, v2
	;; [unrolled: 1-line block ×3, first 2 shown]
	v_accvgpr_read_b32 v0, a125
	scratch_store_dwordx4 off, v[2:5], off offset:608
	s_waitcnt vmcnt(1)
	ds_write_b128 v0, v[6:9]
.LBB61_323:
	s_or_b64 exec, exec, s[0:1]
	s_waitcnt lgkmcnt(0)
	; wave barrier
	ds_read_b128 v[16:19], v2 offset:1600
	ds_read_b128 v[12:15], v2 offset:1616
	ds_read_b128 v[8:11], v2 offset:1632
	ds_read_b128 v[4:7], v2 offset:1648
	scratch_load_dwordx4 v[20:23], off, off offset:624
	scratch_load_dwordx4 v[40:43], off, off offset:688
	;; [unrolled: 1-line block ×18, first 2 shown]
	v_cmp_lt_u32_e32 vcc, 36, v248
	scratch_load_dwordx4 v[48:51], off, off offset:704
	scratch_load_dwordx4 v[56:59], off, off offset:720
	;; [unrolled: 1-line block ×3, first 2 shown]
	s_waitcnt vmcnt(20) lgkmcnt(3)
	v_mul_f64 v[24:25], v[16:17], v[22:23]
	v_fmac_f64_e32 v[24:25], v[18:19], v[20:21]
	v_add_f64 v[28:29], v[24:25], 0
	scratch_load_dwordx4 v[24:27], off, off offset:640
	s_waitcnt vmcnt(0) lgkmcnt(2)
	v_mul_f64 v[30:31], v[12:13], v[26:27]
	v_fmac_f64_e32 v[30:31], v[14:15], v[24:25]
	v_add_f64 v[32:33], v[28:29], v[30:31]
	scratch_load_dwordx4 v[28:31], off, off offset:656
	v_mul_f64 v[14:15], v[14:15], v[26:27]
	v_fma_f64 v[12:13], v[12:13], v[24:25], -v[14:15]
	s_waitcnt vmcnt(0) lgkmcnt(1)
	v_mul_f64 v[34:35], v[8:9], v[30:31]
	v_fmac_f64_e32 v[34:35], v[10:11], v[28:29]
	v_add_f64 v[36:37], v[32:33], v[34:35]
	scratch_load_dwordx4 v[32:35], off, off offset:672
	v_mul_f64 v[10:11], v[10:11], v[30:31]
	v_fma_f64 v[8:9], v[8:9], v[28:29], -v[10:11]
	s_waitcnt vmcnt(0) lgkmcnt(0)
	v_mul_f64 v[38:39], v[4:5], v[34:35]
	v_fmac_f64_e32 v[38:39], v[6:7], v[32:33]
	v_add_f64 v[44:45], v[36:37], v[38:39]
	ds_read_b128 v[36:39], v2 offset:1664
	v_mul_f64 v[6:7], v[6:7], v[34:35]
	v_fma_f64 v[4:5], v[4:5], v[32:33], -v[6:7]
	s_waitcnt lgkmcnt(0)
	v_mul_f64 v[46:47], v[36:37], v[42:43]
	v_fmac_f64_e32 v[46:47], v[38:39], v[40:41]
	v_add_f64 v[52:53], v[44:45], v[46:47]
	ds_read_b128 v[44:47], v2 offset:1680
	s_waitcnt lgkmcnt(0)
	v_mul_f64 v[54:55], v[44:45], v[50:51]
	v_fmac_f64_e32 v[54:55], v[46:47], v[48:49]
	v_add_f64 v[60:61], v[52:53], v[54:55]
	ds_read_b128 v[52:55], v2 offset:1696
	;; [unrolled: 5-line block ×19, first 2 shown]
	s_waitcnt lgkmcnt(0)
	v_mul_f64 v[2:3], v[190:191], v[196:197]
	v_fmac_f64_e32 v[2:3], v[192:193], v[194:195]
	v_add_f64 v[148:149], v[148:149], v[2:3]
	v_mul_f64 v[2:3], v[18:19], v[22:23]
	v_fma_f64 v[2:3], v[16:17], v[20:21], -v[2:3]
	v_add_f64 v[2:3], v[2:3], 0
	v_add_f64 v[2:3], v[2:3], v[12:13]
	;; [unrolled: 1-line block ×4, first 2 shown]
	v_mul_f64 v[4:5], v[38:39], v[42:43]
	v_fma_f64 v[4:5], v[36:37], v[40:41], -v[4:5]
	v_add_f64 v[2:3], v[2:3], v[4:5]
	v_mul_f64 v[4:5], v[46:47], v[50:51]
	v_fma_f64 v[4:5], v[44:45], v[48:49], -v[4:5]
	v_add_f64 v[2:3], v[2:3], v[4:5]
	;; [unrolled: 3-line block ×20, first 2 shown]
	scratch_load_dwordx4 v[2:5], off, off offset:608
	s_waitcnt vmcnt(0)
	v_add_f64 v[2:3], v[2:3], -v[6:7]
	v_add_f64 v[4:5], v[4:5], -v[148:149]
	scratch_store_dwordx4 off, v[2:5], off offset:608
	s_and_saveexec_b64 s[0:1], vcc
	s_cbranch_execz .LBB61_325
; %bb.324:
	scratch_load_dwordx4 v[2:5], off, s33
	v_mov_b32_e32 v6, 0
	v_mov_b32_e32 v7, v6
	;; [unrolled: 1-line block ×4, first 2 shown]
	v_accvgpr_read_b32 v0, a125
	scratch_store_dwordx4 off, v[6:9], off offset:592
	s_waitcnt vmcnt(1)
	ds_write_b128 v0, v[2:5]
.LBB61_325:
	s_or_b64 exec, exec, s[0:1]
	v_mov_b32_e32 v2, 0
	s_waitcnt lgkmcnt(0)
	; wave barrier
	ds_read_b128 v[16:19], v2 offset:1584
	ds_read_b128 v[12:15], v2 offset:1600
	ds_read_b128 v[8:11], v2 offset:1616
	ds_read_b128 v[4:7], v2 offset:1632
	scratch_load_dwordx4 v[20:23], off, off offset:608
	scratch_load_dwordx4 v[40:43], off, off offset:672
	;; [unrolled: 1-line block ×19, first 2 shown]
	v_cmp_lt_u32_e32 vcc, 35, v248
	scratch_load_dwordx4 v[48:51], off, off offset:688
	scratch_load_dwordx4 v[56:59], off, off offset:704
	scratch_load_dwordx4 v[64:67], off, off offset:720
	s_waitcnt vmcnt(21) lgkmcnt(3)
	v_mul_f64 v[24:25], v[16:17], v[22:23]
	v_fmac_f64_e32 v[24:25], v[18:19], v[20:21]
	v_add_f64 v[28:29], v[24:25], 0
	scratch_load_dwordx4 v[24:27], off, off offset:624
	v_mul_f64 v[18:19], v[18:19], v[22:23]
	v_fma_f64 v[16:17], v[16:17], v[20:21], -v[18:19]
	v_add_f64 v[16:17], v[16:17], 0
	s_waitcnt vmcnt(0) lgkmcnt(2)
	v_mul_f64 v[30:31], v[12:13], v[26:27]
	v_fmac_f64_e32 v[30:31], v[14:15], v[24:25]
	v_add_f64 v[32:33], v[28:29], v[30:31]
	scratch_load_dwordx4 v[28:31], off, off offset:640
	v_mul_f64 v[14:15], v[14:15], v[26:27]
	v_fma_f64 v[12:13], v[12:13], v[24:25], -v[14:15]
	v_add_f64 v[12:13], v[16:17], v[12:13]
	;; [unrolled: 8-line block ×3, first 2 shown]
	s_waitcnt vmcnt(0) lgkmcnt(0)
	v_mul_f64 v[38:39], v[4:5], v[34:35]
	v_fmac_f64_e32 v[38:39], v[6:7], v[32:33]
	v_add_f64 v[44:45], v[36:37], v[38:39]
	ds_read_b128 v[36:39], v2 offset:1648
	v_mul_f64 v[6:7], v[6:7], v[34:35]
	v_fma_f64 v[4:5], v[4:5], v[32:33], -v[6:7]
	v_add_f64 v[4:5], v[8:9], v[4:5]
	s_waitcnt lgkmcnt(0)
	v_mul_f64 v[46:47], v[36:37], v[42:43]
	v_fmac_f64_e32 v[46:47], v[38:39], v[40:41]
	v_add_f64 v[52:53], v[44:45], v[46:47]
	ds_read_b128 v[44:47], v2 offset:1664
	v_mul_f64 v[6:7], v[38:39], v[42:43]
	v_fma_f64 v[6:7], v[36:37], v[40:41], -v[6:7]
	v_add_f64 v[4:5], v[4:5], v[6:7]
	s_waitcnt lgkmcnt(0)
	;; [unrolled: 8-line block ×21, first 2 shown]
	v_mul_f64 v[6:7], v[200:201], v[204:205]
	v_fma_f64 v[6:7], v[198:199], v[202:203], -v[6:7]
	v_add_f64 v[8:9], v[4:5], v[6:7]
	scratch_load_dwordx4 v[4:7], off, off offset:592
	v_mul_f64 v[206:207], v[198:199], v[204:205]
	v_fmac_f64_e32 v[206:207], v[200:201], v[202:203]
	v_add_f64 v[144:145], v[144:145], v[206:207]
	s_waitcnt vmcnt(0)
	v_add_f64 v[4:5], v[4:5], -v[8:9]
	v_add_f64 v[6:7], v[6:7], -v[144:145]
	scratch_store_dwordx4 off, v[4:7], off offset:592
	s_and_saveexec_b64 s[0:1], vcc
	s_cbranch_execz .LBB61_327
; %bb.326:
	scratch_load_dwordx4 v[6:9], off, s30
	v_mov_b32_e32 v3, v2
	v_mov_b32_e32 v4, v2
	;; [unrolled: 1-line block ×3, first 2 shown]
	v_accvgpr_read_b32 v0, a125
	scratch_store_dwordx4 off, v[2:5], off offset:576
	s_waitcnt vmcnt(1)
	ds_write_b128 v0, v[6:9]
.LBB61_327:
	s_or_b64 exec, exec, s[0:1]
	s_waitcnt lgkmcnt(0)
	; wave barrier
	ds_read_b128 v[16:19], v2 offset:1568
	ds_read_b128 v[12:15], v2 offset:1584
	;; [unrolled: 1-line block ×4, first 2 shown]
	scratch_load_dwordx4 v[20:23], off, off offset:592
	scratch_load_dwordx4 v[40:43], off, off offset:656
	;; [unrolled: 1-line block ×20, first 2 shown]
	v_cmp_lt_u32_e32 vcc, 34, v248
	scratch_load_dwordx4 v[48:51], off, off offset:672
	scratch_load_dwordx4 v[56:59], off, off offset:688
	;; [unrolled: 1-line block ×3, first 2 shown]
	s_waitcnt vmcnt(22) lgkmcnt(3)
	v_mul_f64 v[24:25], v[16:17], v[22:23]
	v_fmac_f64_e32 v[24:25], v[18:19], v[20:21]
	v_add_f64 v[28:29], v[24:25], 0
	scratch_load_dwordx4 v[24:27], off, off offset:608
	s_waitcnt vmcnt(0) lgkmcnt(2)
	v_mul_f64 v[30:31], v[12:13], v[26:27]
	v_fmac_f64_e32 v[30:31], v[14:15], v[24:25]
	v_add_f64 v[32:33], v[28:29], v[30:31]
	scratch_load_dwordx4 v[28:31], off, off offset:624
	v_mul_f64 v[14:15], v[14:15], v[26:27]
	v_fma_f64 v[12:13], v[12:13], v[24:25], -v[14:15]
	s_waitcnt vmcnt(0) lgkmcnt(1)
	v_mul_f64 v[34:35], v[8:9], v[30:31]
	v_fmac_f64_e32 v[34:35], v[10:11], v[28:29]
	v_add_f64 v[36:37], v[32:33], v[34:35]
	scratch_load_dwordx4 v[32:35], off, off offset:640
	v_mul_f64 v[10:11], v[10:11], v[30:31]
	v_fma_f64 v[8:9], v[8:9], v[28:29], -v[10:11]
	s_waitcnt vmcnt(0) lgkmcnt(0)
	v_mul_f64 v[38:39], v[4:5], v[34:35]
	v_fmac_f64_e32 v[38:39], v[6:7], v[32:33]
	v_add_f64 v[44:45], v[36:37], v[38:39]
	ds_read_b128 v[36:39], v2 offset:1632
	v_mul_f64 v[6:7], v[6:7], v[34:35]
	v_fma_f64 v[4:5], v[4:5], v[32:33], -v[6:7]
	s_waitcnt lgkmcnt(0)
	v_mul_f64 v[46:47], v[36:37], v[42:43]
	v_fmac_f64_e32 v[46:47], v[38:39], v[40:41]
	v_add_f64 v[52:53], v[44:45], v[46:47]
	ds_read_b128 v[44:47], v2 offset:1648
	s_waitcnt lgkmcnt(0)
	v_mul_f64 v[54:55], v[44:45], v[50:51]
	v_fmac_f64_e32 v[54:55], v[46:47], v[48:49]
	v_add_f64 v[60:61], v[52:53], v[54:55]
	ds_read_b128 v[52:55], v2 offset:1664
	;; [unrolled: 5-line block ×21, first 2 shown]
	s_waitcnt lgkmcnt(0)
	v_mul_f64 v[2:3], v[206:207], v[212:213]
	v_fmac_f64_e32 v[2:3], v[208:209], v[210:211]
	v_add_f64 v[168:169], v[168:169], v[2:3]
	v_mul_f64 v[2:3], v[18:19], v[22:23]
	v_fma_f64 v[2:3], v[16:17], v[20:21], -v[2:3]
	v_add_f64 v[2:3], v[2:3], 0
	v_add_f64 v[2:3], v[2:3], v[12:13]
	v_add_f64 v[2:3], v[2:3], v[8:9]
	v_add_f64 v[2:3], v[2:3], v[4:5]
	v_mul_f64 v[4:5], v[38:39], v[42:43]
	v_fma_f64 v[4:5], v[36:37], v[40:41], -v[4:5]
	v_add_f64 v[2:3], v[2:3], v[4:5]
	v_mul_f64 v[4:5], v[46:47], v[50:51]
	v_fma_f64 v[4:5], v[44:45], v[48:49], -v[4:5]
	v_add_f64 v[2:3], v[2:3], v[4:5]
	;; [unrolled: 3-line block ×22, first 2 shown]
	scratch_load_dwordx4 v[2:5], off, off offset:576
	s_waitcnt vmcnt(0)
	v_add_f64 v[2:3], v[2:3], -v[6:7]
	v_add_f64 v[4:5], v[4:5], -v[168:169]
	scratch_store_dwordx4 off, v[2:5], off offset:576
	s_and_saveexec_b64 s[0:1], vcc
	s_cbranch_execz .LBB61_329
; %bb.328:
	scratch_load_dwordx4 v[2:5], off, s29
	v_mov_b32_e32 v6, 0
	v_mov_b32_e32 v7, v6
	;; [unrolled: 1-line block ×4, first 2 shown]
	v_accvgpr_read_b32 v0, a125
	scratch_store_dwordx4 off, v[6:9], off offset:560
	s_waitcnt vmcnt(1)
	ds_write_b128 v0, v[2:5]
.LBB61_329:
	s_or_b64 exec, exec, s[0:1]
	v_mov_b32_e32 v2, 0
	s_waitcnt lgkmcnt(0)
	; wave barrier
	ds_read_b128 v[16:19], v2 offset:1552
	ds_read_b128 v[12:15], v2 offset:1568
	;; [unrolled: 1-line block ×4, first 2 shown]
	scratch_load_dwordx4 v[20:23], off, off offset:576
	scratch_load_dwordx4 v[40:43], off, off offset:640
	;; [unrolled: 1-line block ×21, first 2 shown]
	v_cmp_lt_u32_e32 vcc, 33, v248
	scratch_load_dwordx4 v[48:51], off, off offset:656
	scratch_load_dwordx4 v[56:59], off, off offset:672
	;; [unrolled: 1-line block ×3, first 2 shown]
	s_waitcnt vmcnt(23) lgkmcnt(3)
	v_mul_f64 v[24:25], v[16:17], v[22:23]
	v_fmac_f64_e32 v[24:25], v[18:19], v[20:21]
	v_add_f64 v[28:29], v[24:25], 0
	scratch_load_dwordx4 v[24:27], off, off offset:592
	v_mul_f64 v[18:19], v[18:19], v[22:23]
	v_fma_f64 v[16:17], v[16:17], v[20:21], -v[18:19]
	v_add_f64 v[16:17], v[16:17], 0
	s_waitcnt vmcnt(0) lgkmcnt(2)
	v_mul_f64 v[30:31], v[12:13], v[26:27]
	v_fmac_f64_e32 v[30:31], v[14:15], v[24:25]
	v_add_f64 v[32:33], v[28:29], v[30:31]
	scratch_load_dwordx4 v[28:31], off, off offset:608
	v_mul_f64 v[14:15], v[14:15], v[26:27]
	v_fma_f64 v[12:13], v[12:13], v[24:25], -v[14:15]
	v_add_f64 v[12:13], v[16:17], v[12:13]
	;; [unrolled: 8-line block ×3, first 2 shown]
	s_waitcnt vmcnt(0) lgkmcnt(0)
	v_mul_f64 v[38:39], v[4:5], v[34:35]
	v_fmac_f64_e32 v[38:39], v[6:7], v[32:33]
	v_add_f64 v[44:45], v[36:37], v[38:39]
	ds_read_b128 v[36:39], v2 offset:1616
	v_mul_f64 v[6:7], v[6:7], v[34:35]
	v_fma_f64 v[4:5], v[4:5], v[32:33], -v[6:7]
	v_add_f64 v[4:5], v[8:9], v[4:5]
	s_waitcnt lgkmcnt(0)
	v_mul_f64 v[46:47], v[36:37], v[42:43]
	v_fmac_f64_e32 v[46:47], v[38:39], v[40:41]
	v_add_f64 v[52:53], v[44:45], v[46:47]
	ds_read_b128 v[44:47], v2 offset:1632
	v_mul_f64 v[6:7], v[38:39], v[42:43]
	v_fma_f64 v[6:7], v[36:37], v[40:41], -v[6:7]
	v_add_f64 v[4:5], v[4:5], v[6:7]
	s_waitcnt lgkmcnt(0)
	;; [unrolled: 8-line block ×23, first 2 shown]
	v_mul_f64 v[6:7], v[216:217], v[220:221]
	v_fma_f64 v[6:7], v[214:215], v[218:219], -v[6:7]
	v_add_f64 v[8:9], v[4:5], v[6:7]
	scratch_load_dwordx4 v[4:7], off, off offset:560
	v_mul_f64 v[222:223], v[214:215], v[220:221]
	v_fmac_f64_e32 v[222:223], v[216:217], v[218:219]
	v_add_f64 v[160:161], v[160:161], v[222:223]
	s_waitcnt vmcnt(0)
	v_add_f64 v[4:5], v[4:5], -v[8:9]
	v_add_f64 v[6:7], v[6:7], -v[160:161]
	scratch_store_dwordx4 off, v[4:7], off offset:560
	s_and_saveexec_b64 s[0:1], vcc
	s_cbranch_execz .LBB61_331
; %bb.330:
	scratch_load_dwordx4 v[6:9], off, s28
	v_mov_b32_e32 v3, v2
	v_mov_b32_e32 v4, v2
	;; [unrolled: 1-line block ×3, first 2 shown]
	v_accvgpr_read_b32 v0, a125
	scratch_store_dwordx4 off, v[2:5], off offset:544
	s_waitcnt vmcnt(1)
	ds_write_b128 v0, v[6:9]
.LBB61_331:
	s_or_b64 exec, exec, s[0:1]
	s_waitcnt lgkmcnt(0)
	; wave barrier
	ds_read_b128 v[16:19], v2 offset:1536
	ds_read_b128 v[12:15], v2 offset:1552
	;; [unrolled: 1-line block ×4, first 2 shown]
	scratch_load_dwordx4 v[20:23], off, off offset:560
	scratch_load_dwordx4 v[40:43], off, off offset:624
	;; [unrolled: 1-line block ×22, first 2 shown]
	v_cmp_lt_u32_e32 vcc, 32, v248
	scratch_load_dwordx4 v[48:51], off, off offset:640
	scratch_load_dwordx4 v[56:59], off, off offset:656
	;; [unrolled: 1-line block ×3, first 2 shown]
	s_waitcnt vmcnt(24) lgkmcnt(3)
	v_mul_f64 v[24:25], v[16:17], v[22:23]
	v_fmac_f64_e32 v[24:25], v[18:19], v[20:21]
	v_add_f64 v[28:29], v[24:25], 0
	scratch_load_dwordx4 v[24:27], off, off offset:576
	s_waitcnt vmcnt(0) lgkmcnt(2)
	v_mul_f64 v[30:31], v[12:13], v[26:27]
	v_fmac_f64_e32 v[30:31], v[14:15], v[24:25]
	v_add_f64 v[32:33], v[28:29], v[30:31]
	scratch_load_dwordx4 v[28:31], off, off offset:592
	v_mul_f64 v[14:15], v[14:15], v[26:27]
	v_fma_f64 v[12:13], v[12:13], v[24:25], -v[14:15]
	s_waitcnt vmcnt(0) lgkmcnt(1)
	v_mul_f64 v[34:35], v[8:9], v[30:31]
	v_fmac_f64_e32 v[34:35], v[10:11], v[28:29]
	v_add_f64 v[36:37], v[32:33], v[34:35]
	scratch_load_dwordx4 v[32:35], off, off offset:608
	v_mul_f64 v[10:11], v[10:11], v[30:31]
	v_fma_f64 v[8:9], v[8:9], v[28:29], -v[10:11]
	s_waitcnt vmcnt(0) lgkmcnt(0)
	v_mul_f64 v[38:39], v[4:5], v[34:35]
	v_fmac_f64_e32 v[38:39], v[6:7], v[32:33]
	v_add_f64 v[44:45], v[36:37], v[38:39]
	ds_read_b128 v[36:39], v2 offset:1600
	v_mul_f64 v[6:7], v[6:7], v[34:35]
	v_fma_f64 v[4:5], v[4:5], v[32:33], -v[6:7]
	s_waitcnt lgkmcnt(0)
	v_mul_f64 v[46:47], v[36:37], v[42:43]
	v_fmac_f64_e32 v[46:47], v[38:39], v[40:41]
	v_add_f64 v[52:53], v[44:45], v[46:47]
	ds_read_b128 v[44:47], v2 offset:1616
	s_waitcnt lgkmcnt(0)
	v_mul_f64 v[54:55], v[44:45], v[50:51]
	v_fmac_f64_e32 v[54:55], v[46:47], v[48:49]
	v_add_f64 v[60:61], v[52:53], v[54:55]
	ds_read_b128 v[52:55], v2 offset:1632
	;; [unrolled: 5-line block ×23, first 2 shown]
	s_waitcnt lgkmcnt(0)
	v_mul_f64 v[2:3], v[222:223], v[228:229]
	v_fmac_f64_e32 v[2:3], v[224:225], v[226:227]
	v_add_f64 v[176:177], v[176:177], v[2:3]
	v_mul_f64 v[2:3], v[18:19], v[22:23]
	v_fma_f64 v[2:3], v[16:17], v[20:21], -v[2:3]
	v_add_f64 v[2:3], v[2:3], 0
	v_add_f64 v[2:3], v[2:3], v[12:13]
	;; [unrolled: 1-line block ×4, first 2 shown]
	v_mul_f64 v[4:5], v[38:39], v[42:43]
	v_fma_f64 v[4:5], v[36:37], v[40:41], -v[4:5]
	v_add_f64 v[2:3], v[2:3], v[4:5]
	v_mul_f64 v[4:5], v[46:47], v[50:51]
	v_fma_f64 v[4:5], v[44:45], v[48:49], -v[4:5]
	v_add_f64 v[2:3], v[2:3], v[4:5]
	;; [unrolled: 3-line block ×24, first 2 shown]
	scratch_load_dwordx4 v[2:5], off, off offset:544
	s_waitcnt vmcnt(0)
	v_add_f64 v[2:3], v[2:3], -v[6:7]
	v_add_f64 v[4:5], v[4:5], -v[176:177]
	scratch_store_dwordx4 off, v[2:5], off offset:544
	s_and_saveexec_b64 s[0:1], vcc
	s_cbranch_execz .LBB61_333
; %bb.332:
	scratch_load_dwordx4 v[2:5], off, s27
	v_mov_b32_e32 v6, 0
	v_mov_b32_e32 v7, v6
	;; [unrolled: 1-line block ×4, first 2 shown]
	v_accvgpr_read_b32 v0, a125
	scratch_store_dwordx4 off, v[6:9], off offset:528
	s_waitcnt vmcnt(1)
	ds_write_b128 v0, v[2:5]
.LBB61_333:
	s_or_b64 exec, exec, s[0:1]
	v_mov_b32_e32 v2, 0
	s_waitcnt lgkmcnt(0)
	; wave barrier
	ds_read_b128 v[16:19], v2 offset:1520
	ds_read_b128 v[12:15], v2 offset:1536
	;; [unrolled: 1-line block ×4, first 2 shown]
	scratch_load_dwordx4 v[20:23], off, off offset:544
	scratch_load_dwordx4 v[40:43], off, off offset:608
	;; [unrolled: 1-line block ×23, first 2 shown]
	v_cmp_lt_u32_e32 vcc, 31, v248
	scratch_load_dwordx4 v[48:51], off, off offset:624
	scratch_load_dwordx4 v[56:59], off, off offset:640
	;; [unrolled: 1-line block ×3, first 2 shown]
	s_waitcnt vmcnt(25) lgkmcnt(3)
	v_mul_f64 v[24:25], v[16:17], v[22:23]
	v_fmac_f64_e32 v[24:25], v[18:19], v[20:21]
	v_add_f64 v[28:29], v[24:25], 0
	scratch_load_dwordx4 v[24:27], off, off offset:560
	v_mul_f64 v[18:19], v[18:19], v[22:23]
	v_fma_f64 v[16:17], v[16:17], v[20:21], -v[18:19]
	v_add_f64 v[16:17], v[16:17], 0
	s_waitcnt vmcnt(0) lgkmcnt(2)
	v_mul_f64 v[30:31], v[12:13], v[26:27]
	v_fmac_f64_e32 v[30:31], v[14:15], v[24:25]
	v_add_f64 v[32:33], v[28:29], v[30:31]
	scratch_load_dwordx4 v[28:31], off, off offset:576
	v_mul_f64 v[14:15], v[14:15], v[26:27]
	v_fma_f64 v[12:13], v[12:13], v[24:25], -v[14:15]
	v_add_f64 v[12:13], v[16:17], v[12:13]
	;; [unrolled: 8-line block ×3, first 2 shown]
	s_waitcnt vmcnt(0) lgkmcnt(0)
	v_mul_f64 v[38:39], v[4:5], v[34:35]
	v_fmac_f64_e32 v[38:39], v[6:7], v[32:33]
	v_add_f64 v[44:45], v[36:37], v[38:39]
	ds_read_b128 v[36:39], v2 offset:1584
	v_mul_f64 v[6:7], v[6:7], v[34:35]
	v_fma_f64 v[4:5], v[4:5], v[32:33], -v[6:7]
	v_add_f64 v[4:5], v[8:9], v[4:5]
	s_waitcnt lgkmcnt(0)
	v_mul_f64 v[46:47], v[36:37], v[42:43]
	v_fmac_f64_e32 v[46:47], v[38:39], v[40:41]
	v_add_f64 v[52:53], v[44:45], v[46:47]
	ds_read_b128 v[44:47], v2 offset:1600
	v_mul_f64 v[6:7], v[38:39], v[42:43]
	v_fma_f64 v[6:7], v[36:37], v[40:41], -v[6:7]
	v_add_f64 v[4:5], v[4:5], v[6:7]
	s_waitcnt lgkmcnt(0)
	;; [unrolled: 8-line block ×25, first 2 shown]
	v_mul_f64 v[6:7], v[232:233], v[236:237]
	v_fma_f64 v[6:7], v[230:231], v[234:235], -v[6:7]
	v_add_f64 v[8:9], v[4:5], v[6:7]
	scratch_load_dwordx4 v[4:7], off, off offset:528
	v_mul_f64 v[238:239], v[230:231], v[236:237]
	v_fmac_f64_e32 v[238:239], v[232:233], v[234:235]
	v_add_f64 v[176:177], v[176:177], v[238:239]
	s_waitcnt vmcnt(0)
	v_add_f64 v[4:5], v[4:5], -v[8:9]
	v_add_f64 v[6:7], v[6:7], -v[176:177]
	scratch_store_dwordx4 off, v[4:7], off offset:528
	s_and_saveexec_b64 s[0:1], vcc
	s_cbranch_execz .LBB61_335
; %bb.334:
	scratch_load_dwordx4 v[6:9], off, s26
	v_mov_b32_e32 v3, v2
	v_mov_b32_e32 v4, v2
	v_mov_b32_e32 v5, v2
	v_accvgpr_read_b32 v0, a125
	scratch_store_dwordx4 off, v[2:5], off offset:512
	s_waitcnt vmcnt(1)
	ds_write_b128 v0, v[6:9]
.LBB61_335:
	s_or_b64 exec, exec, s[0:1]
	s_waitcnt lgkmcnt(0)
	; wave barrier
	ds_read_b128 v[16:19], v2 offset:1504
	ds_read_b128 v[12:15], v2 offset:1520
	;; [unrolled: 1-line block ×4, first 2 shown]
	scratch_load_dwordx4 v[20:23], off, off offset:528
	scratch_load_dwordx4 v[40:43], off, off offset:592
	;; [unrolled: 1-line block ×24, first 2 shown]
	v_cmp_lt_u32_e32 vcc, 30, v248
	scratch_load_dwordx4 v[48:51], off, off offset:608
	scratch_load_dwordx4 v[56:59], off, off offset:624
	;; [unrolled: 1-line block ×3, first 2 shown]
	s_waitcnt vmcnt(26) lgkmcnt(3)
	v_mul_f64 v[24:25], v[16:17], v[22:23]
	v_fmac_f64_e32 v[24:25], v[18:19], v[20:21]
	v_add_f64 v[28:29], v[24:25], 0
	scratch_load_dwordx4 v[24:27], off, off offset:544
	s_waitcnt vmcnt(0) lgkmcnt(2)
	v_mul_f64 v[30:31], v[12:13], v[26:27]
	v_fmac_f64_e32 v[30:31], v[14:15], v[24:25]
	v_add_f64 v[32:33], v[28:29], v[30:31]
	scratch_load_dwordx4 v[28:31], off, off offset:560
	v_mul_f64 v[14:15], v[14:15], v[26:27]
	v_fma_f64 v[12:13], v[12:13], v[24:25], -v[14:15]
	s_waitcnt vmcnt(0) lgkmcnt(1)
	v_mul_f64 v[34:35], v[8:9], v[30:31]
	v_fmac_f64_e32 v[34:35], v[10:11], v[28:29]
	v_add_f64 v[36:37], v[32:33], v[34:35]
	scratch_load_dwordx4 v[32:35], off, off offset:576
	v_mul_f64 v[10:11], v[10:11], v[30:31]
	v_fma_f64 v[8:9], v[8:9], v[28:29], -v[10:11]
	s_waitcnt vmcnt(0) lgkmcnt(0)
	v_mul_f64 v[38:39], v[4:5], v[34:35]
	v_fmac_f64_e32 v[38:39], v[6:7], v[32:33]
	v_add_f64 v[44:45], v[36:37], v[38:39]
	ds_read_b128 v[36:39], v2 offset:1568
	v_mul_f64 v[6:7], v[6:7], v[34:35]
	v_fma_f64 v[4:5], v[4:5], v[32:33], -v[6:7]
	s_waitcnt lgkmcnt(0)
	v_mul_f64 v[46:47], v[36:37], v[42:43]
	v_fmac_f64_e32 v[46:47], v[38:39], v[40:41]
	v_add_f64 v[52:53], v[44:45], v[46:47]
	ds_read_b128 v[44:47], v2 offset:1584
	s_waitcnt lgkmcnt(0)
	v_mul_f64 v[54:55], v[44:45], v[50:51]
	v_fmac_f64_e32 v[54:55], v[46:47], v[48:49]
	v_add_f64 v[60:61], v[52:53], v[54:55]
	ds_read_b128 v[52:55], v2 offset:1600
	;; [unrolled: 5-line block ×25, first 2 shown]
	s_waitcnt lgkmcnt(0)
	v_mul_f64 v[2:3], v[238:239], v[254:255]
	v_fmac_f64_e32 v[2:3], v[240:241], v[252:253]
	v_add_f64 v[184:185], v[184:185], v[2:3]
	v_mul_f64 v[2:3], v[18:19], v[22:23]
	v_fma_f64 v[2:3], v[16:17], v[20:21], -v[2:3]
	v_add_f64 v[2:3], v[2:3], 0
	v_add_f64 v[2:3], v[2:3], v[12:13]
	;; [unrolled: 1-line block ×4, first 2 shown]
	v_mul_f64 v[4:5], v[38:39], v[42:43]
	v_fma_f64 v[4:5], v[36:37], v[40:41], -v[4:5]
	v_add_f64 v[2:3], v[2:3], v[4:5]
	v_mul_f64 v[4:5], v[46:47], v[50:51]
	v_fma_f64 v[4:5], v[44:45], v[48:49], -v[4:5]
	v_add_f64 v[2:3], v[2:3], v[4:5]
	;; [unrolled: 3-line block ×26, first 2 shown]
	scratch_load_dwordx4 v[2:5], off, off offset:512
	s_waitcnt vmcnt(0)
	v_add_f64 v[2:3], v[2:3], -v[6:7]
	v_add_f64 v[4:5], v[4:5], -v[184:185]
	scratch_store_dwordx4 off, v[2:5], off offset:512
	s_and_saveexec_b64 s[0:1], vcc
	s_cbranch_execz .LBB61_337
; %bb.336:
	scratch_load_dwordx4 v[2:5], off, s83
	v_mov_b32_e32 v6, 0
	v_mov_b32_e32 v7, v6
	;; [unrolled: 1-line block ×4, first 2 shown]
	v_accvgpr_read_b32 v0, a125
	scratch_store_dwordx4 off, v[6:9], off offset:496
	s_waitcnt vmcnt(1)
	ds_write_b128 v0, v[2:5]
.LBB61_337:
	s_or_b64 exec, exec, s[0:1]
	s_waitcnt lgkmcnt(0)
	; wave barrier
	scratch_load_dwordx4 v[16:19], off, off offset:512
	scratch_load_dwordx4 v[12:15], off, off offset:528
	;; [unrolled: 1-line block ×32, first 2 shown]
	v_mov_b32_e32 v2, 0
	ds_read_b128 v[132:135], v2 offset:1488
	ds_read_b128 v[136:139], v2 offset:1504
	;; [unrolled: 1-line block ×17, first 2 shown]
	v_cmp_lt_u32_e32 vcc, 29, v248
	s_waitcnt vmcnt(31) lgkmcnt(14)
	v_mul_f64 v[200:201], v[132:133], v[18:19]
	s_waitcnt vmcnt(30)
	v_mul_f64 v[202:203], v[136:137], v[14:15]
	v_fmac_f64_e32 v[200:201], v[134:135], v[16:17]
	s_waitcnt vmcnt(29)
	v_mul_f64 v[204:205], v[140:141], v[10:11]
	v_fmac_f64_e32 v[202:203], v[138:139], v[12:13]
	v_add_f64 v[200:201], v[200:201], 0
	s_waitcnt vmcnt(28) lgkmcnt(13)
	v_mul_f64 v[206:207], v[144:145], v[6:7]
	v_fmac_f64_e32 v[204:205], v[142:143], v[8:9]
	v_add_f64 v[200:201], v[200:201], v[202:203]
	s_waitcnt vmcnt(27) lgkmcnt(12)
	v_mul_f64 v[208:209], v[148:149], v[22:23]
	v_fmac_f64_e32 v[206:207], v[146:147], v[4:5]
	v_add_f64 v[200:201], v[200:201], v[204:205]
	s_waitcnt vmcnt(26) lgkmcnt(11)
	v_mul_f64 v[210:211], v[152:153], v[26:27]
	v_fmac_f64_e32 v[208:209], v[150:151], v[20:21]
	v_add_f64 v[200:201], v[200:201], v[206:207]
	s_waitcnt vmcnt(25) lgkmcnt(10)
	v_mul_f64 v[212:213], v[156:157], v[30:31]
	v_fmac_f64_e32 v[210:211], v[154:155], v[24:25]
	v_add_f64 v[200:201], v[200:201], v[208:209]
	s_waitcnt vmcnt(24) lgkmcnt(9)
	v_mul_f64 v[214:215], v[160:161], v[34:35]
	v_fmac_f64_e32 v[212:213], v[158:159], v[28:29]
	v_add_f64 v[200:201], v[200:201], v[210:211]
	s_waitcnt vmcnt(23) lgkmcnt(8)
	v_mul_f64 v[216:217], v[164:165], v[38:39]
	v_fmac_f64_e32 v[214:215], v[162:163], v[32:33]
	v_add_f64 v[200:201], v[200:201], v[212:213]
	s_waitcnt vmcnt(22) lgkmcnt(7)
	v_mul_f64 v[218:219], v[168:169], v[42:43]
	v_fmac_f64_e32 v[216:217], v[166:167], v[36:37]
	v_add_f64 v[200:201], v[200:201], v[214:215]
	s_waitcnt vmcnt(21) lgkmcnt(6)
	v_mul_f64 v[220:221], v[172:173], v[46:47]
	v_fmac_f64_e32 v[218:219], v[170:171], v[40:41]
	v_add_f64 v[200:201], v[200:201], v[216:217]
	s_waitcnt vmcnt(20) lgkmcnt(5)
	v_mul_f64 v[222:223], v[176:177], v[50:51]
	v_fmac_f64_e32 v[220:221], v[174:175], v[44:45]
	v_add_f64 v[200:201], v[200:201], v[218:219]
	s_waitcnt vmcnt(19) lgkmcnt(4)
	v_mul_f64 v[224:225], v[180:181], v[54:55]
	v_fmac_f64_e32 v[222:223], v[178:179], v[48:49]
	v_add_f64 v[200:201], v[200:201], v[220:221]
	s_waitcnt vmcnt(18) lgkmcnt(3)
	v_mul_f64 v[226:227], v[184:185], v[58:59]
	v_fmac_f64_e32 v[224:225], v[182:183], v[52:53]
	v_add_f64 v[200:201], v[200:201], v[222:223]
	s_waitcnt vmcnt(17) lgkmcnt(2)
	v_mul_f64 v[228:229], v[188:189], v[62:63]
	v_fmac_f64_e32 v[226:227], v[186:187], v[56:57]
	v_add_f64 v[200:201], v[200:201], v[224:225]
	v_fmac_f64_e32 v[228:229], v[190:191], v[60:61]
	v_add_f64 v[200:201], v[200:201], v[226:227]
	s_waitcnt vmcnt(16) lgkmcnt(1)
	v_mul_f64 v[202:203], v[192:193], v[66:67]
	v_add_f64 v[200:201], v[200:201], v[228:229]
	v_fmac_f64_e32 v[202:203], v[194:195], v[64:65]
	s_waitcnt vmcnt(15) lgkmcnt(0)
	v_mul_f64 v[206:207], v[196:197], v[70:71]
	v_add_f64 v[204:205], v[200:201], v[202:203]
	ds_read_b128 v[200:203], v2 offset:1760
	v_fmac_f64_e32 v[206:207], v[198:199], v[68:69]
	v_add_f64 v[208:209], v[204:205], v[206:207]
	ds_read_b128 v[204:207], v2 offset:1776
	v_mul_f64 v[18:19], v[134:135], v[18:19]
	s_waitcnt vmcnt(14) lgkmcnt(1)
	v_mul_f64 v[210:211], v[200:201], v[74:75]
	v_fmac_f64_e32 v[210:211], v[202:203], v[72:73]
	v_add_f64 v[212:213], v[208:209], v[210:211]
	s_waitcnt vmcnt(13) lgkmcnt(0)
	v_mul_f64 v[214:215], v[204:205], v[78:79]
	ds_read_b128 v[208:211], v2 offset:1792
	v_fmac_f64_e32 v[214:215], v[206:207], v[76:77]
	v_add_f64 v[216:217], v[212:213], v[214:215]
	ds_read_b128 v[212:215], v2 offset:1808
	v_fma_f64 v[242:243], v[132:133], v[16:17], -v[18:19]
	s_waitcnt vmcnt(12) lgkmcnt(1)
	v_mul_f64 v[218:219], v[208:209], v[82:83]
	v_fmac_f64_e32 v[218:219], v[210:211], v[80:81]
	v_add_f64 v[220:221], v[216:217], v[218:219]
	s_waitcnt vmcnt(11) lgkmcnt(0)
	v_mul_f64 v[222:223], v[212:213], v[86:87]
	ds_read_b128 v[216:219], v2 offset:1824
	v_fmac_f64_e32 v[222:223], v[214:215], v[84:85]
	v_add_f64 v[224:225], v[220:221], v[222:223]
	ds_read_b128 v[220:223], v2 offset:1840
	ds_read_b128 v[16:19], v2 offset:1920
	s_waitcnt vmcnt(10) lgkmcnt(2)
	v_mul_f64 v[226:227], v[216:217], v[90:91]
	v_fmac_f64_e32 v[226:227], v[218:219], v[88:89]
	v_add_f64 v[228:229], v[224:225], v[226:227]
	s_waitcnt vmcnt(9) lgkmcnt(1)
	v_mul_f64 v[230:231], v[220:221], v[94:95]
	ds_read_b128 v[224:227], v2 offset:1856
	v_fmac_f64_e32 v[230:231], v[222:223], v[92:93]
	v_add_f64 v[232:233], v[228:229], v[230:231]
	ds_read_b128 v[228:231], v2 offset:1872
	v_mul_f64 v[14:15], v[138:139], v[14:15]
	s_waitcnt vmcnt(8) lgkmcnt(1)
	v_mul_f64 v[234:235], v[224:225], v[98:99]
	v_fmac_f64_e32 v[234:235], v[226:227], v[96:97]
	v_add_f64 v[236:237], v[232:233], v[234:235]
	s_waitcnt vmcnt(7) lgkmcnt(0)
	v_mul_f64 v[238:239], v[228:229], v[102:103]
	ds_read_b128 v[232:235], v2 offset:1888
	v_fmac_f64_e32 v[238:239], v[230:231], v[100:101]
	v_add_f64 v[240:241], v[236:237], v[238:239]
	ds_read_b128 v[236:239], v2 offset:1904
	v_fma_f64 v[136:137], v[136:137], v[12:13], -v[14:15]
	s_waitcnt vmcnt(6) lgkmcnt(1)
	v_mul_f64 v[132:133], v[232:233], v[106:107]
	v_fmac_f64_e32 v[132:133], v[234:235], v[104:105]
	v_add_f64 v[132:133], v[240:241], v[132:133]
	s_waitcnt vmcnt(5) lgkmcnt(0)
	v_mul_f64 v[134:135], v[236:237], v[110:111]
	v_fmac_f64_e32 v[134:135], v[238:239], v[108:109]
	v_add_f64 v[132:133], v[132:133], v[134:135]
	ds_read_b128 v[12:15], v2 offset:1936
	s_waitcnt vmcnt(4)
	v_mul_f64 v[134:135], v[16:17], v[114:115]
	v_fmac_f64_e32 v[134:135], v[18:19], v[112:113]
	v_add_f64 v[138:139], v[132:133], v[134:135]
	ds_read_b128 v[132:135], v2 offset:1952
	v_mul_f64 v[10:11], v[142:143], v[10:11]
	v_fma_f64 v[140:141], v[140:141], v[8:9], -v[10:11]
	ds_read_b128 v[8:11], v2 offset:1968
	s_waitcnt vmcnt(3) lgkmcnt(2)
	v_mul_f64 v[142:143], v[12:13], v[118:119]
	v_fmac_f64_e32 v[142:143], v[14:15], v[116:117]
	v_add_f64 v[138:139], v[138:139], v[142:143]
	s_waitcnt vmcnt(2) lgkmcnt(1)
	v_mul_f64 v[142:143], v[132:133], v[122:123]
	v_fmac_f64_e32 v[142:143], v[134:135], v[120:121]
	v_add_f64 v[138:139], v[138:139], v[142:143]
	;; [unrolled: 4-line block ×3, first 2 shown]
	v_add_f64 v[142:143], v[242:243], 0
	v_add_f64 v[136:137], v[142:143], v[136:137]
	v_mul_f64 v[6:7], v[146:147], v[6:7]
	v_add_f64 v[136:137], v[136:137], v[140:141]
	v_fma_f64 v[4:5], v[144:145], v[4:5], -v[6:7]
	v_mul_f64 v[6:7], v[150:151], v[22:23]
	v_add_f64 v[4:5], v[136:137], v[4:5]
	v_fma_f64 v[6:7], v[148:149], v[20:21], -v[6:7]
	v_add_f64 v[4:5], v[4:5], v[6:7]
	v_mul_f64 v[6:7], v[154:155], v[26:27]
	v_fma_f64 v[6:7], v[152:153], v[24:25], -v[6:7]
	v_add_f64 v[4:5], v[4:5], v[6:7]
	v_mul_f64 v[6:7], v[158:159], v[30:31]
	;; [unrolled: 3-line block ×26, first 2 shown]
	v_fma_f64 v[6:7], v[8:9], v[124:125], -v[6:7]
	v_add_f64 v[4:5], v[4:5], v[6:7]
	s_waitcnt vmcnt(0)
	v_add_f64 v[4:5], v[128:129], -v[4:5]
	v_add_f64 v[6:7], v[130:131], -v[138:139]
	scratch_store_dwordx4 off, v[4:7], off offset:496
	s_and_saveexec_b64 s[0:1], vcc
	s_cbranch_execz .LBB61_339
; %bb.338:
	scratch_load_dwordx4 v[6:9], off, s82
	v_mov_b32_e32 v3, v2
	v_mov_b32_e32 v4, v2
	v_mov_b32_e32 v5, v2
	v_accvgpr_read_b32 v0, a125
	scratch_store_dwordx4 off, v[2:5], off offset:480
	s_waitcnt vmcnt(1)
	ds_write_b128 v0, v[6:9]
.LBB61_339:
	s_or_b64 exec, exec, s[0:1]
	s_waitcnt lgkmcnt(0)
	; wave barrier
	scratch_load_dwordx4 v[140:143], off, off offset:496
	scratch_load_dwordx4 v[148:151], off, off offset:512
	;; [unrolled: 1-line block ×16, first 2 shown]
	ds_read_b128 v[188:191], v2 offset:1472
	ds_read_b128 v[184:187], v2 offset:1488
	scratch_load_dwordx4 v[56:59], off, off offset:752
	ds_read_b128 v[192:195], v2 offset:1504
	ds_read_b128 v[68:71], v2 offset:1520
	scratch_load_dwordx4 v[60:63], off, off offset:768
	ds_read_b128 v[88:91], v2 offset:1536
	ds_read_b128 v[84:87], v2 offset:1552
	;; [unrolled: 1-line block ×4, first 2 shown]
	scratch_load_dwordx4 v[64:67], off, off offset:784
	ds_read_b128 v[100:103], v2 offset:1600
	ds_read_b128 v[96:99], v2 offset:1616
	scratch_load_dwordx4 v[72:75], off, off offset:800
	ds_read_b128 v[116:119], v2 offset:1632
	ds_read_b128 v[112:115], v2 offset:1648
	ds_read_b128 v[108:111], v2 offset:1664
	ds_read_b128 v[104:107], v2 offset:1680
	scratch_load_dwordx4 v[92:95], off, off offset:816
	ds_read_b128 v[132:135], v2 offset:1696
	ds_read_b128 v[128:131], v2 offset:1712
	;; [unrolled: 1-line block ×3, first 2 shown]
	scratch_load_dwordx4 v[120:123], off, off offset:832
	scratch_load_dwordx4 v[136:139], off, off offset:848
	;; [unrolled: 1-line block ×11, first 2 shown]
	v_cmp_lt_u32_e32 vcc, 28, v248
	s_waitcnt vmcnt(31) lgkmcnt(14)
	v_mul_f64 v[200:201], v[188:189], v[142:143]
	s_waitcnt vmcnt(30)
	v_mul_f64 v[202:203], v[184:185], v[150:151]
	v_fmac_f64_e32 v[200:201], v[190:191], v[140:141]
	s_waitcnt vmcnt(29)
	v_mul_f64 v[204:205], v[192:193], v[154:155]
	v_fmac_f64_e32 v[202:203], v[186:187], v[148:149]
	v_add_f64 v[200:201], v[200:201], 0
	s_waitcnt vmcnt(28) lgkmcnt(13)
	v_mul_f64 v[206:207], v[68:69], v[6:7]
	v_fmac_f64_e32 v[204:205], v[194:195], v[152:153]
	v_add_f64 v[200:201], v[200:201], v[202:203]
	s_waitcnt vmcnt(27) lgkmcnt(12)
	;; [unrolled: 4-line block ×13, first 2 shown]
	v_mul_f64 v[230:231], v[128:129], v[54:55]
	v_fmac_f64_e32 v[228:229], v[134:135], v[48:49]
	v_add_f64 v[200:201], v[200:201], v[226:227]
	v_add_f64 v[200:201], v[200:201], v[228:229]
	v_fmac_f64_e32 v[230:231], v[130:131], v[52:53]
	v_add_f64 v[204:205], v[200:201], v[230:231]
	ds_read_b128 v[200:203], v2 offset:1744
	s_waitcnt vmcnt(15) lgkmcnt(1)
	v_mul_f64 v[206:207], v[124:125], v[58:59]
	v_fmac_f64_e32 v[206:207], v[126:127], v[56:57]
	v_add_f64 v[208:209], v[204:205], v[206:207]
	ds_read_b128 v[204:207], v2 offset:1760
	s_waitcnt vmcnt(14) lgkmcnt(1)
	v_mul_f64 v[210:211], v[200:201], v[62:63]
	;; [unrolled: 5-line block ×10, first 2 shown]
	v_fmac_f64_e32 v[242:243], v[234:235], v[160:161]
	v_mul_f64 v[142:143], v[190:191], v[142:143]
	v_add_f64 v[242:243], v[240:241], v[242:243]
	v_fma_f64 v[240:241], v[188:189], v[140:141], -v[142:143]
	ds_read_b128 v[140:143], v2 offset:1904
	v_mul_f64 v[150:151], v[186:187], v[150:151]
	s_waitcnt vmcnt(5) lgkmcnt(1)
	v_mul_f64 v[188:189], v[236:237], v[166:167]
	v_fma_f64 v[252:253], v[184:185], v[148:149], -v[150:151]
	ds_read_b128 v[148:151], v2 offset:1920
	v_fmac_f64_e32 v[188:189], v[238:239], v[164:165]
	s_waitcnt vmcnt(4) lgkmcnt(1)
	v_mul_f64 v[184:185], v[140:141], v[170:171]
	v_add_f64 v[188:189], v[242:243], v[188:189]
	v_fmac_f64_e32 v[184:185], v[142:143], v[168:169]
	v_add_f64 v[188:189], v[188:189], v[184:185]
	ds_read_b128 v[184:187], v2 offset:1936
	v_mul_f64 v[154:155], v[194:195], v[154:155]
	s_waitcnt vmcnt(3) lgkmcnt(1)
	v_mul_f64 v[190:191], v[148:149], v[174:175]
	v_fma_f64 v[244:245], v[192:193], v[152:153], -v[154:155]
	ds_read_b128 v[152:155], v2 offset:1952
	v_fmac_f64_e32 v[190:191], v[150:151], v[172:173]
	v_add_f64 v[242:243], v[188:189], v[190:191]
	ds_read_b128 v[188:191], v2 offset:1968
	s_waitcnt vmcnt(2) lgkmcnt(2)
	v_mul_f64 v[192:193], v[184:185], v[178:179]
	v_fmac_f64_e32 v[192:193], v[186:187], v[176:177]
	v_add_f64 v[2:3], v[242:243], v[192:193]
	s_waitcnt vmcnt(1) lgkmcnt(1)
	v_mul_f64 v[192:193], v[152:153], v[182:183]
	v_fmac_f64_e32 v[192:193], v[154:155], v[180:181]
	v_add_f64 v[2:3], v[2:3], v[192:193]
	;; [unrolled: 4-line block ×3, first 2 shown]
	scratch_load_dwordx4 v[192:195], off, off offset:480
	v_add_f64 v[240:241], v[240:241], 0
	v_add_f64 v[240:241], v[240:241], v[252:253]
	v_mul_f64 v[6:7], v[70:71], v[6:7]
	v_add_f64 v[240:241], v[240:241], v[244:245]
	v_fma_f64 v[4:5], v[68:69], v[4:5], -v[6:7]
	v_mul_f64 v[6:7], v[90:91], v[10:11]
	v_add_f64 v[4:5], v[240:241], v[4:5]
	v_fma_f64 v[6:7], v[88:89], v[8:9], -v[6:7]
	v_add_f64 v[4:5], v[4:5], v[6:7]
	v_mul_f64 v[6:7], v[86:87], v[14:15]
	v_fma_f64 v[6:7], v[84:85], v[12:13], -v[6:7]
	v_add_f64 v[4:5], v[4:5], v[6:7]
	v_mul_f64 v[6:7], v[82:83], v[18:19]
	;; [unrolled: 3-line block ×27, first 2 shown]
	v_fma_f64 v[6:7], v[188:189], v[196:197], -v[6:7]
	v_add_f64 v[4:5], v[4:5], v[6:7]
	s_waitcnt vmcnt(0)
	v_add_f64 v[4:5], v[192:193], -v[4:5]
	v_add_f64 v[6:7], v[194:195], -v[2:3]
	scratch_store_dwordx4 off, v[4:7], off offset:480
	s_and_saveexec_b64 s[0:1], vcc
	s_cbranch_execz .LBB61_341
; %bb.340:
	scratch_load_dwordx4 v[2:5], off, s81
	v_mov_b32_e32 v6, 0
	v_mov_b32_e32 v7, v6
	v_mov_b32_e32 v8, v6
	v_mov_b32_e32 v9, v6
	v_accvgpr_read_b32 v0, a125
	scratch_store_dwordx4 off, v[6:9], off offset:464
	s_waitcnt vmcnt(1)
	ds_write_b128 v0, v[2:5]
.LBB61_341:
	s_or_b64 exec, exec, s[0:1]
	s_waitcnt lgkmcnt(0)
	; wave barrier
	scratch_load_dwordx4 v[108:111], off, off offset:480
	scratch_load_dwordx4 v[116:119], off, off offset:496
	;; [unrolled: 1-line block ×33, first 2 shown]
	v_mov_b32_e32 v2, 0
	ds_read_b128 v[220:223], v2 offset:1456
	ds_read_b128 v[224:227], v2 offset:1472
	ds_read_b128 v[234:237], v2 offset:1488
	ds_read_b128 v[238:241], v2 offset:1504
	ds_read_b128 v[252:255], v2 offset:1520
	ds_read_b128 v[176:179], v2 offset:1536
	ds_read_b128 v[172:175], v2 offset:1552
	ds_read_b128 v[168:171], v2 offset:1568
	ds_read_b128 v[164:167], v2 offset:1584
	ds_read_b128 v[160:163], v2 offset:1600
	ds_read_b128 v[156:159], v2 offset:1616
	ds_read_b128 v[152:155], v2 offset:1632
	ds_read_b128 v[148:151], v2 offset:1648
	ds_read_b128 v[144:147], v2 offset:1664
	ds_read_b128 v[140:143], v2 offset:1680
	ds_read_b128 v[136:139], v2 offset:1696
	v_cmp_lt_u32_e32 vcc, 27, v248
	s_waitcnt vmcnt(32) lgkmcnt(14)
	v_mul_f64 v[180:181], v[220:221], v[110:111]
	s_waitcnt vmcnt(31)
	v_mul_f64 v[182:183], v[224:225], v[118:119]
	v_fmac_f64_e32 v[180:181], v[222:223], v[108:109]
	s_waitcnt vmcnt(30) lgkmcnt(13)
	v_mul_f64 v[184:185], v[234:235], v[122:123]
	v_fmac_f64_e32 v[182:183], v[226:227], v[116:117]
	v_add_f64 v[180:181], v[180:181], 0
	s_waitcnt vmcnt(29) lgkmcnt(12)
	v_mul_f64 v[186:187], v[238:239], v[126:127]
	v_fmac_f64_e32 v[184:185], v[236:237], v[120:121]
	v_add_f64 v[180:181], v[180:181], v[182:183]
	;; [unrolled: 4-line block ×13, first 2 shown]
	v_fmac_f64_e32 v[208:209], v[142:143], v[40:41]
	v_add_f64 v[180:181], v[180:181], v[206:207]
	v_add_f64 v[184:185], v[180:181], v[208:209]
	ds_read_b128 v[180:183], v2 offset:1712
	s_waitcnt vmcnt(17) lgkmcnt(1)
	v_mul_f64 v[186:187], v[136:137], v[46:47]
	v_fmac_f64_e32 v[186:187], v[138:139], v[44:45]
	v_add_f64 v[188:189], v[184:185], v[186:187]
	ds_read_b128 v[184:187], v2 offset:1728
	s_waitcnt vmcnt(16) lgkmcnt(1)
	v_mul_f64 v[190:191], v[180:181], v[50:51]
	v_fmac_f64_e32 v[190:191], v[182:183], v[48:49]
	;; [unrolled: 5-line block ×10, first 2 shown]
	v_mul_f64 v[110:111], v[222:223], v[110:111]
	v_add_f64 v[228:229], v[228:229], v[230:231]
	v_fma_f64 v[230:231], v[220:221], v[108:109], -v[110:111]
	ds_read_b128 v[108:111], v2 offset:1872
	s_waitcnt vmcnt(7) lgkmcnt(1)
	v_mul_f64 v[220:221], v[216:217], v[86:87]
	v_mul_f64 v[118:119], v[226:227], v[118:119]
	v_fmac_f64_e32 v[220:221], v[218:219], v[84:85]
	v_fma_f64 v[232:233], v[224:225], v[116:117], -v[118:119]
	ds_read_b128 v[116:119], v2 offset:1888
	s_waitcnt vmcnt(6) lgkmcnt(1)
	v_mul_f64 v[222:223], v[108:109], v[90:91]
	v_add_f64 v[220:221], v[228:229], v[220:221]
	v_fmac_f64_e32 v[222:223], v[110:111], v[88:89]
	v_add_f64 v[224:225], v[220:221], v[222:223]
	ds_read_b128 v[220:223], v2 offset:1904
	v_mul_f64 v[122:123], v[236:237], v[122:123]
	v_fma_f64 v[234:235], v[234:235], v[120:121], -v[122:123]
	ds_read_b128 v[120:123], v2 offset:1920
	s_waitcnt vmcnt(5) lgkmcnt(2)
	v_mul_f64 v[226:227], v[116:117], v[94:95]
	v_fmac_f64_e32 v[226:227], v[118:119], v[92:93]
	v_add_f64 v[224:225], v[224:225], v[226:227]
	s_waitcnt vmcnt(4) lgkmcnt(1)
	v_mul_f64 v[226:227], v[220:221], v[98:99]
	v_mul_f64 v[126:127], v[240:241], v[126:127]
	v_fmac_f64_e32 v[226:227], v[222:223], v[96:97]
	v_fma_f64 v[236:237], v[238:239], v[124:125], -v[126:127]
	s_waitcnt vmcnt(3) lgkmcnt(0)
	v_mul_f64 v[238:239], v[120:121], v[102:103]
	v_add_f64 v[228:229], v[224:225], v[226:227]
	v_fmac_f64_e32 v[238:239], v[122:123], v[100:101]
	v_mul_f64 v[130:131], v[254:255], v[130:131]
	v_add_f64 v[228:229], v[228:229], v[238:239]
	v_fma_f64 v[238:239], v[252:253], v[128:129], -v[130:131]
	scratch_load_dwordx4 v[252:255], off, off offset:464
	v_add_f64 v[230:231], v[230:231], 0
	v_add_f64 v[230:231], v[230:231], v[232:233]
	;; [unrolled: 1-line block ×4, first 2 shown]
	v_mul_f64 v[6:7], v[178:179], v[6:7]
	v_add_f64 v[230:231], v[230:231], v[238:239]
	v_fma_f64 v[4:5], v[176:177], v[4:5], -v[6:7]
	v_mul_f64 v[6:7], v[174:175], v[10:11]
	v_add_f64 v[4:5], v[230:231], v[4:5]
	v_fma_f64 v[6:7], v[172:173], v[8:9], -v[6:7]
	v_add_f64 v[4:5], v[4:5], v[6:7]
	v_mul_f64 v[6:7], v[170:171], v[14:15]
	v_fma_f64 v[6:7], v[168:169], v[12:13], -v[6:7]
	v_add_f64 v[4:5], v[4:5], v[6:7]
	v_mul_f64 v[6:7], v[166:167], v[18:19]
	v_fma_f64 v[6:7], v[164:165], v[16:17], -v[6:7]
	v_add_f64 v[4:5], v[4:5], v[6:7]
	v_mul_f64 v[6:7], v[162:163], v[22:23]
	v_fma_f64 v[6:7], v[160:161], v[20:21], -v[6:7]
	v_add_f64 v[4:5], v[4:5], v[6:7]
	v_mul_f64 v[6:7], v[158:159], v[26:27]
	v_fma_f64 v[6:7], v[156:157], v[24:25], -v[6:7]
	v_add_f64 v[4:5], v[4:5], v[6:7]
	v_mul_f64 v[6:7], v[154:155], v[30:31]
	v_fma_f64 v[6:7], v[152:153], v[28:29], -v[6:7]
	v_add_f64 v[4:5], v[4:5], v[6:7]
	v_mul_f64 v[6:7], v[150:151], v[34:35]
	v_fma_f64 v[6:7], v[148:149], v[32:33], -v[6:7]
	v_add_f64 v[4:5], v[4:5], v[6:7]
	v_mul_f64 v[6:7], v[146:147], v[38:39]
	v_fma_f64 v[6:7], v[144:145], v[36:37], -v[6:7]
	v_add_f64 v[4:5], v[4:5], v[6:7]
	v_mul_f64 v[6:7], v[142:143], v[42:43]
	v_fma_f64 v[6:7], v[140:141], v[40:41], -v[6:7]
	v_add_f64 v[4:5], v[4:5], v[6:7]
	v_mul_f64 v[6:7], v[138:139], v[46:47]
	v_fma_f64 v[6:7], v[136:137], v[44:45], -v[6:7]
	v_add_f64 v[4:5], v[4:5], v[6:7]
	v_mul_f64 v[6:7], v[182:183], v[50:51]
	v_fma_f64 v[6:7], v[180:181], v[48:49], -v[6:7]
	v_add_f64 v[4:5], v[4:5], v[6:7]
	v_mul_f64 v[6:7], v[186:187], v[54:55]
	v_fma_f64 v[6:7], v[184:185], v[52:53], -v[6:7]
	v_add_f64 v[4:5], v[4:5], v[6:7]
	v_mul_f64 v[6:7], v[190:191], v[58:59]
	v_fma_f64 v[6:7], v[188:189], v[56:57], -v[6:7]
	v_add_f64 v[4:5], v[4:5], v[6:7]
	v_mul_f64 v[6:7], v[194:195], v[62:63]
	v_fma_f64 v[6:7], v[192:193], v[60:61], -v[6:7]
	v_add_f64 v[4:5], v[4:5], v[6:7]
	v_mul_f64 v[6:7], v[198:199], v[66:67]
	v_fma_f64 v[6:7], v[196:197], v[64:65], -v[6:7]
	v_add_f64 v[4:5], v[4:5], v[6:7]
	v_mul_f64 v[6:7], v[202:203], v[70:71]
	v_fma_f64 v[6:7], v[200:201], v[68:69], -v[6:7]
	v_add_f64 v[4:5], v[4:5], v[6:7]
	v_mul_f64 v[6:7], v[206:207], v[74:75]
	v_fma_f64 v[6:7], v[204:205], v[72:73], -v[6:7]
	v_add_f64 v[4:5], v[4:5], v[6:7]
	v_mul_f64 v[6:7], v[210:211], v[78:79]
	v_fma_f64 v[6:7], v[208:209], v[76:77], -v[6:7]
	v_add_f64 v[4:5], v[4:5], v[6:7]
	v_mul_f64 v[6:7], v[214:215], v[82:83]
	v_fma_f64 v[6:7], v[212:213], v[80:81], -v[6:7]
	v_add_f64 v[4:5], v[4:5], v[6:7]
	v_mul_f64 v[6:7], v[218:219], v[86:87]
	v_fma_f64 v[6:7], v[216:217], v[84:85], -v[6:7]
	v_add_f64 v[4:5], v[4:5], v[6:7]
	v_mul_f64 v[6:7], v[110:111], v[90:91]
	v_fma_f64 v[6:7], v[108:109], v[88:89], -v[6:7]
	v_add_f64 v[4:5], v[4:5], v[6:7]
	v_mul_f64 v[6:7], v[118:119], v[94:95]
	ds_read_b128 v[124:127], v2 offset:1936
	ds_read_b128 v[224:227], v2 offset:1952
	v_fma_f64 v[6:7], v[116:117], v[92:93], -v[6:7]
	v_add_f64 v[4:5], v[4:5], v[6:7]
	v_mul_f64 v[6:7], v[222:223], v[98:99]
	v_fma_f64 v[6:7], v[220:221], v[96:97], -v[6:7]
	v_add_f64 v[4:5], v[4:5], v[6:7]
	v_mul_f64 v[6:7], v[122:123], v[102:103]
	ds_read_b128 v[128:131], v2 offset:1968
	v_fma_f64 v[6:7], v[120:121], v[100:101], -v[6:7]
	s_waitcnt vmcnt(3) lgkmcnt(2)
	v_mul_f64 v[240:241], v[124:125], v[106:107]
	v_add_f64 v[4:5], v[4:5], v[6:7]
	v_mul_f64 v[6:7], v[126:127], v[106:107]
	v_fmac_f64_e32 v[240:241], v[126:127], v[104:105]
	v_fma_f64 v[6:7], v[124:125], v[104:105], -v[6:7]
	v_add_f64 v[228:229], v[228:229], v[240:241]
	s_waitcnt vmcnt(2) lgkmcnt(1)
	v_mul_f64 v[240:241], v[224:225], v[114:115]
	v_add_f64 v[4:5], v[4:5], v[6:7]
	v_mul_f64 v[6:7], v[226:227], v[114:115]
	v_fmac_f64_e32 v[240:241], v[226:227], v[112:113]
	v_fma_f64 v[6:7], v[224:225], v[112:113], -v[6:7]
	v_add_f64 v[228:229], v[228:229], v[240:241]
	;; [unrolled: 7-line block ×3, first 2 shown]
	v_add_f64 v[4:5], v[4:5], v[6:7]
	s_waitcnt vmcnt(0)
	v_add_f64 v[4:5], v[252:253], -v[4:5]
	v_add_f64 v[6:7], v[254:255], -v[228:229]
	scratch_store_dwordx4 off, v[4:7], off offset:464
	s_and_saveexec_b64 s[0:1], vcc
	s_cbranch_execz .LBB61_343
; %bb.342:
	scratch_load_dwordx4 v[6:9], off, s80
	v_mov_b32_e32 v3, v2
	v_mov_b32_e32 v4, v2
	;; [unrolled: 1-line block ×3, first 2 shown]
	v_accvgpr_read_b32 v0, a125
	scratch_store_dwordx4 off, v[2:5], off offset:448
	s_waitcnt vmcnt(1)
	ds_write_b128 v0, v[6:9]
.LBB61_343:
	s_or_b64 exec, exec, s[0:1]
	s_waitcnt lgkmcnt(0)
	; wave barrier
	scratch_load_dwordx4 v[144:147], off, off offset:464
	scratch_load_dwordx4 v[152:155], off, off offset:480
	;; [unrolled: 1-line block ×16, first 2 shown]
	ds_read_b128 v[196:199], v2 offset:1440
	ds_read_b128 v[188:191], v2 offset:1456
	ds_read_b128 v[180:183], v2 offset:1472
	scratch_load_dwordx4 v[48:51], off, off offset:720
	ds_read_b128 v[192:195], v2 offset:1488
	ds_read_b128 v[184:187], v2 offset:1504
	ds_read_b128 v[64:67], v2 offset:1520
	scratch_load_dwordx4 v[52:55], off, off offset:736
	;; [unrolled: 4-line block ×5, first 2 shown]
	ds_read_b128 v[116:119], v2 offset:1680
	ds_read_b128 v[112:115], v2 offset:1696
	scratch_load_dwordx4 v[108:111], off, off offset:800
	scratch_load_dwordx4 v[120:123], off, off offset:816
	;; [unrolled: 1-line block ×12, first 2 shown]
	v_cmp_lt_u32_e32 vcc, 26, v248
	scratch_load_dwordx4 v[252:255], off, off offset:448
	s_waitcnt vmcnt(33) lgkmcnt(14)
	v_mul_f64 v[204:205], v[196:197], v[146:147]
	s_waitcnt vmcnt(32)
	v_mul_f64 v[206:207], v[188:189], v[154:155]
	v_fmac_f64_e32 v[204:205], v[198:199], v[144:145]
	s_waitcnt vmcnt(31)
	v_mul_f64 v[208:209], v[180:181], v[158:159]
	v_fmac_f64_e32 v[206:207], v[190:191], v[152:153]
	v_add_f64 v[204:205], v[204:205], 0
	s_waitcnt vmcnt(30) lgkmcnt(13)
	v_mul_f64 v[210:211], v[192:193], v[162:163]
	v_fmac_f64_e32 v[208:209], v[182:183], v[156:157]
	v_add_f64 v[204:205], v[204:205], v[206:207]
	s_waitcnt vmcnt(29) lgkmcnt(12)
	;; [unrolled: 4-line block ×12, first 2 shown]
	v_mul_f64 v[232:233], v[96:97], v[42:43]
	v_fmac_f64_e32 v[230:231], v[102:103], v[36:37]
	v_add_f64 v[204:205], v[204:205], v[228:229]
	v_fmac_f64_e32 v[232:233], v[98:99], v[40:41]
	v_add_f64 v[204:205], v[204:205], v[230:231]
	s_waitcnt vmcnt(18) lgkmcnt(1)
	v_mul_f64 v[206:207], v[116:117], v[46:47]
	v_add_f64 v[204:205], v[204:205], v[232:233]
	v_fmac_f64_e32 v[206:207], v[118:119], v[44:45]
	s_waitcnt vmcnt(17) lgkmcnt(0)
	v_mul_f64 v[210:211], v[112:113], v[50:51]
	v_add_f64 v[208:209], v[204:205], v[206:207]
	ds_read_b128 v[204:207], v2 offset:1712
	v_fmac_f64_e32 v[210:211], v[114:115], v[48:49]
	v_add_f64 v[212:213], v[208:209], v[210:211]
	ds_read_b128 v[208:211], v2 offset:1728
	v_mul_f64 v[146:147], v[198:199], v[146:147]
	s_waitcnt vmcnt(16) lgkmcnt(1)
	v_mul_f64 v[214:215], v[204:205], v[54:55]
	v_fmac_f64_e32 v[214:215], v[206:207], v[52:53]
	v_add_f64 v[216:217], v[212:213], v[214:215]
	s_waitcnt vmcnt(15) lgkmcnt(0)
	v_mul_f64 v[218:219], v[208:209], v[58:59]
	ds_read_b128 v[212:215], v2 offset:1744
	v_fmac_f64_e32 v[218:219], v[210:211], v[56:57]
	v_add_f64 v[220:221], v[216:217], v[218:219]
	ds_read_b128 v[216:219], v2 offset:1760
	v_mul_f64 v[154:155], v[190:191], v[154:155]
	s_waitcnt vmcnt(14) lgkmcnt(1)
	v_mul_f64 v[222:223], v[212:213], v[62:63]
	v_fmac_f64_e32 v[222:223], v[214:215], v[60:61]
	v_add_f64 v[224:225], v[220:221], v[222:223]
	s_waitcnt vmcnt(13) lgkmcnt(0)
	v_mul_f64 v[226:227], v[216:217], v[94:95]
	ds_read_b128 v[220:223], v2 offset:1776
	v_fmac_f64_e32 v[226:227], v[218:219], v[92:93]
	v_add_f64 v[228:229], v[224:225], v[226:227]
	ds_read_b128 v[224:227], v2 offset:1792
	v_fma_f64 v[244:245], v[188:189], v[152:153], -v[154:155]
	s_waitcnt vmcnt(12) lgkmcnt(1)
	v_mul_f64 v[230:231], v[220:221], v[110:111]
	v_fmac_f64_e32 v[230:231], v[222:223], v[108:109]
	v_add_f64 v[232:233], v[228:229], v[230:231]
	s_waitcnt vmcnt(11) lgkmcnt(0)
	v_mul_f64 v[234:235], v[224:225], v[122:123]
	ds_read_b128 v[228:231], v2 offset:1808
	v_fmac_f64_e32 v[234:235], v[226:227], v[120:121]
	v_add_f64 v[236:237], v[232:233], v[234:235]
	ds_read_b128 v[232:235], v2 offset:1824
	ds_read_b128 v[152:155], v2 offset:1872
	s_waitcnt vmcnt(10) lgkmcnt(2)
	v_mul_f64 v[238:239], v[228:229], v[126:127]
	v_fmac_f64_e32 v[238:239], v[230:231], v[124:125]
	v_add_f64 v[240:241], v[236:237], v[238:239]
	s_waitcnt vmcnt(9) lgkmcnt(1)
	v_mul_f64 v[242:243], v[232:233], v[130:131]
	ds_read_b128 v[236:239], v2 offset:1840
	v_fmac_f64_e32 v[242:243], v[234:235], v[128:129]
	v_add_f64 v[240:241], v[240:241], v[242:243]
	v_fma_f64 v[242:243], v[196:197], v[144:145], -v[146:147]
	ds_read_b128 v[144:147], v2 offset:1856
	s_waitcnt vmcnt(8) lgkmcnt(1)
	v_mul_f64 v[196:197], v[236:237], v[134:135]
	v_fmac_f64_e32 v[196:197], v[238:239], v[132:133]
	v_add_f64 v[188:189], v[240:241], v[196:197]
	v_mul_f64 v[158:159], v[182:183], v[158:159]
	s_waitcnt vmcnt(7) lgkmcnt(0)
	v_mul_f64 v[190:191], v[144:145], v[138:139]
	v_fmac_f64_e32 v[190:191], v[146:147], v[136:137]
	v_add_f64 v[196:197], v[188:189], v[190:191]
	ds_read_b128 v[188:191], v2 offset:1888
	v_fma_f64 v[240:241], v[180:181], v[156:157], -v[158:159]
	ds_read_b128 v[156:159], v2 offset:1904
	s_waitcnt vmcnt(6)
	v_mul_f64 v[198:199], v[152:153], v[142:143]
	v_fmac_f64_e32 v[198:199], v[154:155], v[140:141]
	s_waitcnt vmcnt(5) lgkmcnt(1)
	v_mul_f64 v[180:181], v[188:189], v[150:151]
	v_add_f64 v[196:197], v[196:197], v[198:199]
	v_fmac_f64_e32 v[180:181], v[190:191], v[148:149]
	v_mul_f64 v[162:163], v[194:195], v[162:163]
	v_add_f64 v[198:199], v[196:197], v[180:181]
	v_fma_f64 v[196:197], v[192:193], v[160:161], -v[162:163]
	ds_read_b128 v[160:163], v2 offset:1920
	s_waitcnt vmcnt(4) lgkmcnt(1)
	v_mul_f64 v[192:193], v[156:157], v[166:167]
	ds_read_b128 v[180:183], v2 offset:1936
	v_fmac_f64_e32 v[192:193], v[158:159], v[164:165]
	v_mul_f64 v[170:171], v[186:187], v[170:171]
	v_add_f64 v[192:193], v[198:199], v[192:193]
	v_fma_f64 v[198:199], v[184:185], v[168:169], -v[170:171]
	ds_read_b128 v[168:171], v2 offset:1952
	s_waitcnt vmcnt(3) lgkmcnt(2)
	v_mul_f64 v[184:185], v[160:161], v[174:175]
	v_fmac_f64_e32 v[184:185], v[162:163], v[172:173]
	s_waitcnt vmcnt(2) lgkmcnt(1)
	v_mul_f64 v[186:187], v[180:181], v[178:179]
	v_add_f64 v[184:185], v[192:193], v[184:185]
	v_fmac_f64_e32 v[186:187], v[182:183], v[176:177]
	v_add_f64 v[184:185], v[184:185], v[186:187]
	s_waitcnt vmcnt(1) lgkmcnt(0)
	v_mul_f64 v[186:187], v[168:169], v[202:203]
	v_fmac_f64_e32 v[186:187], v[170:171], v[200:201]
	v_add_f64 v[246:247], v[184:185], v[186:187]
	scratch_load_dwordx4 v[184:187], off, off offset:992
	v_add_f64 v[242:243], v[242:243], 0
	v_add_f64 v[242:243], v[242:243], v[244:245]
	;; [unrolled: 1-line block ×4, first 2 shown]
	v_mul_f64 v[6:7], v[66:67], v[6:7]
	v_add_f64 v[196:197], v[196:197], v[198:199]
	v_fma_f64 v[4:5], v[64:65], v[4:5], -v[6:7]
	v_mul_f64 v[6:7], v[78:79], v[10:11]
	v_add_f64 v[4:5], v[196:197], v[4:5]
	v_fma_f64 v[6:7], v[76:77], v[8:9], -v[6:7]
	v_add_f64 v[4:5], v[4:5], v[6:7]
	v_mul_f64 v[6:7], v[74:75], v[14:15]
	v_fma_f64 v[6:7], v[72:73], v[12:13], -v[6:7]
	v_add_f64 v[4:5], v[4:5], v[6:7]
	v_mul_f64 v[6:7], v[70:71], v[18:19]
	;; [unrolled: 3-line block ×24, first 2 shown]
	ds_read_b128 v[192:195], v2 offset:1968
	v_fma_f64 v[6:7], v[160:161], v[172:173], -v[6:7]
	v_add_f64 v[4:5], v[4:5], v[6:7]
	v_mul_f64 v[6:7], v[182:183], v[178:179]
	v_fma_f64 v[6:7], v[180:181], v[176:177], -v[6:7]
	v_add_f64 v[4:5], v[4:5], v[6:7]
	v_mul_f64 v[6:7], v[170:171], v[202:203]
	v_fma_f64 v[6:7], v[168:169], v[200:201], -v[6:7]
	s_waitcnt vmcnt(0) lgkmcnt(0)
	v_mul_f64 v[2:3], v[192:193], v[186:187]
	v_add_f64 v[4:5], v[4:5], v[6:7]
	v_mul_f64 v[6:7], v[194:195], v[186:187]
	v_fmac_f64_e32 v[2:3], v[194:195], v[184:185]
	v_fma_f64 v[6:7], v[192:193], v[184:185], -v[6:7]
	v_add_f64 v[2:3], v[246:247], v[2:3]
	v_add_f64 v[4:5], v[4:5], v[6:7]
	v_add_f64 v[4:5], v[252:253], -v[4:5]
	v_add_f64 v[6:7], v[254:255], -v[2:3]
	scratch_store_dwordx4 off, v[4:7], off offset:448
	s_and_saveexec_b64 s[0:1], vcc
	s_cbranch_execz .LBB61_345
; %bb.344:
	scratch_load_dwordx4 v[2:5], off, s79
	v_mov_b32_e32 v6, 0
	v_mov_b32_e32 v7, v6
	;; [unrolled: 1-line block ×4, first 2 shown]
	v_accvgpr_read_b32 v0, a125
	scratch_store_dwordx4 off, v[6:9], off offset:432
	s_waitcnt vmcnt(1)
	ds_write_b128 v0, v[2:5]
.LBB61_345:
	s_or_b64 exec, exec, s[0:1]
	s_waitcnt lgkmcnt(0)
	; wave barrier
	scratch_load_dwordx4 v[184:187], off, off offset:448
	scratch_load_dwordx4 v[188:191], off, off offset:464
	;; [unrolled: 1-line block ×32, first 2 shown]
	v_mov_b32_e32 v2, 0
	ds_read_b128 v[192:195], v2 offset:1424
	ds_read_b128 v[204:207], v2 offset:1440
	;; [unrolled: 1-line block ×16, first 2 shown]
	v_accvgpr_write_b32 a124, v248
	v_cmp_lt_u32_e32 vcc, 25, v248
	s_waitcnt vmcnt(31) lgkmcnt(14)
	v_mul_f64 v[104:105], v[192:193], v[186:187]
	s_waitcnt vmcnt(30)
	v_mul_f64 v[106:107], v[204:205], v[190:191]
	v_fmac_f64_e32 v[104:105], v[194:195], v[184:185]
	s_waitcnt vmcnt(29) lgkmcnt(13)
	v_mul_f64 v[112:113], v[216:217], v[198:199]
	v_fmac_f64_e32 v[106:107], v[206:207], v[188:189]
	v_add_f64 v[104:105], v[104:105], 0
	s_waitcnt vmcnt(28) lgkmcnt(12)
	v_mul_f64 v[114:115], v[224:225], v[202:203]
	v_fmac_f64_e32 v[112:113], v[218:219], v[196:197]
	v_add_f64 v[104:105], v[104:105], v[106:107]
	;; [unrolled: 4-line block ×10, first 2 shown]
	ds_read_b128 v[152:155], v2 offset:1680
	ds_read_b128 v[156:159], v2 offset:1696
	s_waitcnt vmcnt(19) lgkmcnt(5)
	v_mul_f64 v[164:165], v[124:125], v[26:27]
	v_fmac_f64_e32 v[162:163], v[134:135], v[20:21]
	v_add_f64 v[104:105], v[104:105], v[160:161]
	s_waitcnt vmcnt(18) lgkmcnt(4)
	v_mul_f64 v[166:167], v[120:121], v[30:31]
	v_fmac_f64_e32 v[164:165], v[126:127], v[24:25]
	v_add_f64 v[104:105], v[104:105], v[162:163]
	;; [unrolled: 4-line block ×4, first 2 shown]
	v_add_f64 v[112:113], v[104:105], v[168:169]
	v_fmac_f64_e32 v[170:171], v[110:111], v[36:37]
	scratch_load_dwordx4 v[104:107], off, off offset:960
	s_waitcnt vmcnt(16) lgkmcnt(1)
	v_mul_f64 v[114:115], v[152:153], v[42:43]
	v_add_f64 v[112:113], v[112:113], v[170:171]
	v_fmac_f64_e32 v[114:115], v[154:155], v[40:41]
	v_add_f64 v[128:129], v[112:113], v[114:115]
	scratch_load_dwordx4 v[112:115], off, off offset:976
	s_waitcnt vmcnt(16) lgkmcnt(0)
	v_mul_f64 v[130:131], v[156:157], v[46:47]
	v_fmac_f64_e32 v[130:131], v[158:159], v[44:45]
	v_add_f64 v[168:169], v[128:129], v[130:131]
	scratch_load_dwordx4 v[128:131], off, off offset:992
	ds_read_b128 v[160:163], v2 offset:1712
	ds_read_b128 v[164:167], v2 offset:1728
	v_mul_f64 v[186:187], v[194:195], v[186:187]
	v_fma_f64 v[242:243], v[192:193], v[184:185], -v[186:187]
	ds_read_b128 v[184:187], v2 offset:1808
	s_waitcnt vmcnt(16) lgkmcnt(2)
	v_mul_f64 v[170:171], v[160:161], v[50:51]
	v_fmac_f64_e32 v[170:171], v[162:163], v[48:49]
	s_waitcnt vmcnt(15) lgkmcnt(1)
	v_mul_f64 v[174:175], v[164:165], v[54:55]
	v_add_f64 v[172:173], v[168:169], v[170:171]
	ds_read_b128 v[168:171], v2 offset:1744
	v_fmac_f64_e32 v[174:175], v[166:167], v[52:53]
	v_add_f64 v[176:177], v[172:173], v[174:175]
	ds_read_b128 v[172:175], v2 offset:1760
	v_mul_f64 v[190:191], v[206:207], v[190:191]
	s_waitcnt vmcnt(14) lgkmcnt(1)
	v_mul_f64 v[178:179], v[168:169], v[58:59]
	v_fmac_f64_e32 v[178:179], v[170:171], v[56:57]
	v_add_f64 v[180:181], v[176:177], v[178:179]
	s_waitcnt vmcnt(13) lgkmcnt(0)
	v_mul_f64 v[182:183], v[172:173], v[62:63]
	ds_read_b128 v[176:179], v2 offset:1776
	v_fmac_f64_e32 v[182:183], v[174:175], v[60:61]
	v_add_f64 v[232:233], v[180:181], v[182:183]
	ds_read_b128 v[180:183], v2 offset:1792
	v_fma_f64 v[244:245], v[204:205], v[188:189], -v[190:191]
	s_waitcnt vmcnt(12) lgkmcnt(1)
	v_mul_f64 v[234:235], v[176:177], v[66:67]
	v_fmac_f64_e32 v[234:235], v[178:179], v[64:65]
	v_add_f64 v[232:233], v[232:233], v[234:235]
	s_waitcnt vmcnt(11) lgkmcnt(0)
	v_mul_f64 v[192:193], v[180:181], v[70:71]
	v_fmac_f64_e32 v[192:193], v[182:183], v[68:69]
	ds_read_b128 v[188:191], v2 offset:1824
	s_waitcnt vmcnt(10)
	v_mul_f64 v[194:195], v[184:185], v[74:75]
	v_add_f64 v[192:193], v[232:233], v[192:193]
	v_fmac_f64_e32 v[194:195], v[186:187], v[72:73]
	v_add_f64 v[204:205], v[192:193], v[194:195]
	ds_read_b128 v[192:195], v2 offset:1840
	v_mul_f64 v[198:199], v[218:219], v[198:199]
	v_fma_f64 v[246:247], v[216:217], v[196:197], -v[198:199]
	ds_read_b128 v[196:199], v2 offset:1856
	s_waitcnt vmcnt(9) lgkmcnt(2)
	v_mul_f64 v[206:207], v[188:189], v[78:79]
	v_fmac_f64_e32 v[206:207], v[190:191], v[76:77]
	v_add_f64 v[204:205], v[204:205], v[206:207]
	s_waitcnt vmcnt(8) lgkmcnt(1)
	v_mul_f64 v[206:207], v[192:193], v[82:83]
	v_fmac_f64_e32 v[206:207], v[194:195], v[80:81]
	v_mul_f64 v[202:203], v[226:227], v[202:203]
	v_add_f64 v[204:205], v[204:205], v[206:207]
	v_fma_f64 v[234:235], v[224:225], v[200:201], -v[202:203]
	ds_read_b128 v[200:203], v2 offset:1872
	s_waitcnt vmcnt(7) lgkmcnt(1)
	v_mul_f64 v[206:207], v[196:197], v[86:87]
	v_fmac_f64_e32 v[206:207], v[198:199], v[84:85]
	v_add_f64 v[216:217], v[204:205], v[206:207]
	ds_read_b128 v[204:207], v2 offset:1888
	v_mul_f64 v[210:211], v[230:231], v[210:211]
	v_fma_f64 v[236:237], v[228:229], v[208:209], -v[210:211]
	ds_read_b128 v[208:211], v2 offset:1904
	s_waitcnt vmcnt(6) lgkmcnt(2)
	v_mul_f64 v[218:219], v[200:201], v[90:91]
	v_fmac_f64_e32 v[218:219], v[202:203], v[88:89]
	v_add_f64 v[216:217], v[216:217], v[218:219]
	s_waitcnt vmcnt(5) lgkmcnt(1)
	v_mul_f64 v[218:219], v[204:205], v[94:95]
	v_fmac_f64_e32 v[218:219], v[206:207], v[92:93]
	v_mul_f64 v[214:215], v[240:241], v[214:215]
	v_fma_f64 v[238:239], v[238:239], v[212:213], -v[214:215]
	ds_read_b128 v[212:215], v2 offset:1920
	v_add_f64 v[216:217], v[216:217], v[218:219]
	s_waitcnt vmcnt(4) lgkmcnt(1)
	v_mul_f64 v[218:219], v[208:209], v[102:103]
	v_fmac_f64_e32 v[218:219], v[210:211], v[100:101]
	v_add_f64 v[224:225], v[216:217], v[218:219]
	ds_read_b128 v[216:219], v2 offset:1936
	v_mul_f64 v[222:223], v[254:255], v[222:223]
	v_fma_f64 v[240:241], v[252:253], v[220:221], -v[222:223]
	ds_read_b128 v[220:223], v2 offset:1952
	s_waitcnt vmcnt(3) lgkmcnt(2)
	v_mul_f64 v[226:227], v[212:213], v[98:99]
	v_fmac_f64_e32 v[226:227], v[214:215], v[96:97]
	v_add_f64 v[224:225], v[224:225], v[226:227]
	s_waitcnt vmcnt(2) lgkmcnt(1)
	v_mul_f64 v[226:227], v[216:217], v[106:107]
	v_fmac_f64_e32 v[226:227], v[218:219], v[104:105]
	v_add_f64 v[224:225], v[224:225], v[226:227]
	;; [unrolled: 4-line block ×3, first 2 shown]
	ds_read_b128 v[224:227], v2 offset:1968
	v_mul_f64 v[6:7], v[150:151], v[6:7]
	v_fma_f64 v[4:5], v[148:149], v[4:5], -v[6:7]
	v_mul_f64 v[6:7], v[146:147], v[10:11]
	v_fma_f64 v[6:7], v[144:145], v[8:9], -v[6:7]
	s_waitcnt vmcnt(0) lgkmcnt(0)
	v_mul_f64 v[230:231], v[224:225], v[130:131]
	v_fmac_f64_e32 v[230:231], v[226:227], v[128:129]
	v_add_f64 v[232:233], v[228:229], v[230:231]
	v_add_f64 v[228:229], v[242:243], 0
	;; [unrolled: 1-line block ×4, first 2 shown]
	scratch_load_dwordx4 v[228:231], off, off offset:432
	v_add_f64 v[234:235], v[252:253], v[234:235]
	v_add_f64 v[234:235], v[234:235], v[236:237]
	;; [unrolled: 1-line block ×6, first 2 shown]
	v_mul_f64 v[6:7], v[142:143], v[14:15]
	v_fma_f64 v[6:7], v[140:141], v[12:13], -v[6:7]
	v_add_f64 v[4:5], v[4:5], v[6:7]
	v_mul_f64 v[6:7], v[138:139], v[18:19]
	v_fma_f64 v[6:7], v[136:137], v[16:17], -v[6:7]
	v_add_f64 v[4:5], v[4:5], v[6:7]
	;; [unrolled: 3-line block ×26, first 2 shown]
	s_waitcnt vmcnt(0)
	v_add_f64 v[4:5], v[228:229], -v[4:5]
	v_add_f64 v[6:7], v[230:231], -v[232:233]
	scratch_store_dwordx4 off, v[4:7], off offset:432
	s_and_saveexec_b64 s[0:1], vcc
	s_cbranch_execz .LBB61_347
; %bb.346:
	scratch_load_dwordx4 v[6:9], off, s78
	v_mov_b32_e32 v3, v2
	v_mov_b32_e32 v4, v2
	;; [unrolled: 1-line block ×3, first 2 shown]
	v_accvgpr_read_b32 v0, a125
	scratch_store_dwordx4 off, v[2:5], off offset:416
	s_waitcnt vmcnt(1)
	ds_write_b128 v0, v[6:9]
.LBB61_347:
	s_or_b64 exec, exec, s[0:1]
	s_waitcnt lgkmcnt(0)
	; wave barrier
	scratch_load_dwordx4 v[140:143], off, off offset:432
	scratch_load_dwordx4 v[144:147], off, off offset:448
	;; [unrolled: 1-line block ×16, first 2 shown]
	ds_read_b128 v[208:211], v2 offset:1408
	ds_read_b128 v[200:203], v2 offset:1424
	;; [unrolled: 1-line block ×3, first 2 shown]
	scratch_load_dwordx4 v[40:43], off, off offset:688
	ds_read_b128 v[204:207], v2 offset:1456
	ds_read_b128 v[192:195], v2 offset:1472
	;; [unrolled: 1-line block ×3, first 2 shown]
	scratch_load_dwordx4 v[44:47], off, off offset:704
	ds_read_b128 v[196:199], v2 offset:1504
	ds_read_b128 v[64:67], v2 offset:1520
	;; [unrolled: 1-line block ×4, first 2 shown]
	scratch_load_dwordx4 v[48:51], off, off offset:720
	ds_read_b128 v[72:75], v2 offset:1568
	ds_read_b128 v[68:71], v2 offset:1584
	scratch_load_dwordx4 v[56:59], off, off offset:736
	ds_read_b128 v[92:95], v2 offset:1600
	ds_read_b128 v[88:91], v2 offset:1616
	;; [unrolled: 1-line block ×4, first 2 shown]
	scratch_load_dwordx4 v[76:79], off, off offset:752
	scratch_load_dwordx4 v[96:99], off, off offset:768
	;; [unrolled: 1-line block ×12, first 2 shown]
	ds_read_b128 v[168:171], v2 offset:1664
	v_accvgpr_read_b32 v0, a124
	v_cmp_lt_u32_e32 vcc, 24, v0
	scratch_load_dwordx4 v[252:255], off, off offset:416
	s_waitcnt vmcnt(32) lgkmcnt(14)
	v_mul_f64 v[172:173], v[208:209], v[142:143]
	s_waitcnt vmcnt(31)
	v_mul_f64 v[174:175], v[200:201], v[146:147]
	v_fmac_f64_e32 v[172:173], v[210:211], v[140:141]
	s_waitcnt vmcnt(30)
	v_mul_f64 v[176:177], v[188:189], v[150:151]
	v_fmac_f64_e32 v[174:175], v[202:203], v[144:145]
	v_add_f64 v[172:173], v[172:173], 0
	s_waitcnt vmcnt(29) lgkmcnt(13)
	v_mul_f64 v[178:179], v[204:205], v[154:155]
	v_fmac_f64_e32 v[176:177], v[190:191], v[148:149]
	v_add_f64 v[172:173], v[172:173], v[174:175]
	s_waitcnt vmcnt(28) lgkmcnt(12)
	;; [unrolled: 4-line block ×10, first 2 shown]
	v_mul_f64 v[224:225], v[92:93], v[26:27]
	v_fmac_f64_e32 v[222:223], v[70:71], v[20:21]
	v_add_f64 v[172:173], v[172:173], v[220:221]
	ds_read_b128 v[212:215], v2 offset:1680
	s_waitcnt vmcnt(19) lgkmcnt(4)
	v_mul_f64 v[226:227], v[88:89], v[30:31]
	v_fmac_f64_e32 v[224:225], v[94:95], v[24:25]
	v_add_f64 v[172:173], v[172:173], v[222:223]
	ds_read_b128 v[216:219], v2 offset:1696
	ds_read_b128 v[220:223], v2 offset:1712
	s_waitcnt vmcnt(18) lgkmcnt(5)
	v_mul_f64 v[228:229], v[84:85], v[34:35]
	v_fmac_f64_e32 v[226:227], v[90:91], v[28:29]
	v_add_f64 v[172:173], v[172:173], v[224:225]
	s_waitcnt vmcnt(17) lgkmcnt(4)
	v_mul_f64 v[230:231], v[80:81], v[38:39]
	v_fmac_f64_e32 v[228:229], v[86:87], v[32:33]
	v_add_f64 v[172:173], v[172:173], v[226:227]
	v_add_f64 v[176:177], v[172:173], v[228:229]
	v_fmac_f64_e32 v[230:231], v[82:83], v[36:37]
	s_waitcnt vmcnt(16) lgkmcnt(3)
	v_mul_f64 v[178:179], v[168:169], v[42:43]
	v_add_f64 v[176:177], v[176:177], v[230:231]
	v_fmac_f64_e32 v[178:179], v[170:171], v[40:41]
	s_waitcnt vmcnt(15) lgkmcnt(2)
	v_mul_f64 v[182:183], v[212:213], v[46:47]
	;; [unrolled: 4-line block ×3, first 2 shown]
	v_add_f64 v[224:225], v[180:181], v[182:183]
	v_fmac_f64_e32 v[226:227], v[218:219], v[48:49]
	v_add_f64 v[228:229], v[224:225], v[226:227]
	ds_read_b128 v[224:227], v2 offset:1728
	s_waitcnt vmcnt(13) lgkmcnt(1)
	v_mul_f64 v[230:231], v[220:221], v[58:59]
	v_fmac_f64_e32 v[230:231], v[222:223], v[56:57]
	v_add_f64 v[232:233], v[228:229], v[230:231]
	ds_read_b128 v[228:231], v2 offset:1744
	s_waitcnt vmcnt(12) lgkmcnt(1)
	v_mul_f64 v[234:235], v[224:225], v[78:79]
	;; [unrolled: 5-line block ×4, first 2 shown]
	v_fmac_f64_e32 v[242:243], v[234:235], v[100:101]
	v_mul_f64 v[142:143], v[210:211], v[142:143]
	v_add_f64 v[240:241], v[240:241], v[242:243]
	v_fma_f64 v[242:243], v[208:209], v[140:141], -v[142:143]
	ds_read_b128 v[140:143], v2 offset:1792
	s_waitcnt vmcnt(9) lgkmcnt(1)
	v_mul_f64 v[208:209], v[236:237], v[106:107]
	v_fmac_f64_e32 v[208:209], v[238:239], v[104:105]
	v_mul_f64 v[146:147], v[202:203], v[146:147]
	v_add_f64 v[208:209], v[240:241], v[208:209]
	v_fma_f64 v[240:241], v[200:201], v[144:145], -v[146:147]
	ds_read_b128 v[144:147], v2 offset:1808
	s_waitcnt vmcnt(8) lgkmcnt(1)
	v_mul_f64 v[200:201], v[140:141], v[110:111]
	scratch_load_dwordx4 v[172:175], off, off offset:944
	v_fmac_f64_e32 v[200:201], v[142:143], v[108:109]
	v_add_f64 v[208:209], v[208:209], v[200:201]
	ds_read_b128 v[200:203], v2 offset:1824
	v_mul_f64 v[150:151], v[190:191], v[150:151]
	scratch_load_dwordx4 v[176:179], off, off offset:960
	scratch_load_dwordx4 v[180:183], off, off offset:976
	v_fma_f64 v[244:245], v[188:189], v[148:149], -v[150:151]
	ds_read_b128 v[148:151], v2 offset:1840
	s_waitcnt vmcnt(10) lgkmcnt(2)
	v_mul_f64 v[210:211], v[144:145], v[114:115]
	v_fmac_f64_e32 v[210:211], v[146:147], v[112:113]
	s_waitcnt vmcnt(9) lgkmcnt(1)
	v_mul_f64 v[188:189], v[200:201], v[118:119]
	v_add_f64 v[208:209], v[208:209], v[210:211]
	v_fmac_f64_e32 v[188:189], v[202:203], v[116:117]
	v_mul_f64 v[154:155], v[206:207], v[154:155]
	s_waitcnt vmcnt(8) lgkmcnt(0)
	v_mul_f64 v[190:191], v[148:149], v[122:123]
	v_add_f64 v[188:189], v[208:209], v[188:189]
	v_fma_f64 v[246:247], v[204:205], v[152:153], -v[154:155]
	ds_read_b128 v[152:155], v2 offset:1856
	v_fmac_f64_e32 v[190:191], v[150:151], v[120:121]
	v_add_f64 v[204:205], v[188:189], v[190:191]
	ds_read_b128 v[188:191], v2 offset:1872
	v_mul_f64 v[158:159], v[194:195], v[158:159]
	s_waitcnt vmcnt(7) lgkmcnt(1)
	v_mul_f64 v[206:207], v[152:153], v[126:127]
	v_fmac_f64_e32 v[206:207], v[154:155], v[124:125]
	v_fma_f64 v[248:249], v[192:193], v[156:157], -v[158:159]
	s_waitcnt vmcnt(6) lgkmcnt(0)
	v_mul_f64 v[192:193], v[188:189], v[130:131]
	v_add_f64 v[204:205], v[204:205], v[206:207]
	v_fmac_f64_e32 v[192:193], v[190:191], v[128:129]
	v_mul_f64 v[162:163], v[186:187], v[162:163]
	v_fma_f64 v[208:209], v[184:185], v[160:161], -v[162:163]
	v_add_f64 v[184:185], v[204:205], v[192:193]
	scratch_load_dwordx4 v[204:207], off, off offset:992
	v_add_f64 v[242:243], v[242:243], 0
	v_add_f64 v[240:241], v[242:243], v[240:241]
	v_add_f64 v[240:241], v[240:241], v[244:245]
	v_add_f64 v[240:241], v[240:241], v[246:247]
	v_mul_f64 v[166:167], v[198:199], v[166:167]
	v_add_f64 v[240:241], v[240:241], v[248:249]
	v_fma_f64 v[210:211], v[196:197], v[164:165], -v[166:167]
	v_add_f64 v[208:209], v[240:241], v[208:209]
	v_mul_f64 v[6:7], v[66:67], v[6:7]
	v_add_f64 v[208:209], v[208:209], v[210:211]
	v_fma_f64 v[4:5], v[64:65], v[4:5], -v[6:7]
	v_mul_f64 v[6:7], v[62:63], v[10:11]
	v_add_f64 v[4:5], v[208:209], v[4:5]
	v_fma_f64 v[6:7], v[60:61], v[8:9], -v[6:7]
	v_add_f64 v[4:5], v[4:5], v[6:7]
	v_mul_f64 v[6:7], v[54:55], v[14:15]
	v_fma_f64 v[6:7], v[52:53], v[12:13], -v[6:7]
	v_add_f64 v[4:5], v[4:5], v[6:7]
	v_mul_f64 v[6:7], v[74:75], v[18:19]
	v_fma_f64 v[6:7], v[72:73], v[16:17], -v[6:7]
	v_add_f64 v[4:5], v[4:5], v[6:7]
	v_mul_f64 v[6:7], v[70:71], v[22:23]
	v_fma_f64 v[6:7], v[68:69], v[20:21], -v[6:7]
	v_add_f64 v[4:5], v[4:5], v[6:7]
	v_mul_f64 v[6:7], v[94:95], v[26:27]
	v_fma_f64 v[6:7], v[92:93], v[24:25], -v[6:7]
	v_add_f64 v[4:5], v[4:5], v[6:7]
	v_mul_f64 v[6:7], v[90:91], v[30:31]
	v_fma_f64 v[6:7], v[88:89], v[28:29], -v[6:7]
	v_add_f64 v[4:5], v[4:5], v[6:7]
	v_mul_f64 v[6:7], v[86:87], v[34:35]
	v_fma_f64 v[6:7], v[84:85], v[32:33], -v[6:7]
	v_add_f64 v[4:5], v[4:5], v[6:7]
	v_mul_f64 v[6:7], v[82:83], v[38:39]
	v_fma_f64 v[6:7], v[80:81], v[36:37], -v[6:7]
	v_add_f64 v[4:5], v[4:5], v[6:7]
	v_mul_f64 v[6:7], v[170:171], v[42:43]
	v_fma_f64 v[6:7], v[168:169], v[40:41], -v[6:7]
	v_add_f64 v[4:5], v[4:5], v[6:7]
	v_mul_f64 v[6:7], v[214:215], v[46:47]
	v_fma_f64 v[6:7], v[212:213], v[44:45], -v[6:7]
	v_add_f64 v[4:5], v[4:5], v[6:7]
	v_mul_f64 v[6:7], v[218:219], v[50:51]
	v_fma_f64 v[6:7], v[216:217], v[48:49], -v[6:7]
	v_add_f64 v[4:5], v[4:5], v[6:7]
	v_mul_f64 v[6:7], v[222:223], v[58:59]
	v_fma_f64 v[6:7], v[220:221], v[56:57], -v[6:7]
	v_add_f64 v[4:5], v[4:5], v[6:7]
	v_mul_f64 v[6:7], v[226:227], v[78:79]
	v_fma_f64 v[6:7], v[224:225], v[76:77], -v[6:7]
	ds_read_b128 v[156:159], v2 offset:1888
	ds_read_b128 v[160:163], v2 offset:1904
	v_add_f64 v[4:5], v[4:5], v[6:7]
	v_mul_f64 v[6:7], v[230:231], v[98:99]
	v_fma_f64 v[6:7], v[228:229], v[96:97], -v[6:7]
	v_add_f64 v[4:5], v[4:5], v[6:7]
	v_mul_f64 v[6:7], v[234:235], v[102:103]
	v_fma_f64 v[6:7], v[232:233], v[100:101], -v[6:7]
	v_add_f64 v[4:5], v[4:5], v[6:7]
	v_mul_f64 v[6:7], v[238:239], v[106:107]
	s_waitcnt vmcnt(6) lgkmcnt(1)
	v_mul_f64 v[186:187], v[156:157], v[138:139]
	v_fma_f64 v[6:7], v[236:237], v[104:105], -v[6:7]
	v_fmac_f64_e32 v[186:187], v[158:159], v[136:137]
	v_add_f64 v[4:5], v[4:5], v[6:7]
	v_mul_f64 v[6:7], v[142:143], v[110:111]
	v_add_f64 v[192:193], v[184:185], v[186:187]
	ds_read_b128 v[184:187], v2 offset:1920
	ds_read_b128 v[164:167], v2 offset:1936
	v_fma_f64 v[6:7], v[140:141], v[108:109], -v[6:7]
	v_add_f64 v[4:5], v[4:5], v[6:7]
	v_mul_f64 v[6:7], v[146:147], v[114:115]
	v_fma_f64 v[6:7], v[144:145], v[112:113], -v[6:7]
	s_waitcnt vmcnt(5) lgkmcnt(2)
	v_mul_f64 v[194:195], v[160:161], v[134:135]
	v_add_f64 v[4:5], v[4:5], v[6:7]
	v_mul_f64 v[6:7], v[202:203], v[118:119]
	v_fmac_f64_e32 v[194:195], v[162:163], v[132:133]
	v_fma_f64 v[6:7], v[200:201], v[116:117], -v[6:7]
	v_add_f64 v[192:193], v[192:193], v[194:195]
	s_waitcnt vmcnt(3) lgkmcnt(1)
	v_mul_f64 v[194:195], v[184:185], v[174:175]
	v_add_f64 v[4:5], v[4:5], v[6:7]
	v_mul_f64 v[6:7], v[150:151], v[122:123]
	v_fmac_f64_e32 v[194:195], v[186:187], v[172:173]
	v_fma_f64 v[6:7], v[148:149], v[120:121], -v[6:7]
	v_add_f64 v[192:193], v[192:193], v[194:195]
	;; [unrolled: 7-line block ×3, first 2 shown]
	ds_read_b128 v[192:195], v2 offset:1952
	v_add_f64 v[4:5], v[4:5], v[6:7]
	v_mul_f64 v[6:7], v[190:191], v[130:131]
	v_fma_f64 v[6:7], v[188:189], v[128:129], -v[6:7]
	v_add_f64 v[4:5], v[4:5], v[6:7]
	v_mul_f64 v[6:7], v[158:159], v[138:139]
	v_fma_f64 v[6:7], v[156:157], v[136:137], -v[6:7]
	v_add_f64 v[4:5], v[4:5], v[6:7]
	v_mul_f64 v[6:7], v[162:163], v[134:135]
	s_waitcnt vmcnt(1) lgkmcnt(0)
	v_mul_f64 v[198:199], v[192:193], v[182:183]
	v_fma_f64 v[6:7], v[160:161], v[132:133], -v[6:7]
	v_fmac_f64_e32 v[198:199], v[194:195], v[180:181]
	v_add_f64 v[4:5], v[4:5], v[6:7]
	v_mul_f64 v[6:7], v[186:187], v[174:175]
	v_add_f64 v[250:251], v[196:197], v[198:199]
	ds_read_b128 v[196:199], v2 offset:1968
	v_fma_f64 v[6:7], v[184:185], v[172:173], -v[6:7]
	v_add_f64 v[4:5], v[4:5], v[6:7]
	v_mul_f64 v[6:7], v[166:167], v[178:179]
	v_fma_f64 v[6:7], v[164:165], v[176:177], -v[6:7]
	v_add_f64 v[4:5], v[4:5], v[6:7]
	v_mul_f64 v[6:7], v[194:195], v[182:183]
	v_fma_f64 v[6:7], v[192:193], v[180:181], -v[6:7]
	s_waitcnt vmcnt(0) lgkmcnt(0)
	v_mul_f64 v[2:3], v[196:197], v[206:207]
	v_add_f64 v[4:5], v[4:5], v[6:7]
	v_mul_f64 v[6:7], v[198:199], v[206:207]
	v_fmac_f64_e32 v[2:3], v[198:199], v[204:205]
	v_fma_f64 v[6:7], v[196:197], v[204:205], -v[6:7]
	v_add_f64 v[2:3], v[250:251], v[2:3]
	v_add_f64 v[4:5], v[4:5], v[6:7]
	v_add_f64 v[4:5], v[252:253], -v[4:5]
	v_add_f64 v[6:7], v[254:255], -v[2:3]
	scratch_store_dwordx4 off, v[4:7], off offset:416
	s_and_saveexec_b64 s[0:1], vcc
	s_cbranch_execz .LBB61_349
; %bb.348:
	scratch_load_dwordx4 v[2:5], off, s77
	v_mov_b32_e32 v6, 0
	v_mov_b32_e32 v7, v6
	;; [unrolled: 1-line block ×4, first 2 shown]
	v_accvgpr_read_b32 v0, a125
	scratch_store_dwordx4 off, v[6:9], off offset:400
	s_waitcnt vmcnt(1)
	ds_write_b128 v0, v[2:5]
.LBB61_349:
	s_or_b64 exec, exec, s[0:1]
	s_waitcnt lgkmcnt(0)
	; wave barrier
	scratch_load_dwordx4 v[168:171], off, off offset:416
	scratch_load_dwordx4 v[172:175], off, off offset:432
	;; [unrolled: 1-line block ×32, first 2 shown]
	v_mov_b32_e32 v2, 0
	ds_read_b128 v[176:179], v2 offset:1392
	ds_read_b128 v[188:191], v2 offset:1408
	;; [unrolled: 1-line block ×17, first 2 shown]
	v_accvgpr_read_b32 v0, a124
	v_cmp_lt_u32_e32 vcc, 23, v0
	s_waitcnt vmcnt(31) lgkmcnt(14)
	v_mul_f64 v[104:105], v[176:177], v[170:171]
	s_waitcnt vmcnt(30)
	v_mul_f64 v[106:107], v[188:189], v[174:175]
	v_fmac_f64_e32 v[104:105], v[178:179], v[168:169]
	s_waitcnt vmcnt(29)
	v_mul_f64 v[108:109], v[200:201], v[182:183]
	v_fmac_f64_e32 v[106:107], v[190:191], v[172:173]
	v_add_f64 v[104:105], v[104:105], 0
	s_waitcnt vmcnt(28) lgkmcnt(13)
	v_mul_f64 v[110:111], v[212:213], v[186:187]
	v_fmac_f64_e32 v[108:109], v[202:203], v[180:181]
	v_add_f64 v[104:105], v[104:105], v[106:107]
	s_waitcnt vmcnt(27) lgkmcnt(12)
	;; [unrolled: 4-line block ×12, first 2 shown]
	v_mul_f64 v[156:157], v[112:113], v[26:27]
	v_fmac_f64_e32 v[154:155], v[118:119], v[20:21]
	v_add_f64 v[104:105], v[104:105], v[152:153]
	v_fmac_f64_e32 v[156:157], v[114:115], v[24:25]
	v_add_f64 v[104:105], v[104:105], v[154:155]
	s_waitcnt vmcnt(16) lgkmcnt(1)
	v_mul_f64 v[106:107], v[100:101], v[30:31]
	v_add_f64 v[104:105], v[104:105], v[156:157]
	v_fmac_f64_e32 v[106:107], v[102:103], v[28:29]
	v_add_f64 v[108:109], v[104:105], v[106:107]
	ds_read_b128 v[144:147], v2 offset:1664
	ds_read_b128 v[148:151], v2 offset:1680
	scratch_load_dwordx4 v[104:107], off, off offset:928
	s_waitcnt vmcnt(16) lgkmcnt(2)
	v_mul_f64 v[110:111], v[96:97], v[34:35]
	v_fmac_f64_e32 v[110:111], v[98:99], v[32:33]
	v_add_f64 v[120:121], v[108:109], v[110:111]
	scratch_load_dwordx4 v[108:111], off, off offset:944
	s_waitcnt vmcnt(16) lgkmcnt(1)
	v_mul_f64 v[122:123], v[144:145], v[38:39]
	v_fmac_f64_e32 v[122:123], v[146:147], v[36:37]
	v_add_f64 v[132:133], v[120:121], v[122:123]
	s_waitcnt vmcnt(15) lgkmcnt(0)
	v_mul_f64 v[134:135], v[148:149], v[42:43]
	scratch_load_dwordx4 v[120:123], off, off offset:960
	v_fmac_f64_e32 v[134:135], v[150:151], v[40:41]
	v_add_f64 v[160:161], v[132:133], v[134:135]
	scratch_load_dwordx4 v[132:135], off, off offset:976
	ds_read_b128 v[152:155], v2 offset:1696
	ds_read_b128 v[156:159], v2 offset:1712
	v_mul_f64 v[170:171], v[178:179], v[170:171]
	v_fma_f64 v[242:243], v[176:177], v[168:169], -v[170:171]
	ds_read_b128 v[168:171], v2 offset:1760
	s_waitcnt vmcnt(16) lgkmcnt(2)
	v_mul_f64 v[162:163], v[152:153], v[46:47]
	v_fmac_f64_e32 v[162:163], v[154:155], v[44:45]
	s_waitcnt vmcnt(15) lgkmcnt(1)
	v_mul_f64 v[166:167], v[156:157], v[50:51]
	v_add_f64 v[164:165], v[160:161], v[162:163]
	ds_read_b128 v[160:163], v2 offset:1728
	v_fmac_f64_e32 v[166:167], v[158:159], v[48:49]
	v_add_f64 v[232:233], v[164:165], v[166:167]
	ds_read_b128 v[164:167], v2 offset:1744
	v_mul_f64 v[174:175], v[190:191], v[174:175]
	s_waitcnt vmcnt(14) lgkmcnt(1)
	v_mul_f64 v[234:235], v[160:161], v[54:55]
	v_fmac_f64_e32 v[234:235], v[162:163], v[52:53]
	v_add_f64 v[232:233], v[232:233], v[234:235]
	s_waitcnt vmcnt(13) lgkmcnt(0)
	v_mul_f64 v[176:177], v[164:165], v[58:59]
	v_fmac_f64_e32 v[176:177], v[166:167], v[56:57]
	v_fma_f64 v[244:245], v[188:189], v[172:173], -v[174:175]
	ds_read_b128 v[172:175], v2 offset:1776
	s_waitcnt vmcnt(12)
	v_mul_f64 v[178:179], v[168:169], v[62:63]
	v_add_f64 v[176:177], v[232:233], v[176:177]
	v_fmac_f64_e32 v[178:179], v[170:171], v[60:61]
	v_add_f64 v[188:189], v[176:177], v[178:179]
	ds_read_b128 v[176:179], v2 offset:1792
	v_mul_f64 v[182:183], v[202:203], v[182:183]
	v_fma_f64 v[246:247], v[200:201], v[180:181], -v[182:183]
	ds_read_b128 v[180:183], v2 offset:1808
	s_waitcnt vmcnt(11) lgkmcnt(2)
	v_mul_f64 v[190:191], v[172:173], v[66:67]
	v_fmac_f64_e32 v[190:191], v[174:175], v[64:65]
	v_add_f64 v[188:189], v[188:189], v[190:191]
	s_waitcnt vmcnt(10) lgkmcnt(1)
	v_mul_f64 v[190:191], v[176:177], v[70:71]
	v_fmac_f64_e32 v[190:191], v[178:179], v[68:69]
	v_mul_f64 v[186:187], v[214:215], v[186:187]
	v_fma_f64 v[248:249], v[212:213], v[184:185], -v[186:187]
	ds_read_b128 v[184:187], v2 offset:1824
	v_add_f64 v[188:189], v[188:189], v[190:191]
	s_waitcnt vmcnt(9) lgkmcnt(1)
	v_mul_f64 v[190:191], v[180:181], v[74:75]
	v_fmac_f64_e32 v[190:191], v[182:183], v[72:73]
	v_add_f64 v[200:201], v[188:189], v[190:191]
	ds_read_b128 v[188:191], v2 offset:1840
	v_mul_f64 v[194:195], v[222:223], v[194:195]
	v_fma_f64 v[250:251], v[220:221], v[192:193], -v[194:195]
	ds_read_b128 v[192:195], v2 offset:1856
	s_waitcnt vmcnt(8) lgkmcnt(2)
	v_mul_f64 v[202:203], v[184:185], v[78:79]
	v_fmac_f64_e32 v[202:203], v[186:187], v[76:77]
	v_add_f64 v[200:201], v[200:201], v[202:203]
	s_waitcnt vmcnt(7) lgkmcnt(1)
	v_mul_f64 v[202:203], v[188:189], v[82:83]
	v_fmac_f64_e32 v[202:203], v[190:191], v[80:81]
	v_mul_f64 v[198:199], v[226:227], v[198:199]
	v_add_f64 v[200:201], v[200:201], v[202:203]
	v_fma_f64 v[234:235], v[224:225], v[196:197], -v[198:199]
	ds_read_b128 v[196:199], v2 offset:1872
	s_waitcnt vmcnt(6) lgkmcnt(1)
	v_mul_f64 v[202:203], v[192:193], v[86:87]
	v_fmac_f64_e32 v[202:203], v[194:195], v[84:85]
	v_add_f64 v[212:213], v[200:201], v[202:203]
	ds_read_b128 v[200:203], v2 offset:1888
	v_mul_f64 v[206:207], v[230:231], v[206:207]
	v_fma_f64 v[236:237], v[228:229], v[204:205], -v[206:207]
	ds_read_b128 v[204:207], v2 offset:1904
	s_waitcnt vmcnt(5) lgkmcnt(2)
	v_mul_f64 v[214:215], v[196:197], v[94:95]
	v_fmac_f64_e32 v[214:215], v[198:199], v[92:93]
	v_add_f64 v[212:213], v[212:213], v[214:215]
	s_waitcnt vmcnt(4) lgkmcnt(1)
	v_mul_f64 v[214:215], v[200:201], v[90:91]
	v_fmac_f64_e32 v[214:215], v[202:203], v[88:89]
	v_mul_f64 v[210:211], v[240:241], v[210:211]
	v_fma_f64 v[238:239], v[238:239], v[208:209], -v[210:211]
	ds_read_b128 v[208:211], v2 offset:1920
	v_add_f64 v[212:213], v[212:213], v[214:215]
	s_waitcnt vmcnt(3) lgkmcnt(1)
	v_mul_f64 v[214:215], v[204:205], v[106:107]
	v_fmac_f64_e32 v[214:215], v[206:207], v[104:105]
	v_add_f64 v[220:221], v[212:213], v[214:215]
	ds_read_b128 v[212:215], v2 offset:1936
	v_mul_f64 v[218:219], v[254:255], v[218:219]
	v_fma_f64 v[240:241], v[252:253], v[216:217], -v[218:219]
	ds_read_b128 v[216:219], v2 offset:1952
	ds_read_b128 v[224:227], v2 offset:1968
	s_waitcnt vmcnt(2) lgkmcnt(3)
	v_mul_f64 v[222:223], v[208:209], v[110:111]
	v_fmac_f64_e32 v[222:223], v[210:211], v[108:109]
	v_add_f64 v[220:221], v[220:221], v[222:223]
	s_waitcnt vmcnt(1) lgkmcnt(2)
	v_mul_f64 v[222:223], v[212:213], v[122:123]
	v_fmac_f64_e32 v[222:223], v[214:215], v[120:121]
	v_add_f64 v[220:221], v[220:221], v[222:223]
	;; [unrolled: 4-line block ×3, first 2 shown]
	scratch_load_dwordx4 v[220:223], off, off offset:992
	v_mul_f64 v[6:7], v[142:143], v[6:7]
	v_fma_f64 v[4:5], v[140:141], v[4:5], -v[6:7]
	v_mul_f64 v[6:7], v[138:139], v[10:11]
	v_fma_f64 v[6:7], v[136:137], v[8:9], -v[6:7]
	s_waitcnt vmcnt(0) lgkmcnt(0)
	v_mul_f64 v[230:231], v[224:225], v[222:223]
	v_fmac_f64_e32 v[230:231], v[226:227], v[220:221]
	v_add_f64 v[232:233], v[228:229], v[230:231]
	v_add_f64 v[228:229], v[242:243], 0
	;; [unrolled: 1-line block ×6, first 2 shown]
	scratch_load_dwordx4 v[228:231], off, off offset:400
	v_add_f64 v[234:235], v[252:253], v[234:235]
	v_add_f64 v[234:235], v[234:235], v[236:237]
	v_add_f64 v[234:235], v[234:235], v[238:239]
	v_add_f64 v[234:235], v[234:235], v[240:241]
	v_add_f64 v[4:5], v[234:235], v[4:5]
	v_add_f64 v[4:5], v[4:5], v[6:7]
	v_mul_f64 v[6:7], v[130:131], v[14:15]
	v_fma_f64 v[6:7], v[128:129], v[12:13], -v[6:7]
	v_add_f64 v[4:5], v[4:5], v[6:7]
	v_mul_f64 v[6:7], v[126:127], v[18:19]
	v_fma_f64 v[6:7], v[124:125], v[16:17], -v[6:7]
	v_add_f64 v[4:5], v[4:5], v[6:7]
	;; [unrolled: 3-line block ×26, first 2 shown]
	s_waitcnt vmcnt(0)
	v_add_f64 v[4:5], v[228:229], -v[4:5]
	v_add_f64 v[6:7], v[230:231], -v[232:233]
	scratch_store_dwordx4 off, v[4:7], off offset:400
	s_and_saveexec_b64 s[0:1], vcc
	s_cbranch_execz .LBB61_351
; %bb.350:
	scratch_load_dwordx4 v[6:9], off, s76
	v_mov_b32_e32 v3, v2
	v_mov_b32_e32 v4, v2
	;; [unrolled: 1-line block ×3, first 2 shown]
	v_accvgpr_read_b32 v0, a125
	scratch_store_dwordx4 off, v[2:5], off offset:384
	s_waitcnt vmcnt(1)
	ds_write_b128 v0, v[6:9]
.LBB61_351:
	s_or_b64 exec, exec, s[0:1]
	s_waitcnt lgkmcnt(0)
	; wave barrier
	scratch_load_dwordx4 v[168:171], off, off offset:400
	scratch_load_dwordx4 v[172:175], off, off offset:416
	;; [unrolled: 1-line block ×16, first 2 shown]
	ds_read_b128 v[232:235], v2 offset:1376
	ds_read_b128 v[176:179], v2 offset:1392
	scratch_load_dwordx4 v[32:35], off, off offset:656
	ds_read_b128 v[236:239], v2 offset:1408
	ds_read_b128 v[188:191], v2 offset:1424
	;; [unrolled: 1-line block ×5, first 2 shown]
	scratch_load_dwordx4 v[36:39], off, off offset:672
	ds_read_b128 v[224:227], v2 offset:1488
	ds_read_b128 v[220:223], v2 offset:1504
	;; [unrolled: 1-line block ×3, first 2 shown]
	scratch_load_dwordx4 v[40:43], off, off offset:688
	ds_read_b128 v[64:67], v2 offset:1536
	ds_read_b128 v[60:63], v2 offset:1552
	;; [unrolled: 1-line block ×4, first 2 shown]
	scratch_load_dwordx4 v[48:51], off, off offset:704
	ds_read_b128 v[80:83], v2 offset:1600
	ds_read_b128 v[72:75], v2 offset:1616
	;; [unrolled: 1-line block ×3, first 2 shown]
	scratch_load_dwordx4 v[76:79], off, off offset:720
	scratch_load_dwordx4 v[84:87], off, off offset:736
	;; [unrolled: 1-line block ×12, first 2 shown]
	v_accvgpr_read_b32 v0, a124
	v_cmp_lt_u32_e32 vcc, 22, v0
	s_waitcnt vmcnt(31) lgkmcnt(14)
	v_mul_f64 v[128:129], v[232:233], v[170:171]
	s_waitcnt vmcnt(30)
	v_mul_f64 v[130:131], v[176:177], v[174:175]
	v_fmac_f64_e32 v[128:129], v[234:235], v[168:169]
	s_waitcnt vmcnt(29)
	v_mul_f64 v[132:133], v[236:237], v[182:183]
	v_fmac_f64_e32 v[130:131], v[178:179], v[172:173]
	v_add_f64 v[128:129], v[128:129], 0
	s_waitcnt vmcnt(28) lgkmcnt(13)
	v_mul_f64 v[134:135], v[188:189], v[186:187]
	v_fmac_f64_e32 v[132:133], v[238:239], v[180:181]
	v_add_f64 v[128:129], v[128:129], v[130:131]
	s_waitcnt vmcnt(27) lgkmcnt(12)
	;; [unrolled: 4-line block ×13, first 2 shown]
	v_mul_f64 v[158:159], v[72:73], v[30:31]
	v_fmac_f64_e32 v[156:157], v[82:83], v[24:25]
	v_add_f64 v[128:129], v[128:129], v[154:155]
	v_add_f64 v[128:129], v[128:129], v[156:157]
	v_fmac_f64_e32 v[158:159], v[74:75], v[28:29]
	v_add_f64 v[132:133], v[128:129], v[158:159]
	ds_read_b128 v[144:147], v2 offset:1648
	ds_read_b128 v[148:151], v2 offset:1664
	scratch_load_dwordx4 v[128:131], off, off offset:912
	s_waitcnt vmcnt(16) lgkmcnt(2)
	v_mul_f64 v[134:135], v[68:69], v[34:35]
	v_fmac_f64_e32 v[134:135], v[70:71], v[32:33]
	s_waitcnt vmcnt(15) lgkmcnt(1)
	v_mul_f64 v[138:139], v[144:145], v[38:39]
	v_add_f64 v[136:137], v[132:133], v[134:135]
	scratch_load_dwordx4 v[132:135], off, off offset:928
	v_fmac_f64_e32 v[138:139], v[146:147], v[36:37]
	v_add_f64 v[140:141], v[136:137], v[138:139]
	s_waitcnt vmcnt(15) lgkmcnt(0)
	v_mul_f64 v[142:143], v[148:149], v[42:43]
	scratch_load_dwordx4 v[136:139], off, off offset:944
	v_fmac_f64_e32 v[142:143], v[150:151], v[40:41]
	v_add_f64 v[160:161], v[140:141], v[142:143]
	scratch_load_dwordx4 v[140:143], off, off offset:960
	ds_read_b128 v[152:155], v2 offset:1680
	ds_read_b128 v[156:159], v2 offset:1696
	v_mul_f64 v[170:171], v[234:235], v[170:171]
	v_mul_f64 v[174:175], v[178:179], v[174:175]
	v_fma_f64 v[244:245], v[176:177], v[172:173], -v[174:175]
	s_waitcnt vmcnt(16) lgkmcnt(1)
	v_mul_f64 v[162:163], v[152:153], v[50:51]
	v_fmac_f64_e32 v[162:163], v[154:155], v[48:49]
	v_add_f64 v[164:165], v[160:161], v[162:163]
	ds_read_b128 v[160:163], v2 offset:1712
	s_waitcnt vmcnt(15) lgkmcnt(1)
	v_mul_f64 v[166:167], v[156:157], v[78:79]
	v_fmac_f64_e32 v[166:167], v[158:159], v[76:77]
	v_add_f64 v[240:241], v[164:165], v[166:167]
	ds_read_b128 v[164:167], v2 offset:1728
	s_waitcnt vmcnt(14) lgkmcnt(1)
	v_mul_f64 v[242:243], v[160:161], v[86:87]
	v_fmac_f64_e32 v[242:243], v[162:163], v[84:85]
	v_add_f64 v[240:241], v[240:241], v[242:243]
	v_fma_f64 v[242:243], v[232:233], v[168:169], -v[170:171]
	ds_read_b128 v[168:171], v2 offset:1744
	ds_read_b128 v[172:175], v2 offset:1760
	s_waitcnt vmcnt(13) lgkmcnt(2)
	v_mul_f64 v[232:233], v[164:165], v[90:91]
	v_fmac_f64_e32 v[232:233], v[166:167], v[88:89]
	v_add_f64 v[232:233], v[240:241], v[232:233]
	s_waitcnt vmcnt(12) lgkmcnt(1)
	v_mul_f64 v[176:177], v[168:169], v[94:95]
	v_fmac_f64_e32 v[176:177], v[170:171], v[92:93]
	v_add_f64 v[232:233], v[232:233], v[176:177]
	ds_read_b128 v[176:179], v2 offset:1776
	v_mul_f64 v[182:183], v[238:239], v[182:183]
	v_fma_f64 v[236:237], v[236:237], v[180:181], -v[182:183]
	ds_read_b128 v[180:183], v2 offset:1792
	s_waitcnt vmcnt(11) lgkmcnt(2)
	v_mul_f64 v[234:235], v[172:173], v[98:99]
	v_fmac_f64_e32 v[234:235], v[174:175], v[96:97]
	v_add_f64 v[232:233], v[232:233], v[234:235]
	s_waitcnt vmcnt(10) lgkmcnt(1)
	v_mul_f64 v[234:235], v[176:177], v[102:103]
	v_fmac_f64_e32 v[234:235], v[178:179], v[100:101]
	v_mul_f64 v[186:187], v[190:191], v[186:187]
	s_waitcnt vmcnt(9) lgkmcnt(0)
	v_mul_f64 v[190:191], v[180:181], v[106:107]
	v_fma_f64 v[238:239], v[188:189], v[184:185], -v[186:187]
	ds_read_b128 v[184:187], v2 offset:1808
	v_add_f64 v[188:189], v[232:233], v[234:235]
	v_fmac_f64_e32 v[190:191], v[182:183], v[104:105]
	v_add_f64 v[232:233], v[188:189], v[190:191]
	ds_read_b128 v[188:191], v2 offset:1824
	v_mul_f64 v[194:195], v[230:231], v[194:195]
	v_fma_f64 v[246:247], v[228:229], v[192:193], -v[194:195]
	ds_read_b128 v[192:195], v2 offset:1840
	s_waitcnt vmcnt(8) lgkmcnt(2)
	v_mul_f64 v[234:235], v[184:185], v[110:111]
	v_fmac_f64_e32 v[234:235], v[186:187], v[108:109]
	s_waitcnt vmcnt(7) lgkmcnt(1)
	v_mul_f64 v[228:229], v[188:189], v[114:115]
	v_mul_f64 v[198:199], v[202:203], v[198:199]
	v_add_f64 v[232:233], v[232:233], v[234:235]
	v_fmac_f64_e32 v[228:229], v[190:191], v[112:113]
	v_fma_f64 v[248:249], v[200:201], v[196:197], -v[198:199]
	ds_read_b128 v[196:199], v2 offset:1856
	s_waitcnt vmcnt(6) lgkmcnt(1)
	v_mul_f64 v[200:201], v[192:193], v[118:119]
	v_add_f64 v[228:229], v[232:233], v[228:229]
	v_fmac_f64_e32 v[200:201], v[194:195], v[116:117]
	v_add_f64 v[228:229], v[228:229], v[200:201]
	ds_read_b128 v[200:203], v2 offset:1872
	v_mul_f64 v[206:207], v[214:215], v[206:207]
	v_fma_f64 v[250:251], v[212:213], v[204:205], -v[206:207]
	ds_read_b128 v[204:207], v2 offset:1888
	s_waitcnt vmcnt(5) lgkmcnt(2)
	v_mul_f64 v[230:231], v[196:197], v[126:127]
	v_fmac_f64_e32 v[230:231], v[198:199], v[124:125]
	s_waitcnt vmcnt(4) lgkmcnt(1)
	v_mul_f64 v[212:213], v[200:201], v[122:123]
	v_add_f64 v[228:229], v[228:229], v[230:231]
	v_fmac_f64_e32 v[212:213], v[202:203], v[120:121]
	v_mul_f64 v[210:211], v[226:227], v[210:211]
	s_waitcnt vmcnt(3) lgkmcnt(0)
	v_mul_f64 v[214:215], v[204:205], v[130:131]
	v_fma_f64 v[240:241], v[224:225], v[208:209], -v[210:211]
	ds_read_b128 v[208:211], v2 offset:1904
	v_add_f64 v[212:213], v[228:229], v[212:213]
	v_fmac_f64_e32 v[214:215], v[206:207], v[128:129]
	v_add_f64 v[224:225], v[212:213], v[214:215]
	ds_read_b128 v[212:215], v2 offset:1920
	v_mul_f64 v[218:219], v[222:223], v[218:219]
	v_fma_f64 v[252:253], v[220:221], v[216:217], -v[218:219]
	ds_read_b128 v[216:219], v2 offset:1936
	s_waitcnt vmcnt(2) lgkmcnt(2)
	v_mul_f64 v[220:221], v[208:209], v[134:135]
	v_fmac_f64_e32 v[220:221], v[210:211], v[132:133]
	s_waitcnt vmcnt(1) lgkmcnt(1)
	v_mul_f64 v[222:223], v[212:213], v[138:139]
	v_add_f64 v[220:221], v[224:225], v[220:221]
	v_fmac_f64_e32 v[222:223], v[214:215], v[136:137]
	v_add_f64 v[220:221], v[220:221], v[222:223]
	ds_read_b128 v[224:227], v2 offset:1952
	s_waitcnt vmcnt(0) lgkmcnt(1)
	v_mul_f64 v[222:223], v[216:217], v[142:143]
	v_fmac_f64_e32 v[222:223], v[218:219], v[140:141]
	v_add_f64 v[228:229], v[220:221], v[222:223]
	scratch_load_dwordx4 v[220:223], off, off offset:976
	scratch_load_dwordx4 v[232:235], off, off offset:992
	v_add_f64 v[242:243], v[242:243], 0
	v_add_f64 v[242:243], v[242:243], v[244:245]
	;; [unrolled: 1-line block ×6, first 2 shown]
	v_mul_f64 v[6:7], v[46:47], v[6:7]
	v_fma_f64 v[4:5], v[44:45], v[4:5], -v[6:7]
	v_mul_f64 v[6:7], v[66:67], v[10:11]
	v_fma_f64 v[6:7], v[64:65], v[8:9], -v[6:7]
	s_waitcnt vmcnt(1) lgkmcnt(0)
	v_mul_f64 v[230:231], v[224:225], v[222:223]
	v_fmac_f64_e32 v[230:231], v[226:227], v[220:221]
	v_add_f64 v[254:255], v[228:229], v[230:231]
	ds_read_b128 v[228:231], v2 offset:1968
	s_waitcnt vmcnt(0) lgkmcnt(0)
	v_mul_f64 v[2:3], v[228:229], v[234:235]
	v_fmac_f64_e32 v[2:3], v[230:231], v[232:233]
	v_add_f64 v[2:3], v[254:255], v[2:3]
	v_add_f64 v[254:255], v[236:237], v[250:251]
	scratch_load_dwordx4 v[236:239], off, off offset:384
	v_add_f64 v[240:241], v[254:255], v[240:241]
	v_add_f64 v[240:241], v[240:241], v[252:253]
	;; [unrolled: 1-line block ×4, first 2 shown]
	v_mul_f64 v[6:7], v[62:63], v[14:15]
	v_fma_f64 v[6:7], v[60:61], v[12:13], -v[6:7]
	v_add_f64 v[4:5], v[4:5], v[6:7]
	v_mul_f64 v[6:7], v[58:59], v[18:19]
	v_fma_f64 v[6:7], v[56:57], v[16:17], -v[6:7]
	v_add_f64 v[4:5], v[4:5], v[6:7]
	;; [unrolled: 3-line block ×27, first 2 shown]
	s_waitcnt vmcnt(0)
	v_add_f64 v[4:5], v[236:237], -v[4:5]
	v_add_f64 v[6:7], v[238:239], -v[2:3]
	scratch_store_dwordx4 off, v[4:7], off offset:384
	s_and_saveexec_b64 s[0:1], vcc
	s_cbranch_execz .LBB61_353
; %bb.352:
	scratch_load_dwordx4 v[2:5], off, s75
	v_mov_b32_e32 v6, 0
	v_mov_b32_e32 v7, v6
	;; [unrolled: 1-line block ×4, first 2 shown]
	v_accvgpr_read_b32 v0, a125
	scratch_store_dwordx4 off, v[6:9], off offset:368
	s_waitcnt vmcnt(1)
	ds_write_b128 v0, v[2:5]
.LBB61_353:
	s_or_b64 exec, exec, s[0:1]
	s_waitcnt lgkmcnt(0)
	; wave barrier
	scratch_load_dwordx4 v[80:83], off, off offset:384
	scratch_load_dwordx4 v[84:87], off, off offset:400
	;; [unrolled: 1-line block ×31, first 2 shown]
	v_mov_b32_e32 v2, 0
	ds_read_b128 v[196:199], v2 offset:1360
	ds_read_b128 v[200:203], v2 offset:1376
	;; [unrolled: 1-line block ×20, first 2 shown]
	s_waitcnt vmcnt(30) lgkmcnt(14)
	v_mul_f64 v[140:141], v[196:197], v[82:83]
	s_waitcnt vmcnt(29)
	v_mul_f64 v[142:143], v[200:201], v[86:87]
	v_fmac_f64_e32 v[140:141], v[198:199], v[80:81]
	s_waitcnt vmcnt(28)
	v_mul_f64 v[152:153], v[204:205], v[90:91]
	v_fmac_f64_e32 v[142:143], v[202:203], v[84:85]
	v_add_f64 v[140:141], v[140:141], 0
	s_waitcnt vmcnt(27)
	v_mul_f64 v[154:155], v[208:209], v[94:95]
	v_fmac_f64_e32 v[152:153], v[206:207], v[88:89]
	v_add_f64 v[140:141], v[140:141], v[142:143]
	;; [unrolled: 4-line block ×4, first 2 shown]
	s_waitcnt vmcnt(24) lgkmcnt(13)
	v_mul_f64 v[164:165], v[220:221], v[106:107]
	v_fmac_f64_e32 v[162:163], v[218:219], v[100:101]
	v_add_f64 v[140:141], v[140:141], v[160:161]
	s_waitcnt vmcnt(23) lgkmcnt(12)
	v_mul_f64 v[166:167], v[224:225], v[110:111]
	v_fmac_f64_e32 v[164:165], v[222:223], v[104:105]
	v_add_f64 v[140:141], v[140:141], v[162:163]
	;; [unrolled: 4-line block ×8, first 2 shown]
	v_fmac_f64_e32 v[178:179], v[146:147], v[12:13]
	v_add_f64 v[140:141], v[140:141], v[176:177]
	v_add_f64 v[140:141], v[140:141], v[178:179]
	ds_read_b128 v[176:179], v2 offset:1632
	s_waitcnt vmcnt(16) lgkmcnt(6)
	v_mul_f64 v[180:181], v[136:137], v[18:19]
	s_waitcnt vmcnt(15) lgkmcnt(5)
	v_mul_f64 v[182:183], v[132:133], v[22:23]
	v_fmac_f64_e32 v[180:181], v[138:139], v[16:17]
	v_add_f64 v[152:153], v[140:141], v[180:181]
	v_fmac_f64_e32 v[182:183], v[134:135], v[20:21]
	scratch_load_dwordx4 v[140:143], off, off offset:880
	s_waitcnt vmcnt(15) lgkmcnt(4)
	v_mul_f64 v[154:155], v[128:129], v[26:27]
	v_add_f64 v[152:153], v[152:153], v[182:183]
	v_fmac_f64_e32 v[154:155], v[130:131], v[24:25]
	v_add_f64 v[160:161], v[152:153], v[154:155]
	ds_read_b128 v[180:183], v2 offset:1648
	s_waitcnt vmcnt(14) lgkmcnt(1)
	v_mul_f64 v[162:163], v[176:177], v[30:31]
	scratch_load_dwordx4 v[152:155], off, off offset:896
	v_fmac_f64_e32 v[162:163], v[178:179], v[28:29]
	v_add_f64 v[164:165], v[160:161], v[162:163]
	scratch_load_dwordx4 v[160:163], off, off offset:912
	s_waitcnt vmcnt(15) lgkmcnt(0)
	v_mul_f64 v[166:167], v[180:181], v[34:35]
	v_fmac_f64_e32 v[166:167], v[182:183], v[32:33]
	v_add_f64 v[168:169], v[164:165], v[166:167]
	s_waitcnt vmcnt(14)
	v_mul_f64 v[170:171], v[184:185], v[38:39]
	scratch_load_dwordx4 v[164:167], off, off offset:928
	v_fmac_f64_e32 v[170:171], v[186:187], v[36:37]
	v_add_f64 v[168:169], v[168:169], v[170:171]
	s_waitcnt vmcnt(14)
	v_mul_f64 v[170:171], v[188:189], v[42:43]
	scratch_load_dwordx4 v[172:175], off, off offset:944
	v_fmac_f64_e32 v[170:171], v[190:191], v[40:41]
	v_add_f64 v[232:233], v[168:169], v[170:171]
	scratch_load_dwordx4 v[168:171], off, off offset:960
	v_mul_f64 v[82:83], v[198:199], v[82:83]
	v_fma_f64 v[242:243], v[196:197], v[80:81], -v[82:83]
	ds_read_b128 v[196:199], v2 offset:1712
	s_waitcnt vmcnt(15)
	v_mul_f64 v[80:81], v[192:193], v[46:47]
	v_fmac_f64_e32 v[80:81], v[194:195], v[44:45]
	v_add_f64 v[232:233], v[232:233], v[80:81]
	v_mul_f64 v[80:81], v[202:203], v[86:87]
	v_fma_f64 v[244:245], v[200:201], v[84:85], -v[80:81]
	scratch_load_dwordx4 v[80:83], off, off offset:976
	ds_read_b128 v[84:87], v2 offset:1728
	v_mul_f64 v[90:91], v[206:207], v[90:91]
	v_fma_f64 v[246:247], v[204:205], v[88:89], -v[90:91]
	ds_read_b128 v[88:91], v2 offset:1744
	s_waitcnt vmcnt(15) lgkmcnt(2)
	v_mul_f64 v[200:201], v[196:197], v[50:51]
	v_fmac_f64_e32 v[200:201], v[198:199], v[48:49]
	s_waitcnt vmcnt(14) lgkmcnt(1)
	v_mul_f64 v[202:203], v[84:85], v[54:55]
	v_add_f64 v[200:201], v[232:233], v[200:201]
	v_fmac_f64_e32 v[202:203], v[86:87], v[52:53]
	v_mul_f64 v[94:95], v[210:211], v[94:95]
	v_fma_f64 v[248:249], v[208:209], v[92:93], -v[94:95]
	ds_read_b128 v[92:95], v2 offset:1760
	v_add_f64 v[200:201], v[200:201], v[202:203]
	s_waitcnt vmcnt(13) lgkmcnt(1)
	v_mul_f64 v[202:203], v[88:89], v[58:59]
	v_fmac_f64_e32 v[202:203], v[90:91], v[56:57]
	v_add_f64 v[204:205], v[200:201], v[202:203]
	ds_read_b128 v[200:203], v2 offset:1776
	v_mul_f64 v[98:99], v[214:215], v[98:99]
	v_fma_f64 v[250:251], v[212:213], v[96:97], -v[98:99]
	ds_read_b128 v[96:99], v2 offset:1792
	s_waitcnt vmcnt(12) lgkmcnt(2)
	v_mul_f64 v[206:207], v[92:93], v[62:63]
	v_fmac_f64_e32 v[206:207], v[94:95], v[60:61]
	v_add_f64 v[204:205], v[204:205], v[206:207]
	s_waitcnt vmcnt(11) lgkmcnt(1)
	v_mul_f64 v[206:207], v[200:201], v[66:67]
	v_fmac_f64_e32 v[206:207], v[202:203], v[64:65]
	v_mul_f64 v[102:103], v[218:219], v[102:103]
	v_add_f64 v[204:205], v[204:205], v[206:207]
	v_fma_f64 v[232:233], v[216:217], v[100:101], -v[102:103]
	ds_read_b128 v[100:103], v2 offset:1808
	s_waitcnt vmcnt(10) lgkmcnt(1)
	v_mul_f64 v[206:207], v[96:97], v[70:71]
	v_fmac_f64_e32 v[206:207], v[98:99], v[68:69]
	v_add_f64 v[208:209], v[204:205], v[206:207]
	ds_read_b128 v[204:207], v2 offset:1824
	v_mul_f64 v[106:107], v[222:223], v[106:107]
	v_fma_f64 v[0:1], v[220:221], v[104:105], -v[106:107]
	ds_read_b128 v[104:107], v2 offset:1840
	s_waitcnt vmcnt(9) lgkmcnt(2)
	v_mul_f64 v[210:211], v[100:101], v[74:75]
	v_fmac_f64_e32 v[210:211], v[102:103], v[72:73]
	v_add_f64 v[208:209], v[208:209], v[210:211]
	s_waitcnt vmcnt(8) lgkmcnt(1)
	v_mul_f64 v[210:211], v[204:205], v[78:79]
	v_fmac_f64_e32 v[210:211], v[206:207], v[76:77]
	v_mul_f64 v[110:111], v[226:227], v[110:111]
	v_fma_f64 v[234:235], v[224:225], v[108:109], -v[110:111]
	ds_read_b128 v[108:111], v2 offset:1856
	v_add_f64 v[208:209], v[208:209], v[210:211]
	s_waitcnt vmcnt(7) lgkmcnt(1)
	v_mul_f64 v[210:211], v[104:105], v[126:127]
	v_fmac_f64_e32 v[210:211], v[106:107], v[124:125]
	v_add_f64 v[212:213], v[208:209], v[210:211]
	ds_read_b128 v[208:211], v2 offset:1872
	v_mul_f64 v[114:115], v[230:231], v[114:115]
	v_fma_f64 v[236:237], v[228:229], v[112:113], -v[114:115]
	ds_read_b128 v[112:115], v2 offset:1888
	s_waitcnt vmcnt(6) lgkmcnt(2)
	v_mul_f64 v[214:215], v[108:109], v[142:143]
	v_fmac_f64_e32 v[214:215], v[110:111], v[140:141]
	v_add_f64 v[212:213], v[212:213], v[214:215]
	s_waitcnt vmcnt(5) lgkmcnt(1)
	v_mul_f64 v[214:215], v[208:209], v[154:155]
	v_fmac_f64_e32 v[214:215], v[210:211], v[152:153]
	v_mul_f64 v[118:119], v[240:241], v[118:119]
	v_add_f64 v[212:213], v[212:213], v[214:215]
	v_fma_f64 v[238:239], v[238:239], v[116:117], -v[118:119]
	ds_read_b128 v[116:119], v2 offset:1904
	s_waitcnt vmcnt(4) lgkmcnt(1)
	v_mul_f64 v[214:215], v[112:113], v[162:163]
	v_fmac_f64_e32 v[214:215], v[114:115], v[160:161]
	v_add_f64 v[216:217], v[212:213], v[214:215]
	ds_read_b128 v[212:215], v2 offset:1920
	v_mul_f64 v[122:123], v[254:255], v[122:123]
	v_fma_f64 v[240:241], v[252:253], v[120:121], -v[122:123]
	ds_read_b128 v[120:123], v2 offset:1936
	s_waitcnt vmcnt(3) lgkmcnt(2)
	v_mul_f64 v[218:219], v[116:117], v[166:167]
	v_fmac_f64_e32 v[218:219], v[118:119], v[164:165]
	v_add_f64 v[216:217], v[216:217], v[218:219]
	s_waitcnt vmcnt(2) lgkmcnt(1)
	v_mul_f64 v[218:219], v[212:213], v[174:175]
	v_fmac_f64_e32 v[218:219], v[214:215], v[172:173]
	v_add_f64 v[216:217], v[216:217], v[218:219]
	;; [unrolled: 4-line block ×3, first 2 shown]
	ds_read_b128 v[216:219], v2 offset:1952
	ds_read_b128 v[224:227], v2 offset:1968
	v_mul_f64 v[6:7], v[158:159], v[6:7]
	v_fma_f64 v[4:5], v[156:157], v[4:5], -v[6:7]
	s_waitcnt vmcnt(0) lgkmcnt(1)
	v_mul_f64 v[222:223], v[216:217], v[82:83]
	v_fmac_f64_e32 v[222:223], v[218:219], v[80:81]
	v_add_f64 v[228:229], v[220:221], v[222:223]
	scratch_load_dwordx4 v[220:223], off, off offset:992
	s_waitcnt vmcnt(0) lgkmcnt(0)
	v_mul_f64 v[230:231], v[224:225], v[222:223]
	v_fmac_f64_e32 v[230:231], v[226:227], v[220:221]
	v_add_f64 v[254:255], v[228:229], v[230:231]
	v_add_f64 v[228:229], v[242:243], 0
	;; [unrolled: 1-line block ×8, first 2 shown]
	scratch_load_dwordx4 v[228:231], off, off offset:368
	v_add_f64 v[0:1], v[252:253], v[234:235]
	v_add_f64 v[0:1], v[0:1], v[236:237]
	;; [unrolled: 1-line block ×5, first 2 shown]
	v_mul_f64 v[4:5], v[150:151], v[10:11]
	v_fma_f64 v[4:5], v[148:149], v[8:9], -v[4:5]
	v_add_f64 v[0:1], v[0:1], v[4:5]
	v_mul_f64 v[4:5], v[146:147], v[14:15]
	v_fma_f64 v[4:5], v[144:145], v[12:13], -v[4:5]
	v_add_f64 v[0:1], v[0:1], v[4:5]
	;; [unrolled: 3-line block ×27, first 2 shown]
	s_waitcnt vmcnt(0)
	v_add_f64 v[4:5], v[228:229], -v[0:1]
	v_accvgpr_read_b32 v0, a124
	v_add_f64 v[6:7], v[230:231], -v[254:255]
	v_cmp_lt_u32_e32 vcc, 21, v0
	scratch_store_dwordx4 off, v[4:7], off offset:368
	s_and_saveexec_b64 s[0:1], vcc
	s_cbranch_execz .LBB61_355
; %bb.354:
	scratch_load_dwordx4 v[6:9], off, s74
	v_mov_b32_e32 v3, v2
	v_mov_b32_e32 v4, v2
	;; [unrolled: 1-line block ×3, first 2 shown]
	v_accvgpr_read_b32 v0, a125
	scratch_store_dwordx4 off, v[2:5], off offset:352
	s_waitcnt vmcnt(1)
	ds_write_b128 v0, v[6:9]
.LBB61_355:
	s_or_b64 exec, exec, s[0:1]
	s_waitcnt lgkmcnt(0)
	; wave barrier
	scratch_load_dwordx4 v[132:135], off, off offset:368
	scratch_load_dwordx4 v[160:163], off, off offset:384
	;; [unrolled: 1-line block ×16, first 2 shown]
	ds_read_b128 v[156:159], v2 offset:1344
	ds_read_b128 v[172:175], v2 offset:1360
	scratch_load_dwordx4 v[24:27], off, off offset:624
	ds_read_b128 v[232:235], v2 offset:1376
	ds_read_b128 v[228:231], v2 offset:1392
	scratch_load_dwordx4 v[28:31], off, off offset:640
	ds_read_b128 v[236:239], v2 offset:1408
	ds_read_b128 v[184:187], v2 offset:1424
	;; [unrolled: 1-line block ×5, first 2 shown]
	scratch_load_dwordx4 v[32:35], off, off offset:656
	ds_read_b128 v[220:223], v2 offset:1488
	ds_read_b128 v[216:219], v2 offset:1504
	;; [unrolled: 1-line block ×3, first 2 shown]
	scratch_load_dwordx4 v[36:39], off, off offset:672
	ds_read_b128 v[64:67], v2 offset:1536
	ds_read_b128 v[60:63], v2 offset:1552
	;; [unrolled: 1-line block ×5, first 2 shown]
	scratch_load_dwordx4 v[52:55], off, off offset:688
	scratch_load_dwordx4 v[68:71], off, off offset:704
	;; [unrolled: 1-line block ×11, first 2 shown]
	ds_read_b128 v[144:147], v2 offset:1648
	ds_read_b128 v[148:151], v2 offset:1664
	;; [unrolled: 1-line block ×3, first 2 shown]
	s_waitcnt vmcnt(30) lgkmcnt(14)
	v_mul_f64 v[0:1], v[156:157], v[134:135]
	s_waitcnt vmcnt(29)
	v_mul_f64 v[108:109], v[172:173], v[162:163]
	v_fmac_f64_e32 v[0:1], v[158:159], v[132:133]
	s_waitcnt vmcnt(28)
	v_mul_f64 v[110:111], v[232:233], v[166:167]
	v_fmac_f64_e32 v[108:109], v[174:175], v[160:161]
	v_add_f64 v[0:1], v[0:1], 0
	s_waitcnt vmcnt(27)
	v_mul_f64 v[112:113], v[228:229], v[170:171]
	v_fmac_f64_e32 v[110:111], v[234:235], v[164:165]
	v_add_f64 v[0:1], v[0:1], v[108:109]
	;; [unrolled: 4-line block ×4, first 2 shown]
	s_waitcnt vmcnt(24) lgkmcnt(13)
	v_mul_f64 v[118:119], v[224:225], v[190:191]
	v_fmac_f64_e32 v[116:117], v[186:187], v[180:181]
	v_add_f64 v[0:1], v[0:1], v[114:115]
	s_waitcnt vmcnt(23) lgkmcnt(12)
	v_mul_f64 v[120:121], v[196:197], v[194:195]
	v_fmac_f64_e32 v[118:119], v[226:227], v[188:189]
	v_add_f64 v[0:1], v[0:1], v[116:117]
	;; [unrolled: 4-line block ×9, first 2 shown]
	v_fmac_f64_e32 v[138:139], v[58:59], v[16:17]
	v_add_f64 v[0:1], v[0:1], v[136:137]
	v_add_f64 v[0:1], v[0:1], v[138:139]
	ds_read_b128 v[136:139], v2 offset:1616
	s_waitcnt vmcnt(15) lgkmcnt(5)
	v_mul_f64 v[140:141], v[48:49], v[22:23]
	v_fmac_f64_e32 v[140:141], v[50:51], v[20:21]
	s_waitcnt vmcnt(14) lgkmcnt(4)
	v_mul_f64 v[112:113], v[44:45], v[26:27]
	scratch_load_dwordx4 v[108:111], off, off offset:864
	v_add_f64 v[0:1], v[0:1], v[140:141]
	v_fmac_f64_e32 v[112:113], v[46:47], v[24:25]
	v_add_f64 v[0:1], v[0:1], v[112:113]
	scratch_load_dwordx4 v[112:115], off, off offset:880
	ds_read_b128 v[140:143], v2 offset:1632
	s_waitcnt vmcnt(15) lgkmcnt(1)
	v_mul_f64 v[116:117], v[136:137], v[30:31]
	v_fmac_f64_e32 v[116:117], v[138:139], v[28:29]
	v_add_f64 v[0:1], v[0:1], v[116:117]
	scratch_load_dwordx4 v[116:119], off, off offset:896
	s_waitcnt vmcnt(15) lgkmcnt(0)
	v_mul_f64 v[120:121], v[140:141], v[34:35]
	v_fmac_f64_e32 v[120:121], v[142:143], v[32:33]
	s_waitcnt vmcnt(14)
	v_mul_f64 v[124:125], v[144:145], v[38:39]
	v_add_f64 v[0:1], v[0:1], v[120:121]
	scratch_load_dwordx4 v[120:123], off, off offset:912
	v_fmac_f64_e32 v[124:125], v[146:147], v[36:37]
	v_add_f64 v[0:1], v[0:1], v[124:125]
	s_waitcnt vmcnt(14)
	v_mul_f64 v[124:125], v[148:149], v[54:55]
	scratch_load_dwordx4 v[128:131], off, off offset:928
	v_fmac_f64_e32 v[124:125], v[150:151], v[52:53]
	v_add_f64 v[0:1], v[0:1], v[124:125]
	scratch_load_dwordx4 v[124:127], off, off offset:944
	v_mul_f64 v[134:135], v[158:159], v[134:135]
	v_fma_f64 v[242:243], v[156:157], v[132:133], -v[134:135]
	ds_read_b128 v[156:159], v2 offset:1696
	s_waitcnt vmcnt(15)
	v_mul_f64 v[132:133], v[152:153], v[70:71]
	v_fmac_f64_e32 v[132:133], v[154:155], v[68:69]
	v_add_f64 v[0:1], v[0:1], v[132:133]
	v_mul_f64 v[132:133], v[174:175], v[162:163]
	v_fma_f64 v[244:245], v[172:173], v[160:161], -v[132:133]
	scratch_load_dwordx4 v[132:135], off, off offset:960
	ds_read_b128 v[160:163], v2 offset:1712
	v_mul_f64 v[166:167], v[234:235], v[166:167]
	v_fma_f64 v[246:247], v[232:233], v[164:165], -v[166:167]
	ds_read_b128 v[164:167], v2 offset:1728
	s_waitcnt vmcnt(15) lgkmcnt(2)
	v_mul_f64 v[172:173], v[156:157], v[74:75]
	v_fmac_f64_e32 v[172:173], v[158:159], v[72:73]
	v_add_f64 v[0:1], v[0:1], v[172:173]
	s_waitcnt vmcnt(14) lgkmcnt(1)
	v_mul_f64 v[172:173], v[160:161], v[78:79]
	v_fmac_f64_e32 v[172:173], v[162:163], v[76:77]
	v_mul_f64 v[170:171], v[230:231], v[170:171]
	v_fma_f64 v[248:249], v[228:229], v[168:169], -v[170:171]
	ds_read_b128 v[168:171], v2 offset:1744
	v_add_f64 v[0:1], v[0:1], v[172:173]
	s_waitcnt vmcnt(13) lgkmcnt(1)
	v_mul_f64 v[172:173], v[164:165], v[82:83]
	v_fmac_f64_e32 v[172:173], v[166:167], v[80:81]
	v_add_f64 v[0:1], v[0:1], v[172:173]
	ds_read_b128 v[172:175], v2 offset:1760
	v_mul_f64 v[178:179], v[238:239], v[178:179]
	v_fma_f64 v[236:237], v[236:237], v[176:177], -v[178:179]
	ds_read_b128 v[176:179], v2 offset:1776
	s_waitcnt vmcnt(12) lgkmcnt(2)
	v_mul_f64 v[228:229], v[168:169], v[86:87]
	v_fmac_f64_e32 v[228:229], v[170:171], v[84:85]
	v_add_f64 v[0:1], v[0:1], v[228:229]
	s_waitcnt vmcnt(11) lgkmcnt(1)
	v_mul_f64 v[228:229], v[172:173], v[90:91]
	v_mul_f64 v[182:183], v[186:187], v[182:183]
	v_fmac_f64_e32 v[228:229], v[174:175], v[88:89]
	v_fma_f64 v[238:239], v[184:185], v[180:181], -v[182:183]
	ds_read_b128 v[180:183], v2 offset:1792
	s_waitcnt vmcnt(10) lgkmcnt(1)
	v_mul_f64 v[184:185], v[176:177], v[94:95]
	v_add_f64 v[0:1], v[0:1], v[228:229]
	v_fmac_f64_e32 v[184:185], v[178:179], v[92:93]
	v_add_f64 v[0:1], v[0:1], v[184:185]
	ds_read_b128 v[184:187], v2 offset:1808
	v_mul_f64 v[190:191], v[226:227], v[190:191]
	v_fma_f64 v[250:251], v[224:225], v[188:189], -v[190:191]
	ds_read_b128 v[188:191], v2 offset:1824
	s_waitcnt vmcnt(9) lgkmcnt(2)
	v_mul_f64 v[228:229], v[180:181], v[98:99]
	v_fmac_f64_e32 v[228:229], v[182:183], v[96:97]
	s_waitcnt vmcnt(8) lgkmcnt(1)
	v_mul_f64 v[224:225], v[184:185], v[102:103]
	v_mul_f64 v[194:195], v[198:199], v[194:195]
	v_add_f64 v[0:1], v[0:1], v[228:229]
	v_fmac_f64_e32 v[224:225], v[186:187], v[100:101]
	v_fma_f64 v[254:255], v[196:197], v[192:193], -v[194:195]
	s_waitcnt vmcnt(7) lgkmcnt(0)
	v_mul_f64 v[196:197], v[188:189], v[106:107]
	ds_read_b128 v[192:195], v2 offset:1840
	v_add_f64 v[0:1], v[0:1], v[224:225]
	v_fmac_f64_e32 v[196:197], v[190:191], v[104:105]
	v_add_f64 v[0:1], v[0:1], v[196:197]
	ds_read_b128 v[196:199], v2 offset:1856
	v_mul_f64 v[202:203], v[210:211], v[202:203]
	v_fma_f64 v[240:241], v[208:209], v[200:201], -v[202:203]
	ds_read_b128 v[200:203], v2 offset:1872
	s_waitcnt vmcnt(6) lgkmcnt(2)
	v_mul_f64 v[224:225], v[192:193], v[110:111]
	v_fmac_f64_e32 v[224:225], v[194:195], v[108:109]
	s_waitcnt vmcnt(5) lgkmcnt(1)
	v_mul_f64 v[208:209], v[196:197], v[114:115]
	v_add_f64 v[0:1], v[0:1], v[224:225]
	v_fmac_f64_e32 v[208:209], v[198:199], v[112:113]
	v_add_f64 v[208:209], v[0:1], v[208:209]
	v_mul_f64 v[0:1], v[222:223], v[206:207]
	v_fma_f64 v[0:1], v[220:221], v[204:205], -v[0:1]
	ds_read_b128 v[204:207], v2 offset:1888
	s_waitcnt vmcnt(4) lgkmcnt(1)
	v_mul_f64 v[210:211], v[200:201], v[118:119]
	v_fmac_f64_e32 v[210:211], v[202:203], v[116:117]
	v_add_f64 v[220:221], v[208:209], v[210:211]
	ds_read_b128 v[208:211], v2 offset:1904
	v_mul_f64 v[214:215], v[218:219], v[214:215]
	v_fma_f64 v[252:253], v[216:217], v[212:213], -v[214:215]
	ds_read_b128 v[212:215], v2 offset:1920
	s_waitcnt vmcnt(3) lgkmcnt(2)
	v_mul_f64 v[216:217], v[204:205], v[122:123]
	v_fmac_f64_e32 v[216:217], v[206:207], v[120:121]
	s_waitcnt vmcnt(2) lgkmcnt(1)
	v_mul_f64 v[218:219], v[208:209], v[130:131]
	v_add_f64 v[216:217], v[220:221], v[216:217]
	v_fmac_f64_e32 v[218:219], v[210:211], v[128:129]
	v_add_f64 v[216:217], v[216:217], v[218:219]
	s_waitcnt vmcnt(1) lgkmcnt(0)
	v_mul_f64 v[218:219], v[212:213], v[126:127]
	v_fmac_f64_e32 v[218:219], v[214:215], v[124:125]
	v_add_f64 v[220:221], v[216:217], v[218:219]
	ds_read_b128 v[216:219], v2 offset:1936
	ds_read_b128 v[224:227], v2 offset:1952
	scratch_load_dwordx4 v[232:235], off, off offset:992
	v_accvgpr_write_b32 a127, v1
	v_accvgpr_write_b32 a126, v0
	s_waitcnt vmcnt(1) lgkmcnt(1)
	v_mul_f64 v[222:223], v[216:217], v[134:135]
	v_fmac_f64_e32 v[222:223], v[218:219], v[132:133]
	v_add_f64 v[228:229], v[220:221], v[222:223]
	scratch_load_dwordx4 v[220:223], off, off offset:976
	v_mul_f64 v[6:7], v[42:43], v[6:7]
	v_fma_f64 v[4:5], v[40:41], v[4:5], -v[6:7]
	s_waitcnt vmcnt(0) lgkmcnt(0)
	v_mul_f64 v[230:231], v[224:225], v[222:223]
	v_fmac_f64_e32 v[230:231], v[226:227], v[220:221]
	v_add_f64 v[0:1], v[228:229], v[230:231]
	ds_read_b128 v[228:231], v2 offset:1968
	s_waitcnt lgkmcnt(0)
	v_mul_f64 v[2:3], v[228:229], v[234:235]
	v_fmac_f64_e32 v[2:3], v[230:231], v[232:233]
	v_add_f64 v[2:3], v[0:1], v[2:3]
	v_add_f64 v[0:1], v[242:243], 0
	;; [unrolled: 1-line block ×7, first 2 shown]
	scratch_load_dwordx4 v[236:239], off, off offset:352
	v_add_f64 v[0:1], v[0:1], v[250:251]
	v_add_f64 v[0:1], v[0:1], v[254:255]
	;; [unrolled: 1-line block ×3, first 2 shown]
	v_accvgpr_read_b32 v0, a126
	v_accvgpr_read_b32 v1, a127
	v_add_f64 v[0:1], v[254:255], v[0:1]
	v_add_f64 v[0:1], v[0:1], v[252:253]
	;; [unrolled: 1-line block ×3, first 2 shown]
	v_mul_f64 v[4:5], v[66:67], v[10:11]
	v_fma_f64 v[4:5], v[64:65], v[8:9], -v[4:5]
	v_add_f64 v[0:1], v[0:1], v[4:5]
	v_mul_f64 v[4:5], v[62:63], v[14:15]
	v_fma_f64 v[4:5], v[60:61], v[12:13], -v[4:5]
	v_add_f64 v[0:1], v[0:1], v[4:5]
	;; [unrolled: 3-line block ×28, first 2 shown]
	s_waitcnt vmcnt(0)
	v_add_f64 v[4:5], v[236:237], -v[0:1]
	v_accvgpr_read_b32 v0, a124
	v_add_f64 v[6:7], v[238:239], -v[2:3]
	v_cmp_lt_u32_e32 vcc, 20, v0
	scratch_store_dwordx4 off, v[4:7], off offset:352
	s_and_saveexec_b64 s[0:1], vcc
	s_cbranch_execz .LBB61_357
; %bb.356:
	scratch_load_dwordx4 v[2:5], off, s73
	v_mov_b32_e32 v6, 0
	v_mov_b32_e32 v7, v6
	;; [unrolled: 1-line block ×4, first 2 shown]
	v_accvgpr_read_b32 v0, a125
	scratch_store_dwordx4 off, v[6:9], off offset:336
	s_waitcnt vmcnt(1)
	ds_write_b128 v0, v[2:5]
.LBB61_357:
	s_or_b64 exec, exec, s[0:1]
	s_waitcnt lgkmcnt(0)
	; wave barrier
	scratch_load_dwordx4 v[112:115], off, off offset:352
	scratch_load_dwordx4 v[116:119], off, off offset:368
	;; [unrolled: 1-line block ×30, first 2 shown]
	v_mov_b32_e32 v2, 0
	ds_read_b128 v[144:147], v2 offset:1328
	ds_read_b128 v[156:159], v2 offset:1344
	;; [unrolled: 1-line block ×20, first 2 shown]
	s_waitcnt vmcnt(29) lgkmcnt(14)
	v_mul_f64 v[0:1], v[144:145], v[114:115]
	s_waitcnt vmcnt(28)
	v_mul_f64 v[88:89], v[156:157], v[118:119]
	v_fmac_f64_e32 v[0:1], v[146:147], v[112:113]
	s_waitcnt vmcnt(27)
	v_mul_f64 v[90:91], v[168:169], v[122:123]
	v_fmac_f64_e32 v[88:89], v[158:159], v[116:117]
	v_add_f64 v[0:1], v[0:1], 0
	s_waitcnt vmcnt(26)
	v_mul_f64 v[92:93], v[180:181], v[154:155]
	v_fmac_f64_e32 v[90:91], v[170:171], v[120:121]
	v_add_f64 v[0:1], v[0:1], v[88:89]
	;; [unrolled: 4-line block ×4, first 2 shown]
	s_waitcnt vmcnt(23) lgkmcnt(13)
	v_mul_f64 v[98:99], v[212:213], v[174:175]
	v_fmac_f64_e32 v[96:97], v[206:207], v[164:165]
	v_add_f64 v[0:1], v[0:1], v[94:95]
	s_waitcnt vmcnt(22) lgkmcnt(12)
	v_mul_f64 v[100:101], v[216:217], v[178:179]
	v_fmac_f64_e32 v[98:99], v[214:215], v[172:173]
	v_add_f64 v[0:1], v[0:1], v[96:97]
	;; [unrolled: 4-line block ×9, first 2 shown]
	v_fmac_f64_e32 v[126:127], v[82:83], v[234:235]
	v_add_f64 v[0:1], v[0:1], v[124:125]
	scratch_load_dwordx4 v[88:91], off, off offset:832
	s_waitcnt vmcnt(15) lgkmcnt(4)
	v_mul_f64 v[128:129], v[76:77], v[14:15]
	v_add_f64 v[0:1], v[0:1], v[126:127]
	ds_read_b128 v[124:127], v2 offset:1600
	v_fmac_f64_e32 v[128:129], v[78:79], v[12:13]
	v_add_f64 v[0:1], v[0:1], v[128:129]
	ds_read_b128 v[128:131], v2 offset:1616
	s_waitcnt vmcnt(14) lgkmcnt(5)
	v_mul_f64 v[92:93], v[72:73], v[18:19]
	v_fmac_f64_e32 v[92:93], v[74:75], v[16:17]
	v_add_f64 v[0:1], v[0:1], v[92:93]
	s_waitcnt vmcnt(13) lgkmcnt(1)
	v_mul_f64 v[96:97], v[124:125], v[22:23]
	scratch_load_dwordx4 v[92:95], off, off offset:848
	v_fmac_f64_e32 v[96:97], v[126:127], v[20:21]
	v_add_f64 v[0:1], v[0:1], v[96:97]
	s_waitcnt vmcnt(13) lgkmcnt(0)
	v_mul_f64 v[100:101], v[128:129], v[26:27]
	scratch_load_dwordx4 v[96:99], off, off offset:864
	v_fmac_f64_e32 v[100:101], v[130:131], v[24:25]
	v_add_f64 v[0:1], v[0:1], v[100:101]
	scratch_load_dwordx4 v[100:103], off, off offset:880
	s_waitcnt vmcnt(14)
	v_mul_f64 v[104:105], v[132:133], v[30:31]
	v_fmac_f64_e32 v[104:105], v[134:135], v[28:29]
	v_add_f64 v[0:1], v[0:1], v[104:105]
	s_waitcnt vmcnt(13)
	v_mul_f64 v[104:105], v[136:137], v[34:35]
	v_fmac_f64_e32 v[104:105], v[138:139], v[32:33]
	v_add_f64 v[0:1], v[0:1], v[104:105]
	scratch_load_dwordx4 v[104:107], off, off offset:896
	s_waitcnt vmcnt(13)
	v_mul_f64 v[108:109], v[140:141], v[38:39]
	v_fmac_f64_e32 v[108:109], v[142:143], v[36:37]
	v_add_f64 v[0:1], v[0:1], v[108:109]
	scratch_load_dwordx4 v[108:111], off, off offset:912
	v_mul_f64 v[114:115], v[146:147], v[114:115]
	v_fma_f64 v[242:243], v[144:145], v[112:113], -v[114:115]
	v_mul_f64 v[112:113], v[158:159], v[118:119]
	ds_read_b128 v[148:151], v2 offset:1680
	ds_read_b128 v[144:147], v2 offset:1696
	v_fma_f64 v[244:245], v[156:157], v[116:117], -v[112:113]
	scratch_load_dwordx4 v[116:119], off, off offset:928
	scratch_load_dwordx4 v[112:115], off, off offset:944
	v_mul_f64 v[122:123], v[170:171], v[122:123]
	v_fma_f64 v[246:247], v[168:169], v[120:121], -v[122:123]
	scratch_load_dwordx4 v[120:123], off, off offset:960
	s_waitcnt vmcnt(16) lgkmcnt(1)
	v_mul_f64 v[156:157], v[148:149], v[42:43]
	v_fmac_f64_e32 v[156:157], v[150:151], v[40:41]
	v_mul_f64 v[154:155], v[182:183], v[154:155]
	v_add_f64 v[0:1], v[0:1], v[156:157]
	v_fma_f64 v[248:249], v[180:181], v[152:153], -v[154:155]
	ds_read_b128 v[152:155], v2 offset:1712
	s_waitcnt vmcnt(15) lgkmcnt(1)
	v_mul_f64 v[156:157], v[144:145], v[46:47]
	v_fmac_f64_e32 v[156:157], v[146:147], v[44:45]
	v_add_f64 v[0:1], v[0:1], v[156:157]
	ds_read_b128 v[156:159], v2 offset:1728
	v_mul_f64 v[162:163], v[194:195], v[162:163]
	v_fma_f64 v[250:251], v[192:193], v[160:161], -v[162:163]
	ds_read_b128 v[160:163], v2 offset:1744
	s_waitcnt vmcnt(14) lgkmcnt(2)
	v_mul_f64 v[168:169], v[152:153], v[50:51]
	v_fmac_f64_e32 v[168:169], v[154:155], v[48:49]
	v_add_f64 v[0:1], v[0:1], v[168:169]
	s_waitcnt vmcnt(13) lgkmcnt(1)
	v_mul_f64 v[168:169], v[156:157], v[54:55]
	v_fmac_f64_e32 v[168:169], v[158:159], v[52:53]
	v_mul_f64 v[166:167], v[206:207], v[166:167]
	v_add_f64 v[0:1], v[0:1], v[168:169]
	v_fma_f64 v[232:233], v[204:205], v[164:165], -v[166:167]
	ds_read_b128 v[164:167], v2 offset:1760
	s_waitcnt vmcnt(12) lgkmcnt(1)
	v_mul_f64 v[168:169], v[160:161], v[58:59]
	v_fmac_f64_e32 v[168:169], v[162:163], v[56:57]
	v_add_f64 v[0:1], v[0:1], v[168:169]
	ds_read_b128 v[168:171], v2 offset:1776
	v_accvgpr_write_b32 a129, v7
	v_accvgpr_write_b32 a128, v6
	;; [unrolled: 1-line block ×4, first 2 shown]
	s_waitcnt vmcnt(11) lgkmcnt(1)
	v_mul_f64 v[6:7], v[164:165], v[62:63]
	v_mul_f64 v[174:175], v[214:215], v[174:175]
	v_fmac_f64_e32 v[6:7], v[166:167], v[60:61]
	v_fma_f64 v[8:9], v[212:213], v[172:173], -v[174:175]
	ds_read_b128 v[172:175], v2 offset:1792
	v_add_f64 v[0:1], v[0:1], v[6:7]
	s_waitcnt vmcnt(10) lgkmcnt(1)
	v_mul_f64 v[6:7], v[168:169], v[66:67]
	v_fmac_f64_e32 v[6:7], v[170:171], v[64:65]
	v_add_f64 v[0:1], v[0:1], v[6:7]
	v_mul_f64 v[6:7], v[218:219], v[178:179]
	v_fma_f64 v[4:5], v[216:217], v[176:177], -v[6:7]
	ds_read_b128 v[176:179], v2 offset:1808
	ds_read_b128 v[180:183], v2 offset:1824
	s_waitcnt vmcnt(9) lgkmcnt(2)
	v_mul_f64 v[6:7], v[172:173], v[70:71]
	v_fmac_f64_e32 v[6:7], v[174:175], v[68:69]
	v_add_f64 v[0:1], v[0:1], v[6:7]
	s_waitcnt vmcnt(8) lgkmcnt(1)
	v_mul_f64 v[6:7], v[176:177], v[90:91]
	v_fmac_f64_e32 v[6:7], v[178:179], v[88:89]
	v_add_f64 v[0:1], v[0:1], v[6:7]
	v_mul_f64 v[6:7], v[222:223], v[186:187]
	v_fma_f64 v[10:11], v[220:221], v[184:185], -v[6:7]
	ds_read_b128 v[184:187], v2 offset:1840
	v_mul_f64 v[6:7], v[226:227], v[190:191]
	v_fma_f64 v[6:7], v[224:225], v[188:189], -v[6:7]
	ds_read_b128 v[188:191], v2 offset:1856
	s_waitcnt vmcnt(7) lgkmcnt(2)
	v_mul_f64 v[192:193], v[180:181], v[94:95]
	v_fmac_f64_e32 v[192:193], v[182:183], v[92:93]
	v_add_f64 v[0:1], v[0:1], v[192:193]
	s_waitcnt vmcnt(6) lgkmcnt(1)
	v_mul_f64 v[192:193], v[184:185], v[98:99]
	v_fmac_f64_e32 v[192:193], v[186:187], v[96:97]
	v_add_f64 v[0:1], v[0:1], v[192:193]
	s_waitcnt vmcnt(5) lgkmcnt(0)
	v_mul_f64 v[204:205], v[188:189], v[102:103]
	ds_read_b128 v[192:195], v2 offset:1872
	v_fmac_f64_e32 v[204:205], v[190:191], v[100:101]
	v_add_f64 v[204:205], v[0:1], v[204:205]
	v_mul_f64 v[0:1], v[230:231], v[198:199]
	v_fma_f64 v[0:1], v[228:229], v[196:197], -v[0:1]
	ds_read_b128 v[196:199], v2 offset:1888
	v_mul_f64 v[202:203], v[240:241], v[202:203]
	s_waitcnt vmcnt(4) lgkmcnt(1)
	v_mul_f64 v[206:207], v[192:193], v[106:107]
	v_fma_f64 v[238:239], v[238:239], v[200:201], -v[202:203]
	ds_read_b128 v[200:203], v2 offset:1904
	v_fmac_f64_e32 v[206:207], v[194:195], v[104:105]
	v_add_f64 v[212:213], v[204:205], v[206:207]
	ds_read_b128 v[204:207], v2 offset:1920
	s_waitcnt vmcnt(3) lgkmcnt(2)
	v_mul_f64 v[214:215], v[196:197], v[110:111]
	v_mul_f64 v[210:211], v[254:255], v[210:211]
	v_fmac_f64_e32 v[214:215], v[198:199], v[108:109]
	v_fma_f64 v[240:241], v[252:253], v[208:209], -v[210:211]
	ds_read_b128 v[208:211], v2 offset:1936
	ds_read_b128 v[216:219], v2 offset:1952
	v_add_f64 v[212:213], v[212:213], v[214:215]
	s_waitcnt vmcnt(2) lgkmcnt(3)
	v_mul_f64 v[214:215], v[200:201], v[118:119]
	v_fmac_f64_e32 v[214:215], v[202:203], v[116:117]
	v_add_f64 v[212:213], v[212:213], v[214:215]
	s_waitcnt vmcnt(1) lgkmcnt(2)
	v_mul_f64 v[214:215], v[204:205], v[114:115]
	v_fmac_f64_e32 v[214:215], v[206:207], v[112:113]
	;; [unrolled: 4-line block ×3, first 2 shown]
	v_add_f64 v[220:221], v[212:213], v[214:215]
	scratch_load_dwordx4 v[212:215], off, off offset:976
	ds_read_b128 v[224:227], v2 offset:1968
	s_waitcnt vmcnt(0) lgkmcnt(1)
	v_mul_f64 v[222:223], v[216:217], v[214:215]
	v_fmac_f64_e32 v[222:223], v[218:219], v[212:213]
	v_add_f64 v[228:229], v[220:221], v[222:223]
	scratch_load_dwordx4 v[220:223], off, off offset:992
	s_waitcnt vmcnt(0) lgkmcnt(0)
	v_mul_f64 v[230:231], v[224:225], v[222:223]
	v_fmac_f64_e32 v[230:231], v[226:227], v[220:221]
	v_add_f64 v[254:255], v[228:229], v[230:231]
	v_add_f64 v[228:229], v[242:243], 0
	;; [unrolled: 1-line block ×8, first 2 shown]
	scratch_load_dwordx4 v[228:231], off, off offset:336
	v_add_f64 v[4:5], v[8:9], v[4:5]
	v_add_f64 v[252:253], v[4:5], v[10:11]
	;; [unrolled: 1-line block ×3, first 2 shown]
	v_accvgpr_read_b32 v6, a126
	v_add_f64 v[0:1], v[4:5], v[0:1]
	v_accvgpr_read_b32 v8, a128
	v_accvgpr_read_b32 v9, a129
	v_add_f64 v[0:1], v[0:1], v[238:239]
	v_accvgpr_read_b32 v7, a127
	v_mul_f64 v[4:5], v[86:87], v[8:9]
	v_add_f64 v[0:1], v[0:1], v[240:241]
	v_fma_f64 v[4:5], v[84:85], v[6:7], -v[4:5]
	v_add_f64 v[0:1], v[0:1], v[4:5]
	v_mul_f64 v[4:5], v[82:83], v[236:237]
	v_fma_f64 v[4:5], v[80:81], v[234:235], -v[4:5]
	v_add_f64 v[0:1], v[0:1], v[4:5]
	v_mul_f64 v[4:5], v[78:79], v[14:15]
	;; [unrolled: 3-line block ×27, first 2 shown]
	v_fma_f64 v[4:5], v[224:225], v[220:221], -v[4:5]
	v_add_f64 v[0:1], v[0:1], v[4:5]
	s_waitcnt vmcnt(0)
	v_add_f64 v[4:5], v[228:229], -v[0:1]
	v_accvgpr_read_b32 v0, a124
	v_add_f64 v[6:7], v[230:231], -v[254:255]
	v_cmp_lt_u32_e32 vcc, 19, v0
	scratch_store_dwordx4 off, v[4:7], off offset:336
	s_and_saveexec_b64 s[0:1], vcc
	s_cbranch_execz .LBB61_359
; %bb.358:
	scratch_load_dwordx4 v[6:9], off, s72
	v_mov_b32_e32 v3, v2
	v_mov_b32_e32 v4, v2
	;; [unrolled: 1-line block ×3, first 2 shown]
	v_accvgpr_read_b32 v0, a125
	scratch_store_dwordx4 off, v[2:5], off offset:320
	s_waitcnt vmcnt(1)
	ds_write_b128 v0, v[6:9]
.LBB61_359:
	s_or_b64 exec, exec, s[0:1]
	s_waitcnt lgkmcnt(0)
	; wave barrier
	scratch_load_dwordx4 v[88:91], off, off offset:336
	scratch_load_dwordx4 v[92:95], off, off offset:352
	;; [unrolled: 1-line block ×17, first 2 shown]
	ds_read_b128 v[212:215], v2 offset:1312
	ds_read_b128 v[204:207], v2 offset:1328
	;; [unrolled: 1-line block ×3, first 2 shown]
	scratch_load_dwordx4 v[20:23], off, off offset:608
	ds_read_b128 v[216:219], v2 offset:1360
	ds_read_b128 v[208:211], v2 offset:1376
	;; [unrolled: 1-line block ×5, first 2 shown]
	scratch_load_dwordx4 v[24:27], off, off offset:624
	ds_read_b128 v[180:183], v2 offset:1440
	ds_read_b128 v[160:163], v2 offset:1456
	ds_read_b128 v[144:147], v2 offset:1472
	scratch_load_dwordx4 v[28:31], off, off offset:640
	ds_read_b128 v[172:175], v2 offset:1488
	ds_read_b128 v[148:151], v2 offset:1504
	;; [unrolled: 1-line block ×5, first 2 shown]
	scratch_load_dwordx4 v[36:39], off, off offset:656
	ds_read_b128 v[48:51], v2 offset:1568
	scratch_load_dwordx4 v[52:55], off, off offset:672
	scratch_load_dwordx4 v[56:59], off, off offset:688
	;; [unrolled: 1-line block ×9, first 2 shown]
	ds_read_b128 v[140:143], v2 offset:1584
	ds_read_b128 v[232:235], v2 offset:1648
	;; [unrolled: 1-line block ×3, first 2 shown]
	s_waitcnt vmcnt(29) lgkmcnt(14)
	v_mul_f64 v[0:1], v[212:213], v[90:91]
	s_waitcnt vmcnt(28)
	v_mul_f64 v[152:153], v[204:205], v[94:95]
	v_fmac_f64_e32 v[0:1], v[214:215], v[88:89]
	s_waitcnt vmcnt(27)
	v_mul_f64 v[154:155], v[196:197], v[98:99]
	v_fmac_f64_e32 v[152:153], v[206:207], v[92:93]
	v_add_f64 v[0:1], v[0:1], 0
	s_waitcnt vmcnt(26)
	v_mul_f64 v[164:165], v[216:217], v[102:103]
	v_fmac_f64_e32 v[154:155], v[198:199], v[96:97]
	v_add_f64 v[0:1], v[0:1], v[152:153]
	;; [unrolled: 4-line block ×4, first 2 shown]
	s_waitcnt vmcnt(23) lgkmcnt(13)
	v_mul_f64 v[170:171], v[184:185], v[114:115]
	v_fmac_f64_e32 v[168:169], v[202:203], v[108:109]
	v_add_f64 v[0:1], v[0:1], v[166:167]
	s_waitcnt vmcnt(22) lgkmcnt(12)
	v_mul_f64 v[176:177], v[156:157], v[118:119]
	v_fmac_f64_e32 v[170:171], v[186:187], v[112:113]
	v_add_f64 v[0:1], v[0:1], v[168:169]
	s_waitcnt vmcnt(21) lgkmcnt(11)
	v_mul_f64 v[178:179], v[180:181], v[122:123]
	v_fmac_f64_e32 v[176:177], v[158:159], v[116:117]
	v_add_f64 v[0:1], v[0:1], v[170:171]
	s_waitcnt vmcnt(20) lgkmcnt(10)
	v_mul_f64 v[188:189], v[160:161], v[126:127]
	v_fmac_f64_e32 v[178:179], v[182:183], v[120:121]
	v_add_f64 v[0:1], v[0:1], v[176:177]
	s_waitcnt vmcnt(19) lgkmcnt(9)
	v_mul_f64 v[190:191], v[144:145], v[130:131]
	v_fmac_f64_e32 v[188:189], v[162:163], v[124:125]
	v_add_f64 v[0:1], v[0:1], v[178:179]
	s_waitcnt vmcnt(18) lgkmcnt(8)
	v_mul_f64 v[192:193], v[172:173], v[134:135]
	v_fmac_f64_e32 v[190:191], v[146:147], v[128:129]
	v_add_f64 v[0:1], v[0:1], v[188:189]
	s_waitcnt vmcnt(17) lgkmcnt(7)
	v_mul_f64 v[194:195], v[148:149], v[138:139]
	v_fmac_f64_e32 v[192:193], v[174:175], v[132:133]
	v_add_f64 v[0:1], v[0:1], v[190:191]
	s_waitcnt vmcnt(16) lgkmcnt(6)
	v_mul_f64 v[220:221], v[44:45], v[6:7]
	v_fmac_f64_e32 v[194:195], v[150:151], v[136:137]
	v_add_f64 v[0:1], v[0:1], v[192:193]
	s_waitcnt vmcnt(15) lgkmcnt(5)
	v_mul_f64 v[222:223], v[40:41], v[10:11]
	v_fmac_f64_e32 v[220:221], v[46:47], v[4:5]
	v_add_f64 v[0:1], v[0:1], v[194:195]
	s_waitcnt vmcnt(14) lgkmcnt(4)
	v_mul_f64 v[224:225], v[32:33], v[14:15]
	v_fmac_f64_e32 v[222:223], v[42:43], v[8:9]
	v_add_f64 v[0:1], v[0:1], v[220:221]
	v_fmac_f64_e32 v[224:225], v[34:35], v[12:13]
	v_add_f64 v[0:1], v[0:1], v[222:223]
	ds_read_b128 v[220:223], v2 offset:1600
	v_add_f64 v[0:1], v[0:1], v[224:225]
	ds_read_b128 v[224:227], v2 offset:1616
	s_waitcnt vmcnt(13) lgkmcnt(5)
	v_mul_f64 v[164:165], v[48:49], v[18:19]
	scratch_load_dwordx4 v[152:155], off, off offset:816
	v_fmac_f64_e32 v[164:165], v[50:51], v[16:17]
	s_waitcnt vmcnt(13) lgkmcnt(4)
	v_mul_f64 v[168:169], v[140:141], v[22:23]
	v_add_f64 v[0:1], v[0:1], v[164:165]
	v_fmac_f64_e32 v[168:169], v[142:143], v[20:21]
	scratch_load_dwordx4 v[164:167], off, off offset:832
	v_add_f64 v[0:1], v[0:1], v[168:169]
	s_waitcnt vmcnt(13) lgkmcnt(1)
	v_mul_f64 v[176:177], v[220:221], v[26:27]
	scratch_load_dwordx4 v[168:171], off, off offset:848
	v_fmac_f64_e32 v[176:177], v[222:223], v[24:25]
	s_waitcnt vmcnt(13) lgkmcnt(0)
	v_mul_f64 v[188:189], v[224:225], v[30:31]
	v_add_f64 v[0:1], v[0:1], v[176:177]
	scratch_load_dwordx4 v[176:179], off, off offset:864
	v_fmac_f64_e32 v[188:189], v[226:227], v[28:29]
	v_add_f64 v[0:1], v[0:1], v[188:189]
	s_waitcnt vmcnt(13)
	v_mul_f64 v[188:189], v[228:229], v[38:39]
	v_fmac_f64_e32 v[188:189], v[230:231], v[36:37]
	v_add_f64 v[0:1], v[0:1], v[188:189]
	scratch_load_dwordx4 v[188:191], off, off offset:880
	s_waitcnt vmcnt(13)
	v_mul_f64 v[192:193], v[232:233], v[54:55]
	v_fmac_f64_e32 v[192:193], v[234:235], v[52:53]
	v_mul_f64 v[90:91], v[214:215], v[90:91]
	v_add_f64 v[0:1], v[0:1], v[192:193]
	scratch_load_dwordx4 v[192:195], off, off offset:896
	v_fma_f64 v[242:243], v[212:213], v[88:89], -v[90:91]
	v_mul_f64 v[88:89], v[206:207], v[94:95]
	ds_read_b128 v[236:239], v2 offset:1664
	ds_read_b128 v[212:215], v2 offset:1680
	v_fma_f64 v[244:245], v[204:205], v[92:93], -v[88:89]
	scratch_load_dwordx4 v[92:95], off, off offset:912
	scratch_load_dwordx4 v[88:91], off, off offset:928
	v_mul_f64 v[98:99], v[198:199], v[98:99]
	v_fma_f64 v[246:247], v[196:197], v[96:97], -v[98:99]
	scratch_load_dwordx4 v[96:99], off, off offset:944
	s_waitcnt vmcnt(16) lgkmcnt(1)
	v_mul_f64 v[204:205], v[236:237], v[58:59]
	v_mul_f64 v[102:103], v[218:219], v[102:103]
	v_fmac_f64_e32 v[204:205], v[238:239], v[56:57]
	v_fma_f64 v[216:217], v[216:217], v[100:101], -v[102:103]
	ds_read_b128 v[100:103], v2 offset:1696
	s_waitcnt vmcnt(15) lgkmcnt(1)
	v_mul_f64 v[196:197], v[212:213], v[62:63]
	v_add_f64 v[0:1], v[0:1], v[204:205]
	v_fmac_f64_e32 v[196:197], v[214:215], v[60:61]
	v_add_f64 v[0:1], v[0:1], v[196:197]
	ds_read_b128 v[196:199], v2 offset:1712
	v_mul_f64 v[106:107], v[210:211], v[106:107]
	v_fma_f64 v[218:219], v[208:209], v[104:105], -v[106:107]
	ds_read_b128 v[104:107], v2 offset:1728
	s_waitcnt vmcnt(14) lgkmcnt(2)
	v_mul_f64 v[204:205], v[100:101], v[66:67]
	v_fmac_f64_e32 v[204:205], v[102:103], v[64:65]
	v_add_f64 v[0:1], v[0:1], v[204:205]
	s_waitcnt vmcnt(13) lgkmcnt(1)
	v_mul_f64 v[204:205], v[196:197], v[70:71]
	v_mul_f64 v[110:111], v[202:203], v[110:111]
	v_fmac_f64_e32 v[204:205], v[198:199], v[68:69]
	v_fma_f64 v[248:249], v[200:201], v[108:109], -v[110:111]
	ds_read_b128 v[108:111], v2 offset:1744
	s_waitcnt vmcnt(12) lgkmcnt(1)
	v_mul_f64 v[200:201], v[104:105], v[74:75]
	v_add_f64 v[0:1], v[0:1], v[204:205]
	v_fmac_f64_e32 v[200:201], v[106:107], v[72:73]
	v_add_f64 v[0:1], v[0:1], v[200:201]
	ds_read_b128 v[200:203], v2 offset:1760
	v_mul_f64 v[114:115], v[186:187], v[114:115]
	v_fma_f64 v[250:251], v[184:185], v[112:113], -v[114:115]
	ds_read_b128 v[112:115], v2 offset:1776
	s_waitcnt vmcnt(11) lgkmcnt(2)
	v_mul_f64 v[184:185], v[108:109], v[78:79]
	v_fmac_f64_e32 v[184:185], v[110:111], v[76:77]
	v_add_f64 v[0:1], v[0:1], v[184:185]
	s_waitcnt vmcnt(10) lgkmcnt(1)
	v_mul_f64 v[184:185], v[200:201], v[82:83]
	v_mul_f64 v[118:119], v[158:159], v[118:119]
	v_fmac_f64_e32 v[184:185], v[202:203], v[80:81]
	v_fma_f64 v[254:255], v[156:157], v[116:117], -v[118:119]
	s_waitcnt vmcnt(9) lgkmcnt(0)
	v_mul_f64 v[156:157], v[112:113], v[86:87]
	v_add_f64 v[0:1], v[0:1], v[184:185]
	ds_read_b128 v[116:119], v2 offset:1792
	v_fmac_f64_e32 v[156:157], v[114:115], v[84:85]
	v_add_f64 v[0:1], v[0:1], v[156:157]
	ds_read_b128 v[156:159], v2 offset:1808
	v_mul_f64 v[122:123], v[182:183], v[122:123]
	v_fma_f64 v[240:241], v[180:181], v[120:121], -v[122:123]
	ds_read_b128 v[120:123], v2 offset:1824
	v_accvgpr_write_b32 a129, v7
	v_mul_f64 v[126:127], v[162:163], v[126:127]
	v_accvgpr_write_b32 a128, v6
	v_accvgpr_write_b32 a127, v5
	;; [unrolled: 1-line block ×3, first 2 shown]
	v_fma_f64 v[4:5], v[160:161], v[124:125], -v[126:127]
	ds_read_b128 v[124:127], v2 offset:1840
	s_waitcnt vmcnt(8) lgkmcnt(3)
	v_mul_f64 v[184:185], v[116:117], v[154:155]
	v_fmac_f64_e32 v[184:185], v[118:119], v[152:153]
	s_waitcnt vmcnt(7) lgkmcnt(2)
	v_mul_f64 v[180:181], v[156:157], v[166:167]
	v_add_f64 v[0:1], v[0:1], v[184:185]
	v_fmac_f64_e32 v[180:181], v[158:159], v[164:165]
	s_waitcnt vmcnt(6) lgkmcnt(1)
	v_mul_f64 v[6:7], v[120:121], v[170:171]
	ds_read_b128 v[160:163], v2 offset:1856
	v_add_f64 v[0:1], v[0:1], v[180:181]
	v_fmac_f64_e32 v[6:7], v[122:123], v[168:169]
	v_add_f64 v[0:1], v[0:1], v[6:7]
	s_waitcnt vmcnt(5) lgkmcnt(1)
	v_mul_f64 v[6:7], v[124:125], v[178:179]
	v_fmac_f64_e32 v[6:7], v[126:127], v[176:177]
	v_add_f64 v[0:1], v[0:1], v[6:7]
	v_mul_f64 v[6:7], v[146:147], v[130:131]
	v_fma_f64 v[6:7], v[144:145], v[128:129], -v[6:7]
	ds_read_b128 v[128:131], v2 offset:1872
	s_waitcnt vmcnt(4) lgkmcnt(1)
	v_mul_f64 v[144:145], v[160:161], v[190:191]
	v_fmac_f64_e32 v[144:145], v[162:163], v[188:189]
	v_add_f64 v[180:181], v[0:1], v[144:145]
	v_mul_f64 v[0:1], v[174:175], v[134:135]
	v_fma_f64 v[0:1], v[172:173], v[132:133], -v[0:1]
	ds_read_b128 v[132:135], v2 offset:1888
	ds_read_b128 v[144:147], v2 offset:1904
	v_mul_f64 v[138:139], v[150:151], v[138:139]
	v_fma_f64 v[252:253], v[148:149], v[136:137], -v[138:139]
	ds_read_b128 v[136:139], v2 offset:1920
	s_waitcnt vmcnt(3) lgkmcnt(3)
	v_mul_f64 v[172:173], v[128:129], v[194:195]
	v_fmac_f64_e32 v[172:173], v[130:131], v[192:193]
	s_waitcnt vmcnt(2) lgkmcnt(2)
	v_mul_f64 v[148:149], v[132:133], v[94:95]
	v_add_f64 v[172:173], v[180:181], v[172:173]
	v_fmac_f64_e32 v[148:149], v[134:135], v[92:93]
	s_waitcnt vmcnt(1) lgkmcnt(1)
	v_mul_f64 v[150:151], v[144:145], v[90:91]
	v_add_f64 v[148:149], v[172:173], v[148:149]
	v_fmac_f64_e32 v[150:151], v[146:147], v[88:89]
	v_add_f64 v[148:149], v[148:149], v[150:151]
	ds_read_b128 v[172:175], v2 offset:1936
	scratch_load_dwordx4 v[208:211], off, off offset:992
	s_waitcnt vmcnt(1) lgkmcnt(1)
	v_mul_f64 v[150:151], v[136:137], v[98:99]
	v_fmac_f64_e32 v[150:151], v[138:139], v[96:97]
	v_add_f64 v[180:181], v[148:149], v[150:151]
	scratch_load_dwordx4 v[148:151], off, off offset:960
	ds_read_b128 v[184:187], v2 offset:1952
	v_accvgpr_write_b32 a131, v1
	v_accvgpr_write_b32 a130, v0
	s_waitcnt vmcnt(0) lgkmcnt(1)
	v_mul_f64 v[182:183], v[172:173], v[150:151]
	v_fmac_f64_e32 v[182:183], v[174:175], v[148:149]
	v_add_f64 v[204:205], v[180:181], v[182:183]
	scratch_load_dwordx4 v[180:183], off, off offset:976
	s_waitcnt vmcnt(0) lgkmcnt(0)
	v_mul_f64 v[206:207], v[184:185], v[182:183]
	v_fmac_f64_e32 v[206:207], v[186:187], v[180:181]
	v_add_f64 v[0:1], v[204:205], v[206:207]
	ds_read_b128 v[204:207], v2 offset:1968
	s_waitcnt lgkmcnt(0)
	v_mul_f64 v[2:3], v[204:205], v[210:211]
	v_fmac_f64_e32 v[2:3], v[206:207], v[208:209]
	v_add_f64 v[2:3], v[0:1], v[2:3]
	v_add_f64 v[0:1], v[242:243], 0
	;; [unrolled: 1-line block ×6, first 2 shown]
	scratch_load_dwordx4 v[216:219], off, off offset:320
	v_add_f64 v[0:1], v[0:1], v[248:249]
	v_add_f64 v[0:1], v[0:1], v[250:251]
	;; [unrolled: 1-line block ×6, first 2 shown]
	v_accvgpr_read_b32 v0, a130
	v_accvgpr_read_b32 v243, a129
	v_accvgpr_read_b32 v1, a131
	v_accvgpr_read_b32 v242, a128
	v_add_f64 v[0:1], v[254:255], v[0:1]
	v_accvgpr_read_b32 v241, a127
	v_accvgpr_read_b32 v240, a126
	v_mul_f64 v[4:5], v[46:47], v[242:243]
	v_add_f64 v[0:1], v[0:1], v[252:253]
	v_fma_f64 v[4:5], v[44:45], v[240:241], -v[4:5]
	v_add_f64 v[0:1], v[0:1], v[4:5]
	v_mul_f64 v[4:5], v[42:43], v[10:11]
	v_fma_f64 v[4:5], v[40:41], v[8:9], -v[4:5]
	v_add_f64 v[0:1], v[0:1], v[4:5]
	v_mul_f64 v[4:5], v[34:35], v[14:15]
	;; [unrolled: 3-line block ×28, first 2 shown]
	v_fma_f64 v[4:5], v[204:205], v[208:209], -v[4:5]
	v_add_f64 v[0:1], v[0:1], v[4:5]
	s_waitcnt vmcnt(0)
	v_add_f64 v[4:5], v[216:217], -v[0:1]
	v_accvgpr_read_b32 v0, a124
	v_add_f64 v[6:7], v[218:219], -v[2:3]
	v_cmp_lt_u32_e32 vcc, 18, v0
	scratch_store_dwordx4 off, v[4:7], off offset:320
	s_and_saveexec_b64 s[0:1], vcc
	s_cbranch_execz .LBB61_361
; %bb.360:
	scratch_load_dwordx4 v[2:5], off, s71
	v_mov_b32_e32 v6, 0
	v_mov_b32_e32 v7, v6
	;; [unrolled: 1-line block ×4, first 2 shown]
	v_accvgpr_read_b32 v0, a125
	scratch_store_dwordx4 off, v[6:9], off offset:304
	s_waitcnt vmcnt(1)
	ds_write_b128 v0, v[2:5]
.LBB61_361:
	s_or_b64 exec, exec, s[0:1]
	s_waitcnt lgkmcnt(0)
	; wave barrier
	scratch_load_dwordx4 v[96:99], off, off offset:320
	scratch_load_dwordx4 v[100:103], off, off offset:336
	;; [unrolled: 1-line block ×30, first 2 shown]
	v_mov_b32_e32 v2, 0
	ds_read_b128 v[136:139], v2 offset:1296
	ds_read_b128 v[144:147], v2 offset:1312
	;; [unrolled: 1-line block ×20, first 2 shown]
	s_waitcnt vmcnt(29) lgkmcnt(14)
	v_mul_f64 v[0:1], v[136:137], v[98:99]
	s_waitcnt vmcnt(28)
	v_mul_f64 v[72:73], v[144:145], v[102:103]
	v_fmac_f64_e32 v[0:1], v[138:139], v[96:97]
	s_waitcnt vmcnt(27)
	v_mul_f64 v[74:75], v[148:149], v[106:107]
	v_fmac_f64_e32 v[72:73], v[146:147], v[100:101]
	v_add_f64 v[0:1], v[0:1], 0
	s_waitcnt vmcnt(26)
	v_mul_f64 v[76:77], v[164:165], v[110:111]
	v_fmac_f64_e32 v[74:75], v[150:151], v[104:105]
	v_add_f64 v[0:1], v[0:1], v[72:73]
	;; [unrolled: 4-line block ×4, first 2 shown]
	s_waitcnt vmcnt(23) lgkmcnt(13)
	v_mul_f64 v[82:83], v[200:201], v[158:159]
	v_fmac_f64_e32 v[80:81], v[190:191], v[152:153]
	v_add_f64 v[0:1], v[0:1], v[78:79]
	s_waitcnt vmcnt(22) lgkmcnt(12)
	v_mul_f64 v[84:85], v[208:209], v[162:163]
	v_fmac_f64_e32 v[82:83], v[202:203], v[156:157]
	v_add_f64 v[0:1], v[0:1], v[80:81]
	;; [unrolled: 4-line block ×9, first 2 shown]
	s_waitcnt vmcnt(14) lgkmcnt(4)
	v_mul_f64 v[120:121], v[68:69], v[6:7]
	v_fmac_f64_e32 v[118:119], v[254:255], v[204:205]
	v_accvgpr_write_b32 a129, v7
	v_add_f64 v[0:1], v[0:1], v[116:117]
	v_fmac_f64_e32 v[120:121], v[70:71], v[4:5]
	v_accvgpr_write_b32 a128, v6
	v_accvgpr_write_b32 a127, v5
	;; [unrolled: 1-line block ×3, first 2 shown]
	v_add_f64 v[0:1], v[0:1], v[118:119]
	ds_read_b128 v[116:119], v2 offset:1568
	s_waitcnt vmcnt(13)
	v_mov_b64_e32 v[4:5], v[8:9]
	v_mov_b64_e32 v[6:7], v[10:11]
	s_waitcnt lgkmcnt(4)
	v_mul_f64 v[76:77], v[64:65], v[6:7]
	scratch_load_dwordx4 v[72:75], off, off offset:800
	v_add_f64 v[0:1], v[0:1], v[120:121]
	v_fmac_f64_e32 v[76:77], v[66:67], v[4:5]
	v_add_f64 v[0:1], v[0:1], v[76:77]
	scratch_load_dwordx4 v[76:79], off, off offset:816
	ds_read_b128 v[120:123], v2 offset:1584
	s_waitcnt vmcnt(14) lgkmcnt(1)
	v_mul_f64 v[80:81], v[116:117], v[236:237]
	v_fmac_f64_e32 v[80:81], v[118:119], v[234:235]
	v_add_f64 v[0:1], v[0:1], v[80:81]
	scratch_load_dwordx4 v[80:83], off, off offset:832
	s_waitcnt vmcnt(14) lgkmcnt(0)
	v_mul_f64 v[84:85], v[120:121], v[18:19]
	v_fmac_f64_e32 v[84:85], v[122:123], v[16:17]
	s_waitcnt vmcnt(13)
	v_mul_f64 v[88:89], v[124:125], v[22:23]
	v_add_f64 v[0:1], v[0:1], v[84:85]
	v_fmac_f64_e32 v[88:89], v[126:127], v[20:21]
	scratch_load_dwordx4 v[84:87], off, off offset:848
	v_add_f64 v[0:1], v[0:1], v[88:89]
	s_waitcnt vmcnt(13)
	v_mul_f64 v[88:89], v[128:129], v[26:27]
	v_fmac_f64_e32 v[88:89], v[130:131], v[24:25]
	v_add_f64 v[0:1], v[0:1], v[88:89]
	scratch_load_dwordx4 v[88:91], off, off offset:864
	s_waitcnt vmcnt(13)
	v_mul_f64 v[92:93], v[132:133], v[30:31]
	v_fmac_f64_e32 v[92:93], v[134:135], v[28:29]
	v_add_f64 v[0:1], v[0:1], v[92:93]
	scratch_load_dwordx4 v[92:95], off, off offset:880
	v_mul_f64 v[98:99], v[138:139], v[98:99]
	v_fma_f64 v[242:243], v[136:137], v[96:97], -v[98:99]
	v_mul_f64 v[96:97], v[146:147], v[102:103]
	ds_read_b128 v[140:143], v2 offset:1648
	ds_read_b128 v[136:139], v2 offset:1664
	v_fma_f64 v[244:245], v[144:145], v[100:101], -v[96:97]
	scratch_load_dwordx4 v[100:103], off, off offset:896
	scratch_load_dwordx4 v[96:99], off, off offset:912
	s_waitcnt vmcnt(15) lgkmcnt(1)
	v_mul_f64 v[144:145], v[140:141], v[34:35]
	v_fmac_f64_e32 v[144:145], v[142:143], v[32:33]
	v_mul_f64 v[106:107], v[150:151], v[106:107]
	v_add_f64 v[0:1], v[0:1], v[144:145]
	s_waitcnt vmcnt(14) lgkmcnt(0)
	v_mul_f64 v[144:145], v[136:137], v[38:39]
	v_fma_f64 v[246:247], v[148:149], v[104:105], -v[106:107]
	v_mul_f64 v[104:105], v[166:167], v[110:111]
	v_fmac_f64_e32 v[144:145], v[138:139], v[36:37]
	v_fma_f64 v[248:249], v[164:165], v[108:109], -v[104:105]
	scratch_load_dwordx4 v[104:107], off, off offset:928
	v_add_f64 v[0:1], v[0:1], v[144:145]
	ds_read_b128 v[144:147], v2 offset:1680
	ds_read_b128 v[148:151], v2 offset:1696
	v_mul_f64 v[108:109], v[178:179], v[114:115]
	v_fma_f64 v[250:251], v[176:177], v[112:113], -v[108:109]
	scratch_load_dwordx4 v[108:111], off, off offset:944
	s_waitcnt vmcnt(15) lgkmcnt(1)
	v_mul_f64 v[112:113], v[144:145], v[42:43]
	v_fmac_f64_e32 v[112:113], v[146:147], v[40:41]
	v_add_f64 v[0:1], v[0:1], v[112:113]
	v_mul_f64 v[112:113], v[190:191], v[154:155]
	v_fma_f64 v[232:233], v[188:189], v[152:153], -v[112:113]
	scratch_load_dwordx4 v[112:115], off, off offset:960
	ds_read_b128 v[152:155], v2 offset:1712
	s_waitcnt vmcnt(15) lgkmcnt(1)
	v_mul_f64 v[164:165], v[148:149], v[46:47]
	v_mul_f64 v[158:159], v[202:203], v[158:159]
	v_fmac_f64_e32 v[164:165], v[150:151], v[44:45]
	v_fma_f64 v[12:13], v[200:201], v[156:157], -v[158:159]
	ds_read_b128 v[156:159], v2 offset:1728
	s_waitcnt vmcnt(14) lgkmcnt(1)
	v_mul_f64 v[6:7], v[152:153], v[50:51]
	v_add_f64 v[0:1], v[0:1], v[164:165]
	v_fmac_f64_e32 v[6:7], v[154:155], v[48:49]
	v_accvgpr_write_b32 a133, v11
	v_add_f64 v[0:1], v[0:1], v[6:7]
	v_mul_f64 v[6:7], v[210:211], v[162:163]
	v_accvgpr_write_b32 a132, v10
	v_accvgpr_write_b32 a131, v9
	;; [unrolled: 1-line block ×3, first 2 shown]
	v_fma_f64 v[8:9], v[208:209], v[160:161], -v[6:7]
	ds_read_b128 v[160:163], v2 offset:1744
	ds_read_b128 v[164:167], v2 offset:1760
	s_waitcnt vmcnt(13) lgkmcnt(2)
	v_mul_f64 v[6:7], v[156:157], v[54:55]
	v_fmac_f64_e32 v[6:7], v[158:159], v[52:53]
	v_add_f64 v[0:1], v[0:1], v[6:7]
	s_waitcnt vmcnt(12) lgkmcnt(1)
	v_mul_f64 v[6:7], v[160:161], v[62:63]
	v_fmac_f64_e32 v[6:7], v[162:163], v[60:61]
	v_add_f64 v[0:1], v[0:1], v[6:7]
	v_mul_f64 v[6:7], v[214:215], v[170:171]
	v_fma_f64 v[10:11], v[212:213], v[168:169], -v[6:7]
	s_waitcnt vmcnt(11) lgkmcnt(0)
	v_mul_f64 v[6:7], v[164:165], v[58:59]
	v_fmac_f64_e32 v[6:7], v[166:167], v[56:57]
	ds_read_b128 v[168:171], v2 offset:1776
	v_add_f64 v[0:1], v[0:1], v[6:7]
	v_mul_f64 v[6:7], v[218:219], v[174:175]
	v_fma_f64 v[4:5], v[216:217], v[172:173], -v[6:7]
	ds_read_b128 v[172:175], v2 offset:1792
	s_waitcnt vmcnt(10) lgkmcnt(1)
	v_mul_f64 v[6:7], v[168:169], v[74:75]
	ds_read_b128 v[176:179], v2 offset:1808
	v_fmac_f64_e32 v[6:7], v[170:171], v[72:73]
	v_add_f64 v[0:1], v[0:1], v[6:7]
	s_waitcnt vmcnt(9) lgkmcnt(1)
	v_mul_f64 v[6:7], v[172:173], v[78:79]
	v_fmac_f64_e32 v[6:7], v[174:175], v[76:77]
	v_add_f64 v[0:1], v[0:1], v[6:7]
	v_mul_f64 v[6:7], v[222:223], v[182:183]
	v_fma_f64 v[14:15], v[220:221], v[180:181], -v[6:7]
	ds_read_b128 v[180:183], v2 offset:1824
	s_waitcnt vmcnt(8) lgkmcnt(1)
	v_mul_f64 v[6:7], v[176:177], v[82:83]
	v_fmac_f64_e32 v[6:7], v[178:179], v[80:81]
	v_add_f64 v[0:1], v[0:1], v[6:7]
	v_mul_f64 v[6:7], v[226:227], v[186:187]
	v_fma_f64 v[6:7], v[224:225], v[184:185], -v[6:7]
	ds_read_b128 v[184:187], v2 offset:1840
	s_waitcnt vmcnt(7) lgkmcnt(1)
	v_mul_f64 v[188:189], v[180:181], v[86:87]
	v_fmac_f64_e32 v[188:189], v[182:183], v[84:85]
	v_add_f64 v[0:1], v[0:1], v[188:189]
	ds_read_b128 v[188:191], v2 offset:1856
	s_waitcnt vmcnt(6) lgkmcnt(1)
	v_mul_f64 v[200:201], v[184:185], v[90:91]
	v_fmac_f64_e32 v[200:201], v[186:187], v[88:89]
	v_add_f64 v[200:201], v[0:1], v[200:201]
	v_mul_f64 v[0:1], v[230:231], v[194:195]
	v_fma_f64 v[0:1], v[228:229], v[192:193], -v[0:1]
	ds_read_b128 v[192:195], v2 offset:1872
	s_waitcnt vmcnt(5) lgkmcnt(1)
	v_mul_f64 v[202:203], v[188:189], v[94:95]
	v_fmac_f64_e32 v[202:203], v[190:191], v[92:93]
	v_mul_f64 v[198:199], v[240:241], v[198:199]
	v_fma_f64 v[238:239], v[238:239], v[196:197], -v[198:199]
	ds_read_b128 v[196:199], v2 offset:1888
	v_add_f64 v[200:201], v[200:201], v[202:203]
	s_waitcnt vmcnt(4) lgkmcnt(1)
	v_mul_f64 v[202:203], v[192:193], v[102:103]
	v_fmac_f64_e32 v[202:203], v[194:195], v[100:101]
	v_add_f64 v[208:209], v[200:201], v[202:203]
	ds_read_b128 v[200:203], v2 offset:1904
	v_mul_f64 v[206:207], v[254:255], v[206:207]
	v_fma_f64 v[240:241], v[252:253], v[204:205], -v[206:207]
	ds_read_b128 v[204:207], v2 offset:1920
	s_waitcnt vmcnt(3) lgkmcnt(2)
	v_mul_f64 v[210:211], v[196:197], v[98:99]
	v_fmac_f64_e32 v[210:211], v[198:199], v[96:97]
	v_add_f64 v[208:209], v[208:209], v[210:211]
	s_waitcnt vmcnt(2) lgkmcnt(1)
	v_mul_f64 v[210:211], v[200:201], v[106:107]
	v_fmac_f64_e32 v[210:211], v[202:203], v[104:105]
	v_add_f64 v[208:209], v[208:209], v[210:211]
	;; [unrolled: 4-line block ×3, first 2 shown]
	ds_read_b128 v[208:211], v2 offset:1936
	ds_read_b128 v[216:219], v2 offset:1952
	ds_read_b128 v[224:227], v2 offset:1968
	s_waitcnt vmcnt(0) lgkmcnt(2)
	v_mul_f64 v[214:215], v[208:209], v[114:115]
	v_fmac_f64_e32 v[214:215], v[210:211], v[112:113]
	v_add_f64 v[220:221], v[212:213], v[214:215]
	scratch_load_dwordx4 v[212:215], off, off offset:976
	s_waitcnt vmcnt(0) lgkmcnt(1)
	v_mul_f64 v[222:223], v[216:217], v[214:215]
	v_fmac_f64_e32 v[222:223], v[218:219], v[212:213]
	v_add_f64 v[228:229], v[220:221], v[222:223]
	scratch_load_dwordx4 v[220:223], off, off offset:992
	s_waitcnt vmcnt(0) lgkmcnt(0)
	v_mul_f64 v[230:231], v[224:225], v[222:223]
	v_fmac_f64_e32 v[230:231], v[226:227], v[220:221]
	v_add_f64 v[254:255], v[228:229], v[230:231]
	v_add_f64 v[228:229], v[242:243], 0
	;; [unrolled: 1-line block ×8, first 2 shown]
	scratch_load_dwordx4 v[228:231], off, off offset:304
	v_add_f64 v[8:9], v[12:13], v[8:9]
	v_add_f64 v[8:9], v[8:9], v[10:11]
	;; [unrolled: 1-line block ×5, first 2 shown]
	v_accvgpr_read_b32 v6, a126
	v_accvgpr_read_b32 v8, a128
	;; [unrolled: 1-line block ×3, first 2 shown]
	v_add_f64 v[0:1], v[4:5], v[0:1]
	v_accvgpr_read_b32 v7, a127
	v_mul_f64 v[4:5], v[70:71], v[8:9]
	v_add_f64 v[0:1], v[0:1], v[238:239]
	v_fma_f64 v[4:5], v[68:69], v[6:7], -v[4:5]
	v_accvgpr_read_b32 v6, a130
	v_add_f64 v[0:1], v[0:1], v[240:241]
	v_accvgpr_read_b32 v8, a132
	v_accvgpr_read_b32 v9, a133
	v_add_f64 v[0:1], v[0:1], v[4:5]
	v_accvgpr_read_b32 v7, a131
	v_mul_f64 v[4:5], v[66:67], v[8:9]
	v_fma_f64 v[4:5], v[64:65], v[6:7], -v[4:5]
	v_add_f64 v[0:1], v[0:1], v[4:5]
	v_mul_f64 v[4:5], v[118:119], v[236:237]
	v_fma_f64 v[4:5], v[116:117], v[234:235], -v[4:5]
	v_add_f64 v[0:1], v[0:1], v[4:5]
	;; [unrolled: 3-line block ×27, first 2 shown]
	s_waitcnt vmcnt(0)
	v_add_f64 v[4:5], v[228:229], -v[0:1]
	v_accvgpr_read_b32 v0, a124
	v_add_f64 v[6:7], v[230:231], -v[254:255]
	v_cmp_lt_u32_e32 vcc, 17, v0
	scratch_store_dwordx4 off, v[4:7], off offset:304
	s_and_saveexec_b64 s[0:1], vcc
	s_cbranch_execz .LBB61_363
; %bb.362:
	scratch_load_dwordx4 v[6:9], off, s70
	v_mov_b32_e32 v3, v2
	v_mov_b32_e32 v4, v2
	;; [unrolled: 1-line block ×3, first 2 shown]
	v_accvgpr_read_b32 v0, a125
	scratch_store_dwordx4 off, v[2:5], off offset:288
	s_waitcnt vmcnt(1)
	ds_write_b128 v0, v[6:9]
.LBB61_363:
	s_or_b64 exec, exec, s[0:1]
	s_waitcnt lgkmcnt(0)
	; wave barrier
	scratch_load_dwordx4 v[72:75], off, off offset:304
	scratch_load_dwordx4 v[76:79], off, off offset:320
	;; [unrolled: 1-line block ×17, first 2 shown]
	ds_read_b128 v[176:179], v2 offset:1280
	ds_read_b128 v[192:195], v2 offset:1296
	;; [unrolled: 1-line block ×3, first 2 shown]
	scratch_load_dwordx4 v[20:23], off, off offset:576
	ds_read_b128 v[236:239], v2 offset:1328
	ds_read_b128 v[232:235], v2 offset:1344
	;; [unrolled: 1-line block ×5, first 2 shown]
	scratch_load_dwordx4 v[168:171], off, off offset:592
	ds_read_b128 v[224:227], v2 offset:1408
	ds_read_b128 v[212:215], v2 offset:1424
	;; [unrolled: 1-line block ×3, first 2 shown]
	scratch_load_dwordx4 v[12:15], off, off offset:608
	ds_read_b128 v[216:219], v2 offset:1456
	ds_read_b128 v[204:207], v2 offset:1472
	;; [unrolled: 1-line block ×5, first 2 shown]
	scratch_load_dwordx4 v[28:31], off, off offset:624
	ds_read_b128 v[32:35], v2 offset:1536
	scratch_load_dwordx4 v[36:39], off, off offset:640
	scratch_load_dwordx4 v[40:43], off, off offset:656
	;; [unrolled: 1-line block ×9, first 2 shown]
	ds_read_b128 v[132:135], v2 offset:1552
	s_waitcnt lgkmcnt(2)
	v_accvgpr_write_b32 a133, v19
	v_accvgpr_write_b32 a132, v18
	;; [unrolled: 1-line block ×4, first 2 shown]
	ds_read_b128 v[172:175], v2 offset:1616
	s_waitcnt vmcnt(29)
	v_mul_f64 v[0:1], v[176:177], v[74:75]
	s_waitcnt vmcnt(28)
	v_mul_f64 v[136:137], v[192:193], v[78:79]
	v_fmac_f64_e32 v[0:1], v[178:179], v[72:73]
	s_waitcnt vmcnt(27)
	v_mul_f64 v[138:139], v[188:189], v[82:83]
	v_fmac_f64_e32 v[136:137], v[194:195], v[76:77]
	v_add_f64 v[0:1], v[0:1], 0
	s_waitcnt vmcnt(26)
	v_mul_f64 v[140:141], v[236:237], v[86:87]
	v_fmac_f64_e32 v[138:139], v[190:191], v[80:81]
	v_add_f64 v[0:1], v[0:1], v[136:137]
	;; [unrolled: 4-line block ×14, first 2 shown]
	v_fmac_f64_e32 v[164:165], v[18:19], v[4:5]
	v_add_f64 v[0:1], v[0:1], v[162:163]
	s_waitcnt vmcnt(13) lgkmcnt(2)
	v_mul_f64 v[140:141], v[32:33], v[26:27]
	scratch_load_dwordx4 v[136:139], off, off offset:784
	v_add_f64 v[0:1], v[0:1], v[164:165]
	v_fmac_f64_e32 v[140:141], v[34:35], v[24:25]
	v_add_f64 v[0:1], v[0:1], v[140:141]
	ds_read_b128 v[160:163], v2 offset:1568
	scratch_load_dwordx4 v[140:143], off, off offset:800
	ds_read_b128 v[164:167], v2 offset:1584
	s_waitcnt vmcnt(13)
	v_mov_b64_e32 v[16:17], v[168:169]
	v_mov_b64_e32 v[18:19], v[170:171]
	ds_read_b128 v[168:171], v2 offset:1600
	s_waitcnt lgkmcnt(4)
	v_mul_f64 v[144:145], v[132:133], v[22:23]
	v_fmac_f64_e32 v[144:145], v[134:135], v[20:21]
	s_waitcnt lgkmcnt(2)
	v_mul_f64 v[148:149], v[160:161], v[18:19]
	v_add_f64 v[0:1], v[0:1], v[144:145]
	v_fmac_f64_e32 v[148:149], v[162:163], v[16:17]
	s_waitcnt vmcnt(12) lgkmcnt(1)
	v_mul_f64 v[152:153], v[164:165], v[14:15]
	scratch_load_dwordx4 v[144:147], off, off offset:816
	v_add_f64 v[0:1], v[0:1], v[148:149]
	v_fmac_f64_e32 v[152:153], v[166:167], v[12:13]
	scratch_load_dwordx4 v[148:151], off, off offset:832
	v_add_f64 v[0:1], v[0:1], v[152:153]
	s_waitcnt vmcnt(13) lgkmcnt(0)
	v_mul_f64 v[152:153], v[168:169], v[30:31]
	v_fmac_f64_e32 v[152:153], v[170:171], v[28:29]
	v_add_f64 v[0:1], v[0:1], v[152:153]
	scratch_load_dwordx4 v[152:155], off, off offset:848
	s_waitcnt vmcnt(13)
	v_mul_f64 v[156:157], v[172:173], v[38:39]
	v_fmac_f64_e32 v[156:157], v[174:175], v[36:37]
	v_mul_f64 v[74:75], v[178:179], v[74:75]
	v_add_f64 v[0:1], v[0:1], v[156:157]
	scratch_load_dwordx4 v[156:159], off, off offset:864
	v_fma_f64 v[242:243], v[176:177], v[72:73], -v[74:75]
	v_mul_f64 v[72:73], v[194:195], v[78:79]
	ds_read_b128 v[180:183], v2 offset:1632
	ds_read_b128 v[176:179], v2 offset:1648
	v_fma_f64 v[244:245], v[192:193], v[76:77], -v[72:73]
	scratch_load_dwordx4 v[76:79], off, off offset:880
	scratch_load_dwordx4 v[72:75], off, off offset:896
	v_mul_f64 v[82:83], v[190:191], v[82:83]
	v_fma_f64 v[246:247], v[188:189], v[80:81], -v[82:83]
	v_mul_f64 v[80:81], v[238:239], v[86:87]
	v_fma_f64 v[236:237], v[236:237], v[84:85], -v[80:81]
	scratch_load_dwordx4 v[80:83], off, off offset:912
	ds_read_b128 v[188:191], v2 offset:1664
	v_mul_f64 v[84:85], v[234:235], v[90:91]
	s_waitcnt vmcnt(16) lgkmcnt(2)
	v_mul_f64 v[192:193], v[180:181], v[42:43]
	v_fma_f64 v[238:239], v[232:233], v[88:89], -v[84:85]
	scratch_load_dwordx4 v[84:87], off, off offset:928
	v_fmac_f64_e32 v[192:193], v[182:183], v[40:41]
	v_add_f64 v[0:1], v[0:1], v[192:193]
	s_waitcnt vmcnt(16) lgkmcnt(1)
	v_mul_f64 v[192:193], v[176:177], v[46:47]
	v_fmac_f64_e32 v[192:193], v[178:179], v[44:45]
	v_add_f64 v[0:1], v[0:1], v[192:193]
	ds_read_b128 v[192:195], v2 offset:1680
	s_waitcnt vmcnt(15) lgkmcnt(1)
	v_mul_f64 v[88:89], v[188:189], v[50:51]
	v_fmac_f64_e32 v[88:89], v[190:191], v[48:49]
	v_add_f64 v[0:1], v[0:1], v[88:89]
	v_mul_f64 v[88:89], v[230:231], v[94:95]
	v_fma_f64 v[248:249], v[228:229], v[92:93], -v[88:89]
	scratch_load_dwordx4 v[88:91], off, off offset:944
	scratch_load_dwordx4 v[232:235], off, off offset:992
	ds_read_b128 v[92:95], v2 offset:1696
	v_mul_f64 v[98:99], v[222:223], v[98:99]
	v_fma_f64 v[250:251], v[220:221], v[96:97], -v[98:99]
	ds_read_b128 v[96:99], v2 offset:1712
	v_mul_f64 v[102:103], v[210:211], v[102:103]
	s_waitcnt vmcnt(16) lgkmcnt(2)
	v_mul_f64 v[228:229], v[192:193], v[54:55]
	v_fma_f64 v[254:255], v[208:209], v[100:101], -v[102:103]
	ds_read_b128 v[100:103], v2 offset:1728
	ds_read_b128 v[208:211], v2 offset:1744
	v_fmac_f64_e32 v[228:229], v[194:195], v[52:53]
	s_waitcnt vmcnt(15) lgkmcnt(3)
	v_mul_f64 v[220:221], v[92:93], v[58:59]
	v_add_f64 v[0:1], v[0:1], v[228:229]
	v_fmac_f64_e32 v[220:221], v[94:95], v[56:57]
	v_mul_f64 v[106:107], v[226:227], v[106:107]
	v_add_f64 v[0:1], v[0:1], v[220:221]
	s_waitcnt vmcnt(14) lgkmcnt(2)
	v_mul_f64 v[220:221], v[96:97], v[62:63]
	v_fma_f64 v[240:241], v[224:225], v[104:105], -v[106:107]
	ds_read_b128 v[104:107], v2 offset:1760
	v_fmac_f64_e32 v[220:221], v[98:99], v[60:61]
	v_mul_f64 v[110:111], v[214:215], v[110:111]
	v_add_f64 v[0:1], v[0:1], v[220:221]
	s_waitcnt vmcnt(13) lgkmcnt(2)
	v_mul_f64 v[220:221], v[100:101], v[70:71]
	v_fma_f64 v[8:9], v[212:213], v[108:109], -v[110:111]
	ds_read_b128 v[108:111], v2 offset:1776
	v_fmac_f64_e32 v[220:221], v[102:103], v[68:69]
	v_accvgpr_write_b32 a129, v7
	v_add_f64 v[0:1], v[0:1], v[220:221]
	s_waitcnt vmcnt(12) lgkmcnt(2)
	v_mul_f64 v[220:221], v[208:209], v[66:67]
	v_accvgpr_write_b32 a128, v6
	v_accvgpr_write_b32 a127, v5
	;; [unrolled: 1-line block ×3, first 2 shown]
	v_fmac_f64_e32 v[220:221], v[210:211], v[64:65]
	s_waitcnt vmcnt(11) lgkmcnt(1)
	v_mul_f64 v[6:7], v[104:105], v[138:139]
	v_add_f64 v[0:1], v[0:1], v[220:221]
	v_fmac_f64_e32 v[6:7], v[106:107], v[136:137]
	v_add_f64 v[0:1], v[0:1], v[6:7]
	s_waitcnt vmcnt(10) lgkmcnt(0)
	v_mul_f64 v[6:7], v[108:109], v[142:143]
	v_fmac_f64_e32 v[6:7], v[110:111], v[140:141]
	ds_read_b128 v[212:215], v2 offset:1792
	v_add_f64 v[0:1], v[0:1], v[6:7]
	v_mul_f64 v[6:7], v[202:203], v[114:115]
	v_fma_f64 v[6:7], v[200:201], v[112:113], -v[6:7]
	ds_read_b128 v[112:115], v2 offset:1808
	v_mul_f64 v[118:119], v[218:219], v[118:119]
	v_fma_f64 v[4:5], v[216:217], v[116:117], -v[118:119]
	ds_read_b128 v[116:119], v2 offset:1824
	s_waitcnt vmcnt(9) lgkmcnt(2)
	v_mul_f64 v[200:201], v[212:213], v[146:147]
	v_fmac_f64_e32 v[200:201], v[214:215], v[144:145]
	s_waitcnt vmcnt(8) lgkmcnt(1)
	v_mul_f64 v[10:11], v[112:113], v[150:151]
	v_add_f64 v[0:1], v[0:1], v[200:201]
	v_fmac_f64_e32 v[10:11], v[114:115], v[148:149]
	v_add_f64 v[0:1], v[0:1], v[10:11]
	ds_read_b128 v[200:203], v2 offset:1840
	s_waitcnt vmcnt(7) lgkmcnt(1)
	v_mul_f64 v[10:11], v[116:117], v[154:155]
	v_fmac_f64_e32 v[10:11], v[118:119], v[152:153]
	v_add_f64 v[10:11], v[0:1], v[10:11]
	v_mul_f64 v[0:1], v[206:207], v[122:123]
	v_fma_f64 v[0:1], v[204:205], v[120:121], -v[0:1]
	ds_read_b128 v[120:123], v2 offset:1856
	v_mul_f64 v[126:127], v[198:199], v[126:127]
	v_fma_f64 v[124:125], v[196:197], v[124:125], -v[126:127]
	s_waitcnt vmcnt(6) lgkmcnt(1)
	v_mul_f64 v[204:205], v[200:201], v[158:159]
	v_accvgpr_write_b32 a135, v125
	v_fmac_f64_e32 v[204:205], v[202:203], v[156:157]
	v_accvgpr_write_b32 a134, v124
	ds_read_b128 v[124:127], v2 offset:1872
	s_waitcnt vmcnt(5) lgkmcnt(1)
	v_mul_f64 v[196:197], v[120:121], v[78:79]
	v_add_f64 v[10:11], v[10:11], v[204:205]
	v_fmac_f64_e32 v[196:197], v[122:123], v[76:77]
	v_add_f64 v[10:11], v[10:11], v[196:197]
	ds_read_b128 v[196:199], v2 offset:1888
	v_mul_f64 v[130:131], v[186:187], v[130:131]
	v_fma_f64 v[252:253], v[184:185], v[128:129], -v[130:131]
	ds_read_b128 v[128:131], v2 offset:1904
	s_waitcnt vmcnt(4) lgkmcnt(2)
	v_mul_f64 v[184:185], v[124:125], v[74:75]
	v_fmac_f64_e32 v[184:185], v[126:127], v[72:73]
	v_add_f64 v[10:11], v[10:11], v[184:185]
	s_waitcnt vmcnt(3) lgkmcnt(1)
	v_mul_f64 v[184:185], v[196:197], v[82:83]
	v_fmac_f64_e32 v[184:185], v[198:199], v[80:81]
	v_add_f64 v[10:11], v[10:11], v[184:185]
	;; [unrolled: 4-line block ×3, first 2 shown]
	ds_read_b128 v[184:187], v2 offset:1920
	ds_read_b128 v[216:219], v2 offset:1936
	;; [unrolled: 1-line block ×3, first 2 shown]
	s_waitcnt vmcnt(1) lgkmcnt(2)
	v_mul_f64 v[204:205], v[184:185], v[90:91]
	v_fmac_f64_e32 v[204:205], v[186:187], v[88:89]
	v_add_f64 v[10:11], v[10:11], v[204:205]
	scratch_load_dwordx4 v[204:207], off, off offset:960
	s_waitcnt vmcnt(0) lgkmcnt(1)
	v_mul_f64 v[220:221], v[216:217], v[206:207]
	v_fmac_f64_e32 v[220:221], v[218:219], v[204:205]
	v_add_f64 v[10:11], v[10:11], v[220:221]
	scratch_load_dwordx4 v[220:223], off, off offset:976
	s_waitcnt vmcnt(0) lgkmcnt(0)
	v_mul_f64 v[228:229], v[224:225], v[222:223]
	v_fmac_f64_e32 v[228:229], v[226:227], v[220:221]
	v_add_f64 v[10:11], v[10:11], v[228:229]
	ds_read_b128 v[228:231], v2 offset:1968
	s_waitcnt lgkmcnt(0)
	v_mul_f64 v[2:3], v[228:229], v[234:235]
	v_fmac_f64_e32 v[2:3], v[230:231], v[232:233]
	v_add_f64 v[2:3], v[10:11], v[2:3]
	v_add_f64 v[10:11], v[242:243], 0
	v_add_f64 v[10:11], v[10:11], v[244:245]
	v_add_f64 v[10:11], v[10:11], v[246:247]
	v_add_f64 v[10:11], v[10:11], v[236:237]
	v_add_f64 v[10:11], v[10:11], v[238:239]
	scratch_load_dwordx4 v[236:239], off, off offset:288
	v_add_f64 v[10:11], v[10:11], v[248:249]
	v_add_f64 v[10:11], v[10:11], v[250:251]
	;; [unrolled: 1-line block ×8, first 2 shown]
	v_accvgpr_read_b32 v0, a134
	v_accvgpr_read_b32 v6, a126
	;; [unrolled: 1-line block ×7, first 2 shown]
	v_add_f64 v[0:1], v[254:255], v[0:1]
	v_accvgpr_read_b32 v7, a127
	v_accvgpr_read_b32 v241, a131
	;; [unrolled: 1-line block ×3, first 2 shown]
	v_mul_f64 v[4:5], v[242:243], v[8:9]
	v_add_f64 v[0:1], v[0:1], v[252:253]
	v_fma_f64 v[4:5], v[240:241], v[6:7], -v[4:5]
	v_add_f64 v[0:1], v[0:1], v[4:5]
	v_mul_f64 v[4:5], v[34:35], v[26:27]
	v_fma_f64 v[4:5], v[32:33], v[24:25], -v[4:5]
	v_add_f64 v[0:1], v[0:1], v[4:5]
	v_mul_f64 v[4:5], v[134:135], v[22:23]
	;; [unrolled: 3-line block ×28, first 2 shown]
	v_fma_f64 v[4:5], v[228:229], v[232:233], -v[4:5]
	v_add_f64 v[0:1], v[0:1], v[4:5]
	s_waitcnt vmcnt(0)
	v_add_f64 v[4:5], v[236:237], -v[0:1]
	v_accvgpr_read_b32 v0, a124
	v_add_f64 v[6:7], v[238:239], -v[2:3]
	v_cmp_lt_u32_e32 vcc, 16, v0
	scratch_store_dwordx4 off, v[4:7], off offset:288
	s_and_saveexec_b64 s[0:1], vcc
	s_cbranch_execz .LBB61_365
; %bb.364:
	scratch_load_dwordx4 v[2:5], off, s69
	v_mov_b32_e32 v6, 0
	v_mov_b32_e32 v7, v6
	;; [unrolled: 1-line block ×4, first 2 shown]
	v_accvgpr_read_b32 v0, a125
	scratch_store_dwordx4 off, v[6:9], off offset:272
	s_waitcnt vmcnt(1)
	ds_write_b128 v0, v[2:5]
.LBB61_365:
	s_or_b64 exec, exec, s[0:1]
	s_waitcnt lgkmcnt(0)
	; wave barrier
	scratch_load_dwordx4 v[80:83], off, off offset:288
	scratch_load_dwordx4 v[84:87], off, off offset:304
	;; [unrolled: 1-line block ×29, first 2 shown]
	v_mov_b32_e32 v2, 0
	ds_read_b128 v[132:135], v2 offset:1264
	ds_read_b128 v[136:139], v2 offset:1280
	ds_read_b128 v[140:143], v2 offset:1296
	ds_read_b128 v[148:151], v2 offset:1312
	ds_read_b128 v[160:163], v2 offset:1328
	ds_read_b128 v[172:175], v2 offset:1344
	ds_read_b128 v[184:187], v2 offset:1360
	ds_read_b128 v[196:199], v2 offset:1376
	ds_read_b128 v[204:207], v2 offset:1392
	ds_read_b128 v[208:211], v2 offset:1408
	ds_read_b128 v[212:215], v2 offset:1424
	ds_read_b128 v[216:219], v2 offset:1440
	ds_read_b128 v[220:223], v2 offset:1456
	ds_read_b128 v[224:227], v2 offset:1472
	ds_read_b128 v[228:231], v2 offset:1488
	ds_read_b128 v[238:241], v2 offset:1504
	ds_read_b128 v[252:255], v2 offset:1520
	ds_read_b128 v[52:55], v2 offset:1536
	ds_read_b128 v[116:119], v2 offset:1584
	ds_read_b128 v[120:123], v2 offset:1600
	ds_read_b128 v[124:127], v2 offset:1616
	ds_read_b128 v[128:131], v2 offset:1632
	s_waitcnt vmcnt(28) lgkmcnt(14)
	v_mul_f64 v[0:1], v[132:133], v[82:83]
	s_waitcnt vmcnt(27)
	v_mul_f64 v[56:57], v[136:137], v[86:87]
	v_fmac_f64_e32 v[0:1], v[134:135], v[80:81]
	s_waitcnt vmcnt(26)
	v_mul_f64 v[58:59], v[140:141], v[90:91]
	v_fmac_f64_e32 v[56:57], v[138:139], v[84:85]
	v_add_f64 v[0:1], v[0:1], 0
	s_waitcnt vmcnt(25)
	v_mul_f64 v[60:61], v[148:149], v[94:95]
	v_fmac_f64_e32 v[58:59], v[142:143], v[88:89]
	v_add_f64 v[0:1], v[0:1], v[56:57]
	;; [unrolled: 4-line block ×6, first 2 shown]
	s_waitcnt vmcnt(20) lgkmcnt(13)
	v_mul_f64 v[70:71], v[204:205], v[154:155]
	v_fmac_f64_e32 v[68:69], v[198:199], v[144:145]
	v_add_f64 v[0:1], v[0:1], v[66:67]
	s_waitcnt vmcnt(19) lgkmcnt(12)
	v_mul_f64 v[72:73], v[208:209], v[158:159]
	v_fmac_f64_e32 v[70:71], v[206:207], v[152:153]
	v_add_f64 v[0:1], v[0:1], v[68:69]
	s_waitcnt vmcnt(18) lgkmcnt(11)
	v_mul_f64 v[74:75], v[212:213], v[166:167]
	v_fmac_f64_e32 v[72:73], v[210:211], v[156:157]
	v_add_f64 v[0:1], v[0:1], v[70:71]
	s_waitcnt vmcnt(17) lgkmcnt(10)
	v_mul_f64 v[76:77], v[216:217], v[170:171]
	v_fmac_f64_e32 v[74:75], v[214:215], v[164:165]
	v_add_f64 v[0:1], v[0:1], v[72:73]
	s_waitcnt vmcnt(16) lgkmcnt(9)
	v_mul_f64 v[78:79], v[220:221], v[178:179]
	v_fmac_f64_e32 v[76:77], v[218:219], v[168:169]
	v_add_f64 v[0:1], v[0:1], v[74:75]
	s_waitcnt vmcnt(15) lgkmcnt(8)
	v_mul_f64 v[108:109], v[224:225], v[182:183]
	v_fmac_f64_e32 v[78:79], v[222:223], v[176:177]
	v_add_f64 v[0:1], v[0:1], v[76:77]
	s_waitcnt vmcnt(14) lgkmcnt(7)
	v_mul_f64 v[110:111], v[228:229], v[190:191]
	v_fmac_f64_e32 v[108:109], v[226:227], v[180:181]
	v_add_f64 v[0:1], v[0:1], v[78:79]
	s_waitcnt vmcnt(13) lgkmcnt(6)
	v_mul_f64 v[112:113], v[238:239], v[194:195]
	v_fmac_f64_e32 v[110:111], v[230:231], v[188:189]
	v_add_f64 v[0:1], v[0:1], v[108:109]
	v_fmac_f64_e32 v[112:113], v[240:241], v[192:193]
	v_add_f64 v[0:1], v[0:1], v[110:111]
	s_waitcnt vmcnt(12) lgkmcnt(5)
	v_mul_f64 v[60:61], v[252:253], v[202:203]
	scratch_load_dwordx4 v[56:59], off, off offset:752
	ds_read_b128 v[108:111], v2 offset:1552
	v_add_f64 v[0:1], v[0:1], v[112:113]
	v_fmac_f64_e32 v[60:61], v[254:255], v[200:201]
	v_add_f64 v[0:1], v[0:1], v[60:61]
	s_waitcnt vmcnt(12) lgkmcnt(5)
	v_mul_f64 v[64:65], v[52:53], v[6:7]
	scratch_load_dwordx4 v[60:63], off, off offset:768
	v_accvgpr_write_b32 a129, v7
	v_fmac_f64_e32 v[64:65], v[54:55], v[4:5]
	v_accvgpr_write_b32 a128, v6
	v_accvgpr_write_b32 a127, v5
	;; [unrolled: 1-line block ×3, first 2 shown]
	ds_read_b128 v[112:115], v2 offset:1568
	s_waitcnt vmcnt(12)
	v_mov_b64_e32 v[4:5], v[8:9]
	v_mov_b64_e32 v[6:7], v[10:11]
	s_waitcnt lgkmcnt(1)
	v_mul_f64 v[68:69], v[108:109], v[6:7]
	v_fmac_f64_e32 v[68:69], v[110:111], v[4:5]
	s_waitcnt vmcnt(11)
	v_mov_b64_e32 v[4:5], v[12:13]
	v_add_f64 v[0:1], v[0:1], v[64:65]
	v_mov_b64_e32 v[6:7], v[14:15]
	scratch_load_dwordx4 v[64:67], off, off offset:784
	v_add_f64 v[0:1], v[0:1], v[68:69]
	s_waitcnt lgkmcnt(0)
	v_mul_f64 v[68:69], v[112:113], v[6:7]
	v_fmac_f64_e32 v[68:69], v[114:115], v[4:5]
	v_add_f64 v[0:1], v[0:1], v[68:69]
	scratch_load_dwordx4 v[68:71], off, off offset:800
	s_waitcnt vmcnt(12)
	v_mul_f64 v[76:77], v[116:117], v[236:237]
	scratch_load_dwordx4 v[72:75], off, off offset:816
	v_fmac_f64_e32 v[76:77], v[118:119], v[234:235]
	v_add_f64 v[0:1], v[0:1], v[76:77]
	s_waitcnt vmcnt(12)
	v_mul_f64 v[76:77], v[120:121], v[22:23]
	v_fmac_f64_e32 v[76:77], v[122:123], v[20:21]
	v_add_f64 v[0:1], v[0:1], v[76:77]
	scratch_load_dwordx4 v[76:79], off, off offset:832
	v_mul_f64 v[82:83], v[134:135], v[82:83]
	v_fma_f64 v[242:243], v[132:133], v[80:81], -v[82:83]
	scratch_load_dwordx4 v[80:83], off, off offset:848
	v_mul_f64 v[86:87], v[138:139], v[86:87]
	v_fma_f64 v[244:245], v[136:137], v[84:85], -v[86:87]
	scratch_load_dwordx4 v[84:87], off, off offset:864
	v_mul_f64 v[90:91], v[142:143], v[90:91]
	s_waitcnt vmcnt(14)
	v_mul_f64 v[132:133], v[124:125], v[26:27]
	v_fma_f64 v[246:247], v[140:141], v[88:89], -v[90:91]
	scratch_load_dwordx4 v[88:91], off, off offset:880
	v_fmac_f64_e32 v[132:133], v[126:127], v[24:25]
	s_waitcnt vmcnt(14)
	v_mul_f64 v[136:137], v[128:129], v[30:31]
	v_mul_f64 v[94:95], v[150:151], v[94:95]
	v_add_f64 v[0:1], v[0:1], v[132:133]
	v_fmac_f64_e32 v[136:137], v[130:131], v[28:29]
	v_fma_f64 v[248:249], v[148:149], v[92:93], -v[94:95]
	v_mul_f64 v[92:93], v[162:163], v[98:99]
	ds_read_b128 v[132:135], v2 offset:1648
	v_add_f64 v[0:1], v[0:1], v[136:137]
	ds_read_b128 v[136:139], v2 offset:1664
	v_fma_f64 v[250:251], v[160:161], v[96:97], -v[92:93]
	scratch_load_dwordx4 v[96:99], off, off offset:896
	scratch_load_dwordx4 v[92:95], off, off offset:912
	v_mul_f64 v[102:103], v[174:175], v[102:103]
	v_fma_f64 v[232:233], v[172:173], v[100:101], -v[102:103]
	scratch_load_dwordx4 v[100:103], off, off offset:928
	v_mul_f64 v[106:107], v[186:187], v[106:107]
	v_fma_f64 v[16:17], v[184:185], v[104:105], -v[106:107]
	scratch_load_dwordx4 v[104:107], off, off offset:944
	s_waitcnt vmcnt(17) lgkmcnt(1)
	v_mul_f64 v[140:141], v[132:133], v[34:35]
	v_fmac_f64_e32 v[140:141], v[134:135], v[32:33]
	v_add_f64 v[0:1], v[0:1], v[140:141]
	ds_read_b128 v[140:143], v2 offset:1680
	v_accvgpr_write_b32 a137, v15
	v_mul_f64 v[6:7], v[198:199], v[146:147]
	v_accvgpr_write_b32 a136, v14
	v_accvgpr_write_b32 a135, v13
	;; [unrolled: 1-line block ×3, first 2 shown]
	v_fma_f64 v[12:13], v[196:197], v[144:145], -v[6:7]
	ds_read_b128 v[144:147], v2 offset:1696
	s_waitcnt vmcnt(16) lgkmcnt(2)
	v_mul_f64 v[148:149], v[136:137], v[38:39]
	v_fmac_f64_e32 v[148:149], v[138:139], v[36:37]
	v_add_f64 v[0:1], v[0:1], v[148:149]
	s_waitcnt vmcnt(15) lgkmcnt(1)
	v_mul_f64 v[6:7], v[140:141], v[42:43]
	ds_read_b128 v[148:151], v2 offset:1712
	v_fmac_f64_e32 v[6:7], v[142:143], v[40:41]
	v_add_f64 v[0:1], v[0:1], v[6:7]
	s_waitcnt vmcnt(14) lgkmcnt(1)
	v_mul_f64 v[6:7], v[144:145], v[46:47]
	v_fmac_f64_e32 v[6:7], v[146:147], v[44:45]
	v_accvgpr_write_b32 a133, v11
	v_add_f64 v[0:1], v[0:1], v[6:7]
	v_mul_f64 v[6:7], v[206:207], v[154:155]
	v_accvgpr_write_b32 a132, v10
	v_accvgpr_write_b32 a131, v9
	;; [unrolled: 1-line block ×3, first 2 shown]
	v_fma_f64 v[10:11], v[204:205], v[152:153], -v[6:7]
	ds_read_b128 v[152:155], v2 offset:1728
	s_waitcnt vmcnt(13) lgkmcnt(1)
	v_mul_f64 v[6:7], v[148:149], v[50:51]
	v_fmac_f64_e32 v[6:7], v[150:151], v[48:49]
	v_add_f64 v[0:1], v[0:1], v[6:7]
	v_mul_f64 v[6:7], v[210:211], v[158:159]
	v_fma_f64 v[8:9], v[208:209], v[156:157], -v[6:7]
	ds_read_b128 v[156:159], v2 offset:1744
	ds_read_b128 v[160:163], v2 offset:1760
	s_waitcnt vmcnt(12) lgkmcnt(2)
	v_mul_f64 v[6:7], v[152:153], v[58:59]
	v_fmac_f64_e32 v[6:7], v[154:155], v[56:57]
	v_add_f64 v[0:1], v[0:1], v[6:7]
	s_waitcnt vmcnt(11) lgkmcnt(1)
	v_mul_f64 v[6:7], v[156:157], v[62:63]
	v_fmac_f64_e32 v[6:7], v[158:159], v[60:61]
	v_add_f64 v[0:1], v[0:1], v[6:7]
	v_mul_f64 v[6:7], v[214:215], v[166:167]
	v_fma_f64 v[14:15], v[212:213], v[164:165], -v[6:7]
	ds_read_b128 v[164:167], v2 offset:1776
	v_mul_f64 v[170:171], v[218:219], v[170:171]
	v_fma_f64 v[4:5], v[216:217], v[168:169], -v[170:171]
	ds_read_b128 v[168:171], v2 offset:1792
	s_waitcnt vmcnt(10) lgkmcnt(2)
	v_mul_f64 v[6:7], v[160:161], v[66:67]
	v_fmac_f64_e32 v[6:7], v[162:163], v[64:65]
	v_add_f64 v[0:1], v[0:1], v[6:7]
	s_waitcnt vmcnt(9) lgkmcnt(1)
	v_mul_f64 v[6:7], v[164:165], v[70:71]
	ds_read_b128 v[172:175], v2 offset:1808
	v_fmac_f64_e32 v[6:7], v[166:167], v[68:69]
	v_add_f64 v[0:1], v[0:1], v[6:7]
	s_waitcnt vmcnt(8) lgkmcnt(1)
	v_mul_f64 v[6:7], v[168:169], v[74:75]
	v_fmac_f64_e32 v[6:7], v[170:171], v[72:73]
	v_add_f64 v[0:1], v[0:1], v[6:7]
	v_mul_f64 v[6:7], v[222:223], v[178:179]
	v_fma_f64 v[18:19], v[220:221], v[176:177], -v[6:7]
	ds_read_b128 v[176:179], v2 offset:1824
	s_waitcnt vmcnt(7) lgkmcnt(1)
	v_mul_f64 v[6:7], v[172:173], v[78:79]
	v_fmac_f64_e32 v[6:7], v[174:175], v[76:77]
	v_add_f64 v[0:1], v[0:1], v[6:7]
	v_mul_f64 v[6:7], v[226:227], v[182:183]
	v_fma_f64 v[6:7], v[224:225], v[180:181], -v[6:7]
	ds_read_b128 v[180:183], v2 offset:1840
	s_waitcnt vmcnt(6) lgkmcnt(1)
	v_mul_f64 v[184:185], v[176:177], v[82:83]
	v_fmac_f64_e32 v[184:185], v[178:179], v[80:81]
	v_add_f64 v[0:1], v[0:1], v[184:185]
	ds_read_b128 v[184:187], v2 offset:1856
	s_waitcnt vmcnt(5) lgkmcnt(1)
	v_mul_f64 v[196:197], v[180:181], v[86:87]
	v_fmac_f64_e32 v[196:197], v[182:183], v[84:85]
	v_add_f64 v[196:197], v[0:1], v[196:197]
	v_mul_f64 v[0:1], v[230:231], v[190:191]
	v_fma_f64 v[0:1], v[228:229], v[188:189], -v[0:1]
	ds_read_b128 v[188:191], v2 offset:1872
	s_waitcnt vmcnt(4) lgkmcnt(1)
	v_mul_f64 v[198:199], v[184:185], v[90:91]
	v_fmac_f64_e32 v[198:199], v[186:187], v[88:89]
	v_mul_f64 v[194:195], v[240:241], v[194:195]
	v_fma_f64 v[238:239], v[238:239], v[192:193], -v[194:195]
	ds_read_b128 v[192:195], v2 offset:1888
	v_add_f64 v[196:197], v[196:197], v[198:199]
	s_waitcnt vmcnt(3) lgkmcnt(1)
	v_mul_f64 v[198:199], v[188:189], v[98:99]
	v_fmac_f64_e32 v[198:199], v[190:191], v[96:97]
	v_add_f64 v[204:205], v[196:197], v[198:199]
	ds_read_b128 v[196:199], v2 offset:1904
	v_mul_f64 v[202:203], v[254:255], v[202:203]
	v_fma_f64 v[240:241], v[252:253], v[200:201], -v[202:203]
	ds_read_b128 v[200:203], v2 offset:1920
	s_waitcnt vmcnt(2) lgkmcnt(2)
	v_mul_f64 v[206:207], v[192:193], v[94:95]
	v_fmac_f64_e32 v[206:207], v[194:195], v[92:93]
	v_add_f64 v[204:205], v[204:205], v[206:207]
	s_waitcnt vmcnt(1) lgkmcnt(1)
	v_mul_f64 v[206:207], v[196:197], v[102:103]
	v_fmac_f64_e32 v[206:207], v[198:199], v[100:101]
	v_add_f64 v[204:205], v[204:205], v[206:207]
	;; [unrolled: 4-line block ×3, first 2 shown]
	scratch_load_dwordx4 v[204:207], off, off offset:960
	ds_read_b128 v[208:211], v2 offset:1936
	ds_read_b128 v[216:219], v2 offset:1952
	;; [unrolled: 1-line block ×3, first 2 shown]
	s_waitcnt vmcnt(0) lgkmcnt(2)
	v_mul_f64 v[214:215], v[208:209], v[206:207]
	v_fmac_f64_e32 v[214:215], v[210:211], v[204:205]
	v_add_f64 v[220:221], v[212:213], v[214:215]
	scratch_load_dwordx4 v[212:215], off, off offset:976
	s_waitcnt vmcnt(0) lgkmcnt(1)
	v_mul_f64 v[222:223], v[216:217], v[214:215]
	v_fmac_f64_e32 v[222:223], v[218:219], v[212:213]
	v_add_f64 v[228:229], v[220:221], v[222:223]
	scratch_load_dwordx4 v[220:223], off, off offset:992
	s_waitcnt vmcnt(0) lgkmcnt(0)
	v_mul_f64 v[230:231], v[224:225], v[222:223]
	v_fmac_f64_e32 v[230:231], v[226:227], v[220:221]
	v_add_f64 v[254:255], v[228:229], v[230:231]
	v_add_f64 v[228:229], v[242:243], 0
	;; [unrolled: 1-line block ×8, first 2 shown]
	scratch_load_dwordx4 v[228:231], off, off offset:272
	v_add_f64 v[12:13], v[16:17], v[12:13]
	v_add_f64 v[10:11], v[12:13], v[10:11]
	;; [unrolled: 1-line block ×7, first 2 shown]
	v_accvgpr_read_b32 v6, a126
	v_accvgpr_read_b32 v8, a128
	;; [unrolled: 1-line block ×3, first 2 shown]
	v_add_f64 v[0:1], v[4:5], v[0:1]
	v_accvgpr_read_b32 v7, a127
	v_mul_f64 v[4:5], v[54:55], v[8:9]
	v_add_f64 v[0:1], v[0:1], v[238:239]
	v_fma_f64 v[4:5], v[52:53], v[6:7], -v[4:5]
	v_accvgpr_read_b32 v6, a130
	v_add_f64 v[0:1], v[0:1], v[240:241]
	v_accvgpr_read_b32 v8, a132
	v_accvgpr_read_b32 v9, a133
	v_add_f64 v[0:1], v[0:1], v[4:5]
	v_accvgpr_read_b32 v7, a131
	v_mul_f64 v[4:5], v[110:111], v[8:9]
	v_fma_f64 v[4:5], v[108:109], v[6:7], -v[4:5]
	v_accvgpr_read_b32 v6, a134
	v_accvgpr_read_b32 v8, a136
	;; [unrolled: 1-line block ×3, first 2 shown]
	v_add_f64 v[0:1], v[0:1], v[4:5]
	v_accvgpr_read_b32 v7, a135
	v_mul_f64 v[4:5], v[114:115], v[8:9]
	v_fma_f64 v[4:5], v[112:113], v[6:7], -v[4:5]
	v_add_f64 v[0:1], v[0:1], v[4:5]
	v_mul_f64 v[4:5], v[118:119], v[236:237]
	v_fma_f64 v[4:5], v[116:117], v[234:235], -v[4:5]
	v_add_f64 v[0:1], v[0:1], v[4:5]
	;; [unrolled: 3-line block ×26, first 2 shown]
	s_waitcnt vmcnt(0)
	v_add_f64 v[4:5], v[228:229], -v[0:1]
	v_accvgpr_read_b32 v0, a124
	v_add_f64 v[6:7], v[230:231], -v[254:255]
	v_cmp_lt_u32_e32 vcc, 15, v0
	scratch_store_dwordx4 off, v[4:7], off offset:272
	s_and_saveexec_b64 s[0:1], vcc
	s_cbranch_execz .LBB61_367
; %bb.366:
	scratch_load_dwordx4 v[6:9], off, s68
	v_mov_b32_e32 v3, v2
	v_mov_b32_e32 v4, v2
	;; [unrolled: 1-line block ×3, first 2 shown]
	v_accvgpr_read_b32 v0, a125
	scratch_store_dwordx4 off, v[2:5], off offset:256
	s_waitcnt vmcnt(1)
	ds_write_b128 v0, v[6:9]
.LBB61_367:
	s_or_b64 exec, exec, s[0:1]
	s_waitcnt lgkmcnt(0)
	; wave barrier
	scratch_load_dwordx4 v[80:83], off, off offset:272
	scratch_load_dwordx4 v[84:87], off, off offset:288
	;; [unrolled: 1-line block ×17, first 2 shown]
	ds_read_b128 v[136:139], v2 offset:1248
	ds_read_b128 v[132:135], v2 offset:1264
	scratch_load_dwordx4 v[4:7], off, off offset:544
	ds_read_b128 v[236:239], v2 offset:1280
	ds_read_b128 v[228:231], v2 offset:1296
	;; [unrolled: 1-line block ×5, first 2 shown]
	scratch_load_dwordx4 v[8:11], off, off offset:560
	ds_read_b128 v[232:235], v2 offset:1360
	ds_read_b128 v[216:219], v2 offset:1376
	ds_read_b128 v[160:163], v2 offset:1392
	scratch_load_dwordx4 v[12:15], off, off offset:576
	ds_read_b128 v[220:223], v2 offset:1408
	ds_read_b128 v[172:175], v2 offset:1424
	;; [unrolled: 1-line block ×5, first 2 shown]
	scratch_load_dwordx4 v[16:19], off, off offset:592
	ds_read_b128 v[208:211], v2 offset:1488
	ds_read_b128 v[204:207], v2 offset:1504
	;; [unrolled: 1-line block ×3, first 2 shown]
	scratch_load_dwordx4 v[24:27], off, off offset:608
	scratch_load_dwordx4 v[28:31], off, off offset:624
	;; [unrolled: 1-line block ×8, first 2 shown]
	ds_read_b128 v[116:119], v2 offset:1568
	ds_read_b128 v[120:123], v2 offset:1584
	;; [unrolled: 1-line block ×4, first 2 shown]
	s_waitcnt vmcnt(28) lgkmcnt(14)
	v_mul_f64 v[0:1], v[136:137], v[82:83]
	s_waitcnt vmcnt(27)
	v_mul_f64 v[56:57], v[132:133], v[86:87]
	v_fmac_f64_e32 v[0:1], v[138:139], v[80:81]
	s_waitcnt vmcnt(26)
	v_mul_f64 v[58:59], v[236:237], v[90:91]
	v_fmac_f64_e32 v[56:57], v[134:135], v[84:85]
	v_add_f64 v[0:1], v[0:1], 0
	s_waitcnt vmcnt(25)
	v_mul_f64 v[60:61], v[228:229], v[94:95]
	v_fmac_f64_e32 v[58:59], v[238:239], v[88:89]
	v_add_f64 v[0:1], v[0:1], v[56:57]
	;; [unrolled: 4-line block ×6, first 2 shown]
	s_waitcnt vmcnt(20) lgkmcnt(13)
	v_mul_f64 v[70:71], v[216:217], v[154:155]
	v_fmac_f64_e32 v[68:69], v[234:235], v[144:145]
	v_add_f64 v[0:1], v[0:1], v[66:67]
	s_waitcnt vmcnt(19) lgkmcnt(12)
	v_mul_f64 v[72:73], v[160:161], v[158:159]
	v_fmac_f64_e32 v[70:71], v[218:219], v[152:153]
	v_add_f64 v[0:1], v[0:1], v[68:69]
	;; [unrolled: 4-line block ×7, first 2 shown]
	v_fmac_f64_e32 v[110:111], v[198:199], v[188:189]
	v_add_f64 v[0:1], v[0:1], v[108:109]
	s_waitcnt vmcnt(13) lgkmcnt(6)
	v_mul_f64 v[112:113], v[208:209], v[194:195]
	v_add_f64 v[0:1], v[0:1], v[110:111]
	scratch_load_dwordx4 v[56:59], off, off offset:736
	scratch_load_dwordx4 v[60:63], off, off offset:752
	ds_read_b128 v[108:111], v2 offset:1536
	s_waitcnt vmcnt(14) lgkmcnt(6)
	v_mul_f64 v[114:115], v[204:205], v[202:203]
	v_fmac_f64_e32 v[112:113], v[210:211], v[192:193]
	v_add_f64 v[0:1], v[0:1], v[112:113]
	v_fmac_f64_e32 v[114:115], v[206:207], v[200:201]
	s_waitcnt vmcnt(13) lgkmcnt(5)
	v_mul_f64 v[64:65], v[20:21], v[6:7]
	v_accvgpr_write_b32 a129, v7
	v_add_f64 v[0:1], v[0:1], v[114:115]
	v_fmac_f64_e32 v[64:65], v[22:23], v[4:5]
	v_accvgpr_write_b32 a128, v6
	v_accvgpr_write_b32 a127, v5
	;; [unrolled: 1-line block ×3, first 2 shown]
	ds_read_b128 v[112:115], v2 offset:1552
	s_waitcnt vmcnt(12)
	v_mov_b64_e32 v[4:5], v[8:9]
	v_mov_b64_e32 v[6:7], v[10:11]
	s_waitcnt lgkmcnt(1)
	v_mul_f64 v[68:69], v[108:109], v[6:7]
	v_fmac_f64_e32 v[68:69], v[110:111], v[4:5]
	s_waitcnt vmcnt(11)
	v_mov_b64_e32 v[4:5], v[12:13]
	v_add_f64 v[0:1], v[0:1], v[64:65]
	v_mov_b64_e32 v[6:7], v[14:15]
	v_add_f64 v[0:1], v[0:1], v[68:69]
	s_waitcnt lgkmcnt(0)
	v_mul_f64 v[68:69], v[112:113], v[6:7]
	scratch_load_dwordx4 v[64:67], off, off offset:768
	v_fmac_f64_e32 v[68:69], v[114:115], v[4:5]
	v_add_f64 v[0:1], v[0:1], v[68:69]
	scratch_load_dwordx4 v[68:71], off, off offset:784
	scratch_load_dwordx4 v[72:75], off, off offset:800
	s_waitcnt vmcnt(13)
	v_mul_f64 v[76:77], v[116:117], v[18:19]
	v_fmac_f64_e32 v[76:77], v[118:119], v[16:17]
	v_add_f64 v[0:1], v[0:1], v[76:77]
	s_waitcnt vmcnt(12)
	v_mul_f64 v[76:77], v[120:121], v[26:27]
	v_fmac_f64_e32 v[76:77], v[122:123], v[24:25]
	v_add_f64 v[0:1], v[0:1], v[76:77]
	scratch_load_dwordx4 v[76:79], off, off offset:816
	v_mul_f64 v[82:83], v[138:139], v[82:83]
	v_fma_f64 v[242:243], v[136:137], v[80:81], -v[82:83]
	scratch_load_dwordx4 v[80:83], off, off offset:832
	v_mul_f64 v[86:87], v[134:135], v[86:87]
	v_fma_f64 v[244:245], v[132:133], v[84:85], -v[86:87]
	scratch_load_dwordx4 v[84:87], off, off offset:848
	s_waitcnt vmcnt(14)
	v_mul_f64 v[136:137], v[124:125], v[30:31]
	v_mul_f64 v[90:91], v[238:239], v[90:91]
	v_fmac_f64_e32 v[136:137], v[126:127], v[28:29]
	v_fma_f64 v[236:237], v[236:237], v[88:89], -v[90:91]
	scratch_load_dwordx4 v[88:91], off, off offset:864
	v_add_f64 v[0:1], v[0:1], v[136:137]
	s_waitcnt vmcnt(14)
	v_mul_f64 v[136:137], v[128:129], v[34:35]
	v_mul_f64 v[94:95], v[230:231], v[94:95]
	v_fmac_f64_e32 v[136:137], v[130:131], v[32:33]
	v_fma_f64 v[238:239], v[228:229], v[92:93], -v[94:95]
	v_mul_f64 v[92:93], v[226:227], v[98:99]
	ds_read_b128 v[132:135], v2 offset:1632
	v_add_f64 v[0:1], v[0:1], v[136:137]
	ds_read_b128 v[136:139], v2 offset:1648
	v_fma_f64 v[246:247], v[224:225], v[96:97], -v[92:93]
	scratch_load_dwordx4 v[96:99], off, off offset:880
	scratch_load_dwordx4 v[92:95], off, off offset:896
	v_mul_f64 v[102:103], v[150:151], v[102:103]
	v_fma_f64 v[248:249], v[148:149], v[100:101], -v[102:103]
	scratch_load_dwordx4 v[100:103], off, off offset:912
	v_mul_f64 v[106:107], v[142:143], v[106:107]
	v_fma_f64 v[250:251], v[140:141], v[104:105], -v[106:107]
	v_mul_f64 v[104:105], v[234:235], v[146:147]
	v_fma_f64 v[254:255], v[232:233], v[144:145], -v[104:105]
	scratch_load_dwordx4 v[104:107], off, off offset:928
	ds_read_b128 v[140:143], v2 offset:1664
	ds_read_b128 v[144:147], v2 offset:1680
	s_waitcnt vmcnt(17) lgkmcnt(3)
	v_mul_f64 v[228:229], v[132:133], v[38:39]
	v_fmac_f64_e32 v[228:229], v[134:135], v[36:37]
	s_waitcnt vmcnt(16) lgkmcnt(2)
	v_mul_f64 v[224:225], v[136:137], v[42:43]
	v_add_f64 v[0:1], v[0:1], v[228:229]
	v_fmac_f64_e32 v[224:225], v[138:139], v[40:41]
	s_waitcnt vmcnt(15) lgkmcnt(1)
	v_mul_f64 v[148:149], v[140:141], v[46:47]
	v_add_f64 v[0:1], v[0:1], v[224:225]
	v_fmac_f64_e32 v[148:149], v[142:143], v[44:45]
	v_add_f64 v[0:1], v[0:1], v[148:149]
	ds_read_b128 v[148:151], v2 offset:1696
	v_mul_f64 v[154:155], v[218:219], v[154:155]
	v_fma_f64 v[240:241], v[216:217], v[152:153], -v[154:155]
	ds_read_b128 v[152:155], v2 offset:1712
	v_accvgpr_write_b32 a137, v15
	v_mul_f64 v[158:159], v[162:163], v[158:159]
	v_accvgpr_write_b32 a136, v14
	v_accvgpr_write_b32 a135, v13
	;; [unrolled: 1-line block ×3, first 2 shown]
	v_fma_f64 v[12:13], v[160:161], v[156:157], -v[158:159]
	ds_read_b128 v[156:159], v2 offset:1728
	ds_read_b128 v[160:163], v2 offset:1744
	s_waitcnt vmcnt(14) lgkmcnt(4)
	v_mul_f64 v[224:225], v[144:145], v[50:51]
	v_fmac_f64_e32 v[224:225], v[146:147], v[48:49]
	s_waitcnt vmcnt(13) lgkmcnt(3)
	v_mul_f64 v[216:217], v[148:149], v[54:55]
	v_add_f64 v[0:1], v[0:1], v[224:225]
	v_fmac_f64_e32 v[216:217], v[150:151], v[52:53]
	s_waitcnt vmcnt(12) lgkmcnt(2)
	v_mul_f64 v[6:7], v[152:153], v[58:59]
	v_add_f64 v[0:1], v[0:1], v[216:217]
	v_fmac_f64_e32 v[6:7], v[154:155], v[56:57]
	v_add_f64 v[0:1], v[0:1], v[6:7]
	s_waitcnt vmcnt(11) lgkmcnt(1)
	v_mul_f64 v[6:7], v[156:157], v[62:63]
	v_fmac_f64_e32 v[6:7], v[158:159], v[60:61]
	v_accvgpr_write_b32 a133, v11
	v_add_f64 v[0:1], v[0:1], v[6:7]
	v_mul_f64 v[6:7], v[222:223], v[166:167]
	v_accvgpr_write_b32 a132, v10
	v_accvgpr_write_b32 a131, v9
	;; [unrolled: 1-line block ×3, first 2 shown]
	v_fma_f64 v[8:9], v[220:221], v[164:165], -v[6:7]
	ds_read_b128 v[164:167], v2 offset:1760
	v_mul_f64 v[170:171], v[174:175], v[170:171]
	v_fma_f64 v[6:7], v[172:173], v[168:169], -v[170:171]
	ds_read_b128 v[168:171], v2 offset:1776
	s_waitcnt vmcnt(10) lgkmcnt(2)
	v_mul_f64 v[216:217], v[160:161], v[66:67]
	v_fmac_f64_e32 v[216:217], v[162:163], v[64:65]
	s_waitcnt vmcnt(9) lgkmcnt(1)
	v_mul_f64 v[10:11], v[164:165], v[70:71]
	v_add_f64 v[0:1], v[0:1], v[216:217]
	v_fmac_f64_e32 v[10:11], v[166:167], v[68:69]
	v_add_f64 v[0:1], v[0:1], v[10:11]
	s_waitcnt vmcnt(8) lgkmcnt(0)
	v_mul_f64 v[10:11], v[168:169], v[74:75]
	v_fmac_f64_e32 v[10:11], v[170:171], v[72:73]
	ds_read_b128 v[172:175], v2 offset:1792
	v_add_f64 v[0:1], v[0:1], v[10:11]
	v_mul_f64 v[10:11], v[214:215], v[178:179]
	v_fma_f64 v[10:11], v[212:213], v[176:177], -v[10:11]
	ds_read_b128 v[176:179], v2 offset:1808
	v_mul_f64 v[182:183], v[186:187], v[182:183]
	v_fma_f64 v[4:5], v[184:185], v[180:181], -v[182:183]
	ds_read_b128 v[180:183], v2 offset:1824
	ds_read_b128 v[184:187], v2 offset:1840
	s_waitcnt vmcnt(7) lgkmcnt(3)
	v_mul_f64 v[212:213], v[172:173], v[78:79]
	v_fmac_f64_e32 v[212:213], v[174:175], v[76:77]
	s_waitcnt vmcnt(6) lgkmcnt(2)
	v_mul_f64 v[14:15], v[176:177], v[82:83]
	v_add_f64 v[0:1], v[0:1], v[212:213]
	v_fmac_f64_e32 v[14:15], v[178:179], v[80:81]
	v_add_f64 v[0:1], v[0:1], v[14:15]
	s_waitcnt vmcnt(5) lgkmcnt(1)
	v_mul_f64 v[14:15], v[180:181], v[86:87]
	v_fmac_f64_e32 v[14:15], v[182:183], v[84:85]
	v_add_f64 v[14:15], v[0:1], v[14:15]
	v_mul_f64 v[0:1], v[198:199], v[190:191]
	v_fma_f64 v[0:1], v[196:197], v[188:189], -v[0:1]
	ds_read_b128 v[188:191], v2 offset:1856
	v_mul_f64 v[194:195], v[210:211], v[194:195]
	s_waitcnt vmcnt(4) lgkmcnt(1)
	v_mul_f64 v[196:197], v[184:185], v[90:91]
	v_fma_f64 v[192:193], v[208:209], v[192:193], -v[194:195]
	v_fmac_f64_e32 v[196:197], v[186:187], v[88:89]
	v_accvgpr_write_b32 a138, v192
	v_accvgpr_write_b32 a139, v193
	ds_read_b128 v[192:195], v2 offset:1872
	v_add_f64 v[14:15], v[14:15], v[196:197]
	s_waitcnt vmcnt(3) lgkmcnt(1)
	v_mul_f64 v[196:197], v[188:189], v[98:99]
	v_fmac_f64_e32 v[196:197], v[190:191], v[96:97]
	v_add_f64 v[14:15], v[14:15], v[196:197]
	ds_read_b128 v[196:199], v2 offset:1888
	v_mul_f64 v[202:203], v[206:207], v[202:203]
	v_fma_f64 v[252:253], v[204:205], v[200:201], -v[202:203]
	ds_read_b128 v[200:203], v2 offset:1904
	s_waitcnt vmcnt(2) lgkmcnt(2)
	v_mul_f64 v[204:205], v[192:193], v[94:95]
	v_fmac_f64_e32 v[204:205], v[194:195], v[92:93]
	v_add_f64 v[14:15], v[14:15], v[204:205]
	s_waitcnt vmcnt(1) lgkmcnt(1)
	v_mul_f64 v[204:205], v[196:197], v[102:103]
	v_fmac_f64_e32 v[204:205], v[198:199], v[100:101]
	v_add_f64 v[14:15], v[14:15], v[204:205]
	;; [unrolled: 4-line block ×3, first 2 shown]
	scratch_load_dwordx4 v[204:207], off, off offset:944
	scratch_load_dwordx4 v[232:235], off, off offset:992
	ds_read_b128 v[208:211], v2 offset:1920
	ds_read_b128 v[216:219], v2 offset:1936
	;; [unrolled: 1-line block ×3, first 2 shown]
	s_waitcnt vmcnt(1) lgkmcnt(2)
	v_mul_f64 v[212:213], v[208:209], v[206:207]
	v_fmac_f64_e32 v[212:213], v[210:211], v[204:205]
	v_add_f64 v[14:15], v[14:15], v[212:213]
	scratch_load_dwordx4 v[212:215], off, off offset:960
	s_waitcnt vmcnt(0) lgkmcnt(1)
	v_mul_f64 v[220:221], v[216:217], v[214:215]
	v_fmac_f64_e32 v[220:221], v[218:219], v[212:213]
	v_add_f64 v[14:15], v[14:15], v[220:221]
	scratch_load_dwordx4 v[220:223], off, off offset:976
	s_waitcnt vmcnt(0) lgkmcnt(0)
	v_mul_f64 v[228:229], v[224:225], v[222:223]
	v_fmac_f64_e32 v[228:229], v[226:227], v[220:221]
	v_add_f64 v[14:15], v[14:15], v[228:229]
	ds_read_b128 v[228:231], v2 offset:1968
	s_waitcnt lgkmcnt(0)
	v_mul_f64 v[2:3], v[228:229], v[234:235]
	v_fmac_f64_e32 v[2:3], v[230:231], v[232:233]
	v_add_f64 v[2:3], v[14:15], v[2:3]
	v_add_f64 v[14:15], v[242:243], 0
	;; [unrolled: 1-line block ×5, first 2 shown]
	scratch_load_dwordx4 v[236:239], off, off offset:256
	v_add_f64 v[14:15], v[14:15], v[246:247]
	v_add_f64 v[14:15], v[14:15], v[248:249]
	;; [unrolled: 1-line block ×10, first 2 shown]
	v_accvgpr_read_b32 v6, a126
	v_add_f64 v[254:255], v[4:5], v[0:1]
	v_accvgpr_read_b32 v0, a138
	v_accvgpr_read_b32 v8, a128
	;; [unrolled: 1-line block ×5, first 2 shown]
	v_mul_f64 v[4:5], v[22:23], v[8:9]
	v_add_f64 v[0:1], v[254:255], v[0:1]
	v_fma_f64 v[4:5], v[20:21], v[6:7], -v[4:5]
	v_accvgpr_read_b32 v6, a130
	v_add_f64 v[0:1], v[0:1], v[252:253]
	v_accvgpr_read_b32 v8, a132
	v_accvgpr_read_b32 v9, a133
	v_add_f64 v[0:1], v[0:1], v[4:5]
	v_accvgpr_read_b32 v7, a131
	v_mul_f64 v[4:5], v[110:111], v[8:9]
	v_fma_f64 v[4:5], v[108:109], v[6:7], -v[4:5]
	v_accvgpr_read_b32 v6, a134
	v_accvgpr_read_b32 v8, a136
	;; [unrolled: 1-line block ×3, first 2 shown]
	v_add_f64 v[0:1], v[0:1], v[4:5]
	v_accvgpr_read_b32 v7, a135
	v_mul_f64 v[4:5], v[114:115], v[8:9]
	v_fma_f64 v[4:5], v[112:113], v[6:7], -v[4:5]
	v_add_f64 v[0:1], v[0:1], v[4:5]
	v_mul_f64 v[4:5], v[118:119], v[18:19]
	v_fma_f64 v[4:5], v[116:117], v[16:17], -v[4:5]
	v_add_f64 v[0:1], v[0:1], v[4:5]
	;; [unrolled: 3-line block ×27, first 2 shown]
	s_waitcnt vmcnt(0)
	v_add_f64 v[4:5], v[236:237], -v[0:1]
	v_accvgpr_read_b32 v0, a124
	v_add_f64 v[6:7], v[238:239], -v[2:3]
	v_cmp_lt_u32_e32 vcc, 14, v0
	scratch_store_dwordx4 off, v[4:7], off offset:256
	s_and_saveexec_b64 s[0:1], vcc
	s_cbranch_execz .LBB61_369
; %bb.368:
	scratch_load_dwordx4 v[2:5], off, s67
	v_mov_b32_e32 v6, 0
	v_mov_b32_e32 v7, v6
	;; [unrolled: 1-line block ×4, first 2 shown]
	v_accvgpr_read_b32 v0, a125
	scratch_store_dwordx4 off, v[6:9], off offset:240
	s_waitcnt vmcnt(1)
	ds_write_b128 v0, v[2:5]
.LBB61_369:
	s_or_b64 exec, exec, s[0:1]
	s_waitcnt lgkmcnt(0)
	; wave barrier
	scratch_load_dwordx4 v[68:71], off, off offset:256
	scratch_load_dwordx4 v[72:75], off, off offset:272
	scratch_load_dwordx4 v[76:79], off, off offset:288
	scratch_load_dwordx4 v[80:83], off, off offset:304
	scratch_load_dwordx4 v[84:87], off, off offset:320
	scratch_load_dwordx4 v[88:91], off, off offset:336
	scratch_load_dwordx4 v[92:95], off, off offset:352
	scratch_load_dwordx4 v[96:99], off, off offset:368
	scratch_load_dwordx4 v[112:115], off, off offset:384
	scratch_load_dwordx4 v[144:147], off, off offset:400
	scratch_load_dwordx4 v[148:151], off, off offset:416
	scratch_load_dwordx4 v[152:155], off, off offset:432
	scratch_load_dwordx4 v[160:163], off, off offset:448
	scratch_load_dwordx4 v[164:167], off, off offset:464
	scratch_load_dwordx4 v[172:175], off, off offset:480
	scratch_load_dwordx4 v[176:179], off, off offset:496
	scratch_load_dwordx4 v[184:187], off, off offset:512
	scratch_load_dwordx4 v[188:191], off, off offset:528
	scratch_load_dwordx4 v[196:199], off, off offset:544
	scratch_load_dwordx4 v[4:7], off, off offset:560
	scratch_load_dwordx4 v[8:11], off, off offset:576
	scratch_load_dwordx4 v[12:15], off, off offset:592
	scratch_load_dwordx4 v[16:19], off, off offset:608
	scratch_load_dwordx4 v[234:237], off, off offset:624
	scratch_load_dwordx4 v[24:27], off, off offset:640
	scratch_load_dwordx4 v[28:31], off, off offset:656
	scratch_load_dwordx4 v[32:35], off, off offset:672
	scratch_load_dwordx4 v[36:39], off, off offset:688
	v_mov_b32_e32 v2, 0
	ds_read_b128 v[124:127], v2 offset:1232
	ds_read_b128 v[128:131], v2 offset:1248
	;; [unrolled: 1-line block ×23, first 2 shown]
	s_waitcnt vmcnt(27) lgkmcnt(14)
	v_mul_f64 v[0:1], v[124:125], v[70:71]
	s_waitcnt vmcnt(26)
	v_mul_f64 v[40:41], v[128:129], v[74:75]
	v_fmac_f64_e32 v[0:1], v[126:127], v[68:69]
	s_waitcnt vmcnt(25)
	v_mul_f64 v[42:43], v[132:133], v[78:79]
	v_fmac_f64_e32 v[40:41], v[130:131], v[72:73]
	v_add_f64 v[0:1], v[0:1], 0
	s_waitcnt vmcnt(24)
	v_mul_f64 v[44:45], v[136:137], v[82:83]
	v_fmac_f64_e32 v[42:43], v[134:135], v[76:77]
	v_add_f64 v[0:1], v[0:1], v[40:41]
	;; [unrolled: 4-line block ×7, first 2 shown]
	s_waitcnt vmcnt(18) lgkmcnt(13)
	v_mul_f64 v[56:57], v[200:201], v[146:147]
	v_fmac_f64_e32 v[54:55], v[194:195], v[112:113]
	v_add_f64 v[0:1], v[0:1], v[52:53]
	s_waitcnt vmcnt(17) lgkmcnt(12)
	v_mul_f64 v[58:59], v[204:205], v[150:151]
	v_fmac_f64_e32 v[56:57], v[202:203], v[144:145]
	v_add_f64 v[0:1], v[0:1], v[54:55]
	s_waitcnt vmcnt(16) lgkmcnt(11)
	v_mul_f64 v[60:61], v[208:209], v[154:155]
	v_fmac_f64_e32 v[58:59], v[206:207], v[148:149]
	v_add_f64 v[0:1], v[0:1], v[56:57]
	s_waitcnt vmcnt(15) lgkmcnt(10)
	v_mul_f64 v[62:63], v[212:213], v[162:163]
	v_fmac_f64_e32 v[60:61], v[210:211], v[152:153]
	v_add_f64 v[0:1], v[0:1], v[58:59]
	s_waitcnt vmcnt(14) lgkmcnt(9)
	v_mul_f64 v[64:65], v[216:217], v[166:167]
	v_fmac_f64_e32 v[62:63], v[214:215], v[160:161]
	v_add_f64 v[0:1], v[0:1], v[60:61]
	s_waitcnt vmcnt(13) lgkmcnt(8)
	v_mul_f64 v[66:67], v[220:221], v[174:175]
	v_fmac_f64_e32 v[64:65], v[218:219], v[164:165]
	v_add_f64 v[0:1], v[0:1], v[62:63]
	s_waitcnt vmcnt(12) lgkmcnt(7)
	v_mul_f64 v[100:101], v[224:225], v[178:179]
	v_fmac_f64_e32 v[66:67], v[222:223], v[172:173]
	v_add_f64 v[0:1], v[0:1], v[64:65]
	scratch_load_dwordx4 v[40:43], off, off offset:704
	scratch_load_dwordx4 v[44:47], off, off offset:720
	s_waitcnt vmcnt(13) lgkmcnt(6)
	v_mul_f64 v[102:103], v[228:229], v[186:187]
	v_fmac_f64_e32 v[100:101], v[226:227], v[176:177]
	v_add_f64 v[0:1], v[0:1], v[66:67]
	v_add_f64 v[0:1], v[0:1], v[100:101]
	v_fmac_f64_e32 v[102:103], v[230:231], v[184:185]
	v_add_f64 v[0:1], v[0:1], v[102:103]
	ds_read_b128 v[100:103], v2 offset:1536
	s_waitcnt vmcnt(12) lgkmcnt(6)
	v_mul_f64 v[48:49], v[238:239], v[190:191]
	v_fmac_f64_e32 v[48:49], v[240:241], v[188:189]
	v_add_f64 v[0:1], v[0:1], v[48:49]
	s_waitcnt vmcnt(11) lgkmcnt(5)
	v_mul_f64 v[48:49], v[252:253], v[198:199]
	v_fmac_f64_e32 v[48:49], v[254:255], v[196:197]
	v_add_f64 v[0:1], v[0:1], v[48:49]
	scratch_load_dwordx4 v[48:51], off, off offset:736
	scratch_load_dwordx4 v[52:55], off, off offset:752
	s_waitcnt vmcnt(12) lgkmcnt(0)
	v_mul_f64 v[56:57], v[100:101], v[6:7]
	v_accvgpr_write_b32 a129, v7
	v_fmac_f64_e32 v[56:57], v[102:103], v[4:5]
	v_accvgpr_write_b32 a128, v6
	v_accvgpr_write_b32 a127, v5
	;; [unrolled: 1-line block ×3, first 2 shown]
	s_waitcnt vmcnt(11)
	v_mov_b64_e32 v[4:5], v[8:9]
	v_mov_b64_e32 v[6:7], v[10:11]
	v_add_f64 v[0:1], v[0:1], v[56:57]
	v_mul_f64 v[56:57], v[104:105], v[6:7]
	v_fmac_f64_e32 v[56:57], v[106:107], v[4:5]
	v_add_f64 v[0:1], v[0:1], v[56:57]
	scratch_load_dwordx4 v[56:59], off, off offset:768
	s_waitcnt vmcnt(11)
	v_mov_b64_e32 v[4:5], v[12:13]
	v_mov_b64_e32 v[6:7], v[14:15]
	v_mul_f64 v[60:61], v[108:109], v[6:7]
	v_fmac_f64_e32 v[60:61], v[110:111], v[4:5]
	s_waitcnt vmcnt(10)
	v_mov_b64_e32 v[4:5], v[16:17]
	v_mov_b64_e32 v[6:7], v[18:19]
	v_add_f64 v[0:1], v[0:1], v[60:61]
	scratch_load_dwordx4 v[60:63], off, off offset:784
	v_mul_f64 v[64:65], v[116:117], v[6:7]
	v_fmac_f64_e32 v[64:65], v[118:119], v[4:5]
	v_add_f64 v[0:1], v[0:1], v[64:65]
	scratch_load_dwordx4 v[64:67], off, off offset:800
	v_mul_f64 v[70:71], v[126:127], v[70:71]
	v_fma_f64 v[242:243], v[124:125], v[68:69], -v[70:71]
	s_waitcnt vmcnt(11)
	v_mul_f64 v[124:125], v[120:121], v[236:237]
	scratch_load_dwordx4 v[68:71], off, off offset:816
	v_fmac_f64_e32 v[124:125], v[122:123], v[234:235]
	v_mul_f64 v[74:75], v[130:131], v[74:75]
	v_mul_f64 v[78:79], v[134:135], v[78:79]
	v_add_f64 v[0:1], v[0:1], v[124:125]
	v_fma_f64 v[244:245], v[128:129], v[72:73], -v[74:75]
	ds_read_b128 v[124:127], v2 offset:1616
	ds_read_b128 v[128:131], v2 offset:1632
	scratch_load_dwordx4 v[72:75], off, off offset:832
	v_fma_f64 v[246:247], v[132:133], v[76:77], -v[78:79]
	v_mul_f64 v[76:77], v[138:139], v[82:83]
	v_fma_f64 v[248:249], v[136:137], v[80:81], -v[76:77]
	scratch_load_dwordx4 v[76:79], off, off offset:848
	s_waitcnt vmcnt(13) lgkmcnt(1)
	v_mul_f64 v[132:133], v[124:125], v[26:27]
	v_fmac_f64_e32 v[132:133], v[126:127], v[24:25]
	v_add_f64 v[0:1], v[0:1], v[132:133]
	s_waitcnt vmcnt(12) lgkmcnt(0)
	v_mul_f64 v[132:133], v[128:129], v[30:31]
	scratch_load_dwordx4 v[80:83], off, off offset:864
	v_fmac_f64_e32 v[132:133], v[130:131], v[28:29]
	v_mul_f64 v[86:87], v[142:143], v[86:87]
	v_add_f64 v[0:1], v[0:1], v[132:133]
	v_fma_f64 v[250:251], v[140:141], v[84:85], -v[86:87]
	ds_read_b128 v[132:135], v2 offset:1648
	v_mul_f64 v[84:85], v[158:159], v[90:91]
	v_fma_f64 v[232:233], v[156:157], v[88:89], -v[84:85]
	scratch_load_dwordx4 v[88:91], off, off offset:880
	scratch_load_dwordx4 v[84:87], off, off offset:896
	v_accvgpr_write_b32 a141, v19
	s_waitcnt vmcnt(14) lgkmcnt(0)
	v_mul_f64 v[6:7], v[132:133], v[34:35]
	v_fmac_f64_e32 v[6:7], v[134:135], v[32:33]
	v_mul_f64 v[94:95], v[170:171], v[94:95]
	v_add_f64 v[0:1], v[0:1], v[6:7]
	v_mul_f64 v[6:7], v[182:183], v[98:99]
	v_accvgpr_write_b32 a140, v18
	v_accvgpr_write_b32 a139, v17
	;; [unrolled: 1-line block ×3, first 2 shown]
	v_fma_f64 v[20:21], v[168:169], v[92:93], -v[94:95]
	ds_read_b128 v[136:139], v2 offset:1664
	v_fma_f64 v[16:17], v[180:181], v[96:97], -v[6:7]
	scratch_load_dwordx4 v[96:99], off, off offset:912
	scratch_load_dwordx4 v[92:95], off, off offset:928
	v_accvgpr_write_b32 a137, v15
	v_mul_f64 v[6:7], v[194:195], v[114:115]
	v_accvgpr_write_b32 a136, v14
	v_accvgpr_write_b32 a135, v13
	;; [unrolled: 1-line block ×3, first 2 shown]
	v_fma_f64 v[12:13], v[192:193], v[112:113], -v[6:7]
	scratch_load_dwordx4 v[112:115], off, off offset:944
	ds_read_b128 v[140:143], v2 offset:1680
	s_waitcnt vmcnt(16) lgkmcnt(1)
	v_mul_f64 v[6:7], v[136:137], v[38:39]
	v_fmac_f64_e32 v[6:7], v[138:139], v[36:37]
	v_accvgpr_write_b32 a133, v11
	v_add_f64 v[0:1], v[0:1], v[6:7]
	v_mul_f64 v[6:7], v[202:203], v[146:147]
	v_accvgpr_write_b32 a132, v10
	v_accvgpr_write_b32 a131, v9
	v_accvgpr_write_b32 a130, v8
	v_fma_f64 v[10:11], v[200:201], v[144:145], -v[6:7]
	ds_read_b128 v[144:147], v2 offset:1696
	s_waitcnt vmcnt(15) lgkmcnt(1)
	v_mul_f64 v[6:7], v[140:141], v[42:43]
	v_fmac_f64_e32 v[6:7], v[142:143], v[40:41]
	v_add_f64 v[0:1], v[0:1], v[6:7]
	v_mul_f64 v[6:7], v[206:207], v[150:151]
	v_fma_f64 v[14:15], v[204:205], v[148:149], -v[6:7]
	ds_read_b128 v[148:151], v2 offset:1712
	v_mul_f64 v[154:155], v[210:211], v[154:155]
	v_fma_f64 v[8:9], v[208:209], v[152:153], -v[154:155]
	ds_read_b128 v[152:155], v2 offset:1728
	s_waitcnt vmcnt(14) lgkmcnt(2)
	v_mul_f64 v[6:7], v[144:145], v[46:47]
	v_fmac_f64_e32 v[6:7], v[146:147], v[44:45]
	v_add_f64 v[0:1], v[0:1], v[6:7]
	s_waitcnt vmcnt(13) lgkmcnt(1)
	v_mul_f64 v[6:7], v[148:149], v[50:51]
	ds_read_b128 v[156:159], v2 offset:1744
	v_fmac_f64_e32 v[6:7], v[150:151], v[48:49]
	v_add_f64 v[0:1], v[0:1], v[6:7]
	s_waitcnt vmcnt(12) lgkmcnt(1)
	v_mul_f64 v[6:7], v[152:153], v[54:55]
	v_fmac_f64_e32 v[6:7], v[154:155], v[52:53]
	v_add_f64 v[0:1], v[0:1], v[6:7]
	v_mul_f64 v[6:7], v[214:215], v[162:163]
	v_fma_f64 v[18:19], v[212:213], v[160:161], -v[6:7]
	ds_read_b128 v[160:163], v2 offset:1760
	s_waitcnt vmcnt(11) lgkmcnt(1)
	v_mul_f64 v[6:7], v[156:157], v[58:59]
	v_fmac_f64_e32 v[6:7], v[158:159], v[56:57]
	v_add_f64 v[0:1], v[0:1], v[6:7]
	v_mul_f64 v[6:7], v[218:219], v[166:167]
	v_fma_f64 v[4:5], v[216:217], v[164:165], -v[6:7]
	ds_read_b128 v[164:167], v2 offset:1776
	ds_read_b128 v[168:171], v2 offset:1792
	s_waitcnt vmcnt(10) lgkmcnt(2)
	v_mul_f64 v[6:7], v[160:161], v[62:63]
	v_fmac_f64_e32 v[6:7], v[162:163], v[60:61]
	v_add_f64 v[0:1], v[0:1], v[6:7]
	s_waitcnt vmcnt(9) lgkmcnt(1)
	v_mul_f64 v[6:7], v[164:165], v[66:67]
	v_fmac_f64_e32 v[6:7], v[166:167], v[64:65]
	v_add_f64 v[0:1], v[0:1], v[6:7]
	v_mul_f64 v[6:7], v[222:223], v[174:175]
	v_fma_f64 v[22:23], v[220:221], v[172:173], -v[6:7]
	ds_read_b128 v[172:175], v2 offset:1808
	v_mul_f64 v[6:7], v[226:227], v[178:179]
	v_fma_f64 v[6:7], v[224:225], v[176:177], -v[6:7]
	ds_read_b128 v[176:179], v2 offset:1824
	s_waitcnt vmcnt(8) lgkmcnt(2)
	v_mul_f64 v[180:181], v[168:169], v[70:71]
	v_fmac_f64_e32 v[180:181], v[170:171], v[68:69]
	v_add_f64 v[0:1], v[0:1], v[180:181]
	s_waitcnt vmcnt(7) lgkmcnt(1)
	v_mul_f64 v[180:181], v[172:173], v[74:75]
	v_fmac_f64_e32 v[180:181], v[174:175], v[72:73]
	s_waitcnt vmcnt(6) lgkmcnt(0)
	v_mul_f64 v[192:193], v[176:177], v[78:79]
	v_add_f64 v[0:1], v[0:1], v[180:181]
	v_fmac_f64_e32 v[192:193], v[178:179], v[76:77]
	ds_read_b128 v[180:183], v2 offset:1840
	v_add_f64 v[192:193], v[0:1], v[192:193]
	v_mul_f64 v[0:1], v[230:231], v[186:187]
	v_fma_f64 v[0:1], v[228:229], v[184:185], -v[0:1]
	ds_read_b128 v[184:187], v2 offset:1856
	s_waitcnt vmcnt(5) lgkmcnt(1)
	v_mul_f64 v[194:195], v[180:181], v[82:83]
	v_fmac_f64_e32 v[194:195], v[182:183], v[80:81]
	v_mul_f64 v[190:191], v[240:241], v[190:191]
	v_add_f64 v[192:193], v[192:193], v[194:195]
	v_fma_f64 v[238:239], v[238:239], v[188:189], -v[190:191]
	ds_read_b128 v[188:191], v2 offset:1872
	s_waitcnt vmcnt(4) lgkmcnt(1)
	v_mul_f64 v[194:195], v[184:185], v[90:91]
	v_fmac_f64_e32 v[194:195], v[186:187], v[88:89]
	v_add_f64 v[200:201], v[192:193], v[194:195]
	ds_read_b128 v[192:195], v2 offset:1888
	v_mul_f64 v[198:199], v[254:255], v[198:199]
	v_fma_f64 v[240:241], v[252:253], v[196:197], -v[198:199]
	ds_read_b128 v[196:199], v2 offset:1904
	ds_read_b128 v[208:211], v2 offset:1936
	s_waitcnt vmcnt(3) lgkmcnt(3)
	v_mul_f64 v[202:203], v[188:189], v[86:87]
	v_fmac_f64_e32 v[202:203], v[190:191], v[84:85]
	v_add_f64 v[200:201], v[200:201], v[202:203]
	s_waitcnt vmcnt(2) lgkmcnt(2)
	v_mul_f64 v[202:203], v[192:193], v[98:99]
	v_fmac_f64_e32 v[202:203], v[194:195], v[96:97]
	v_add_f64 v[200:201], v[200:201], v[202:203]
	s_waitcnt vmcnt(1) lgkmcnt(1)
	v_mul_f64 v[202:203], v[196:197], v[94:95]
	v_fmac_f64_e32 v[202:203], v[198:199], v[92:93]
	v_add_f64 v[204:205], v[200:201], v[202:203]
	ds_read_b128 v[200:203], v2 offset:1920
	ds_read_b128 v[216:219], v2 offset:1952
	;; [unrolled: 1-line block ×3, first 2 shown]
	s_waitcnt vmcnt(0) lgkmcnt(2)
	v_mul_f64 v[206:207], v[200:201], v[114:115]
	v_fmac_f64_e32 v[206:207], v[202:203], v[112:113]
	v_add_f64 v[212:213], v[204:205], v[206:207]
	scratch_load_dwordx4 v[204:207], off, off offset:960
	s_waitcnt vmcnt(0)
	v_mul_f64 v[214:215], v[208:209], v[206:207]
	v_fmac_f64_e32 v[214:215], v[210:211], v[204:205]
	v_add_f64 v[220:221], v[212:213], v[214:215]
	scratch_load_dwordx4 v[212:215], off, off offset:976
	s_waitcnt vmcnt(0) lgkmcnt(1)
	v_mul_f64 v[222:223], v[216:217], v[214:215]
	v_fmac_f64_e32 v[222:223], v[218:219], v[212:213]
	v_add_f64 v[228:229], v[220:221], v[222:223]
	scratch_load_dwordx4 v[220:223], off, off offset:992
	s_waitcnt vmcnt(0) lgkmcnt(0)
	v_mul_f64 v[230:231], v[224:225], v[222:223]
	v_fmac_f64_e32 v[230:231], v[226:227], v[220:221]
	v_add_f64 v[254:255], v[228:229], v[230:231]
	v_add_f64 v[228:229], v[242:243], 0
	;; [unrolled: 1-line block ×8, first 2 shown]
	scratch_load_dwordx4 v[228:231], off, off offset:240
	v_add_f64 v[16:17], v[20:21], v[16:17]
	v_add_f64 v[12:13], v[16:17], v[12:13]
	;; [unrolled: 1-line block ×9, first 2 shown]
	v_accvgpr_read_b32 v6, a126
	v_accvgpr_read_b32 v8, a128
	;; [unrolled: 1-line block ×3, first 2 shown]
	v_add_f64 v[0:1], v[4:5], v[0:1]
	v_accvgpr_read_b32 v7, a127
	v_mul_f64 v[4:5], v[102:103], v[8:9]
	v_add_f64 v[0:1], v[0:1], v[238:239]
	v_fma_f64 v[4:5], v[100:101], v[6:7], -v[4:5]
	v_accvgpr_read_b32 v6, a130
	v_add_f64 v[0:1], v[0:1], v[240:241]
	v_accvgpr_read_b32 v8, a132
	v_accvgpr_read_b32 v9, a133
	v_add_f64 v[0:1], v[0:1], v[4:5]
	v_accvgpr_read_b32 v7, a131
	v_mul_f64 v[4:5], v[106:107], v[8:9]
	v_fma_f64 v[4:5], v[104:105], v[6:7], -v[4:5]
	v_accvgpr_read_b32 v6, a134
	v_accvgpr_read_b32 v8, a136
	;; [unrolled: 1-line block ×3, first 2 shown]
	v_add_f64 v[0:1], v[0:1], v[4:5]
	v_accvgpr_read_b32 v7, a135
	v_mul_f64 v[4:5], v[110:111], v[8:9]
	v_fma_f64 v[4:5], v[108:109], v[6:7], -v[4:5]
	v_accvgpr_read_b32 v6, a138
	v_accvgpr_read_b32 v8, a140
	;; [unrolled: 1-line block ×3, first 2 shown]
	v_add_f64 v[0:1], v[0:1], v[4:5]
	v_accvgpr_read_b32 v7, a139
	v_mul_f64 v[4:5], v[118:119], v[8:9]
	v_fma_f64 v[4:5], v[116:117], v[6:7], -v[4:5]
	v_add_f64 v[0:1], v[0:1], v[4:5]
	v_mul_f64 v[4:5], v[122:123], v[236:237]
	v_fma_f64 v[4:5], v[120:121], v[234:235], -v[4:5]
	v_add_f64 v[0:1], v[0:1], v[4:5]
	;; [unrolled: 3-line block ×25, first 2 shown]
	s_waitcnt vmcnt(0)
	v_add_f64 v[4:5], v[228:229], -v[0:1]
	v_accvgpr_read_b32 v0, a124
	v_add_f64 v[6:7], v[230:231], -v[254:255]
	v_cmp_lt_u32_e32 vcc, 13, v0
	scratch_store_dwordx4 off, v[4:7], off offset:240
	s_and_saveexec_b64 s[0:1], vcc
	s_cbranch_execz .LBB61_371
; %bb.370:
	scratch_load_dwordx4 v[6:9], off, s66
	v_mov_b32_e32 v3, v2
	v_mov_b32_e32 v4, v2
	;; [unrolled: 1-line block ×3, first 2 shown]
	v_accvgpr_read_b32 v0, a125
	scratch_store_dwordx4 off, v[2:5], off offset:224
	s_waitcnt vmcnt(1)
	ds_write_b128 v0, v[6:9]
.LBB61_371:
	s_or_b64 exec, exec, s[0:1]
	s_waitcnt lgkmcnt(0)
	; wave barrier
	scratch_load_dwordx4 v[40:43], off, off offset:240
	scratch_load_dwordx4 v[44:47], off, off offset:256
	;; [unrolled: 1-line block ×18, first 2 shown]
	ds_read_b128 v[164:167], v2 offset:1216
	ds_read_b128 v[232:235], v2 offset:1232
	;; [unrolled: 1-line block ×6, first 2 shown]
	scratch_load_dwordx4 v[140:143], off, off offset:528
	ds_read_b128 v[224:227], v2 offset:1312
	ds_read_b128 v[212:215], v2 offset:1328
	;; [unrolled: 1-line block ×3, first 2 shown]
	scratch_load_dwordx4 v[4:7], off, off offset:544
	ds_read_b128 v[228:231], v2 offset:1360
	ds_read_b128 v[216:219], v2 offset:1376
	;; [unrolled: 1-line block ×5, first 2 shown]
	scratch_load_dwordx4 v[8:11], off, off offset:560
	ds_read_b128 v[208:211], v2 offset:1440
	ds_read_b128 v[196:199], v2 offset:1456
	;; [unrolled: 1-line block ×3, first 2 shown]
	scratch_load_dwordx4 v[12:15], off, off offset:576
	ds_read_b128 v[200:203], v2 offset:1488
	scratch_load_dwordx4 v[16:19], off, off offset:592
	scratch_load_dwordx4 v[20:23], off, off offset:608
	;; [unrolled: 1-line block ×7, first 2 shown]
	ds_read_b128 v[236:239], v2 offset:1504
	ds_read_b128 v[156:159], v2 offset:1568
	;; [unrolled: 1-line block ×4, first 2 shown]
	s_waitcnt vmcnt(28) lgkmcnt(14)
	v_mul_f64 v[0:1], v[164:165], v[42:43]
	s_waitcnt vmcnt(27)
	v_mul_f64 v[108:109], v[232:233], v[46:47]
	v_fmac_f64_e32 v[0:1], v[166:167], v[40:41]
	s_waitcnt vmcnt(26)
	v_mul_f64 v[110:111], v[168:169], v[50:51]
	v_fmac_f64_e32 v[108:109], v[234:235], v[44:45]
	v_add_f64 v[0:1], v[0:1], 0
	s_waitcnt vmcnt(25)
	v_mul_f64 v[116:117], v[220:221], v[54:55]
	v_fmac_f64_e32 v[110:111], v[170:171], v[48:49]
	v_add_f64 v[0:1], v[0:1], v[108:109]
	s_waitcnt vmcnt(24)
	v_mul_f64 v[118:119], v[172:173], v[58:59]
	v_fmac_f64_e32 v[116:117], v[222:223], v[52:53]
	v_add_f64 v[0:1], v[0:1], v[110:111]
	s_waitcnt vmcnt(23)
	v_mul_f64 v[120:121], v[176:177], v[62:63]
	v_fmac_f64_e32 v[118:119], v[174:175], v[56:57]
	v_add_f64 v[0:1], v[0:1], v[116:117]
	s_waitcnt vmcnt(22)
	v_mul_f64 v[122:123], v[224:225], v[66:67]
	v_fmac_f64_e32 v[120:121], v[178:179], v[60:61]
	v_add_f64 v[0:1], v[0:1], v[118:119]
	s_waitcnt vmcnt(21)
	v_mul_f64 v[124:125], v[212:213], v[70:71]
	v_fmac_f64_e32 v[122:123], v[226:227], v[64:65]
	v_add_f64 v[0:1], v[0:1], v[120:121]
	s_waitcnt vmcnt(20) lgkmcnt(13)
	v_mul_f64 v[126:127], v[180:181], v[78:79]
	v_fmac_f64_e32 v[124:125], v[214:215], v[68:69]
	v_add_f64 v[0:1], v[0:1], v[122:123]
	s_waitcnt vmcnt(19) lgkmcnt(12)
	v_mul_f64 v[128:129], v[228:229], v[82:83]
	v_fmac_f64_e32 v[126:127], v[182:183], v[76:77]
	v_add_f64 v[0:1], v[0:1], v[124:125]
	;; [unrolled: 4-line block ×9, first 2 shown]
	v_add_f64 v[0:1], v[0:1], v[148:149]
	v_fmac_f64_e32 v[150:151], v[186:187], v[112:113]
	s_waitcnt vmcnt(11) lgkmcnt(4)
	v_mul_f64 v[116:117], v[200:201], v[138:139]
	v_add_f64 v[0:1], v[0:1], v[150:151]
	v_fmac_f64_e32 v[116:117], v[202:203], v[136:137]
	v_add_f64 v[0:1], v[0:1], v[116:117]
	ds_read_b128 v[144:147], v2 offset:1520
	s_waitcnt vmcnt(10) lgkmcnt(4)
	v_mul_f64 v[116:117], v[236:237], v[142:143]
	scratch_load_dwordx4 v[108:111], off, off offset:704
	v_fmac_f64_e32 v[116:117], v[238:239], v[140:141]
	v_add_f64 v[0:1], v[0:1], v[116:117]
	scratch_load_dwordx4 v[116:119], off, off offset:720
	ds_read_b128 v[148:151], v2 offset:1536
	scratch_load_dwordx4 v[120:123], off, off offset:736
	s_waitcnt vmcnt(12) lgkmcnt(1)
	v_mul_f64 v[124:125], v[144:145], v[6:7]
	v_fmac_f64_e32 v[124:125], v[146:147], v[4:5]
	v_add_f64 v[0:1], v[0:1], v[124:125]
	s_waitcnt vmcnt(11) lgkmcnt(0)
	v_mul_f64 v[124:125], v[148:149], v[10:11]
	v_fmac_f64_e32 v[124:125], v[150:151], v[8:9]
	s_waitcnt vmcnt(10)
	v_mul_f64 v[128:129], v[152:153], v[14:15]
	v_add_f64 v[0:1], v[0:1], v[124:125]
	scratch_load_dwordx4 v[124:127], off, off offset:752
	v_fmac_f64_e32 v[128:129], v[154:155], v[12:13]
	v_add_f64 v[0:1], v[0:1], v[128:129]
	scratch_load_dwordx4 v[128:131], off, off offset:768
	s_waitcnt vmcnt(11)
	v_mul_f64 v[132:133], v[156:157], v[18:19]
	v_fmac_f64_e32 v[132:133], v[158:159], v[16:17]
	v_add_f64 v[0:1], v[0:1], v[132:133]
	scratch_load_dwordx4 v[132:135], off, off offset:784
	v_mul_f64 v[42:43], v[166:167], v[42:43]
	v_fma_f64 v[242:243], v[164:165], v[40:41], -v[42:43]
	scratch_load_dwordx4 v[40:43], off, off offset:800
	v_mul_f64 v[46:47], v[234:235], v[46:47]
	v_fma_f64 v[244:245], v[232:233], v[44:45], -v[46:47]
	;; [unrolled: 3-line block ×3, first 2 shown]
	v_mul_f64 v[48:49], v[222:223], v[54:55]
	v_fma_f64 v[248:249], v[220:221], v[52:53], -v[48:49]
	scratch_load_dwordx4 v[48:51], off, off offset:832
	scratch_load_dwordx4 v[52:55], off, off offset:848
	s_waitcnt vmcnt(15)
	v_mul_f64 v[164:165], v[160:161], v[22:23]
	v_fmac_f64_e32 v[164:165], v[162:163], v[20:21]
	v_add_f64 v[0:1], v[0:1], v[164:165]
	ds_read_b128 v[164:167], v2 offset:1600
	ds_read_b128 v[168:171], v2 offset:1616
	v_mul_f64 v[58:59], v[174:175], v[58:59]
	v_fma_f64 v[250:251], v[172:173], v[56:57], -v[58:59]
	ds_read_b128 v[172:175], v2 offset:1632
	v_mul_f64 v[56:57], v[178:179], v[62:63]
	v_fma_f64 v[254:255], v[176:177], v[60:61], -v[56:57]
	scratch_load_dwordx4 v[60:63], off, off offset:864
	scratch_load_dwordx4 v[56:59], off, off offset:880
	s_waitcnt vmcnt(16) lgkmcnt(2)
	v_mul_f64 v[232:233], v[164:165], v[34:35]
	v_fmac_f64_e32 v[232:233], v[166:167], v[32:33]
	s_waitcnt vmcnt(15) lgkmcnt(1)
	v_mul_f64 v[220:221], v[168:169], v[38:39]
	v_mul_f64 v[66:67], v[226:227], v[66:67]
	v_add_f64 v[0:1], v[0:1], v[232:233]
	v_fmac_f64_e32 v[220:221], v[170:171], v[36:37]
	v_fma_f64 v[240:241], v[224:225], v[64:65], -v[66:67]
	s_waitcnt vmcnt(14) lgkmcnt(0)
	v_mul_f64 v[64:65], v[172:173], v[30:31]
	v_add_f64 v[0:1], v[0:1], v[220:221]
	v_fmac_f64_e32 v[64:65], v[174:175], v[28:29]
	v_accvgpr_write_b32 a153, v23
	v_add_f64 v[0:1], v[0:1], v[64:65]
	v_mul_f64 v[64:65], v[214:215], v[70:71]
	v_accvgpr_write_b32 a152, v22
	v_accvgpr_write_b32 a151, v21
	;; [unrolled: 1-line block ×3, first 2 shown]
	ds_read_b128 v[176:179], v2 offset:1648
	v_fma_f64 v[20:21], v[212:213], v[68:69], -v[64:65]
	scratch_load_dwordx4 v[68:71], off, off offset:896
	scratch_load_dwordx4 v[64:67], off, off offset:912
	v_accvgpr_write_b32 a137, v7
	v_accvgpr_write_b32 a136, v6
	;; [unrolled: 1-line block ×5, first 2 shown]
	v_mul_f64 v[6:7], v[182:183], v[78:79]
	v_accvgpr_write_b32 a148, v18
	v_accvgpr_write_b32 a147, v17
	;; [unrolled: 1-line block ×3, first 2 shown]
	v_fma_f64 v[16:17], v[180:181], v[76:77], -v[6:7]
	s_waitcnt vmcnt(15) lgkmcnt(0)
	v_mul_f64 v[76:77], v[176:177], v[26:27]
	v_fmac_f64_e32 v[76:77], v[178:179], v[24:25]
	v_accvgpr_write_b32 a145, v15
	v_add_f64 v[0:1], v[0:1], v[76:77]
	v_mul_f64 v[76:77], v[230:231], v[82:83]
	v_accvgpr_write_b32 a144, v14
	v_accvgpr_write_b32 a143, v13
	;; [unrolled: 1-line block ×3, first 2 shown]
	v_fma_f64 v[12:13], v[228:229], v[80:81], -v[76:77]
	scratch_load_dwordx4 v[76:79], off, off offset:928
	scratch_load_dwordx4 v[232:235], off, off offset:992
	ds_read_b128 v[180:183], v2 offset:1664
	ds_read_b128 v[80:83], v2 offset:1680
	v_accvgpr_write_b32 a141, v11
	v_accvgpr_write_b32 a140, v10
	;; [unrolled: 1-line block ×4, first 2 shown]
	s_waitcnt vmcnt(16) lgkmcnt(1)
	v_mul_f64 v[10:11], v[180:181], v[74:75]
	v_fmac_f64_e32 v[10:11], v[182:183], v[72:73]
	v_add_f64 v[0:1], v[0:1], v[10:11]
	v_mul_f64 v[10:11], v[218:219], v[86:87]
	v_fma_f64 v[10:11], v[216:217], v[84:85], -v[10:11]
	ds_read_b128 v[84:87], v2 offset:1696
	v_mul_f64 v[90:91], v[190:191], v[90:91]
	v_fma_f64 v[8:9], v[188:189], v[88:89], -v[90:91]
	ds_read_b128 v[88:91], v2 offset:1712
	s_waitcnt vmcnt(15) lgkmcnt(2)
	v_mul_f64 v[212:213], v[80:81], v[110:111]
	v_fmac_f64_e32 v[212:213], v[82:83], v[108:109]
	s_waitcnt vmcnt(14) lgkmcnt(1)
	v_mul_f64 v[14:15], v[84:85], v[118:119]
	v_add_f64 v[0:1], v[0:1], v[212:213]
	v_fmac_f64_e32 v[14:15], v[86:87], v[116:117]
	v_add_f64 v[0:1], v[0:1], v[14:15]
	s_waitcnt vmcnt(13) lgkmcnt(0)
	v_mul_f64 v[14:15], v[88:89], v[122:123]
	v_fmac_f64_e32 v[14:15], v[90:91], v[120:121]
	ds_read_b128 v[188:191], v2 offset:1728
	v_add_f64 v[0:1], v[0:1], v[14:15]
	v_mul_f64 v[14:15], v[206:207], v[94:95]
	v_fma_f64 v[14:15], v[204:205], v[92:93], -v[14:15]
	ds_read_b128 v[92:95], v2 offset:1744
	v_mul_f64 v[98:99], v[194:195], v[98:99]
	v_fma_f64 v[6:7], v[192:193], v[96:97], -v[98:99]
	ds_read_b128 v[96:99], v2 offset:1760
	ds_read_b128 v[192:195], v2 offset:1776
	s_waitcnt vmcnt(12) lgkmcnt(3)
	v_mul_f64 v[204:205], v[188:189], v[126:127]
	v_fmac_f64_e32 v[204:205], v[190:191], v[124:125]
	s_waitcnt vmcnt(11) lgkmcnt(2)
	v_mul_f64 v[18:19], v[92:93], v[130:131]
	v_add_f64 v[0:1], v[0:1], v[204:205]
	v_fmac_f64_e32 v[18:19], v[94:95], v[128:129]
	v_add_f64 v[0:1], v[0:1], v[18:19]
	s_waitcnt vmcnt(10) lgkmcnt(1)
	v_mul_f64 v[18:19], v[96:97], v[134:135]
	v_fmac_f64_e32 v[18:19], v[98:99], v[132:133]
	v_add_f64 v[0:1], v[0:1], v[18:19]
	v_mul_f64 v[18:19], v[210:211], v[102:103]
	v_fma_f64 v[18:19], v[208:209], v[100:101], -v[18:19]
	ds_read_b128 v[100:103], v2 offset:1792
	v_mul_f64 v[106:107], v[198:199], v[106:107]
	v_fma_f64 v[4:5], v[196:197], v[104:105], -v[106:107]
	ds_read_b128 v[104:107], v2 offset:1808
	s_waitcnt vmcnt(9) lgkmcnt(2)
	v_mul_f64 v[204:205], v[192:193], v[42:43]
	v_fmac_f64_e32 v[204:205], v[194:195], v[40:41]
	s_waitcnt vmcnt(8) lgkmcnt(1)
	v_mul_f64 v[22:23], v[100:101], v[46:47]
	v_add_f64 v[0:1], v[0:1], v[204:205]
	v_fmac_f64_e32 v[22:23], v[102:103], v[44:45]
	v_add_f64 v[0:1], v[0:1], v[22:23]
	s_waitcnt vmcnt(7) lgkmcnt(0)
	v_mul_f64 v[22:23], v[104:105], v[50:51]
	ds_read_b128 v[196:199], v2 offset:1824
	v_fmac_f64_e32 v[22:23], v[106:107], v[48:49]
	v_add_f64 v[0:1], v[0:1], v[22:23]
	v_mul_f64 v[22:23], v[186:187], v[114:115]
	v_fma_f64 v[22:23], v[184:185], v[112:113], -v[22:23]
	ds_read_b128 v[112:115], v2 offset:1840
	s_waitcnt vmcnt(6) lgkmcnt(1)
	v_mul_f64 v[184:185], v[196:197], v[54:55]
	v_fmac_f64_e32 v[184:185], v[198:199], v[52:53]
	v_add_f64 v[184:185], v[0:1], v[184:185]
	v_mul_f64 v[0:1], v[202:203], v[138:139]
	v_fma_f64 v[0:1], v[200:201], v[136:137], -v[0:1]
	ds_read_b128 v[136:139], v2 offset:1856
	s_waitcnt vmcnt(5) lgkmcnt(1)
	v_mul_f64 v[186:187], v[112:113], v[62:63]
	v_fmac_f64_e32 v[186:187], v[114:115], v[60:61]
	v_add_f64 v[200:201], v[184:185], v[186:187]
	ds_read_b128 v[184:187], v2 offset:1872
	v_mul_f64 v[142:143], v[238:239], v[142:143]
	v_fma_f64 v[252:253], v[236:237], v[140:141], -v[142:143]
	ds_read_b128 v[140:143], v2 offset:1888
	ds_read_b128 v[208:211], v2 offset:1920
	s_waitcnt vmcnt(4) lgkmcnt(3)
	v_mul_f64 v[202:203], v[136:137], v[58:59]
	v_fmac_f64_e32 v[202:203], v[138:139], v[56:57]
	v_add_f64 v[200:201], v[200:201], v[202:203]
	s_waitcnt vmcnt(3) lgkmcnt(2)
	v_mul_f64 v[202:203], v[184:185], v[70:71]
	v_fmac_f64_e32 v[202:203], v[186:187], v[68:69]
	v_add_f64 v[200:201], v[200:201], v[202:203]
	;; [unrolled: 4-line block ×3, first 2 shown]
	ds_read_b128 v[200:203], v2 offset:1904
	ds_read_b128 v[216:219], v2 offset:1936
	;; [unrolled: 1-line block ×3, first 2 shown]
	s_waitcnt vmcnt(1) lgkmcnt(2)
	v_mul_f64 v[206:207], v[200:201], v[78:79]
	v_fmac_f64_e32 v[206:207], v[202:203], v[76:77]
	v_add_f64 v[212:213], v[204:205], v[206:207]
	scratch_load_dwordx4 v[204:207], off, off offset:944
	s_waitcnt vmcnt(0)
	v_mul_f64 v[214:215], v[208:209], v[206:207]
	v_fmac_f64_e32 v[214:215], v[210:211], v[204:205]
	v_add_f64 v[220:221], v[212:213], v[214:215]
	scratch_load_dwordx4 v[212:215], off, off offset:960
	s_waitcnt vmcnt(0) lgkmcnt(1)
	v_mul_f64 v[222:223], v[216:217], v[214:215]
	v_fmac_f64_e32 v[222:223], v[218:219], v[212:213]
	v_add_f64 v[228:229], v[220:221], v[222:223]
	scratch_load_dwordx4 v[220:223], off, off offset:976
	s_waitcnt vmcnt(0) lgkmcnt(0)
	v_mul_f64 v[230:231], v[224:225], v[222:223]
	v_fmac_f64_e32 v[230:231], v[226:227], v[220:221]
	v_add_f64 v[236:237], v[228:229], v[230:231]
	ds_read_b128 v[228:231], v2 offset:1968
	s_waitcnt lgkmcnt(0)
	v_mul_f64 v[2:3], v[228:229], v[234:235]
	v_fmac_f64_e32 v[2:3], v[230:231], v[232:233]
	v_add_f64 v[2:3], v[236:237], v[2:3]
	v_add_f64 v[236:237], v[242:243], 0
	;; [unrolled: 1-line block ×9, first 2 shown]
	scratch_load_dwordx4 v[236:239], off, off offset:224
	v_add_f64 v[16:17], v[20:21], v[16:17]
	v_add_f64 v[12:13], v[16:17], v[12:13]
	;; [unrolled: 1-line block ×8, first 2 shown]
	v_accvgpr_read_b32 v6, a134
	v_accvgpr_read_b32 v8, a136
	;; [unrolled: 1-line block ×3, first 2 shown]
	v_add_f64 v[254:255], v[4:5], v[22:23]
	v_accvgpr_read_b32 v7, a135
	v_mul_f64 v[4:5], v[146:147], v[8:9]
	v_add_f64 v[0:1], v[254:255], v[0:1]
	v_fma_f64 v[4:5], v[144:145], v[6:7], -v[4:5]
	v_accvgpr_read_b32 v6, a138
	v_add_f64 v[0:1], v[0:1], v[252:253]
	v_accvgpr_read_b32 v8, a140
	v_accvgpr_read_b32 v9, a141
	v_add_f64 v[0:1], v[0:1], v[4:5]
	v_accvgpr_read_b32 v7, a139
	v_mul_f64 v[4:5], v[150:151], v[8:9]
	v_fma_f64 v[4:5], v[148:149], v[6:7], -v[4:5]
	v_accvgpr_read_b32 v6, a142
	v_accvgpr_read_b32 v8, a144
	v_accvgpr_read_b32 v9, a145
	v_add_f64 v[0:1], v[0:1], v[4:5]
	v_accvgpr_read_b32 v7, a143
	v_mul_f64 v[4:5], v[154:155], v[8:9]
	v_fma_f64 v[4:5], v[152:153], v[6:7], -v[4:5]
	v_accvgpr_read_b32 v6, a146
	;; [unrolled: 7-line block ×3, first 2 shown]
	v_accvgpr_read_b32 v8, a152
	v_accvgpr_read_b32 v9, a153
	v_add_f64 v[0:1], v[0:1], v[4:5]
	v_accvgpr_read_b32 v7, a151
	v_mul_f64 v[4:5], v[162:163], v[8:9]
	v_fma_f64 v[4:5], v[160:161], v[6:7], -v[4:5]
	v_add_f64 v[0:1], v[0:1], v[4:5]
	v_mul_f64 v[4:5], v[166:167], v[34:35]
	v_fma_f64 v[4:5], v[164:165], v[32:33], -v[4:5]
	v_add_f64 v[0:1], v[0:1], v[4:5]
	;; [unrolled: 3-line block ×25, first 2 shown]
	s_waitcnt vmcnt(0)
	v_add_f64 v[4:5], v[236:237], -v[0:1]
	v_accvgpr_read_b32 v0, a124
	v_add_f64 v[6:7], v[238:239], -v[2:3]
	v_cmp_lt_u32_e32 vcc, 12, v0
	scratch_store_dwordx4 off, v[4:7], off offset:224
	s_and_saveexec_b64 s[0:1], vcc
	s_cbranch_execz .LBB61_373
; %bb.372:
	scratch_load_dwordx4 v[2:5], off, s65
	v_mov_b32_e32 v6, 0
	v_mov_b32_e32 v7, v6
	;; [unrolled: 1-line block ×4, first 2 shown]
	v_accvgpr_read_b32 v0, a125
	scratch_store_dwordx4 off, v[6:9], off offset:208
	s_waitcnt vmcnt(1)
	ds_write_b128 v0, v[2:5]
.LBB61_373:
	s_or_b64 exec, exec, s[0:1]
	s_waitcnt lgkmcnt(0)
	; wave barrier
	scratch_load_dwordx4 v[56:59], off, off offset:224
	scratch_load_dwordx4 v[60:63], off, off offset:240
	;; [unrolled: 1-line block ×28, first 2 shown]
	v_mov_b32_e32 v2, 0
	ds_read_b128 v[116:119], v2 offset:1200
	ds_read_b128 v[120:123], v2 offset:1216
	;; [unrolled: 1-line block ×22, first 2 shown]
	s_waitcnt vmcnt(27) lgkmcnt(14)
	v_mul_f64 v[0:1], v[116:117], v[58:59]
	s_waitcnt vmcnt(26)
	v_mul_f64 v[32:33], v[120:121], v[62:63]
	v_fmac_f64_e32 v[0:1], v[118:119], v[56:57]
	s_waitcnt vmcnt(25)
	v_mul_f64 v[34:35], v[124:125], v[66:67]
	v_fmac_f64_e32 v[32:33], v[122:123], v[60:61]
	v_add_f64 v[0:1], v[0:1], 0
	v_fmac_f64_e32 v[34:35], v[126:127], v[64:65]
	v_add_f64 v[0:1], v[0:1], v[32:33]
	v_add_f64 v[0:1], v[0:1], v[34:35]
	scratch_load_dwordx4 v[32:35], off, off offset:672
	s_waitcnt vmcnt(25)
	v_mul_f64 v[36:37], v[128:129], v[70:71]
	s_waitcnt vmcnt(24)
	v_mul_f64 v[38:39], v[132:133], v[74:75]
	v_fmac_f64_e32 v[36:37], v[130:131], v[68:69]
	s_waitcnt vmcnt(23)
	v_mul_f64 v[40:41], v[140:141], v[78:79]
	v_fmac_f64_e32 v[38:39], v[134:135], v[72:73]
	v_add_f64 v[0:1], v[0:1], v[36:37]
	s_waitcnt vmcnt(22)
	v_mul_f64 v[42:43], v[152:153], v[82:83]
	v_fmac_f64_e32 v[40:41], v[142:143], v[76:77]
	v_add_f64 v[0:1], v[0:1], v[38:39]
	;; [unrolled: 4-line block ×3, first 2 shown]
	s_waitcnt vmcnt(20) lgkmcnt(13)
	v_mul_f64 v[46:47], v[176:177], v[94:95]
	v_fmac_f64_e32 v[44:45], v[166:167], v[84:85]
	v_add_f64 v[0:1], v[0:1], v[42:43]
	s_waitcnt vmcnt(19) lgkmcnt(12)
	v_mul_f64 v[48:49], v[188:189], v[98:99]
	v_fmac_f64_e32 v[46:47], v[178:179], v[92:93]
	v_add_f64 v[0:1], v[0:1], v[44:45]
	;; [unrolled: 4-line block ×9, first 2 shown]
	v_add_f64 v[0:1], v[0:1], v[104:105]
	v_fmac_f64_e32 v[106:107], v[222:223], v[168:169]
	s_waitcnt vmcnt(11) lgkmcnt(4)
	v_mul_f64 v[40:41], v[224:225], v[174:175]
	v_add_f64 v[0:1], v[0:1], v[106:107]
	v_fmac_f64_e32 v[40:41], v[226:227], v[172:173]
	scratch_load_dwordx4 v[36:39], off, off offset:688
	v_add_f64 v[0:1], v[0:1], v[40:41]
	s_waitcnt vmcnt(11) lgkmcnt(3)
	v_mul_f64 v[40:41], v[228:229], v[182:183]
	v_fmac_f64_e32 v[40:41], v[230:231], v[180:181]
	s_waitcnt vmcnt(10) lgkmcnt(2)
	v_mul_f64 v[44:45], v[238:239], v[186:187]
	v_add_f64 v[0:1], v[0:1], v[40:41]
	v_fmac_f64_e32 v[44:45], v[240:241], v[184:185]
	scratch_load_dwordx4 v[40:43], off, off offset:704
	ds_read_b128 v[88:91], v2 offset:1536
	v_add_f64 v[0:1], v[0:1], v[44:45]
	s_waitcnt vmcnt(10) lgkmcnt(2)
	v_mul_f64 v[44:45], v[252:253], v[194:195]
	v_fmac_f64_e32 v[44:45], v[254:255], v[192:193]
	v_add_f64 v[0:1], v[0:1], v[44:45]
	scratch_load_dwordx4 v[44:47], off, off offset:720
	ds_read_b128 v[104:107], v2 offset:1552
	s_waitcnt vmcnt(10) lgkmcnt(1)
	v_mul_f64 v[48:49], v[88:89], v[6:7]
	v_accvgpr_write_b32 a129, v7
	v_fmac_f64_e32 v[48:49], v[90:91], v[4:5]
	v_accvgpr_write_b32 a128, v6
	v_accvgpr_write_b32 a127, v5
	;; [unrolled: 1-line block ×3, first 2 shown]
	s_waitcnt vmcnt(9)
	v_mov_b64_e32 v[4:5], v[8:9]
	v_add_f64 v[0:1], v[0:1], v[48:49]
	scratch_load_dwordx4 v[48:51], off, off offset:736
	v_mov_b64_e32 v[6:7], v[10:11]
	s_waitcnt lgkmcnt(0)
	v_mul_f64 v[52:53], v[104:105], v[6:7]
	v_fmac_f64_e32 v[52:53], v[106:107], v[4:5]
	v_add_f64 v[0:1], v[0:1], v[52:53]
	scratch_load_dwordx4 v[52:55], off, off offset:752
	v_mul_f64 v[58:59], v[118:119], v[58:59]
	v_fma_f64 v[242:243], v[116:117], v[56:57], -v[58:59]
	scratch_load_dwordx4 v[56:59], off, off offset:768
	s_waitcnt vmcnt(11)
	v_mov_b64_e32 v[4:5], v[12:13]
	v_mov_b64_e32 v[6:7], v[14:15]
	v_mul_f64 v[112:113], v[108:109], v[6:7]
	v_fmac_f64_e32 v[112:113], v[110:111], v[4:5]
	v_mul_f64 v[62:63], v[122:123], v[62:63]
	v_add_f64 v[0:1], v[0:1], v[112:113]
	ds_read_b128 v[112:115], v2 offset:1584
	ds_read_b128 v[116:119], v2 offset:1600
	v_fma_f64 v[244:245], v[120:121], v[60:61], -v[62:63]
	scratch_load_dwordx4 v[60:63], off, off offset:784
	v_mul_f64 v[66:67], v[126:127], v[66:67]
	v_fma_f64 v[246:247], v[124:125], v[64:65], -v[66:67]
	scratch_load_dwordx4 v[64:67], off, off offset:800
	s_waitcnt vmcnt(12)
	v_mov_b64_e32 v[4:5], v[16:17]
	v_mov_b64_e32 v[6:7], v[18:19]
	s_waitcnt lgkmcnt(1)
	v_mul_f64 v[120:121], v[112:113], v[6:7]
	v_fmac_f64_e32 v[120:121], v[114:115], v[4:5]
	s_waitcnt vmcnt(11)
	v_mov_b64_e32 v[4:5], v[20:21]
	v_mov_b64_e32 v[6:7], v[22:23]
	v_mul_f64 v[70:71], v[130:131], v[70:71]
	v_add_f64 v[0:1], v[0:1], v[120:121]
	s_waitcnt lgkmcnt(0)
	v_mul_f64 v[120:121], v[116:117], v[6:7]
	v_fma_f64 v[248:249], v[128:129], v[68:69], -v[70:71]
	scratch_load_dwordx4 v[68:71], off, off offset:816
	v_fmac_f64_e32 v[120:121], v[118:119], v[4:5]
	v_mul_f64 v[74:75], v[134:135], v[74:75]
	v_add_f64 v[0:1], v[0:1], v[120:121]
	ds_read_b128 v[120:123], v2 offset:1616
	ds_read_b128 v[124:127], v2 offset:1632
	v_fma_f64 v[250:251], v[132:133], v[72:73], -v[74:75]
	scratch_load_dwordx4 v[72:75], off, off offset:832
	v_mul_f64 v[78:79], v[142:143], v[78:79]
	v_fma_f64 v[232:233], v[140:141], v[76:77], -v[78:79]
	scratch_load_dwordx4 v[76:79], off, off offset:848
	s_waitcnt vmcnt(13) lgkmcnt(1)
	v_mul_f64 v[128:129], v[120:121], v[236:237]
	v_fmac_f64_e32 v[128:129], v[122:123], v[234:235]
	v_mul_f64 v[82:83], v[154:155], v[82:83]
	s_waitcnt vmcnt(12) lgkmcnt(0)
	v_mul_f64 v[6:7], v[124:125], v[30:31]
	v_add_f64 v[0:1], v[0:1], v[128:129]
	v_fma_f64 v[24:25], v[152:153], v[80:81], -v[82:83]
	v_fmac_f64_e32 v[6:7], v[126:127], v[28:29]
	scratch_load_dwordx4 v[80:83], off, off offset:864
	v_accvgpr_write_b32 a145, v23
	v_add_f64 v[0:1], v[0:1], v[6:7]
	v_mul_f64 v[6:7], v[166:167], v[86:87]
	v_accvgpr_write_b32 a144, v22
	v_accvgpr_write_b32 a143, v21
	;; [unrolled: 1-line block ×3, first 2 shown]
	v_fma_f64 v[20:21], v[164:165], v[84:85], -v[6:7]
	scratch_load_dwordx4 v[84:87], off, off offset:880
	ds_read_b128 v[132:135], v2 offset:1648
	ds_read_b128 v[128:131], v2 offset:1664
	v_accvgpr_write_b32 a141, v19
	v_mul_f64 v[6:7], v[178:179], v[94:95]
	v_accvgpr_write_b32 a137, v15
	v_accvgpr_write_b32 a140, v18
	;; [unrolled: 1-line block ×4, first 2 shown]
	v_fma_f64 v[16:17], v[176:177], v[92:93], -v[6:7]
	v_mul_f64 v[6:7], v[190:191], v[98:99]
	v_accvgpr_write_b32 a136, v14
	v_accvgpr_write_b32 a135, v13
	;; [unrolled: 1-line block ×3, first 2 shown]
	v_fma_f64 v[12:13], v[188:189], v[96:97], -v[6:7]
	scratch_load_dwordx4 v[96:99], off, off offset:896
	scratch_load_dwordx4 v[92:95], off, off offset:912
	s_waitcnt vmcnt(15) lgkmcnt(1)
	v_mul_f64 v[6:7], v[132:133], v[34:35]
	v_fmac_f64_e32 v[6:7], v[134:135], v[32:33]
	v_add_f64 v[0:1], v[0:1], v[6:7]
	v_mul_f64 v[6:7], v[198:199], v[102:103]
	v_fma_f64 v[14:15], v[196:197], v[100:101], -v[6:7]
	scratch_load_dwordx4 v[100:103], off, off offset:928
	v_accvgpr_write_b32 a133, v11
	v_mul_f64 v[6:7], v[202:203], v[138:139]
	v_accvgpr_write_b32 a132, v10
	v_accvgpr_write_b32 a131, v9
	;; [unrolled: 1-line block ×3, first 2 shown]
	v_fma_f64 v[10:11], v[200:201], v[136:137], -v[6:7]
	ds_read_b128 v[136:139], v2 offset:1680
	ds_read_b128 v[140:143], v2 offset:1696
	s_waitcnt vmcnt(15) lgkmcnt(2)
	v_mul_f64 v[6:7], v[128:129], v[38:39]
	v_fmac_f64_e32 v[6:7], v[130:131], v[36:37]
	v_add_f64 v[0:1], v[0:1], v[6:7]
	s_waitcnt vmcnt(14) lgkmcnt(1)
	v_mul_f64 v[6:7], v[136:137], v[42:43]
	v_fmac_f64_e32 v[6:7], v[138:139], v[40:41]
	v_add_f64 v[0:1], v[0:1], v[6:7]
	v_mul_f64 v[6:7], v[206:207], v[146:147]
	v_fma_f64 v[18:19], v[204:205], v[144:145], -v[6:7]
	ds_read_b128 v[144:147], v2 offset:1712
	s_waitcnt vmcnt(13) lgkmcnt(1)
	v_mul_f64 v[6:7], v[140:141], v[46:47]
	v_fmac_f64_e32 v[6:7], v[142:143], v[44:45]
	v_add_f64 v[0:1], v[0:1], v[6:7]
	v_mul_f64 v[6:7], v[210:211], v[150:151]
	v_fma_f64 v[8:9], v[208:209], v[148:149], -v[6:7]
	ds_read_b128 v[148:151], v2 offset:1728
	s_waitcnt vmcnt(12) lgkmcnt(1)
	v_mul_f64 v[6:7], v[144:145], v[50:51]
	ds_read_b128 v[152:155], v2 offset:1744
	v_fmac_f64_e32 v[6:7], v[146:147], v[48:49]
	v_add_f64 v[0:1], v[0:1], v[6:7]
	v_mul_f64 v[6:7], v[214:215], v[158:159]
	v_fma_f64 v[22:23], v[212:213], v[156:157], -v[6:7]
	s_waitcnt vmcnt(11) lgkmcnt(1)
	v_mul_f64 v[6:7], v[148:149], v[54:55]
	v_fmac_f64_e32 v[6:7], v[150:151], v[52:53]
	ds_read_b128 v[156:159], v2 offset:1760
	v_add_f64 v[0:1], v[0:1], v[6:7]
	s_waitcnt vmcnt(10) lgkmcnt(1)
	v_mul_f64 v[6:7], v[152:153], v[58:59]
	v_fmac_f64_e32 v[6:7], v[154:155], v[56:57]
	v_add_f64 v[0:1], v[0:1], v[6:7]
	v_mul_f64 v[6:7], v[218:219], v[162:163]
	v_fma_f64 v[4:5], v[216:217], v[160:161], -v[6:7]
	ds_read_b128 v[160:163], v2 offset:1776
	ds_read_b128 v[164:167], v2 offset:1792
	s_waitcnt vmcnt(9) lgkmcnt(2)
	v_mul_f64 v[6:7], v[156:157], v[62:63]
	v_fmac_f64_e32 v[6:7], v[158:159], v[60:61]
	v_add_f64 v[0:1], v[0:1], v[6:7]
	s_waitcnt vmcnt(8) lgkmcnt(1)
	v_mul_f64 v[6:7], v[160:161], v[66:67]
	v_fmac_f64_e32 v[6:7], v[162:163], v[64:65]
	v_add_f64 v[0:1], v[0:1], v[6:7]
	v_mul_f64 v[6:7], v[222:223], v[170:171]
	v_fma_f64 v[26:27], v[220:221], v[168:169], -v[6:7]
	ds_read_b128 v[168:171], v2 offset:1808
	v_mul_f64 v[6:7], v[226:227], v[174:175]
	v_fma_f64 v[6:7], v[224:225], v[172:173], -v[6:7]
	ds_read_b128 v[172:175], v2 offset:1824
	s_waitcnt vmcnt(7) lgkmcnt(2)
	v_mul_f64 v[176:177], v[164:165], v[70:71]
	v_fmac_f64_e32 v[176:177], v[166:167], v[68:69]
	v_add_f64 v[0:1], v[0:1], v[176:177]
	s_waitcnt vmcnt(6) lgkmcnt(1)
	v_mul_f64 v[176:177], v[168:169], v[74:75]
	v_fmac_f64_e32 v[176:177], v[170:171], v[72:73]
	v_add_f64 v[0:1], v[0:1], v[176:177]
	s_waitcnt vmcnt(5) lgkmcnt(0)
	v_mul_f64 v[188:189], v[172:173], v[78:79]
	ds_read_b128 v[176:179], v2 offset:1840
	v_fmac_f64_e32 v[188:189], v[174:175], v[76:77]
	v_add_f64 v[188:189], v[0:1], v[188:189]
	v_mul_f64 v[0:1], v[230:231], v[182:183]
	v_fma_f64 v[0:1], v[228:229], v[180:181], -v[0:1]
	ds_read_b128 v[180:183], v2 offset:1856
	v_mul_f64 v[186:187], v[240:241], v[186:187]
	s_waitcnt vmcnt(4) lgkmcnt(1)
	v_mul_f64 v[190:191], v[176:177], v[82:83]
	v_fma_f64 v[238:239], v[238:239], v[184:185], -v[186:187]
	ds_read_b128 v[184:187], v2 offset:1872
	v_fmac_f64_e32 v[190:191], v[178:179], v[80:81]
	v_add_f64 v[196:197], v[188:189], v[190:191]
	ds_read_b128 v[188:191], v2 offset:1888
	s_waitcnt vmcnt(3) lgkmcnt(2)
	v_mul_f64 v[198:199], v[180:181], v[86:87]
	v_mul_f64 v[194:195], v[254:255], v[194:195]
	v_fmac_f64_e32 v[198:199], v[182:183], v[84:85]
	v_fma_f64 v[240:241], v[252:253], v[192:193], -v[194:195]
	ds_read_b128 v[192:195], v2 offset:1904
	ds_read_b128 v[200:203], v2 offset:1920
	v_add_f64 v[196:197], v[196:197], v[198:199]
	s_waitcnt vmcnt(2) lgkmcnt(3)
	v_mul_f64 v[198:199], v[184:185], v[98:99]
	v_fmac_f64_e32 v[198:199], v[186:187], v[96:97]
	v_add_f64 v[196:197], v[196:197], v[198:199]
	s_waitcnt vmcnt(1) lgkmcnt(2)
	v_mul_f64 v[198:199], v[188:189], v[94:95]
	v_fmac_f64_e32 v[198:199], v[190:191], v[92:93]
	;; [unrolled: 4-line block ×3, first 2 shown]
	v_add_f64 v[204:205], v[196:197], v[198:199]
	scratch_load_dwordx4 v[196:199], off, off offset:944
	ds_read_b128 v[208:211], v2 offset:1936
	ds_read_b128 v[216:219], v2 offset:1952
	;; [unrolled: 1-line block ×3, first 2 shown]
	s_waitcnt vmcnt(0) lgkmcnt(3)
	v_mul_f64 v[206:207], v[200:201], v[198:199]
	v_fmac_f64_e32 v[206:207], v[202:203], v[196:197]
	v_add_f64 v[212:213], v[204:205], v[206:207]
	scratch_load_dwordx4 v[204:207], off, off offset:960
	s_waitcnt vmcnt(0) lgkmcnt(2)
	v_mul_f64 v[214:215], v[208:209], v[206:207]
	v_fmac_f64_e32 v[214:215], v[210:211], v[204:205]
	v_add_f64 v[220:221], v[212:213], v[214:215]
	scratch_load_dwordx4 v[212:215], off, off offset:976
	;; [unrolled: 5-line block ×3, first 2 shown]
	s_waitcnt vmcnt(0) lgkmcnt(0)
	v_mul_f64 v[230:231], v[224:225], v[222:223]
	v_fmac_f64_e32 v[230:231], v[226:227], v[220:221]
	v_add_f64 v[254:255], v[228:229], v[230:231]
	v_add_f64 v[228:229], v[242:243], 0
	;; [unrolled: 1-line block ×8, first 2 shown]
	scratch_load_dwordx4 v[228:231], off, off offset:208
	v_add_f64 v[20:21], v[24:25], v[20:21]
	v_add_f64 v[16:17], v[20:21], v[16:17]
	;; [unrolled: 1-line block ×11, first 2 shown]
	v_accvgpr_read_b32 v6, a126
	v_accvgpr_read_b32 v8, a128
	;; [unrolled: 1-line block ×3, first 2 shown]
	v_add_f64 v[0:1], v[4:5], v[0:1]
	v_accvgpr_read_b32 v7, a127
	v_mul_f64 v[4:5], v[90:91], v[8:9]
	v_add_f64 v[0:1], v[0:1], v[238:239]
	v_fma_f64 v[4:5], v[88:89], v[6:7], -v[4:5]
	v_accvgpr_read_b32 v6, a130
	v_add_f64 v[0:1], v[0:1], v[240:241]
	v_accvgpr_read_b32 v8, a132
	v_accvgpr_read_b32 v9, a133
	v_add_f64 v[0:1], v[0:1], v[4:5]
	v_accvgpr_read_b32 v7, a131
	v_mul_f64 v[4:5], v[106:107], v[8:9]
	v_fma_f64 v[4:5], v[104:105], v[6:7], -v[4:5]
	v_accvgpr_read_b32 v6, a134
	v_accvgpr_read_b32 v8, a136
	v_accvgpr_read_b32 v9, a137
	v_add_f64 v[0:1], v[0:1], v[4:5]
	v_accvgpr_read_b32 v7, a135
	v_mul_f64 v[4:5], v[110:111], v[8:9]
	v_fma_f64 v[4:5], v[108:109], v[6:7], -v[4:5]
	v_accvgpr_read_b32 v6, a138
	;; [unrolled: 7-line block ×3, first 2 shown]
	v_accvgpr_read_b32 v8, a144
	v_accvgpr_read_b32 v9, a145
	v_add_f64 v[0:1], v[0:1], v[4:5]
	v_accvgpr_read_b32 v7, a143
	v_mul_f64 v[4:5], v[118:119], v[8:9]
	v_fma_f64 v[4:5], v[116:117], v[6:7], -v[4:5]
	v_add_f64 v[0:1], v[0:1], v[4:5]
	v_mul_f64 v[4:5], v[122:123], v[236:237]
	v_fma_f64 v[4:5], v[120:121], v[234:235], -v[4:5]
	v_add_f64 v[0:1], v[0:1], v[4:5]
	;; [unrolled: 3-line block ×24, first 2 shown]
	s_waitcnt vmcnt(0)
	v_add_f64 v[4:5], v[228:229], -v[0:1]
	v_accvgpr_read_b32 v0, a124
	v_add_f64 v[6:7], v[230:231], -v[254:255]
	v_cmp_lt_u32_e32 vcc, 11, v0
	scratch_store_dwordx4 off, v[4:7], off offset:208
	s_and_saveexec_b64 s[0:1], vcc
	s_cbranch_execz .LBB61_375
; %bb.374:
	scratch_load_dwordx4 v[6:9], off, s64
	v_mov_b32_e32 v3, v2
	v_mov_b32_e32 v4, v2
	;; [unrolled: 1-line block ×3, first 2 shown]
	v_accvgpr_read_b32 v0, a125
	scratch_store_dwordx4 off, v[2:5], off offset:192
	s_waitcnt vmcnt(1)
	ds_write_b128 v0, v[6:9]
.LBB61_375:
	s_or_b64 exec, exec, s[0:1]
	s_waitcnt lgkmcnt(0)
	; wave barrier
	scratch_load_dwordx4 v[56:59], off, off offset:208
	scratch_load_dwordx4 v[60:63], off, off offset:224
	scratch_load_dwordx4 v[64:67], off, off offset:240
	scratch_load_dwordx4 v[68:71], off, off offset:256
	scratch_load_dwordx4 v[72:75], off, off offset:272
	scratch_load_dwordx4 v[76:79], off, off offset:288
	scratch_load_dwordx4 v[80:83], off, off offset:304
	scratch_load_dwordx4 v[84:87], off, off offset:320
	scratch_load_dwordx4 v[92:95], off, off offset:336
	scratch_load_dwordx4 v[96:99], off, off offset:352
	scratch_load_dwordx4 v[100:103], off, off offset:368
	scratch_load_dwordx4 v[136:139], off, off offset:384
	scratch_load_dwordx4 v[144:147], off, off offset:400
	scratch_load_dwordx4 v[148:151], off, off offset:416
	scratch_load_dwordx4 v[156:159], off, off offset:432
	scratch_load_dwordx4 v[160:163], off, off offset:448
	scratch_load_dwordx4 v[168:171], off, off offset:464
	scratch_load_dwordx4 v[172:175], off, off offset:480
	ds_read_b128 v[116:119], v2 offset:1184
	ds_read_b128 v[220:223], v2 offset:1200
	;; [unrolled: 1-line block ×6, first 2 shown]
	scratch_load_dwordx4 v[180:183], off, off offset:496
	ds_read_b128 v[204:207], v2 offset:1280
	ds_read_b128 v[132:135], v2 offset:1296
	scratch_load_dwordx4 v[184:187], off, off offset:512
	ds_read_b128 v[224:227], v2 offset:1312
	ds_read_b128 v[216:219], v2 offset:1328
	;; [unrolled: 1-line block ×5, first 2 shown]
	scratch_load_dwordx4 v[192:195], off, off offset:528
	ds_read_b128 v[200:203], v2 offset:1392
	ds_read_b128 v[164:167], v2 offset:1408
	scratch_load_dwordx4 v[4:7], off, off offset:544
	ds_read_b128 v[212:215], v2 offset:1424
	ds_read_b128 v[188:191], v2 offset:1440
	;; [unrolled: 1-line block ×3, first 2 shown]
	scratch_load_dwordx4 v[8:11], off, off offset:560
	scratch_load_dwordx4 v[12:15], off, off offset:576
	;; [unrolled: 1-line block ×6, first 2 shown]
	ds_read_b128 v[228:231], v2 offset:1472
	ds_read_b128 v[232:235], v2 offset:1488
	;; [unrolled: 1-line block ×4, first 2 shown]
	s_waitcnt vmcnt(27) lgkmcnt(14)
	v_mul_f64 v[0:1], v[116:117], v[58:59]
	s_waitcnt vmcnt(26)
	v_mul_f64 v[32:33], v[220:221], v[62:63]
	v_fmac_f64_e32 v[0:1], v[118:119], v[56:57]
	s_waitcnt vmcnt(25)
	v_mul_f64 v[34:35], v[208:209], v[66:67]
	v_fmac_f64_e32 v[32:33], v[222:223], v[60:61]
	v_add_f64 v[0:1], v[0:1], 0
	v_fmac_f64_e32 v[34:35], v[210:211], v[64:65]
	v_add_f64 v[0:1], v[0:1], v[32:33]
	v_add_f64 v[0:1], v[0:1], v[34:35]
	scratch_load_dwordx4 v[32:35], off, off offset:656
	s_waitcnt vmcnt(25)
	v_mul_f64 v[36:37], v[120:121], v[70:71]
	s_waitcnt vmcnt(24)
	v_mul_f64 v[38:39], v[128:129], v[74:75]
	v_fmac_f64_e32 v[36:37], v[122:123], v[68:69]
	s_waitcnt vmcnt(23)
	v_mul_f64 v[40:41], v[124:125], v[78:79]
	v_fmac_f64_e32 v[38:39], v[130:131], v[72:73]
	v_add_f64 v[0:1], v[0:1], v[36:37]
	s_waitcnt vmcnt(22)
	v_mul_f64 v[42:43], v[204:205], v[82:83]
	v_fmac_f64_e32 v[40:41], v[126:127], v[76:77]
	v_add_f64 v[0:1], v[0:1], v[38:39]
	;; [unrolled: 4-line block ×3, first 2 shown]
	s_waitcnt vmcnt(20) lgkmcnt(13)
	v_mul_f64 v[46:47], v[224:225], v[94:95]
	v_fmac_f64_e32 v[44:45], v[134:135], v[84:85]
	v_add_f64 v[0:1], v[0:1], v[42:43]
	s_waitcnt vmcnt(19) lgkmcnt(12)
	v_mul_f64 v[48:49], v[216:217], v[98:99]
	v_fmac_f64_e32 v[46:47], v[226:227], v[92:93]
	v_add_f64 v[0:1], v[0:1], v[44:45]
	;; [unrolled: 4-line block ×9, first 2 shown]
	v_fmac_f64_e32 v[106:107], v[190:191], v[168:169]
	v_add_f64 v[0:1], v[0:1], v[104:105]
	s_waitcnt vmcnt(11) lgkmcnt(4)
	v_mul_f64 v[40:41], v[176:177], v[174:175]
	v_add_f64 v[0:1], v[0:1], v[106:107]
	v_fmac_f64_e32 v[40:41], v[178:179], v[172:173]
	scratch_load_dwordx4 v[36:39], off, off offset:672
	v_add_f64 v[0:1], v[0:1], v[40:41]
	s_waitcnt vmcnt(11) lgkmcnt(3)
	v_mul_f64 v[40:41], v[228:229], v[182:183]
	v_fmac_f64_e32 v[40:41], v[230:231], v[180:181]
	v_add_f64 v[0:1], v[0:1], v[40:41]
	scratch_load_dwordx4 v[40:43], off, off offset:688
	ds_read_b128 v[88:91], v2 offset:1520
	s_waitcnt vmcnt(11) lgkmcnt(3)
	v_mul_f64 v[44:45], v[232:233], v[186:187]
	v_fmac_f64_e32 v[44:45], v[234:235], v[184:185]
	v_add_f64 v[0:1], v[0:1], v[44:45]
	s_waitcnt vmcnt(10) lgkmcnt(2)
	v_mul_f64 v[44:45], v[236:237], v[194:195]
	v_fmac_f64_e32 v[44:45], v[238:239], v[192:193]
	s_waitcnt vmcnt(9) lgkmcnt(0)
	v_mul_f64 v[48:49], v[88:89], v[6:7]
	ds_read_b128 v[104:107], v2 offset:1536
	v_add_f64 v[0:1], v[0:1], v[44:45]
	scratch_load_dwordx4 v[44:47], off, off offset:704
	v_fmac_f64_e32 v[48:49], v[90:91], v[4:5]
	v_accvgpr_write_b32 a129, v7
	v_add_f64 v[0:1], v[0:1], v[48:49]
	scratch_load_dwordx4 v[48:51], off, off offset:720
	v_accvgpr_write_b32 a128, v6
	v_accvgpr_write_b32 a127, v5
	;; [unrolled: 1-line block ×3, first 2 shown]
	s_waitcnt vmcnt(10)
	v_mov_b64_e32 v[4:5], v[8:9]
	v_mov_b64_e32 v[6:7], v[10:11]
	s_waitcnt lgkmcnt(0)
	v_mul_f64 v[52:53], v[104:105], v[6:7]
	v_fmac_f64_e32 v[52:53], v[106:107], v[4:5]
	v_add_f64 v[0:1], v[0:1], v[52:53]
	scratch_load_dwordx4 v[52:55], off, off offset:736
	v_mul_f64 v[58:59], v[118:119], v[58:59]
	v_fma_f64 v[242:243], v[116:117], v[56:57], -v[58:59]
	scratch_load_dwordx4 v[56:59], off, off offset:752
	v_mul_f64 v[62:63], v[222:223], v[62:63]
	v_fma_f64 v[244:245], v[220:221], v[60:61], -v[62:63]
	scratch_load_dwordx4 v[60:63], off, off offset:768
	s_waitcnt vmcnt(12)
	v_mov_b64_e32 v[4:5], v[12:13]
	v_mul_f64 v[66:67], v[210:211], v[66:67]
	v_mov_b64_e32 v[6:7], v[14:15]
	v_fma_f64 v[246:247], v[208:209], v[64:65], -v[66:67]
	scratch_load_dwordx4 v[64:67], off, off offset:784
	v_mul_f64 v[112:113], v[108:109], v[6:7]
	v_fmac_f64_e32 v[112:113], v[110:111], v[4:5]
	v_add_f64 v[0:1], v[0:1], v[112:113]
	ds_read_b128 v[112:115], v2 offset:1568
	ds_read_b128 v[116:119], v2 offset:1584
	s_waitcnt vmcnt(12)
	v_mov_b64_e32 v[4:5], v[16:17]
	v_mul_f64 v[70:71], v[122:123], v[70:71]
	v_mov_b64_e32 v[6:7], v[18:19]
	v_fma_f64 v[248:249], v[120:121], v[68:69], -v[70:71]
	scratch_load_dwordx4 v[68:71], off, off offset:800
	v_mul_f64 v[74:75], v[130:131], v[74:75]
	s_waitcnt lgkmcnt(1)
	v_mul_f64 v[220:221], v[112:113], v[6:7]
	v_fma_f64 v[250:251], v[128:129], v[72:73], -v[74:75]
	scratch_load_dwordx4 v[72:75], off, off offset:816
	v_fmac_f64_e32 v[220:221], v[114:115], v[4:5]
	s_waitcnt vmcnt(13)
	v_mov_b64_e32 v[4:5], v[20:21]
	ds_read_b128 v[120:123], v2 offset:1600
	v_mul_f64 v[78:79], v[126:127], v[78:79]
	v_mov_b64_e32 v[6:7], v[22:23]
	v_fma_f64 v[254:255], v[124:125], v[76:77], -v[78:79]
	scratch_load_dwordx4 v[76:79], off, off offset:832
	s_waitcnt lgkmcnt(1)
	v_mul_f64 v[208:209], v[116:117], v[6:7]
	ds_read_b128 v[124:127], v2 offset:1616
	v_fmac_f64_e32 v[208:209], v[118:119], v[4:5]
	s_waitcnt vmcnt(13)
	v_mov_b64_e32 v[4:5], v[24:25]
	v_mul_f64 v[82:83], v[206:207], v[82:83]
	v_mov_b64_e32 v[6:7], v[26:27]
	v_fma_f64 v[240:241], v[204:205], v[80:81], -v[82:83]
	scratch_load_dwordx4 v[80:83], off, off offset:848
	v_add_f64 v[0:1], v[0:1], v[220:221]
	s_waitcnt lgkmcnt(1)
	v_mul_f64 v[128:129], v[120:121], v[6:7]
	v_add_f64 v[0:1], v[0:1], v[208:209]
	v_fmac_f64_e32 v[128:129], v[122:123], v[4:5]
	v_add_f64 v[0:1], v[0:1], v[128:129]
	s_waitcnt vmcnt(13) lgkmcnt(0)
	v_mul_f64 v[128:129], v[124:125], v[30:31]
	v_accvgpr_write_b32 a149, v27
	v_fmac_f64_e32 v[128:129], v[126:127], v[28:29]
	v_mul_f64 v[86:87], v[134:135], v[86:87]
	v_accvgpr_write_b32 a148, v26
	v_accvgpr_write_b32 a147, v25
	;; [unrolled: 1-line block ×3, first 2 shown]
	v_add_f64 v[0:1], v[0:1], v[128:129]
	v_fma_f64 v[24:25], v[132:133], v[84:85], -v[86:87]
	scratch_load_dwordx4 v[84:87], off, off offset:864
	ds_read_b128 v[132:135], v2 offset:1632
	ds_read_b128 v[128:131], v2 offset:1648
	v_accvgpr_write_b32 a145, v23
	v_mul_f64 v[6:7], v[226:227], v[94:95]
	v_accvgpr_write_b32 a141, v19
	v_accvgpr_write_b32 a144, v22
	;; [unrolled: 1-line block ×4, first 2 shown]
	v_fma_f64 v[20:21], v[224:225], v[92:93], -v[6:7]
	v_mul_f64 v[92:93], v[218:219], v[98:99]
	v_accvgpr_write_b32 a133, v11
	v_accvgpr_write_b32 a140, v18
	;; [unrolled: 1-line block ×4, first 2 shown]
	v_fma_f64 v[16:17], v[216:217], v[96:97], -v[92:93]
	scratch_load_dwordx4 v[96:99], off, off offset:880
	scratch_load_dwordx4 v[92:95], off, off offset:896
	v_accvgpr_write_b32 a132, v10
	v_accvgpr_write_b32 a131, v9
	;; [unrolled: 1-line block ×3, first 2 shown]
	s_waitcnt vmcnt(15) lgkmcnt(1)
	v_mul_f64 v[10:11], v[132:133], v[34:35]
	v_fmac_f64_e32 v[10:11], v[134:135], v[32:33]
	v_accvgpr_write_b32 a137, v15
	v_add_f64 v[0:1], v[0:1], v[10:11]
	v_mul_f64 v[10:11], v[198:199], v[102:103]
	v_accvgpr_write_b32 a136, v14
	v_accvgpr_write_b32 a135, v13
	;; [unrolled: 1-line block ×3, first 2 shown]
	v_fma_f64 v[12:13], v[196:197], v[100:101], -v[10:11]
	scratch_load_dwordx4 v[100:103], off, off offset:912
	v_mul_f64 v[138:139], v[142:143], v[138:139]
	v_fma_f64 v[10:11], v[140:141], v[136:137], -v[138:139]
	ds_read_b128 v[136:139], v2 offset:1664
	ds_read_b128 v[140:143], v2 offset:1680
	s_waitcnt vmcnt(15) lgkmcnt(2)
	v_mul_f64 v[14:15], v[128:129], v[38:39]
	v_fmac_f64_e32 v[14:15], v[130:131], v[36:37]
	v_add_f64 v[0:1], v[0:1], v[14:15]
	s_waitcnt vmcnt(14) lgkmcnt(1)
	v_mul_f64 v[14:15], v[136:137], v[42:43]
	v_fmac_f64_e32 v[14:15], v[138:139], v[40:41]
	v_add_f64 v[0:1], v[0:1], v[14:15]
	v_mul_f64 v[14:15], v[154:155], v[146:147]
	v_fma_f64 v[14:15], v[152:153], v[144:145], -v[14:15]
	ds_read_b128 v[144:147], v2 offset:1696
	s_waitcnt vmcnt(13) lgkmcnt(1)
	v_mul_f64 v[152:153], v[140:141], v[46:47]
	v_mul_f64 v[150:151], v[202:203], v[150:151]
	v_fmac_f64_e32 v[152:153], v[142:143], v[44:45]
	v_fma_f64 v[8:9], v[200:201], v[148:149], -v[150:151]
	ds_read_b128 v[148:151], v2 offset:1712
	s_waitcnt vmcnt(12) lgkmcnt(1)
	v_mul_f64 v[18:19], v[144:145], v[50:51]
	v_add_f64 v[0:1], v[0:1], v[152:153]
	v_fmac_f64_e32 v[18:19], v[146:147], v[48:49]
	v_add_f64 v[0:1], v[0:1], v[18:19]
	ds_read_b128 v[152:155], v2 offset:1728
	v_mul_f64 v[18:19], v[166:167], v[158:159]
	v_fma_f64 v[18:19], v[164:165], v[156:157], -v[18:19]
	ds_read_b128 v[156:159], v2 offset:1744
	v_mul_f64 v[162:163], v[214:215], v[162:163]
	s_waitcnt vmcnt(11) lgkmcnt(2)
	v_mul_f64 v[164:165], v[148:149], v[54:55]
	v_fma_f64 v[6:7], v[212:213], v[160:161], -v[162:163]
	ds_read_b128 v[160:163], v2 offset:1760
	v_fmac_f64_e32 v[164:165], v[150:151], v[52:53]
	v_add_f64 v[0:1], v[0:1], v[164:165]
	s_waitcnt vmcnt(10) lgkmcnt(2)
	v_mul_f64 v[164:165], v[152:153], v[58:59]
	v_fmac_f64_e32 v[164:165], v[154:155], v[56:57]
	s_waitcnt vmcnt(9) lgkmcnt(1)
	v_mul_f64 v[22:23], v[156:157], v[62:63]
	v_add_f64 v[0:1], v[0:1], v[164:165]
	v_fmac_f64_e32 v[22:23], v[158:159], v[60:61]
	v_add_f64 v[0:1], v[0:1], v[22:23]
	ds_read_b128 v[164:167], v2 offset:1776
	s_waitcnt vmcnt(8) lgkmcnt(1)
	v_mul_f64 v[22:23], v[160:161], v[66:67]
	v_fmac_f64_e32 v[22:23], v[162:163], v[64:65]
	v_add_f64 v[0:1], v[0:1], v[22:23]
	v_mul_f64 v[22:23], v[190:191], v[170:171]
	v_fma_f64 v[22:23], v[188:189], v[168:169], -v[22:23]
	ds_read_b128 v[168:171], v2 offset:1792
	v_mul_f64 v[174:175], v[178:179], v[174:175]
	v_fma_f64 v[4:5], v[176:177], v[172:173], -v[174:175]
	ds_read_b128 v[172:175], v2 offset:1808
	s_waitcnt vmcnt(7) lgkmcnt(2)
	v_mul_f64 v[188:189], v[164:165], v[70:71]
	v_fmac_f64_e32 v[188:189], v[166:167], v[68:69]
	s_waitcnt vmcnt(6) lgkmcnt(1)
	v_mul_f64 v[26:27], v[168:169], v[74:75]
	ds_read_b128 v[176:179], v2 offset:1824
	v_add_f64 v[0:1], v[0:1], v[188:189]
	v_fmac_f64_e32 v[26:27], v[170:171], v[72:73]
	v_add_f64 v[0:1], v[0:1], v[26:27]
	s_waitcnt vmcnt(5) lgkmcnt(1)
	v_mul_f64 v[26:27], v[172:173], v[78:79]
	v_fmac_f64_e32 v[26:27], v[174:175], v[76:77]
	v_add_f64 v[0:1], v[0:1], v[26:27]
	v_mul_f64 v[26:27], v[230:231], v[182:183]
	v_fma_f64 v[26:27], v[228:229], v[180:181], -v[26:27]
	ds_read_b128 v[180:183], v2 offset:1840
	s_waitcnt vmcnt(4) lgkmcnt(1)
	v_mul_f64 v[188:189], v[176:177], v[82:83]
	v_fmac_f64_e32 v[188:189], v[178:179], v[80:81]
	v_add_f64 v[196:197], v[0:1], v[188:189]
	v_mul_f64 v[0:1], v[234:235], v[186:187]
	v_fma_f64 v[0:1], v[232:233], v[184:185], -v[0:1]
	ds_read_b128 v[184:187], v2 offset:1856
	ds_read_b128 v[188:191], v2 offset:1872
	s_waitcnt vmcnt(3) lgkmcnt(2)
	v_mul_f64 v[198:199], v[180:181], v[86:87]
	v_mul_f64 v[194:195], v[238:239], v[194:195]
	v_fmac_f64_e32 v[198:199], v[182:183], v[84:85]
	v_fma_f64 v[252:253], v[236:237], v[192:193], -v[194:195]
	ds_read_b128 v[192:195], v2 offset:1888
	ds_read_b128 v[200:203], v2 offset:1904
	v_add_f64 v[196:197], v[196:197], v[198:199]
	s_waitcnt vmcnt(2) lgkmcnt(3)
	v_mul_f64 v[198:199], v[184:185], v[98:99]
	v_fmac_f64_e32 v[198:199], v[186:187], v[96:97]
	v_add_f64 v[196:197], v[196:197], v[198:199]
	s_waitcnt vmcnt(1) lgkmcnt(2)
	v_mul_f64 v[198:199], v[188:189], v[94:95]
	v_fmac_f64_e32 v[198:199], v[190:191], v[92:93]
	v_add_f64 v[196:197], v[196:197], v[198:199]
	scratch_load_dwordx4 v[232:235], off, off offset:992
	s_waitcnt vmcnt(1) lgkmcnt(1)
	v_mul_f64 v[198:199], v[192:193], v[102:103]
	v_fmac_f64_e32 v[198:199], v[194:195], v[100:101]
	v_add_f64 v[204:205], v[196:197], v[198:199]
	scratch_load_dwordx4 v[196:199], off, off offset:928
	ds_read_b128 v[208:211], v2 offset:1920
	ds_read_b128 v[216:219], v2 offset:1936
	;; [unrolled: 1-line block ×3, first 2 shown]
	s_waitcnt vmcnt(0) lgkmcnt(3)
	v_mul_f64 v[206:207], v[200:201], v[198:199]
	v_fmac_f64_e32 v[206:207], v[202:203], v[196:197]
	v_add_f64 v[212:213], v[204:205], v[206:207]
	scratch_load_dwordx4 v[204:207], off, off offset:944
	s_waitcnt vmcnt(0) lgkmcnt(2)
	v_mul_f64 v[214:215], v[208:209], v[206:207]
	v_fmac_f64_e32 v[214:215], v[210:211], v[204:205]
	v_add_f64 v[220:221], v[212:213], v[214:215]
	scratch_load_dwordx4 v[212:215], off, off offset:960
	;; [unrolled: 5-line block ×3, first 2 shown]
	s_waitcnt vmcnt(0) lgkmcnt(0)
	v_mul_f64 v[230:231], v[224:225], v[222:223]
	v_fmac_f64_e32 v[230:231], v[226:227], v[220:221]
	v_add_f64 v[236:237], v[228:229], v[230:231]
	ds_read_b128 v[228:231], v2 offset:1968
	s_waitcnt lgkmcnt(0)
	v_mul_f64 v[2:3], v[228:229], v[234:235]
	v_fmac_f64_e32 v[2:3], v[230:231], v[232:233]
	v_add_f64 v[2:3], v[236:237], v[2:3]
	v_add_f64 v[236:237], v[242:243], 0
	;; [unrolled: 1-line block ×9, first 2 shown]
	scratch_load_dwordx4 v[236:239], off, off offset:192
	v_add_f64 v[20:21], v[24:25], v[20:21]
	v_add_f64 v[16:17], v[20:21], v[16:17]
	;; [unrolled: 1-line block ×10, first 2 shown]
	v_accvgpr_read_b32 v6, a126
	v_accvgpr_read_b32 v8, a128
	;; [unrolled: 1-line block ×3, first 2 shown]
	v_add_f64 v[254:255], v[4:5], v[26:27]
	v_accvgpr_read_b32 v7, a127
	v_mul_f64 v[4:5], v[90:91], v[8:9]
	v_add_f64 v[0:1], v[254:255], v[0:1]
	v_fma_f64 v[4:5], v[88:89], v[6:7], -v[4:5]
	v_accvgpr_read_b32 v6, a130
	v_add_f64 v[0:1], v[0:1], v[252:253]
	v_accvgpr_read_b32 v8, a132
	v_accvgpr_read_b32 v9, a133
	v_add_f64 v[0:1], v[0:1], v[4:5]
	v_accvgpr_read_b32 v7, a131
	v_mul_f64 v[4:5], v[106:107], v[8:9]
	v_fma_f64 v[4:5], v[104:105], v[6:7], -v[4:5]
	v_accvgpr_read_b32 v6, a134
	v_accvgpr_read_b32 v8, a136
	v_accvgpr_read_b32 v9, a137
	v_add_f64 v[0:1], v[0:1], v[4:5]
	v_accvgpr_read_b32 v7, a135
	v_mul_f64 v[4:5], v[110:111], v[8:9]
	v_fma_f64 v[4:5], v[108:109], v[6:7], -v[4:5]
	v_accvgpr_read_b32 v6, a138
	;; [unrolled: 7-line block ×4, first 2 shown]
	v_accvgpr_read_b32 v8, a148
	v_accvgpr_read_b32 v9, a149
	v_add_f64 v[0:1], v[0:1], v[4:5]
	v_accvgpr_read_b32 v7, a147
	v_mul_f64 v[4:5], v[122:123], v[8:9]
	v_fma_f64 v[4:5], v[120:121], v[6:7], -v[4:5]
	v_add_f64 v[0:1], v[0:1], v[4:5]
	v_mul_f64 v[4:5], v[126:127], v[30:31]
	v_fma_f64 v[4:5], v[124:125], v[28:29], -v[4:5]
	v_add_f64 v[0:1], v[0:1], v[4:5]
	;; [unrolled: 3-line block ×24, first 2 shown]
	s_waitcnt vmcnt(0)
	v_add_f64 v[4:5], v[236:237], -v[0:1]
	v_accvgpr_read_b32 v0, a124
	v_add_f64 v[6:7], v[238:239], -v[2:3]
	v_cmp_lt_u32_e32 vcc, 10, v0
	scratch_store_dwordx4 off, v[4:7], off offset:192
	s_and_saveexec_b64 s[0:1], vcc
	s_cbranch_execz .LBB61_377
; %bb.376:
	scratch_load_dwordx4 v[2:5], off, s63
	v_mov_b32_e32 v6, 0
	v_mov_b32_e32 v7, v6
	;; [unrolled: 1-line block ×4, first 2 shown]
	v_accvgpr_read_b32 v0, a125
	scratch_store_dwordx4 off, v[6:9], off offset:176
	s_waitcnt vmcnt(1)
	ds_write_b128 v0, v[2:5]
.LBB61_377:
	s_or_b64 exec, exec, s[0:1]
	s_waitcnt lgkmcnt(0)
	; wave barrier
	scratch_load_dwordx4 v[48:51], off, off offset:192
	scratch_load_dwordx4 v[52:55], off, off offset:208
	;; [unrolled: 1-line block ×28, first 2 shown]
	v_mov_b32_e32 v2, 0
	ds_read_b128 v[104:107], v2 offset:1168
	ds_read_b128 v[112:115], v2 offset:1184
	;; [unrolled: 1-line block ×18, first 2 shown]
	scratch_load_dwordx4 a[126:129], off, off offset:640
	scratch_load_dwordx4 v[234:237], off, off offset:656
	ds_read_b128 v[220:223], v2 offset:1456
	ds_read_b128 v[224:227], v2 offset:1472
	;; [unrolled: 1-line block ×5, first 2 shown]
	s_waitcnt vmcnt(29) lgkmcnt(14)
	v_mul_f64 v[0:1], v[104:105], v[50:51]
	s_waitcnt vmcnt(28)
	v_mul_f64 v[24:25], v[112:113], v[54:55]
	v_fmac_f64_e32 v[0:1], v[106:107], v[48:49]
	s_waitcnt vmcnt(27)
	v_mul_f64 v[26:27], v[116:117], v[58:59]
	v_fmac_f64_e32 v[24:25], v[114:115], v[52:53]
	v_add_f64 v[0:1], v[0:1], 0
	s_waitcnt vmcnt(26)
	v_mul_f64 v[28:29], v[120:121], v[62:63]
	v_fmac_f64_e32 v[26:27], v[118:119], v[56:57]
	v_add_f64 v[0:1], v[0:1], v[24:25]
	;; [unrolled: 4-line block ×7, first 2 shown]
	s_waitcnt vmcnt(20) lgkmcnt(13)
	v_mul_f64 v[40:41], v[172:173], v[86:87]
	v_fmac_f64_e32 v[38:39], v[162:163], v[80:81]
	v_add_f64 v[0:1], v[0:1], v[36:37]
	s_waitcnt vmcnt(19) lgkmcnt(12)
	v_mul_f64 v[42:43], v[184:185], v[94:95]
	v_fmac_f64_e32 v[40:41], v[174:175], v[84:85]
	v_add_f64 v[0:1], v[0:1], v[38:39]
	;; [unrolled: 4-line block ×8, first 2 shown]
	v_add_f64 v[0:1], v[0:1], v[96:97]
	v_fmac_f64_e32 v[98:99], v[214:215], v[152:153]
	s_waitcnt vmcnt(12) lgkmcnt(5)
	v_mul_f64 v[32:33], v[216:217], v[158:159]
	v_add_f64 v[0:1], v[0:1], v[98:99]
	v_fmac_f64_e32 v[32:33], v[218:219], v[156:157]
	v_add_f64 v[0:1], v[0:1], v[32:33]
	s_waitcnt vmcnt(11) lgkmcnt(4)
	v_mul_f64 v[32:33], v[220:221], v[166:167]
	v_fmac_f64_e32 v[32:33], v[222:223], v[164:165]
	v_add_f64 v[0:1], v[0:1], v[32:33]
	scratch_load_dwordx4 v[32:35], off, off offset:672
	s_waitcnt vmcnt(11) lgkmcnt(3)
	v_mul_f64 v[36:37], v[224:225], v[170:171]
	v_fmac_f64_e32 v[36:37], v[226:227], v[168:169]
	v_add_f64 v[0:1], v[0:1], v[36:37]
	s_waitcnt vmcnt(10) lgkmcnt(2)
	v_mul_f64 v[36:37], v[228:229], v[178:179]
	v_fmac_f64_e32 v[36:37], v[230:231], v[176:177]
	v_add_f64 v[0:1], v[0:1], v[36:37]
	scratch_load_dwordx4 v[36:39], off, off offset:688
	s_waitcnt vmcnt(10) lgkmcnt(1)
	v_mul_f64 v[40:41], v[238:239], v[182:183]
	v_fmac_f64_e32 v[40:41], v[240:241], v[180:181]
	v_add_f64 v[0:1], v[0:1], v[40:41]
	scratch_load_dwordx4 v[40:43], off, off offset:704
	ds_read_b128 v[88:91], v2 offset:1536
	s_waitcnt vmcnt(10) lgkmcnt(1)
	v_mul_f64 v[44:45], v[252:253], v[190:191]
	v_fmac_f64_e32 v[44:45], v[254:255], v[188:189]
	v_add_f64 v[0:1], v[0:1], v[44:45]
	scratch_load_dwordx4 v[44:47], off, off offset:720
	v_mul_f64 v[50:51], v[106:107], v[50:51]
	v_fma_f64 v[242:243], v[104:105], v[48:49], -v[50:51]
	scratch_load_dwordx4 v[48:51], off, off offset:736
	v_mul_f64 v[54:55], v[114:115], v[54:55]
	v_fma_f64 v[244:245], v[112:113], v[52:53], -v[54:55]
	scratch_load_dwordx4 v[52:55], off, off offset:752
	s_waitcnt vmcnt(12) lgkmcnt(0)
	v_mul_f64 v[96:97], v[88:89], v[6:7]
	v_fmac_f64_e32 v[96:97], v[90:91], v[4:5]
	v_mul_f64 v[58:59], v[118:119], v[58:59]
	v_add_f64 v[0:1], v[0:1], v[96:97]
	ds_read_b128 v[96:99], v2 offset:1552
	ds_read_b128 v[104:107], v2 offset:1568
	v_fma_f64 v[246:247], v[116:117], v[56:57], -v[58:59]
	scratch_load_dwordx4 v[56:59], off, off offset:768
	v_mul_f64 v[62:63], v[122:123], v[62:63]
	v_accvgpr_write_b32 a133, v7
	v_fma_f64 v[248:249], v[120:121], v[60:61], -v[62:63]
	scratch_load_dwordx4 v[60:63], off, off offset:784
	v_accvgpr_write_b32 a132, v6
	v_accvgpr_write_b32 a131, v5
	;; [unrolled: 1-line block ×3, first 2 shown]
	s_waitcnt vmcnt(13)
	v_mov_b64_e32 v[4:5], v[8:9]
	v_mov_b64_e32 v[6:7], v[10:11]
	v_mul_f64 v[66:67], v[126:127], v[66:67]
	s_waitcnt lgkmcnt(1)
	v_mul_f64 v[112:113], v[96:97], v[6:7]
	v_fma_f64 v[250:251], v[124:125], v[64:65], -v[66:67]
	scratch_load_dwordx4 v[64:67], off, off offset:800
	v_fmac_f64_e32 v[112:113], v[98:99], v[4:5]
	s_waitcnt vmcnt(13)
	v_mov_b64_e32 v[4:5], v[12:13]
	v_mov_b64_e32 v[6:7], v[14:15]
	v_add_f64 v[0:1], v[0:1], v[112:113]
	s_waitcnt lgkmcnt(0)
	v_mul_f64 v[112:113], v[104:105], v[6:7]
	v_fmac_f64_e32 v[112:113], v[106:107], v[4:5]
	v_add_f64 v[0:1], v[0:1], v[112:113]
	ds_read_b128 v[112:115], v2 offset:1584
	ds_read_b128 v[116:119], v2 offset:1600
	v_mul_f64 v[70:71], v[130:131], v[70:71]
	v_fma_f64 v[232:233], v[128:129], v[68:69], -v[70:71]
	scratch_load_dwordx4 v[68:71], off, off offset:816
	v_mul_f64 v[74:75], v[134:135], v[74:75]
	v_accvgpr_write_b32 a137, v11
	s_waitcnt vmcnt(13)
	v_mov_b64_e32 v[4:5], v[16:17]
	v_fma_f64 v[28:29], v[132:133], v[72:73], -v[74:75]
	scratch_load_dwordx4 v[72:75], off, off offset:832
	v_accvgpr_write_b32 a136, v10
	v_accvgpr_write_b32 a135, v9
	;; [unrolled: 1-line block ×3, first 2 shown]
	v_mov_b64_e32 v[6:7], v[18:19]
	s_waitcnt vmcnt(13)
	v_mov_b64_e32 v[8:9], v[20:21]
	s_waitcnt lgkmcnt(1)
	v_mul_f64 v[120:121], v[112:113], v[6:7]
	v_mov_b64_e32 v[10:11], v[22:23]
	v_fmac_f64_e32 v[120:121], v[114:115], v[4:5]
	s_waitcnt lgkmcnt(0)
	v_mul_f64 v[6:7], v[116:117], v[10:11]
	v_add_f64 v[0:1], v[0:1], v[120:121]
	v_fmac_f64_e32 v[6:7], v[118:119], v[8:9]
	v_add_f64 v[0:1], v[0:1], v[6:7]
	v_mul_f64 v[6:7], v[150:151], v[78:79]
	v_accvgpr_write_b32 a149, v23
	v_fma_f64 v[24:25], v[148:149], v[76:77], -v[6:7]
	scratch_load_dwordx4 v[76:79], off, off offset:848
	v_mul_f64 v[6:7], v[162:163], v[82:83]
	ds_read_b128 v[124:127], v2 offset:1616
	ds_read_b128 v[120:123], v2 offset:1632
	v_accvgpr_write_b32 a145, v19
	v_accvgpr_write_b32 a148, v22
	;; [unrolled: 1-line block ×4, first 2 shown]
	v_fma_f64 v[20:21], v[160:161], v[80:81], -v[6:7]
	v_mul_f64 v[6:7], v[174:175], v[86:87]
	v_accvgpr_write_b32 a144, v18
	v_accvgpr_write_b32 a143, v17
	;; [unrolled: 1-line block ×3, first 2 shown]
	v_fma_f64 v[16:17], v[172:173], v[84:85], -v[6:7]
	scratch_load_dwordx4 v[84:87], off, off offset:864
	scratch_load_dwordx4 v[80:83], off, off offset:880
	s_waitcnt vmcnt(15)
	v_accvgpr_read_b32 v8, a126
	v_accvgpr_read_b32 v10, a128
	;; [unrolled: 1-line block ×4, first 2 shown]
	s_waitcnt lgkmcnt(1)
	v_mul_f64 v[6:7], v[124:125], v[10:11]
	v_fmac_f64_e32 v[6:7], v[126:127], v[8:9]
	v_add_f64 v[0:1], v[0:1], v[6:7]
	s_waitcnt vmcnt(14) lgkmcnt(0)
	v_mul_f64 v[6:7], v[120:121], v[236:237]
	v_fmac_f64_e32 v[6:7], v[122:123], v[234:235]
	v_accvgpr_write_b32 a141, v15
	v_add_f64 v[0:1], v[0:1], v[6:7]
	v_mul_f64 v[6:7], v[186:187], v[94:95]
	v_accvgpr_write_b32 a140, v14
	v_accvgpr_write_b32 a139, v13
	;; [unrolled: 1-line block ×3, first 2 shown]
	v_fma_f64 v[14:15], v[184:185], v[92:93], -v[6:7]
	scratch_load_dwordx4 v[92:95], off, off offset:896
	v_mul_f64 v[6:7], v[194:195], v[102:103]
	v_fma_f64 v[12:13], v[192:193], v[100:101], -v[6:7]
	scratch_load_dwordx4 v[100:103], off, off offset:912
	v_mul_f64 v[6:7], v[198:199], v[110:111]
	v_fma_f64 v[18:19], v[196:197], v[108:109], -v[6:7]
	scratch_load_dwordx4 v[108:111], off, off offset:928
	ds_read_b128 v[128:131], v2 offset:1648
	ds_read_b128 v[132:135], v2 offset:1664
	;; [unrolled: 1-line block ×4, first 2 shown]
	v_mul_f64 v[182:183], v[240:241], v[182:183]
	s_waitcnt vmcnt(16) lgkmcnt(3)
	v_mul_f64 v[6:7], v[128:129], v[34:35]
	v_fmac_f64_e32 v[6:7], v[130:131], v[32:33]
	v_add_f64 v[0:1], v[0:1], v[6:7]
	v_mul_f64 v[6:7], v[202:203], v[138:139]
	v_fma_f64 v[10:11], v[200:201], v[136:137], -v[6:7]
	ds_read_b128 v[136:139], v2 offset:1680
	s_waitcnt vmcnt(15) lgkmcnt(3)
	v_mul_f64 v[6:7], v[132:133], v[38:39]
	v_fmac_f64_e32 v[6:7], v[134:135], v[36:37]
	v_add_f64 v[0:1], v[0:1], v[6:7]
	v_mul_f64 v[6:7], v[206:207], v[142:143]
	v_fma_f64 v[22:23], v[204:205], v[140:141], -v[6:7]
	ds_read_b128 v[140:143], v2 offset:1696
	s_waitcnt vmcnt(14) lgkmcnt(1)
	v_mul_f64 v[6:7], v[136:137], v[42:43]
	v_fmac_f64_e32 v[6:7], v[138:139], v[40:41]
	v_add_f64 v[0:1], v[0:1], v[6:7]
	v_mul_f64 v[6:7], v[210:211], v[146:147]
	v_fma_f64 v[8:9], v[208:209], v[144:145], -v[6:7]
	ds_read_b128 v[144:147], v2 offset:1712
	s_waitcnt vmcnt(13) lgkmcnt(1)
	v_mul_f64 v[6:7], v[140:141], v[46:47]
	v_fmac_f64_e32 v[6:7], v[142:143], v[44:45]
	v_add_f64 v[0:1], v[0:1], v[6:7]
	v_fma_f64 v[238:239], v[238:239], v[180:181], -v[182:183]
	s_waitcnt vmcnt(12) lgkmcnt(0)
	v_mul_f64 v[6:7], v[144:145], v[50:51]
	v_fmac_f64_e32 v[6:7], v[146:147], v[48:49]
	v_add_f64 v[0:1], v[0:1], v[6:7]
	v_mul_f64 v[6:7], v[214:215], v[154:155]
	v_fma_f64 v[26:27], v[212:213], v[152:153], -v[6:7]
	s_waitcnt vmcnt(11)
	v_mul_f64 v[6:7], v[148:149], v[54:55]
	v_fmac_f64_e32 v[6:7], v[150:151], v[52:53]
	ds_read_b128 v[152:155], v2 offset:1744
	v_add_f64 v[0:1], v[0:1], v[6:7]
	v_mul_f64 v[6:7], v[218:219], v[158:159]
	v_fma_f64 v[4:5], v[216:217], v[156:157], -v[6:7]
	ds_read_b128 v[156:159], v2 offset:1760
	s_waitcnt vmcnt(10) lgkmcnt(1)
	v_mul_f64 v[6:7], v[152:153], v[58:59]
	v_fmac_f64_e32 v[6:7], v[154:155], v[56:57]
	v_add_f64 v[0:1], v[0:1], v[6:7]
	ds_read_b128 v[180:183], v2 offset:1856
	s_waitcnt vmcnt(9) lgkmcnt(1)
	v_mul_f64 v[6:7], v[156:157], v[62:63]
	v_fmac_f64_e32 v[6:7], v[158:159], v[60:61]
	v_add_f64 v[0:1], v[0:1], v[6:7]
	v_mul_f64 v[6:7], v[222:223], v[166:167]
	v_fma_f64 v[30:31], v[220:221], v[164:165], -v[6:7]
	ds_read_b128 v[164:167], v2 offset:1792
	s_waitcnt vmcnt(8)
	v_mul_f64 v[6:7], v[160:161], v[66:67]
	v_fmac_f64_e32 v[6:7], v[162:163], v[64:65]
	v_add_f64 v[0:1], v[0:1], v[6:7]
	v_mul_f64 v[6:7], v[226:227], v[170:171]
	v_fma_f64 v[6:7], v[224:225], v[168:169], -v[6:7]
	ds_read_b128 v[168:171], v2 offset:1808
	s_waitcnt vmcnt(7) lgkmcnt(1)
	v_mul_f64 v[172:173], v[164:165], v[70:71]
	v_fmac_f64_e32 v[172:173], v[166:167], v[68:69]
	v_add_f64 v[0:1], v[0:1], v[172:173]
	ds_read_b128 v[172:175], v2 offset:1824
	s_waitcnt vmcnt(6) lgkmcnt(1)
	v_mul_f64 v[184:185], v[168:169], v[74:75]
	v_fmac_f64_e32 v[184:185], v[170:171], v[72:73]
	v_add_f64 v[184:185], v[0:1], v[184:185]
	v_mul_f64 v[0:1], v[230:231], v[178:179]
	v_fma_f64 v[0:1], v[228:229], v[176:177], -v[0:1]
	ds_read_b128 v[176:179], v2 offset:1840
	s_waitcnt vmcnt(5) lgkmcnt(1)
	v_mul_f64 v[186:187], v[172:173], v[78:79]
	v_fmac_f64_e32 v[186:187], v[174:175], v[76:77]
	v_add_f64 v[184:185], v[184:185], v[186:187]
	v_mul_f64 v[190:191], v[254:255], v[190:191]
	s_waitcnt vmcnt(4) lgkmcnt(0)
	v_mul_f64 v[186:187], v[176:177], v[86:87]
	v_fmac_f64_e32 v[186:187], v[178:179], v[84:85]
	v_add_f64 v[192:193], v[184:185], v[186:187]
	ds_read_b128 v[184:187], v2 offset:1872
	v_fma_f64 v[240:241], v[252:253], v[188:189], -v[190:191]
	ds_read_b128 v[188:191], v2 offset:1888
	s_waitcnt vmcnt(3)
	v_mul_f64 v[194:195], v[180:181], v[82:83]
	v_fmac_f64_e32 v[194:195], v[182:183], v[80:81]
	v_add_f64 v[192:193], v[192:193], v[194:195]
	s_waitcnt vmcnt(2) lgkmcnt(1)
	v_mul_f64 v[194:195], v[184:185], v[94:95]
	v_fmac_f64_e32 v[194:195], v[186:187], v[92:93]
	v_add_f64 v[192:193], v[192:193], v[194:195]
	s_waitcnt vmcnt(1) lgkmcnt(0)
	v_mul_f64 v[194:195], v[188:189], v[102:103]
	v_fmac_f64_e32 v[194:195], v[190:191], v[100:101]
	v_add_f64 v[196:197], v[192:193], v[194:195]
	ds_read_b128 v[192:195], v2 offset:1904
	ds_read_b128 v[200:203], v2 offset:1920
	;; [unrolled: 1-line block ×5, first 2 shown]
	s_waitcnt vmcnt(0) lgkmcnt(4)
	v_mul_f64 v[198:199], v[192:193], v[110:111]
	v_fmac_f64_e32 v[198:199], v[194:195], v[108:109]
	v_add_f64 v[204:205], v[196:197], v[198:199]
	scratch_load_dwordx4 v[196:199], off, off offset:944
	s_waitcnt vmcnt(0) lgkmcnt(3)
	v_mul_f64 v[206:207], v[200:201], v[198:199]
	v_fmac_f64_e32 v[206:207], v[202:203], v[196:197]
	v_add_f64 v[212:213], v[204:205], v[206:207]
	scratch_load_dwordx4 v[204:207], off, off offset:960
	;; [unrolled: 5-line block ×4, first 2 shown]
	s_waitcnt vmcnt(0) lgkmcnt(0)
	v_mul_f64 v[230:231], v[224:225], v[222:223]
	v_fmac_f64_e32 v[230:231], v[226:227], v[220:221]
	v_add_f64 v[254:255], v[228:229], v[230:231]
	v_add_f64 v[228:229], v[242:243], 0
	;; [unrolled: 1-line block ×8, first 2 shown]
	scratch_load_dwordx4 v[228:231], off, off offset:176
	v_add_f64 v[24:25], v[28:29], v[24:25]
	v_add_f64 v[20:21], v[24:25], v[20:21]
	;; [unrolled: 1-line block ×13, first 2 shown]
	v_accvgpr_read_b32 v6, a130
	v_accvgpr_read_b32 v8, a132
	;; [unrolled: 1-line block ×3, first 2 shown]
	v_add_f64 v[0:1], v[4:5], v[0:1]
	v_accvgpr_read_b32 v7, a131
	v_mul_f64 v[4:5], v[90:91], v[8:9]
	v_add_f64 v[0:1], v[0:1], v[238:239]
	v_fma_f64 v[4:5], v[88:89], v[6:7], -v[4:5]
	v_accvgpr_read_b32 v6, a134
	v_add_f64 v[0:1], v[0:1], v[240:241]
	v_accvgpr_read_b32 v8, a136
	v_accvgpr_read_b32 v9, a137
	v_add_f64 v[0:1], v[0:1], v[4:5]
	v_accvgpr_read_b32 v7, a135
	v_mul_f64 v[4:5], v[98:99], v[8:9]
	v_fma_f64 v[4:5], v[96:97], v[6:7], -v[4:5]
	v_accvgpr_read_b32 v6, a138
	v_accvgpr_read_b32 v8, a140
	v_accvgpr_read_b32 v9, a141
	v_add_f64 v[0:1], v[0:1], v[4:5]
	v_accvgpr_read_b32 v7, a139
	v_mul_f64 v[4:5], v[106:107], v[8:9]
	v_fma_f64 v[4:5], v[104:105], v[6:7], -v[4:5]
	v_accvgpr_read_b32 v6, a142
	;; [unrolled: 7-line block ×4, first 2 shown]
	v_accvgpr_read_b32 v8, a128
	v_accvgpr_read_b32 v9, a129
	v_add_f64 v[0:1], v[0:1], v[4:5]
	v_accvgpr_read_b32 v7, a127
	v_mul_f64 v[4:5], v[126:127], v[8:9]
	v_fma_f64 v[4:5], v[124:125], v[6:7], -v[4:5]
	v_add_f64 v[0:1], v[0:1], v[4:5]
	v_mul_f64 v[4:5], v[122:123], v[236:237]
	v_fma_f64 v[4:5], v[120:121], v[234:235], -v[4:5]
	v_add_f64 v[0:1], v[0:1], v[4:5]
	;; [unrolled: 3-line block ×23, first 2 shown]
	s_waitcnt vmcnt(0)
	v_add_f64 v[4:5], v[228:229], -v[0:1]
	v_accvgpr_read_b32 v0, a124
	v_add_f64 v[6:7], v[230:231], -v[254:255]
	v_cmp_lt_u32_e32 vcc, 9, v0
	scratch_store_dwordx4 off, v[4:7], off offset:176
	s_and_saveexec_b64 s[0:1], vcc
	s_cbranch_execz .LBB61_379
; %bb.378:
	scratch_load_dwordx4 v[6:9], off, s62
	v_mov_b32_e32 v3, v2
	v_mov_b32_e32 v4, v2
	;; [unrolled: 1-line block ×3, first 2 shown]
	v_accvgpr_read_b32 v0, a125
	scratch_store_dwordx4 off, v[2:5], off offset:160
	s_waitcnt vmcnt(1)
	ds_write_b128 v0, v[6:9]
.LBB61_379:
	s_or_b64 exec, exec, s[0:1]
	s_waitcnt lgkmcnt(0)
	; wave barrier
	scratch_load_dwordx4 v[48:51], off, off offset:176
	scratch_load_dwordx4 v[52:55], off, off offset:192
	;; [unrolled: 1-line block ×18, first 2 shown]
	ds_read_b128 v[104:107], v2 offset:1152
	ds_read_b128 v[208:211], v2 offset:1168
	;; [unrolled: 1-line block ×6, first 2 shown]
	scratch_load_dwordx4 v[164:167], off, off offset:464
	ds_read_b128 v[192:195], v2 offset:1248
	ds_read_b128 v[124:127], v2 offset:1264
	scratch_load_dwordx4 v[168:171], off, off offset:480
	ds_read_b128 v[212:215], v2 offset:1280
	ds_read_b128 v[204:207], v2 offset:1296
	;; [unrolled: 1-line block ×5, first 2 shown]
	scratch_load_dwordx4 v[176:179], off, off offset:496
	ds_read_b128 v[200:203], v2 offset:1360
	ds_read_b128 v[172:175], v2 offset:1376
	scratch_load_dwordx4 v[180:183], off, off offset:512
	ds_read_b128 v[216:219], v2 offset:1392
	ds_read_b128 v[184:187], v2 offset:1408
	;; [unrolled: 1-line block ×3, first 2 shown]
	scratch_load_dwordx4 v[188:191], off, off offset:528
	scratch_load_dwordx4 v[4:7], off, off offset:544
	scratch_load_dwordx4 v[8:11], off, off offset:560
	scratch_load_dwordx4 v[12:15], off, off offset:576
	scratch_load_dwordx4 v[16:19], off, off offset:592
	scratch_load_dwordx4 v[20:23], off, off offset:608
	scratch_load_dwordx4 a[126:129], off, off offset:624
	scratch_load_dwordx4 a[130:133], off, off offset:640
	ds_read_b128 v[220:223], v2 offset:1440
	ds_read_b128 v[224:227], v2 offset:1456
	;; [unrolled: 1-line block ×5, first 2 shown]
	s_waitcnt vmcnt(29) lgkmcnt(14)
	v_mul_f64 v[0:1], v[104:105], v[50:51]
	s_waitcnt vmcnt(28)
	v_mul_f64 v[24:25], v[208:209], v[54:55]
	v_fmac_f64_e32 v[0:1], v[106:107], v[48:49]
	s_waitcnt vmcnt(27)
	v_mul_f64 v[26:27], v[196:197], v[58:59]
	v_fmac_f64_e32 v[24:25], v[210:211], v[52:53]
	v_add_f64 v[0:1], v[0:1], 0
	s_waitcnt vmcnt(26)
	v_mul_f64 v[28:29], v[112:113], v[62:63]
	v_fmac_f64_e32 v[26:27], v[198:199], v[56:57]
	v_add_f64 v[0:1], v[0:1], v[24:25]
	s_waitcnt vmcnt(25)
	v_mul_f64 v[30:31], v[120:121], v[66:67]
	v_fmac_f64_e32 v[28:29], v[114:115], v[60:61]
	v_add_f64 v[0:1], v[0:1], v[26:27]
	s_waitcnt vmcnt(24)
	v_mul_f64 v[32:33], v[116:117], v[70:71]
	v_fmac_f64_e32 v[30:31], v[122:123], v[64:65]
	v_add_f64 v[0:1], v[0:1], v[28:29]
	s_waitcnt vmcnt(23)
	v_mul_f64 v[34:35], v[192:193], v[74:75]
	v_fmac_f64_e32 v[32:33], v[118:119], v[68:69]
	v_add_f64 v[0:1], v[0:1], v[30:31]
	s_waitcnt vmcnt(22)
	v_mul_f64 v[36:37], v[124:125], v[78:79]
	v_fmac_f64_e32 v[34:35], v[194:195], v[72:73]
	v_add_f64 v[0:1], v[0:1], v[32:33]
	s_waitcnt vmcnt(21)
	v_mul_f64 v[38:39], v[212:213], v[82:83]
	v_fmac_f64_e32 v[36:37], v[126:127], v[76:77]
	v_add_f64 v[0:1], v[0:1], v[34:35]
	s_waitcnt vmcnt(20) lgkmcnt(13)
	v_mul_f64 v[40:41], v[204:205], v[86:87]
	v_fmac_f64_e32 v[38:39], v[214:215], v[80:81]
	v_add_f64 v[0:1], v[0:1], v[36:37]
	s_waitcnt vmcnt(19) lgkmcnt(12)
	v_mul_f64 v[42:43], v[128:129], v[94:95]
	v_fmac_f64_e32 v[40:41], v[206:207], v[84:85]
	v_add_f64 v[0:1], v[0:1], v[38:39]
	;; [unrolled: 4-line block ×8, first 2 shown]
	v_fmac_f64_e32 v[98:99], v[186:187], v[152:153]
	v_add_f64 v[0:1], v[0:1], v[96:97]
	s_waitcnt vmcnt(12) lgkmcnt(5)
	v_mul_f64 v[32:33], v[160:161], v[158:159]
	v_add_f64 v[0:1], v[0:1], v[98:99]
	v_fmac_f64_e32 v[32:33], v[162:163], v[156:157]
	v_add_f64 v[0:1], v[0:1], v[32:33]
	s_waitcnt vmcnt(11) lgkmcnt(4)
	v_mul_f64 v[32:33], v[220:221], v[166:167]
	v_fmac_f64_e32 v[32:33], v[222:223], v[164:165]
	v_add_f64 v[0:1], v[0:1], v[32:33]
	scratch_load_dwordx4 v[32:35], off, off offset:656
	s_waitcnt vmcnt(11) lgkmcnt(3)
	v_mul_f64 v[36:37], v[224:225], v[170:171]
	v_fmac_f64_e32 v[36:37], v[226:227], v[168:169]
	v_add_f64 v[0:1], v[0:1], v[36:37]
	s_waitcnt vmcnt(10) lgkmcnt(2)
	v_mul_f64 v[36:37], v[228:229], v[178:179]
	v_fmac_f64_e32 v[36:37], v[230:231], v[176:177]
	v_add_f64 v[0:1], v[0:1], v[36:37]
	scratch_load_dwordx4 v[36:39], off, off offset:672
	s_waitcnt vmcnt(10) lgkmcnt(1)
	v_mul_f64 v[40:41], v[232:233], v[182:183]
	v_fmac_f64_e32 v[40:41], v[234:235], v[180:181]
	ds_read_b128 v[88:91], v2 offset:1520
	s_waitcnt vmcnt(9) lgkmcnt(1)
	v_mul_f64 v[44:45], v[236:237], v[190:191]
	v_add_f64 v[0:1], v[0:1], v[40:41]
	scratch_load_dwordx4 v[40:43], off, off offset:688
	v_fmac_f64_e32 v[44:45], v[238:239], v[188:189]
	v_add_f64 v[0:1], v[0:1], v[44:45]
	scratch_load_dwordx4 v[44:47], off, off offset:704
	v_mul_f64 v[50:51], v[106:107], v[50:51]
	v_fma_f64 v[242:243], v[104:105], v[48:49], -v[50:51]
	scratch_load_dwordx4 v[48:51], off, off offset:720
	s_waitcnt vmcnt(11) lgkmcnt(0)
	v_mul_f64 v[96:97], v[88:89], v[6:7]
	v_mul_f64 v[54:55], v[210:211], v[54:55]
	v_fmac_f64_e32 v[96:97], v[90:91], v[4:5]
	v_fma_f64 v[244:245], v[208:209], v[52:53], -v[54:55]
	scratch_load_dwordx4 v[52:55], off, off offset:736
	v_mul_f64 v[58:59], v[198:199], v[58:59]
	v_add_f64 v[0:1], v[0:1], v[96:97]
	ds_read_b128 v[96:99], v2 offset:1536
	ds_read_b128 v[104:107], v2 offset:1552
	v_fma_f64 v[246:247], v[196:197], v[56:57], -v[58:59]
	scratch_load_dwordx4 v[56:59], off, off offset:752
	v_mul_f64 v[62:63], v[114:115], v[62:63]
	v_accvgpr_write_b32 a137, v7
	v_fma_f64 v[248:249], v[112:113], v[60:61], -v[62:63]
	scratch_load_dwordx4 v[60:63], off, off offset:768
	v_accvgpr_write_b32 a136, v6
	v_accvgpr_write_b32 a135, v5
	;; [unrolled: 1-line block ×3, first 2 shown]
	s_waitcnt vmcnt(13)
	v_mov_b64_e32 v[4:5], v[8:9]
	v_mov_b64_e32 v[6:7], v[10:11]
	s_waitcnt lgkmcnt(1)
	v_mul_f64 v[208:209], v[96:97], v[6:7]
	v_fmac_f64_e32 v[208:209], v[98:99], v[4:5]
	s_waitcnt vmcnt(12)
	v_mov_b64_e32 v[4:5], v[12:13]
	ds_read_b128 v[112:115], v2 offset:1568
	v_mov_b64_e32 v[6:7], v[14:15]
	s_waitcnt lgkmcnt(1)
	v_mul_f64 v[196:197], v[104:105], v[6:7]
	v_mul_f64 v[66:67], v[122:123], v[66:67]
	;; [unrolled: 1-line block ×3, first 2 shown]
	v_fmac_f64_e32 v[196:197], v[106:107], v[4:5]
	v_fma_f64 v[250:251], v[120:121], v[64:65], -v[66:67]
	scratch_load_dwordx4 v[64:67], off, off offset:784
	v_fma_f64 v[254:255], v[116:117], v[68:69], -v[70:71]
	ds_read_b128 v[116:119], v2 offset:1584
	s_waitcnt vmcnt(12)
	v_mov_b64_e32 v[4:5], v[16:17]
	v_mov_b64_e32 v[6:7], v[18:19]
	scratch_load_dwordx4 v[68:71], off, off offset:800
	s_waitcnt lgkmcnt(1)
	v_mul_f64 v[120:121], v[112:113], v[6:7]
	v_mul_f64 v[74:75], v[194:195], v[74:75]
	v_add_f64 v[0:1], v[0:1], v[208:209]
	v_fmac_f64_e32 v[120:121], v[114:115], v[4:5]
	v_fma_f64 v[240:241], v[192:193], v[72:73], -v[74:75]
	s_waitcnt vmcnt(12)
	v_mov_b64_e32 v[4:5], v[20:21]
	scratch_load_dwordx4 v[72:75], off, off offset:816
	v_add_f64 v[0:1], v[0:1], v[196:197]
	v_mov_b64_e32 v[6:7], v[22:23]
	v_add_f64 v[0:1], v[0:1], v[120:121]
	s_waitcnt lgkmcnt(0)
	v_mul_f64 v[120:121], v[116:117], v[6:7]
	v_fmac_f64_e32 v[120:121], v[118:119], v[4:5]
	v_mul_f64 v[78:79], v[126:127], v[78:79]
	v_add_f64 v[0:1], v[0:1], v[120:121]
	v_fma_f64 v[28:29], v[124:125], v[76:77], -v[78:79]
	scratch_load_dwordx4 v[76:79], off, off offset:832
	ds_read_b128 v[124:127], v2 offset:1600
	ds_read_b128 v[120:123], v2 offset:1616
	v_mul_f64 v[6:7], v[214:215], v[82:83]
	v_fma_f64 v[24:25], v[212:213], v[80:81], -v[6:7]
	s_waitcnt vmcnt(13)
	v_accvgpr_read_b32 v4, a126
	v_accvgpr_write_b32 a141, v11
	v_accvgpr_write_b32 a153, v23
	v_mul_f64 v[80:81], v[206:207], v[86:87]
	v_accvgpr_read_b32 v6, a128
	v_accvgpr_read_b32 v7, a129
	v_accvgpr_write_b32 a140, v10
	v_accvgpr_write_b32 a139, v9
	;; [unrolled: 1-line block ×6, first 2 shown]
	v_fma_f64 v[20:21], v[204:205], v[84:85], -v[80:81]
	scratch_load_dwordx4 v[84:87], off, off offset:848
	v_accvgpr_read_b32 v5, a127
	s_waitcnt lgkmcnt(1)
	v_mul_f64 v[10:11], v[124:125], v[6:7]
	v_fmac_f64_e32 v[10:11], v[126:127], v[4:5]
	s_waitcnt vmcnt(13)
	v_accvgpr_read_b32 v4, a130
	v_accvgpr_read_b32 v6, a132
	;; [unrolled: 1-line block ×3, first 2 shown]
	v_add_f64 v[0:1], v[0:1], v[10:11]
	v_accvgpr_read_b32 v5, a131
	s_waitcnt lgkmcnt(0)
	v_mul_f64 v[10:11], v[120:121], v[6:7]
	v_fmac_f64_e32 v[10:11], v[122:123], v[4:5]
	v_accvgpr_write_b32 a149, v19
	scratch_load_dwordx4 v[80:83], off, off offset:864
	v_add_f64 v[0:1], v[0:1], v[10:11]
	v_mul_f64 v[10:11], v[130:131], v[94:95]
	v_accvgpr_write_b32 a145, v15
	v_accvgpr_write_b32 a148, v18
	;; [unrolled: 1-line block ×4, first 2 shown]
	v_fma_f64 v[16:17], v[128:129], v[92:93], -v[10:11]
	v_mul_f64 v[92:93], v[134:135], v[102:103]
	v_accvgpr_write_b32 a144, v14
	v_accvgpr_write_b32 a143, v13
	;; [unrolled: 1-line block ×3, first 2 shown]
	v_fma_f64 v[12:13], v[132:133], v[100:101], -v[92:93]
	scratch_load_dwordx4 v[92:95], off, off offset:880
	ds_read_b128 v[128:131], v2 offset:1632
	ds_read_b128 v[132:135], v2 offset:1648
	scratch_load_dwordx4 v[100:103], off, off offset:896
	v_mul_f64 v[14:15], v[150:151], v[110:111]
	v_fma_f64 v[14:15], v[148:149], v[108:109], -v[14:15]
	s_waitcnt vmcnt(15) lgkmcnt(1)
	v_mul_f64 v[108:109], v[128:129], v[34:35]
	v_fmac_f64_e32 v[108:109], v[130:131], v[32:33]
	v_add_f64 v[0:1], v[0:1], v[108:109]
	v_mul_f64 v[108:109], v[202:203], v[138:139]
	v_fma_f64 v[10:11], v[200:201], v[136:137], -v[108:109]
	scratch_load_dwordx4 v[108:111], off, off offset:912
	s_waitcnt vmcnt(15) lgkmcnt(0)
	v_mul_f64 v[18:19], v[132:133], v[38:39]
	v_fmac_f64_e32 v[18:19], v[134:135], v[36:37]
	ds_read_b128 v[136:139], v2 offset:1664
	v_add_f64 v[0:1], v[0:1], v[18:19]
	v_mul_f64 v[18:19], v[174:175], v[142:143]
	v_fma_f64 v[18:19], v[172:173], v[140:141], -v[18:19]
	ds_read_b128 v[140:143], v2 offset:1680
	v_mul_f64 v[146:147], v[218:219], v[146:147]
	v_fma_f64 v[8:9], v[216:217], v[144:145], -v[146:147]
	ds_read_b128 v[144:147], v2 offset:1696
	s_waitcnt vmcnt(14) lgkmcnt(2)
	v_mul_f64 v[148:149], v[136:137], v[42:43]
	v_fmac_f64_e32 v[148:149], v[138:139], v[40:41]
	s_waitcnt vmcnt(13) lgkmcnt(1)
	v_mul_f64 v[22:23], v[140:141], v[46:47]
	v_add_f64 v[0:1], v[0:1], v[148:149]
	v_fmac_f64_e32 v[22:23], v[142:143], v[44:45]
	ds_read_b128 v[148:151], v2 offset:1712
	v_add_f64 v[0:1], v[0:1], v[22:23]
	s_waitcnt vmcnt(12) lgkmcnt(1)
	v_mul_f64 v[22:23], v[144:145], v[50:51]
	v_fmac_f64_e32 v[22:23], v[146:147], v[48:49]
	v_add_f64 v[0:1], v[0:1], v[22:23]
	v_mul_f64 v[22:23], v[186:187], v[154:155]
	v_fma_f64 v[22:23], v[184:185], v[152:153], -v[22:23]
	ds_read_b128 v[152:155], v2 offset:1728
	v_mul_f64 v[158:159], v[162:163], v[158:159]
	v_fma_f64 v[6:7], v[160:161], v[156:157], -v[158:159]
	ds_read_b128 v[156:159], v2 offset:1744
	s_waitcnt vmcnt(11) lgkmcnt(2)
	v_mul_f64 v[172:173], v[148:149], v[54:55]
	v_fmac_f64_e32 v[172:173], v[150:151], v[52:53]
	s_waitcnt vmcnt(10) lgkmcnt(1)
	v_mul_f64 v[26:27], v[152:153], v[58:59]
	v_add_f64 v[0:1], v[0:1], v[172:173]
	v_fmac_f64_e32 v[26:27], v[154:155], v[56:57]
	v_add_f64 v[0:1], v[0:1], v[26:27]
	s_waitcnt vmcnt(9) lgkmcnt(0)
	v_mul_f64 v[26:27], v[156:157], v[62:63]
	v_fmac_f64_e32 v[26:27], v[158:159], v[60:61]
	ds_read_b128 v[160:163], v2 offset:1760
	v_add_f64 v[0:1], v[0:1], v[26:27]
	v_mul_f64 v[26:27], v[222:223], v[166:167]
	v_fma_f64 v[26:27], v[220:221], v[164:165], -v[26:27]
	ds_read_b128 v[164:167], v2 offset:1776
	v_mul_f64 v[170:171], v[226:227], v[170:171]
	v_fma_f64 v[4:5], v[224:225], v[168:169], -v[170:171]
	ds_read_b128 v[168:171], v2 offset:1792
	s_waitcnt vmcnt(8) lgkmcnt(2)
	v_mul_f64 v[172:173], v[160:161], v[66:67]
	v_fmac_f64_e32 v[172:173], v[162:163], v[64:65]
	s_waitcnt vmcnt(7) lgkmcnt(1)
	v_mul_f64 v[30:31], v[164:165], v[70:71]
	v_add_f64 v[0:1], v[0:1], v[172:173]
	v_fmac_f64_e32 v[30:31], v[166:167], v[68:69]
	v_add_f64 v[0:1], v[0:1], v[30:31]
	ds_read_b128 v[172:175], v2 offset:1808
	s_waitcnt vmcnt(6) lgkmcnt(1)
	v_mul_f64 v[30:31], v[168:169], v[74:75]
	v_fmac_f64_e32 v[30:31], v[170:171], v[72:73]
	v_add_f64 v[30:31], v[0:1], v[30:31]
	v_mul_f64 v[0:1], v[230:231], v[178:179]
	v_fma_f64 v[0:1], v[228:229], v[176:177], -v[0:1]
	ds_read_b128 v[176:179], v2 offset:1824
	v_mul_f64 v[182:183], v[234:235], v[182:183]
	s_waitcnt vmcnt(5) lgkmcnt(1)
	v_mul_f64 v[184:185], v[172:173], v[78:79]
	v_fma_f64 v[180:181], v[232:233], v[180:181], -v[182:183]
	v_fmac_f64_e32 v[184:185], v[174:175], v[76:77]
	v_accvgpr_write_b32 a154, v180
	v_mul_f64 v[190:191], v[238:239], v[190:191]
	v_accvgpr_write_b32 a155, v181
	ds_read_b128 v[180:183], v2 offset:1840
	v_add_f64 v[30:31], v[30:31], v[184:185]
	v_fma_f64 v[252:253], v[236:237], v[188:189], -v[190:191]
	scratch_load_dwordx4 v[236:239], off, off offset:160
	s_waitcnt vmcnt(5) lgkmcnt(1)
	v_mul_f64 v[184:185], v[176:177], v[86:87]
	v_fmac_f64_e32 v[184:185], v[178:179], v[84:85]
	v_add_f64 v[30:31], v[30:31], v[184:185]
	ds_read_b128 v[184:187], v2 offset:1856
	ds_read_b128 v[188:191], v2 offset:1872
	s_waitcnt vmcnt(4) lgkmcnt(2)
	v_mul_f64 v[192:193], v[180:181], v[82:83]
	v_fmac_f64_e32 v[192:193], v[182:183], v[80:81]
	v_add_f64 v[30:31], v[30:31], v[192:193]
	s_waitcnt vmcnt(3) lgkmcnt(1)
	v_mul_f64 v[192:193], v[184:185], v[94:95]
	v_fmac_f64_e32 v[192:193], v[186:187], v[92:93]
	v_add_f64 v[30:31], v[30:31], v[192:193]
	;; [unrolled: 4-line block ×3, first 2 shown]
	ds_read_b128 v[192:195], v2 offset:1888
	ds_read_b128 v[200:203], v2 offset:1904
	scratch_load_dwordx4 v[232:235], off, off offset:992
	ds_read_b128 v[208:211], v2 offset:1920
	ds_read_b128 v[216:219], v2 offset:1936
	s_waitcnt vmcnt(2) lgkmcnt(3)
	v_mul_f64 v[196:197], v[192:193], v[110:111]
	v_fmac_f64_e32 v[196:197], v[194:195], v[108:109]
	v_add_f64 v[30:31], v[30:31], v[196:197]
	scratch_load_dwordx4 v[196:199], off, off offset:928
	ds_read_b128 v[224:227], v2 offset:1952
	s_waitcnt vmcnt(0) lgkmcnt(3)
	v_mul_f64 v[204:205], v[200:201], v[198:199]
	v_fmac_f64_e32 v[204:205], v[202:203], v[196:197]
	v_add_f64 v[30:31], v[30:31], v[204:205]
	scratch_load_dwordx4 v[204:207], off, off offset:944
	s_waitcnt vmcnt(0) lgkmcnt(2)
	v_mul_f64 v[212:213], v[208:209], v[206:207]
	v_fmac_f64_e32 v[212:213], v[210:211], v[204:205]
	v_add_f64 v[30:31], v[30:31], v[212:213]
	scratch_load_dwordx4 v[212:215], off, off offset:960
	s_waitcnt vmcnt(0) lgkmcnt(1)
	v_mul_f64 v[220:221], v[216:217], v[214:215]
	v_fmac_f64_e32 v[220:221], v[218:219], v[212:213]
	v_add_f64 v[30:31], v[30:31], v[220:221]
	scratch_load_dwordx4 v[220:223], off, off offset:976
	s_waitcnt vmcnt(0) lgkmcnt(0)
	v_mul_f64 v[228:229], v[224:225], v[222:223]
	v_fmac_f64_e32 v[228:229], v[226:227], v[220:221]
	v_add_f64 v[30:31], v[30:31], v[228:229]
	ds_read_b128 v[228:231], v2 offset:1968
	s_waitcnt lgkmcnt(0)
	v_mul_f64 v[2:3], v[228:229], v[234:235]
	v_fmac_f64_e32 v[2:3], v[230:231], v[232:233]
	v_add_f64 v[2:3], v[30:31], v[2:3]
	v_add_f64 v[30:31], v[242:243], 0
	;; [unrolled: 1-line block ×21, first 2 shown]
	v_accvgpr_read_b32 v6, a134
	v_add_f64 v[254:255], v[4:5], v[0:1]
	v_accvgpr_read_b32 v0, a154
	v_accvgpr_read_b32 v8, a136
	;; [unrolled: 1-line block ×5, first 2 shown]
	v_mul_f64 v[4:5], v[90:91], v[8:9]
	v_add_f64 v[0:1], v[254:255], v[0:1]
	v_fma_f64 v[4:5], v[88:89], v[6:7], -v[4:5]
	v_accvgpr_read_b32 v6, a138
	v_add_f64 v[0:1], v[0:1], v[252:253]
	v_accvgpr_read_b32 v8, a140
	v_accvgpr_read_b32 v9, a141
	v_add_f64 v[0:1], v[0:1], v[4:5]
	v_accvgpr_read_b32 v7, a139
	v_mul_f64 v[4:5], v[98:99], v[8:9]
	v_fma_f64 v[4:5], v[96:97], v[6:7], -v[4:5]
	v_accvgpr_read_b32 v6, a142
	v_accvgpr_read_b32 v8, a144
	v_accvgpr_read_b32 v9, a145
	v_add_f64 v[0:1], v[0:1], v[4:5]
	v_accvgpr_read_b32 v7, a143
	v_mul_f64 v[4:5], v[106:107], v[8:9]
	v_fma_f64 v[4:5], v[104:105], v[6:7], -v[4:5]
	v_accvgpr_read_b32 v6, a146
	v_accvgpr_read_b32 v8, a148
	v_accvgpr_read_b32 v9, a149
	v_add_f64 v[0:1], v[0:1], v[4:5]
	v_accvgpr_read_b32 v7, a147
	v_mul_f64 v[4:5], v[114:115], v[8:9]
	v_fma_f64 v[4:5], v[112:113], v[6:7], -v[4:5]
	v_accvgpr_read_b32 v6, a150
	v_accvgpr_read_b32 v8, a152
	v_accvgpr_read_b32 v9, a153
	v_add_f64 v[0:1], v[0:1], v[4:5]
	v_accvgpr_read_b32 v7, a151
	v_mul_f64 v[4:5], v[118:119], v[8:9]
	v_fma_f64 v[4:5], v[116:117], v[6:7], -v[4:5]
	v_accvgpr_read_b32 v6, a126
	v_accvgpr_read_b32 v8, a128
	v_accvgpr_read_b32 v9, a129
	v_add_f64 v[0:1], v[0:1], v[4:5]
	v_accvgpr_read_b32 v7, a127
	v_mul_f64 v[4:5], v[126:127], v[8:9]
	v_fma_f64 v[4:5], v[124:125], v[6:7], -v[4:5]
	v_accvgpr_read_b32 v6, a130
	v_accvgpr_read_b32 v8, a132
	v_accvgpr_read_b32 v9, a133
	v_add_f64 v[0:1], v[0:1], v[4:5]
	v_accvgpr_read_b32 v7, a131
	v_mul_f64 v[4:5], v[122:123], v[8:9]
	v_fma_f64 v[4:5], v[120:121], v[6:7], -v[4:5]
	v_add_f64 v[0:1], v[0:1], v[4:5]
	v_mul_f64 v[4:5], v[130:131], v[34:35]
	v_fma_f64 v[4:5], v[128:129], v[32:33], -v[4:5]
	v_add_f64 v[0:1], v[0:1], v[4:5]
	;; [unrolled: 3-line block ×23, first 2 shown]
	v_add_f64 v[4:5], v[236:237], -v[0:1]
	v_accvgpr_read_b32 v0, a124
	v_add_f64 v[6:7], v[238:239], -v[2:3]
	v_cmp_lt_u32_e32 vcc, 8, v0
	scratch_store_dwordx4 off, v[4:7], off offset:160
	s_and_saveexec_b64 s[0:1], vcc
	s_cbranch_execz .LBB61_381
; %bb.380:
	scratch_load_dwordx4 v[2:5], off, s61
	v_mov_b32_e32 v6, 0
	v_mov_b32_e32 v7, v6
	;; [unrolled: 1-line block ×4, first 2 shown]
	v_accvgpr_read_b32 v0, a125
	scratch_store_dwordx4 off, v[6:9], off offset:144
	s_waitcnt vmcnt(1)
	ds_write_b128 v0, v[2:5]
.LBB61_381:
	s_or_b64 exec, exec, s[0:1]
	s_waitcnt lgkmcnt(0)
	; wave barrier
	scratch_load_dwordx4 v[40:43], off, off offset:160
	scratch_load_dwordx4 v[44:47], off, off offset:176
	;; [unrolled: 1-line block ×29, first 2 shown]
	v_mov_b32_e32 v2, 0
	ds_read_b128 v[80:83], v2 offset:1136
	ds_read_b128 v[100:103], v2 offset:1152
	;; [unrolled: 1-line block ×18, first 2 shown]
	scratch_load_dwordx4 a[126:129], off, off offset:624
	scratch_load_dwordx4 a[130:133], off, off offset:640
	;; [unrolled: 1-line block ×4, first 2 shown]
	ds_read_b128 v[228:231], v2 offset:1488
	ds_read_b128 v[238:241], v2 offset:1504
	;; [unrolled: 1-line block ×4, first 2 shown]
	s_waitcnt vmcnt(32) lgkmcnt(14)
	v_mul_f64 v[0:1], v[80:81], v[42:43]
	s_waitcnt vmcnt(31)
	v_mul_f64 v[20:21], v[100:101], v[46:47]
	v_fmac_f64_e32 v[0:1], v[82:83], v[40:41]
	s_waitcnt vmcnt(30)
	v_mul_f64 v[22:23], v[104:105], v[50:51]
	v_fmac_f64_e32 v[20:21], v[102:103], v[44:45]
	v_add_f64 v[0:1], v[0:1], 0
	s_waitcnt vmcnt(29)
	v_mul_f64 v[24:25], v[108:109], v[54:55]
	v_fmac_f64_e32 v[22:23], v[106:107], v[48:49]
	v_add_f64 v[0:1], v[0:1], v[20:21]
	;; [unrolled: 4-line block ×6, first 2 shown]
	s_waitcnt vmcnt(24) lgkmcnt(13)
	v_mul_f64 v[34:35], v[144:145], v[74:75]
	v_fmac_f64_e32 v[32:33], v[134:135], v[68:69]
	v_add_f64 v[0:1], v[0:1], v[30:31]
	s_waitcnt vmcnt(23) lgkmcnt(12)
	v_mul_f64 v[36:37], v[156:157], v[78:79]
	v_fmac_f64_e32 v[34:35], v[146:147], v[72:73]
	v_add_f64 v[0:1], v[0:1], v[32:33]
	;; [unrolled: 4-line block ×7, first 2 shown]
	v_fmac_f64_e32 v[218:219], v[198:199], v[124:125]
	v_add_f64 v[0:1], v[0:1], v[216:217]
	ds_read_b128 v[212:215], v2 offset:1424
	s_waitcnt vmcnt(17) lgkmcnt(7)
	v_mul_f64 v[220:221], v[200:201], v[130:131]
	v_add_f64 v[0:1], v[0:1], v[218:219]
	ds_read_b128 v[216:219], v2 offset:1440
	v_fmac_f64_e32 v[220:221], v[202:203], v[128:129]
	s_waitcnt vmcnt(16) lgkmcnt(7)
	v_mul_f64 v[20:21], v[204:205], v[138:139]
	v_add_f64 v[0:1], v[0:1], v[220:221]
	v_fmac_f64_e32 v[20:21], v[206:207], v[136:137]
	s_waitcnt vmcnt(15) lgkmcnt(6)
	v_mul_f64 v[24:25], v[208:209], v[142:143]
	ds_read_b128 v[220:223], v2 offset:1456
	v_add_f64 v[0:1], v[0:1], v[20:21]
	v_fmac_f64_e32 v[24:25], v[210:211], v[140:141]
	v_add_f64 v[0:1], v[0:1], v[24:25]
	s_waitcnt vmcnt(14) lgkmcnt(2)
	v_mul_f64 v[24:25], v[212:213], v[150:151]
	v_fmac_f64_e32 v[24:25], v[214:215], v[148:149]
	s_waitcnt vmcnt(13) lgkmcnt(1)
	v_mul_f64 v[28:29], v[216:217], v[154:155]
	v_add_f64 v[0:1], v[0:1], v[24:25]
	v_fmac_f64_e32 v[28:29], v[218:219], v[152:153]
	v_add_f64 v[0:1], v[0:1], v[28:29]
	s_waitcnt vmcnt(12) lgkmcnt(0)
	v_mul_f64 v[28:29], v[220:221], v[162:163]
	v_fmac_f64_e32 v[28:29], v[222:223], v[160:161]
	s_waitcnt vmcnt(11)
	v_mul_f64 v[32:33], v[224:225], v[166:167]
	v_add_f64 v[0:1], v[0:1], v[28:29]
	v_fmac_f64_e32 v[32:33], v[226:227], v[164:165]
	v_add_f64 v[0:1], v[0:1], v[32:33]
	s_waitcnt vmcnt(10)
	v_mul_f64 v[32:33], v[228:229], v[174:175]
	v_fmac_f64_e32 v[32:33], v[230:231], v[172:173]
	s_waitcnt vmcnt(9)
	v_mul_f64 v[36:37], v[238:239], v[178:179]
	v_add_f64 v[0:1], v[0:1], v[32:33]
	v_fmac_f64_e32 v[36:37], v[240:241], v[176:177]
	v_mul_f64 v[42:43], v[82:83], v[42:43]
	v_add_f64 v[0:1], v[0:1], v[36:37]
	scratch_load_dwordx4 v[36:39], off, off offset:688
	v_fma_f64 v[242:243], v[80:81], v[40:41], -v[42:43]
	ds_read_b128 v[80:83], v2 offset:1536
	s_waitcnt vmcnt(9)
	v_mul_f64 v[40:41], v[252:253], v[186:187]
	v_fmac_f64_e32 v[40:41], v[254:255], v[184:185]
	v_add_f64 v[0:1], v[0:1], v[40:41]
	v_mul_f64 v[40:41], v[102:103], v[46:47]
	v_fma_f64 v[244:245], v[100:101], v[44:45], -v[40:41]
	scratch_load_dwordx4 v[40:43], off, off offset:704
	s_waitcnt vmcnt(9) lgkmcnt(0)
	v_mul_f64 v[44:45], v[80:81], v[6:7]
	v_fmac_f64_e32 v[44:45], v[82:83], v[4:5]
	v_add_f64 v[0:1], v[0:1], v[44:45]
	scratch_load_dwordx4 v[44:47], off, off offset:720
	v_mul_f64 v[50:51], v[106:107], v[50:51]
	v_fma_f64 v[246:247], v[104:105], v[48:49], -v[50:51]
	ds_read_b128 v[100:103], v2 offset:1552
	v_mul_f64 v[48:49], v[110:111], v[54:55]
	v_fma_f64 v[248:249], v[108:109], v[52:53], -v[48:49]
	scratch_load_dwordx4 v[52:55], off, off offset:736
	scratch_load_dwordx4 v[48:51], off, off offset:752
	v_accvgpr_write_b32 a141, v7
	v_accvgpr_write_b32 a140, v6
	;; [unrolled: 1-line block ×4, first 2 shown]
	s_waitcnt vmcnt(11)
	v_mov_b64_e32 v[4:5], v[8:9]
	v_mul_f64 v[58:59], v[114:115], v[58:59]
	v_mov_b64_e32 v[6:7], v[10:11]
	v_fma_f64 v[250:251], v[112:113], v[56:57], -v[58:59]
	s_waitcnt lgkmcnt(0)
	v_mul_f64 v[56:57], v[100:101], v[6:7]
	v_fmac_f64_e32 v[56:57], v[102:103], v[4:5]
	v_add_f64 v[0:1], v[0:1], v[56:57]
	v_mul_f64 v[56:57], v[118:119], v[62:63]
	v_fma_f64 v[232:233], v[116:117], v[60:61], -v[56:57]
	scratch_load_dwordx4 v[56:59], off, off offset:768
	scratch_load_dwordx4 v[60:63], off, off offset:784
	ds_read_b128 v[104:107], v2 offset:1568
	ds_read_b128 v[112:115], v2 offset:1600
	v_mul_f64 v[66:67], v[122:123], v[66:67]
	v_fma_f64 v[32:33], v[120:121], v[64:65], -v[66:67]
	scratch_load_dwordx4 v[64:67], off, off offset:800
	s_waitcnt vmcnt(13)
	v_mov_b64_e32 v[4:5], v[12:13]
	v_mov_b64_e32 v[6:7], v[14:15]
	s_waitcnt lgkmcnt(1)
	v_mul_f64 v[108:109], v[104:105], v[6:7]
	v_fmac_f64_e32 v[108:109], v[106:107], v[4:5]
	v_mul_f64 v[6:7], v[134:135], v[70:71]
	v_add_f64 v[0:1], v[0:1], v[108:109]
	ds_read_b128 v[108:111], v2 offset:1584
	ds_read_b128 v[116:119], v2 offset:1616
	v_fma_f64 v[28:29], v[132:133], v[68:69], -v[6:7]
	scratch_load_dwordx4 v[68:71], off, off offset:816
	v_mul_f64 v[6:7], v[146:147], v[74:75]
	v_accvgpr_write_b32 a145, v11
	v_fma_f64 v[24:25], v[144:145], v[72:73], -v[6:7]
	scratch_load_dwordx4 v[72:75], off, off offset:832
	v_accvgpr_write_b32 a144, v10
	v_accvgpr_write_b32 a143, v9
	;; [unrolled: 1-line block ×3, first 2 shown]
	s_waitcnt vmcnt(14)
	v_mov_b64_e32 v[8:9], v[16:17]
	v_mov_b64_e32 v[10:11], v[18:19]
	s_waitcnt lgkmcnt(1)
	v_mul_f64 v[6:7], v[108:109], v[10:11]
	v_fmac_f64_e32 v[6:7], v[110:111], v[8:9]
	s_waitcnt vmcnt(13)
	v_accvgpr_read_b32 v8, a126
	v_add_f64 v[0:1], v[0:1], v[6:7]
	v_mul_f64 v[6:7], v[158:159], v[78:79]
	v_accvgpr_read_b32 v10, a128
	v_accvgpr_read_b32 v11, a129
	v_fma_f64 v[20:21], v[156:157], v[76:77], -v[6:7]
	v_accvgpr_read_b32 v9, a127
	v_mul_f64 v[6:7], v[112:113], v[10:11]
	scratch_load_dwordx4 v[76:79], off, off offset:848
	v_accvgpr_write_b32 a149, v15
	v_fmac_f64_e32 v[6:7], v[114:115], v[8:9]
	v_accvgpr_write_b32 a148, v14
	v_accvgpr_write_b32 a147, v13
	;; [unrolled: 1-line block ×4, first 2 shown]
	v_mul_f64 v[14:15], v[170:171], v[86:87]
	v_add_f64 v[0:1], v[0:1], v[6:7]
	v_mul_f64 v[6:7], v[182:183], v[90:91]
	v_accvgpr_write_b32 a152, v18
	v_accvgpr_write_b32 a151, v17
	;; [unrolled: 1-line block ×3, first 2 shown]
	v_fma_f64 v[16:17], v[168:169], v[84:85], -v[14:15]
	v_fma_f64 v[14:15], v[180:181], v[88:89], -v[6:7]
	ds_read_b128 v[120:123], v2 offset:1632
	scratch_load_dwordx4 v[88:91], off, off offset:864
	scratch_load_dwordx4 v[84:87], off, off offset:880
	s_waitcnt vmcnt(15)
	v_accvgpr_read_b32 v8, a130
	v_accvgpr_read_b32 v10, a132
	;; [unrolled: 1-line block ×3, first 2 shown]
	v_mul_f64 v[18:19], v[190:191], v[94:95]
	v_accvgpr_read_b32 v9, a131
	s_waitcnt lgkmcnt(1)
	v_mul_f64 v[6:7], v[116:117], v[10:11]
	v_fma_f64 v[18:19], v[188:189], v[92:93], -v[18:19]
	v_mul_f64 v[92:93], v[194:195], v[98:99]
	v_fmac_f64_e32 v[6:7], v[118:119], v[8:9]
	s_waitcnt vmcnt(14)
	v_accvgpr_read_b32 v8, a134
	v_fma_f64 v[12:13], v[192:193], v[96:97], -v[92:93]
	scratch_load_dwordx4 v[92:95], off, off offset:896
	v_accvgpr_read_b32 v10, a136
	v_accvgpr_read_b32 v11, a137
	v_mul_f64 v[96:97], v[202:203], v[130:131]
	v_add_f64 v[0:1], v[0:1], v[6:7]
	s_waitcnt lgkmcnt(0)
	v_mul_f64 v[6:7], v[120:121], v[10:11]
	v_fma_f64 v[10:11], v[200:201], v[128:129], -v[96:97]
	scratch_load_dwordx4 v[96:99], off, off offset:912
	v_mul_f64 v[22:23], v[198:199], v[126:127]
	v_fma_f64 v[22:23], v[196:197], v[124:125], -v[22:23]
	ds_read_b128 v[124:127], v2 offset:1648
	ds_read_b128 v[128:131], v2 offset:1664
	v_accvgpr_read_b32 v9, a135
	v_fmac_f64_e32 v[6:7], v[122:123], v[8:9]
	v_add_f64 v[0:1], v[0:1], v[6:7]
	s_waitcnt vmcnt(15) lgkmcnt(1)
	v_mul_f64 v[6:7], v[124:125], v[236:237]
	ds_read_b128 v[132:135], v2 offset:1680
	v_fmac_f64_e32 v[6:7], v[126:127], v[234:235]
	v_add_f64 v[0:1], v[0:1], v[6:7]
	s_waitcnt vmcnt(14) lgkmcnt(1)
	v_mul_f64 v[6:7], v[128:129], v[38:39]
	v_fmac_f64_e32 v[6:7], v[130:131], v[36:37]
	v_add_f64 v[0:1], v[0:1], v[6:7]
	v_mul_f64 v[6:7], v[206:207], v[138:139]
	v_fma_f64 v[26:27], v[204:205], v[136:137], -v[6:7]
	ds_read_b128 v[136:139], v2 offset:1696
	s_waitcnt vmcnt(13) lgkmcnt(1)
	v_mul_f64 v[6:7], v[132:133], v[42:43]
	v_fmac_f64_e32 v[6:7], v[134:135], v[40:41]
	v_add_f64 v[0:1], v[0:1], v[6:7]
	v_mul_f64 v[6:7], v[210:211], v[142:143]
	v_fma_f64 v[8:9], v[208:209], v[140:141], -v[6:7]
	ds_read_b128 v[140:143], v2 offset:1712
	ds_read_b128 v[144:147], v2 offset:1728
	s_waitcnt vmcnt(12) lgkmcnt(2)
	v_mul_f64 v[6:7], v[136:137], v[46:47]
	v_fmac_f64_e32 v[6:7], v[138:139], v[44:45]
	v_add_f64 v[0:1], v[0:1], v[6:7]
	s_waitcnt vmcnt(11) lgkmcnt(1)
	v_mul_f64 v[6:7], v[140:141], v[54:55]
	v_fmac_f64_e32 v[6:7], v[142:143], v[52:53]
	v_add_f64 v[0:1], v[0:1], v[6:7]
	v_mul_f64 v[6:7], v[214:215], v[150:151]
	v_fma_f64 v[30:31], v[212:213], v[148:149], -v[6:7]
	ds_read_b128 v[148:151], v2 offset:1744
	v_mul_f64 v[154:155], v[218:219], v[154:155]
	v_fma_f64 v[4:5], v[216:217], v[152:153], -v[154:155]
	ds_read_b128 v[152:155], v2 offset:1760
	s_waitcnt vmcnt(10) lgkmcnt(2)
	v_mul_f64 v[6:7], v[144:145], v[50:51]
	v_fmac_f64_e32 v[6:7], v[146:147], v[48:49]
	v_add_f64 v[0:1], v[0:1], v[6:7]
	s_waitcnt vmcnt(9) lgkmcnt(1)
	v_mul_f64 v[6:7], v[148:149], v[58:59]
	ds_read_b128 v[156:159], v2 offset:1776
	v_fmac_f64_e32 v[6:7], v[150:151], v[56:57]
	v_add_f64 v[0:1], v[0:1], v[6:7]
	s_waitcnt vmcnt(8) lgkmcnt(1)
	v_mul_f64 v[6:7], v[152:153], v[62:63]
	v_fmac_f64_e32 v[6:7], v[154:155], v[60:61]
	v_add_f64 v[0:1], v[0:1], v[6:7]
	v_mul_f64 v[6:7], v[222:223], v[162:163]
	v_fma_f64 v[34:35], v[220:221], v[160:161], -v[6:7]
	ds_read_b128 v[160:163], v2 offset:1792
	s_waitcnt vmcnt(7) lgkmcnt(1)
	v_mul_f64 v[6:7], v[156:157], v[66:67]
	v_fmac_f64_e32 v[6:7], v[158:159], v[64:65]
	v_add_f64 v[0:1], v[0:1], v[6:7]
	v_mul_f64 v[6:7], v[226:227], v[166:167]
	v_fma_f64 v[6:7], v[224:225], v[164:165], -v[6:7]
	ds_read_b128 v[164:167], v2 offset:1808
	s_waitcnt vmcnt(6) lgkmcnt(1)
	v_mul_f64 v[168:169], v[160:161], v[70:71]
	v_fmac_f64_e32 v[168:169], v[162:163], v[68:69]
	v_add_f64 v[0:1], v[0:1], v[168:169]
	ds_read_b128 v[168:171], v2 offset:1824
	s_waitcnt vmcnt(5) lgkmcnt(1)
	v_mul_f64 v[180:181], v[164:165], v[74:75]
	v_fmac_f64_e32 v[180:181], v[166:167], v[72:73]
	v_add_f64 v[180:181], v[0:1], v[180:181]
	v_mul_f64 v[0:1], v[230:231], v[174:175]
	v_fma_f64 v[0:1], v[228:229], v[172:173], -v[0:1]
	ds_read_b128 v[172:175], v2 offset:1840
	s_waitcnt vmcnt(4) lgkmcnt(1)
	v_mul_f64 v[182:183], v[168:169], v[78:79]
	v_fmac_f64_e32 v[182:183], v[170:171], v[76:77]
	v_mul_f64 v[178:179], v[240:241], v[178:179]
	v_fma_f64 v[238:239], v[238:239], v[176:177], -v[178:179]
	ds_read_b128 v[176:179], v2 offset:1856
	v_add_f64 v[180:181], v[180:181], v[182:183]
	s_waitcnt vmcnt(3) lgkmcnt(1)
	v_mul_f64 v[182:183], v[172:173], v[90:91]
	v_fmac_f64_e32 v[182:183], v[174:175], v[88:89]
	v_add_f64 v[188:189], v[180:181], v[182:183]
	ds_read_b128 v[180:183], v2 offset:1872
	v_mul_f64 v[186:187], v[254:255], v[186:187]
	v_fma_f64 v[252:253], v[252:253], v[184:185], -v[186:187]
	ds_read_b128 v[184:187], v2 offset:1888
	s_waitcnt vmcnt(2) lgkmcnt(2)
	v_mul_f64 v[190:191], v[176:177], v[86:87]
	v_fmac_f64_e32 v[190:191], v[178:179], v[84:85]
	v_add_f64 v[188:189], v[188:189], v[190:191]
	s_waitcnt vmcnt(1) lgkmcnt(1)
	v_mul_f64 v[190:191], v[180:181], v[94:95]
	v_fmac_f64_e32 v[190:191], v[182:183], v[92:93]
	v_add_f64 v[188:189], v[188:189], v[190:191]
	;; [unrolled: 4-line block ×3, first 2 shown]
	scratch_load_dwordx4 v[188:191], off, off offset:928
	ds_read_b128 v[192:195], v2 offset:1904
	ds_read_b128 v[200:203], v2 offset:1920
	ds_read_b128 v[208:211], v2 offset:1936
	ds_read_b128 v[216:219], v2 offset:1952
	ds_read_b128 v[224:227], v2 offset:1968
	s_waitcnt vmcnt(0) lgkmcnt(4)
	v_mul_f64 v[198:199], v[192:193], v[190:191]
	v_fmac_f64_e32 v[198:199], v[194:195], v[188:189]
	v_add_f64 v[204:205], v[196:197], v[198:199]
	scratch_load_dwordx4 v[196:199], off, off offset:944
	s_waitcnt vmcnt(0) lgkmcnt(3)
	v_mul_f64 v[206:207], v[200:201], v[198:199]
	v_fmac_f64_e32 v[206:207], v[202:203], v[196:197]
	v_add_f64 v[212:213], v[204:205], v[206:207]
	scratch_load_dwordx4 v[204:207], off, off offset:960
	;; [unrolled: 5-line block ×4, first 2 shown]
	s_waitcnt vmcnt(0) lgkmcnt(0)
	v_mul_f64 v[230:231], v[224:225], v[222:223]
	v_fmac_f64_e32 v[230:231], v[226:227], v[220:221]
	v_add_f64 v[240:241], v[228:229], v[230:231]
	v_add_f64 v[228:229], v[242:243], 0
	;; [unrolled: 1-line block ×8, first 2 shown]
	scratch_load_dwordx4 v[228:231], off, off offset:144
	v_add_f64 v[28:29], v[32:33], v[28:29]
	v_add_f64 v[24:25], v[28:29], v[24:25]
	;; [unrolled: 1-line block ×15, first 2 shown]
	v_accvgpr_read_b32 v6, a138
	v_accvgpr_read_b32 v8, a140
	;; [unrolled: 1-line block ×3, first 2 shown]
	v_add_f64 v[0:1], v[4:5], v[0:1]
	v_accvgpr_read_b32 v7, a139
	v_mul_f64 v[4:5], v[82:83], v[8:9]
	v_add_f64 v[0:1], v[0:1], v[238:239]
	v_fma_f64 v[4:5], v[80:81], v[6:7], -v[4:5]
	v_accvgpr_read_b32 v6, a142
	v_add_f64 v[0:1], v[0:1], v[252:253]
	v_accvgpr_read_b32 v8, a144
	v_accvgpr_read_b32 v9, a145
	v_add_f64 v[0:1], v[0:1], v[4:5]
	v_accvgpr_read_b32 v7, a143
	v_mul_f64 v[4:5], v[102:103], v[8:9]
	v_fma_f64 v[4:5], v[100:101], v[6:7], -v[4:5]
	v_accvgpr_read_b32 v6, a146
	v_accvgpr_read_b32 v8, a148
	v_accvgpr_read_b32 v9, a149
	v_add_f64 v[0:1], v[0:1], v[4:5]
	v_accvgpr_read_b32 v7, a147
	v_mul_f64 v[4:5], v[106:107], v[8:9]
	v_fma_f64 v[4:5], v[104:105], v[6:7], -v[4:5]
	v_accvgpr_read_b32 v6, a150
	;; [unrolled: 7-line block ×5, first 2 shown]
	v_accvgpr_read_b32 v8, a136
	v_accvgpr_read_b32 v9, a137
	v_add_f64 v[0:1], v[0:1], v[4:5]
	v_accvgpr_read_b32 v7, a135
	v_mul_f64 v[4:5], v[122:123], v[8:9]
	v_fma_f64 v[4:5], v[120:121], v[6:7], -v[4:5]
	v_add_f64 v[0:1], v[0:1], v[4:5]
	v_mul_f64 v[4:5], v[126:127], v[236:237]
	v_fma_f64 v[4:5], v[124:125], v[234:235], -v[4:5]
	v_add_f64 v[0:1], v[0:1], v[4:5]
	;; [unrolled: 3-line block ×22, first 2 shown]
	s_waitcnt vmcnt(0)
	v_add_f64 v[4:5], v[228:229], -v[0:1]
	v_accvgpr_read_b32 v0, a124
	v_add_f64 v[6:7], v[230:231], -v[240:241]
	v_cmp_lt_u32_e32 vcc, 7, v0
	scratch_store_dwordx4 off, v[4:7], off offset:144
	s_and_saveexec_b64 s[0:1], vcc
	s_cbranch_execz .LBB61_383
; %bb.382:
	scratch_load_dwordx4 v[6:9], off, s60
	v_mov_b32_e32 v3, v2
	v_mov_b32_e32 v4, v2
	;; [unrolled: 1-line block ×3, first 2 shown]
	v_accvgpr_read_b32 v0, a125
	scratch_store_dwordx4 off, v[2:5], off offset:128
	s_waitcnt vmcnt(1)
	ds_write_b128 v0, v[6:9]
.LBB61_383:
	s_or_b64 exec, exec, s[0:1]
	s_waitcnt lgkmcnt(0)
	; wave barrier
	scratch_load_dwordx4 v[40:43], off, off offset:144
	scratch_load_dwordx4 v[44:47], off, off offset:160
	;; [unrolled: 1-line block ×18, first 2 shown]
	ds_read_b128 v[80:83], v2 offset:1120
	ds_read_b128 v[204:207], v2 offset:1136
	;; [unrolled: 1-line block ×6, first 2 shown]
	scratch_load_dwordx4 v[148:151], off, off offset:432
	ds_read_b128 v[180:183], v2 offset:1216
	ds_read_b128 v[112:115], v2 offset:1232
	scratch_load_dwordx4 v[152:155], off, off offset:448
	ds_read_b128 v[208:211], v2 offset:1248
	ds_read_b128 v[200:203], v2 offset:1264
	;; [unrolled: 1-line block ×5, first 2 shown]
	scratch_load_dwordx4 v[160:163], off, off offset:464
	ds_read_b128 v[196:199], v2 offset:1328
	ds_read_b128 v[192:195], v2 offset:1344
	;; [unrolled: 1-line block ×4, first 2 shown]
	scratch_load_dwordx4 v[164:167], off, off offset:480
	ds_read_b128 v[168:171], v2 offset:1392
	scratch_load_dwordx4 v[172:175], off, off offset:496
	scratch_load_dwordx4 v[176:179], off, off offset:512
	;; [unrolled: 1-line block ×7, first 2 shown]
	ds_read_b128 v[228:231], v2 offset:1472
	ds_read_b128 v[232:235], v2 offset:1488
	scratch_load_dwordx4 a[130:133], off, off offset:640
	scratch_load_dwordx4 a[134:137], off, off offset:656
	ds_read_b128 v[236:239], v2 offset:1504
	scratch_load_dwordx4 a[126:129], off, off offset:624
	ds_read_b128 v[224:227], v2 offset:1456
	s_waitcnt vmcnt(31) lgkmcnt(14)
	v_mul_f64 v[0:1], v[80:81], v[42:43]
	s_waitcnt vmcnt(30)
	v_mul_f64 v[20:21], v[204:205], v[46:47]
	v_fmac_f64_e32 v[0:1], v[82:83], v[40:41]
	s_waitcnt vmcnt(29)
	v_mul_f64 v[22:23], v[100:101], v[50:51]
	v_fmac_f64_e32 v[20:21], v[206:207], v[44:45]
	v_add_f64 v[0:1], v[0:1], 0
	v_fmac_f64_e32 v[22:23], v[102:103], v[48:49]
	v_add_f64 v[0:1], v[0:1], v[20:21]
	v_add_f64 v[0:1], v[0:1], v[22:23]
	scratch_load_dwordx4 v[20:23], off, off offset:608
	s_waitcnt vmcnt(29)
	v_mul_f64 v[24:25], v[116:117], v[54:55]
	s_waitcnt vmcnt(28)
	v_mul_f64 v[26:27], v[104:105], v[58:59]
	v_fmac_f64_e32 v[24:25], v[118:119], v[52:53]
	s_waitcnt vmcnt(27)
	v_mul_f64 v[28:29], v[108:109], v[62:63]
	v_fmac_f64_e32 v[26:27], v[106:107], v[56:57]
	v_add_f64 v[0:1], v[0:1], v[24:25]
	s_waitcnt vmcnt(26)
	v_mul_f64 v[30:31], v[180:181], v[66:67]
	v_fmac_f64_e32 v[28:29], v[110:111], v[60:61]
	v_add_f64 v[0:1], v[0:1], v[26:27]
	;; [unrolled: 4-line block ×3, first 2 shown]
	s_waitcnt vmcnt(24) lgkmcnt(13)
	v_mul_f64 v[34:35], v[208:209], v[74:75]
	v_fmac_f64_e32 v[32:33], v[114:115], v[68:69]
	v_add_f64 v[0:1], v[0:1], v[30:31]
	s_waitcnt vmcnt(23) lgkmcnt(12)
	v_mul_f64 v[36:37], v[200:201], v[78:79]
	v_fmac_f64_e32 v[34:35], v[210:211], v[72:73]
	v_add_f64 v[0:1], v[0:1], v[32:33]
	;; [unrolled: 4-line block ×8, first 2 shown]
	ds_read_b128 v[212:215], v2 offset:1408
	s_waitcnt vmcnt(16) lgkmcnt(6)
	v_mul_f64 v[222:223], v[144:145], v[138:139]
	v_fmac_f64_e32 v[220:221], v[158:159], v[128:129]
	v_add_f64 v[0:1], v[0:1], v[218:219]
	ds_read_b128 v[216:219], v2 offset:1424
	v_add_f64 v[0:1], v[0:1], v[220:221]
	v_fmac_f64_e32 v[222:223], v[146:147], v[136:137]
	v_add_f64 v[0:1], v[0:1], v[222:223]
	s_waitcnt vmcnt(15) lgkmcnt(6)
	v_mul_f64 v[24:25], v[168:169], v[142:143]
	ds_read_b128 v[220:223], v2 offset:1440
	v_fmac_f64_e32 v[24:25], v[170:171], v[140:141]
	v_add_f64 v[0:1], v[0:1], v[24:25]
	s_waitcnt vmcnt(14) lgkmcnt(2)
	v_mul_f64 v[24:25], v[212:213], v[150:151]
	v_fmac_f64_e32 v[24:25], v[214:215], v[148:149]
	s_waitcnt vmcnt(13) lgkmcnt(1)
	v_mul_f64 v[28:29], v[216:217], v[154:155]
	v_add_f64 v[0:1], v[0:1], v[24:25]
	v_fmac_f64_e32 v[28:29], v[218:219], v[152:153]
	v_add_f64 v[0:1], v[0:1], v[28:29]
	s_waitcnt vmcnt(12) lgkmcnt(0)
	v_mul_f64 v[28:29], v[220:221], v[162:163]
	v_fmac_f64_e32 v[28:29], v[222:223], v[160:161]
	s_waitcnt vmcnt(11)
	v_mul_f64 v[32:33], v[224:225], v[166:167]
	v_add_f64 v[0:1], v[0:1], v[28:29]
	v_fmac_f64_e32 v[32:33], v[226:227], v[164:165]
	v_add_f64 v[0:1], v[0:1], v[32:33]
	s_waitcnt vmcnt(10)
	v_mul_f64 v[32:33], v[228:229], v[174:175]
	v_fmac_f64_e32 v[32:33], v[230:231], v[172:173]
	s_waitcnt vmcnt(9)
	v_mul_f64 v[36:37], v[232:233], v[178:179]
	v_add_f64 v[0:1], v[0:1], v[32:33]
	v_fmac_f64_e32 v[36:37], v[234:235], v[176:177]
	v_mul_f64 v[42:43], v[82:83], v[42:43]
	v_add_f64 v[0:1], v[0:1], v[36:37]
	scratch_load_dwordx4 v[36:39], off, off offset:672
	v_fma_f64 v[240:241], v[80:81], v[40:41], -v[42:43]
	ds_read_b128 v[80:83], v2 offset:1520
	s_waitcnt vmcnt(9)
	v_mul_f64 v[40:41], v[236:237], v[186:187]
	v_fmac_f64_e32 v[40:41], v[238:239], v[184:185]
	v_add_f64 v[0:1], v[0:1], v[40:41]
	v_mul_f64 v[40:41], v[206:207], v[46:47]
	v_fma_f64 v[242:243], v[204:205], v[44:45], -v[40:41]
	scratch_load_dwordx4 v[40:43], off, off offset:688
	s_waitcnt vmcnt(9) lgkmcnt(0)
	v_mul_f64 v[44:45], v[80:81], v[6:7]
	v_fmac_f64_e32 v[44:45], v[82:83], v[4:5]
	v_add_f64 v[0:1], v[0:1], v[44:45]
	scratch_load_dwordx4 v[44:47], off, off offset:704
	v_mul_f64 v[50:51], v[102:103], v[50:51]
	v_fma_f64 v[244:245], v[100:101], v[48:49], -v[50:51]
	ds_read_b128 v[100:103], v2 offset:1536
	v_mul_f64 v[48:49], v[118:119], v[54:55]
	v_fma_f64 v[246:247], v[116:117], v[52:53], -v[48:49]
	scratch_load_dwordx4 v[52:55], off, off offset:720
	scratch_load_dwordx4 v[48:51], off, off offset:736
	v_accvgpr_write_b32 a141, v7
	v_accvgpr_write_b32 a140, v6
	;; [unrolled: 1-line block ×4, first 2 shown]
	s_waitcnt vmcnt(11)
	v_mov_b64_e32 v[4:5], v[8:9]
	v_mul_f64 v[58:59], v[106:107], v[58:59]
	v_mov_b64_e32 v[6:7], v[10:11]
	v_fma_f64 v[248:249], v[104:105], v[56:57], -v[58:59]
	s_waitcnt lgkmcnt(0)
	v_mul_f64 v[56:57], v[100:101], v[6:7]
	ds_read_b128 v[104:107], v2 offset:1552
	v_fmac_f64_e32 v[56:57], v[102:103], v[4:5]
	v_add_f64 v[0:1], v[0:1], v[56:57]
	v_mul_f64 v[56:57], v[110:111], v[62:63]
	v_fma_f64 v[250:251], v[108:109], v[60:61], -v[56:57]
	scratch_load_dwordx4 v[56:59], off, off offset:752
	scratch_load_dwordx4 v[60:63], off, off offset:768
	s_waitcnt vmcnt(12)
	v_mov_b64_e32 v[4:5], v[12:13]
	v_mul_f64 v[66:67], v[182:183], v[66:67]
	v_mov_b64_e32 v[6:7], v[14:15]
	v_fma_f64 v[252:253], v[180:181], v[64:65], -v[66:67]
	v_mul_f64 v[64:65], v[114:115], v[70:71]
	v_fma_f64 v[32:33], v[112:113], v[68:69], -v[64:65]
	ds_read_b128 v[112:115], v2 offset:1584
	s_waitcnt lgkmcnt(1)
	v_mul_f64 v[108:109], v[104:105], v[6:7]
	v_fmac_f64_e32 v[108:109], v[106:107], v[4:5]
	v_add_f64 v[0:1], v[0:1], v[108:109]
	ds_read_b128 v[108:111], v2 offset:1568
	ds_read_b128 v[116:119], v2 offset:1600
	scratch_load_dwordx4 v[64:67], off, off offset:784
	scratch_load_dwordx4 v[68:71], off, off offset:800
	v_mul_f64 v[6:7], v[210:211], v[74:75]
	v_fma_f64 v[28:29], v[208:209], v[72:73], -v[6:7]
	s_waitcnt vmcnt(13)
	v_mov_b64_e32 v[4:5], v[16:17]
	v_mov_b64_e32 v[6:7], v[18:19]
	s_waitcnt lgkmcnt(1)
	v_mul_f64 v[72:73], v[108:109], v[6:7]
	v_fmac_f64_e32 v[72:73], v[110:111], v[4:5]
	v_add_f64 v[0:1], v[0:1], v[72:73]
	v_mul_f64 v[72:73], v[202:203], v[78:79]
	v_fma_f64 v[24:25], v[200:201], v[76:77], -v[72:73]
	scratch_load_dwordx4 v[72:75], off, off offset:816
	s_waitcnt vmcnt(10)
	v_mov_b64_e32 v[4:5], v[20:21]
	v_accvgpr_write_b32 a145, v11
	v_mov_b64_e32 v[6:7], v[22:23]
	v_mul_f64 v[76:77], v[190:191], v[86:87]
	v_accvgpr_write_b32 a144, v10
	v_accvgpr_write_b32 a143, v9
	;; [unrolled: 1-line block ×3, first 2 shown]
	v_mul_f64 v[10:11], v[112:113], v[6:7]
	v_fma_f64 v[254:255], v[188:189], v[84:85], -v[76:77]
	scratch_load_dwordx4 v[76:79], off, off offset:832
	v_fmac_f64_e32 v[10:11], v[114:115], v[4:5]
	v_accvgpr_write_b32 a157, v23
	v_add_f64 v[0:1], v[0:1], v[10:11]
	v_mul_f64 v[10:11], v[122:123], v[90:91]
	v_accvgpr_write_b32 a156, v22
	v_accvgpr_write_b32 a155, v21
	;; [unrolled: 1-line block ×3, first 2 shown]
	v_fma_f64 v[20:21], v[120:121], v[88:89], -v[10:11]
	ds_read_b128 v[120:123], v2 offset:1616
	scratch_load_dwordx4 v[88:91], off, off offset:848
	scratch_load_dwordx4 v[84:87], off, off offset:864
	v_accvgpr_write_b32 a149, v15
	v_accvgpr_write_b32 a148, v14
	v_accvgpr_write_b32 a147, v13
	v_accvgpr_write_b32 a146, v12
	v_accvgpr_write_b32 a153, v19
	v_mul_f64 v[14:15], v[134:135], v[94:95]
	v_accvgpr_write_b32 a152, v18
	v_accvgpr_write_b32 a151, v17
	;; [unrolled: 1-line block ×3, first 2 shown]
	v_fma_f64 v[16:17], v[132:133], v[92:93], -v[14:15]
	v_mul_f64 v[92:93], v[198:199], v[98:99]
	v_fma_f64 v[14:15], v[196:197], v[96:97], -v[92:93]
	scratch_load_dwordx4 v[92:95], off, off offset:880
	v_mul_f64 v[96:97], v[158:159], v[130:131]
	v_fma_f64 v[12:13], v[156:157], v[128:129], -v[96:97]
	scratch_load_dwordx4 v[96:99], off, off offset:896
	v_accvgpr_read_b32 v4, a126
	v_accvgpr_read_b32 v6, a128
	;; [unrolled: 1-line block ×4, first 2 shown]
	s_waitcnt lgkmcnt(1)
	v_mul_f64 v[10:11], v[116:117], v[6:7]
	v_mul_f64 v[18:19], v[194:195], v[126:127]
	v_fmac_f64_e32 v[10:11], v[118:119], v[4:5]
	v_accvgpr_read_b32 v4, a130
	v_fma_f64 v[18:19], v[192:193], v[124:125], -v[18:19]
	ds_read_b128 v[124:127], v2 offset:1632
	ds_read_b128 v[128:131], v2 offset:1648
	v_accvgpr_read_b32 v6, a132
	v_accvgpr_read_b32 v7, a133
	v_add_f64 v[0:1], v[0:1], v[10:11]
	v_accvgpr_read_b32 v5, a131
	s_waitcnt lgkmcnt(2)
	v_mul_f64 v[10:11], v[120:121], v[6:7]
	v_fmac_f64_e32 v[10:11], v[122:123], v[4:5]
	v_accvgpr_read_b32 v4, a134
	v_accvgpr_read_b32 v6, a136
	v_accvgpr_read_b32 v7, a137
	v_add_f64 v[0:1], v[0:1], v[10:11]
	v_accvgpr_read_b32 v5, a135
	s_waitcnt lgkmcnt(1)
	v_mul_f64 v[10:11], v[124:125], v[6:7]
	ds_read_b128 v[132:135], v2 offset:1664
	v_fmac_f64_e32 v[10:11], v[126:127], v[4:5]
	v_add_f64 v[0:1], v[0:1], v[10:11]
	s_waitcnt vmcnt(14) lgkmcnt(1)
	v_mul_f64 v[10:11], v[128:129], v[38:39]
	v_fmac_f64_e32 v[10:11], v[130:131], v[36:37]
	v_add_f64 v[0:1], v[0:1], v[10:11]
	v_mul_f64 v[10:11], v[146:147], v[138:139]
	v_fma_f64 v[22:23], v[144:145], v[136:137], -v[10:11]
	ds_read_b128 v[136:139], v2 offset:1680
	s_waitcnt vmcnt(13) lgkmcnt(1)
	v_mul_f64 v[10:11], v[132:133], v[42:43]
	v_fmac_f64_e32 v[10:11], v[134:135], v[40:41]
	v_add_f64 v[0:1], v[0:1], v[10:11]
	v_mul_f64 v[10:11], v[170:171], v[142:143]
	v_fma_f64 v[8:9], v[168:169], v[140:141], -v[10:11]
	ds_read_b128 v[140:143], v2 offset:1696
	ds_read_b128 v[144:147], v2 offset:1712
	s_waitcnt vmcnt(12) lgkmcnt(2)
	v_mul_f64 v[10:11], v[136:137], v[46:47]
	v_fmac_f64_e32 v[10:11], v[138:139], v[44:45]
	v_add_f64 v[0:1], v[0:1], v[10:11]
	s_waitcnt vmcnt(11) lgkmcnt(1)
	v_mul_f64 v[10:11], v[140:141], v[54:55]
	v_fmac_f64_e32 v[10:11], v[142:143], v[52:53]
	v_add_f64 v[0:1], v[0:1], v[10:11]
	v_mul_f64 v[10:11], v[214:215], v[150:151]
	v_fma_f64 v[26:27], v[212:213], v[148:149], -v[10:11]
	ds_read_b128 v[148:151], v2 offset:1728
	v_mul_f64 v[154:155], v[218:219], v[154:155]
	v_fma_f64 v[6:7], v[216:217], v[152:153], -v[154:155]
	ds_read_b128 v[152:155], v2 offset:1744
	s_waitcnt vmcnt(10) lgkmcnt(2)
	v_mul_f64 v[10:11], v[144:145], v[50:51]
	v_fmac_f64_e32 v[10:11], v[146:147], v[48:49]
	v_add_f64 v[0:1], v[0:1], v[10:11]
	s_waitcnt vmcnt(9) lgkmcnt(1)
	v_mul_f64 v[10:11], v[148:149], v[58:59]
	ds_read_b128 v[156:159], v2 offset:1760
	v_fmac_f64_e32 v[10:11], v[150:151], v[56:57]
	v_add_f64 v[0:1], v[0:1], v[10:11]
	s_waitcnt vmcnt(8) lgkmcnt(1)
	v_mul_f64 v[10:11], v[152:153], v[62:63]
	v_fmac_f64_e32 v[10:11], v[154:155], v[60:61]
	v_add_f64 v[0:1], v[0:1], v[10:11]
	v_mul_f64 v[10:11], v[222:223], v[162:163]
	v_fma_f64 v[30:31], v[220:221], v[160:161], -v[10:11]
	ds_read_b128 v[160:163], v2 offset:1776
	s_waitcnt vmcnt(7) lgkmcnt(1)
	v_mul_f64 v[10:11], v[156:157], v[66:67]
	v_fmac_f64_e32 v[10:11], v[158:159], v[64:65]
	v_add_f64 v[0:1], v[0:1], v[10:11]
	v_mul_f64 v[10:11], v[226:227], v[166:167]
	v_fma_f64 v[4:5], v[224:225], v[164:165], -v[10:11]
	ds_read_b128 v[164:167], v2 offset:1792
	ds_read_b128 v[168:171], v2 offset:1808
	s_waitcnt vmcnt(6) lgkmcnt(2)
	v_mul_f64 v[10:11], v[160:161], v[70:71]
	v_fmac_f64_e32 v[10:11], v[162:163], v[68:69]
	v_add_f64 v[0:1], v[0:1], v[10:11]
	s_waitcnt vmcnt(5) lgkmcnt(1)
	v_mul_f64 v[10:11], v[164:165], v[74:75]
	v_fmac_f64_e32 v[10:11], v[166:167], v[72:73]
	v_add_f64 v[10:11], v[0:1], v[10:11]
	v_mul_f64 v[0:1], v[230:231], v[174:175]
	v_fma_f64 v[34:35], v[228:229], v[172:173], -v[0:1]
	ds_read_b128 v[172:175], v2 offset:1824
	s_waitcnt vmcnt(4) lgkmcnt(1)
	v_mul_f64 v[180:181], v[168:169], v[78:79]
	v_fmac_f64_e32 v[180:181], v[170:171], v[76:77]
	v_mul_f64 v[0:1], v[234:235], v[178:179]
	v_fma_f64 v[0:1], v[232:233], v[176:177], -v[0:1]
	ds_read_b128 v[176:179], v2 offset:1840
	v_add_f64 v[10:11], v[10:11], v[180:181]
	s_waitcnt vmcnt(3) lgkmcnt(1)
	v_mul_f64 v[180:181], v[172:173], v[90:91]
	v_fmac_f64_e32 v[180:181], v[174:175], v[88:89]
	v_add_f64 v[188:189], v[10:11], v[180:181]
	ds_read_b128 v[180:183], v2 offset:1856
	v_mul_f64 v[10:11], v[238:239], v[186:187]
	v_fma_f64 v[10:11], v[236:237], v[184:185], -v[10:11]
	ds_read_b128 v[184:187], v2 offset:1872
	s_waitcnt vmcnt(2) lgkmcnt(2)
	v_mul_f64 v[190:191], v[176:177], v[86:87]
	v_fmac_f64_e32 v[190:191], v[178:179], v[84:85]
	v_add_f64 v[188:189], v[188:189], v[190:191]
	s_waitcnt vmcnt(1) lgkmcnt(1)
	v_mul_f64 v[190:191], v[180:181], v[94:95]
	v_fmac_f64_e32 v[190:191], v[182:183], v[92:93]
	v_add_f64 v[188:189], v[188:189], v[190:191]
	s_waitcnt vmcnt(0) lgkmcnt(0)
	v_mul_f64 v[190:191], v[184:185], v[98:99]
	v_fmac_f64_e32 v[190:191], v[186:187], v[96:97]
	v_add_f64 v[196:197], v[188:189], v[190:191]
	scratch_load_dwordx4 v[188:191], off, off offset:912
	scratch_load_dwordx4 v[232:235], off, off offset:992
	ds_read_b128 v[192:195], v2 offset:1888
	ds_read_b128 v[200:203], v2 offset:1904
	;; [unrolled: 1-line block ×5, first 2 shown]
	s_waitcnt vmcnt(1) lgkmcnt(4)
	v_mul_f64 v[198:199], v[192:193], v[190:191]
	v_fmac_f64_e32 v[198:199], v[194:195], v[188:189]
	v_add_f64 v[204:205], v[196:197], v[198:199]
	scratch_load_dwordx4 v[196:199], off, off offset:928
	s_waitcnt vmcnt(0) lgkmcnt(3)
	v_mul_f64 v[206:207], v[200:201], v[198:199]
	v_fmac_f64_e32 v[206:207], v[202:203], v[196:197]
	v_add_f64 v[212:213], v[204:205], v[206:207]
	scratch_load_dwordx4 v[204:207], off, off offset:944
	;; [unrolled: 5-line block ×4, first 2 shown]
	s_waitcnt vmcnt(0) lgkmcnt(0)
	v_mul_f64 v[230:231], v[224:225], v[222:223]
	v_fmac_f64_e32 v[230:231], v[226:227], v[220:221]
	v_add_f64 v[236:237], v[228:229], v[230:231]
	ds_read_b128 v[228:231], v2 offset:1968
	s_waitcnt lgkmcnt(0)
	v_mul_f64 v[2:3], v[228:229], v[234:235]
	v_fmac_f64_e32 v[2:3], v[230:231], v[232:233]
	v_add_f64 v[2:3], v[236:237], v[2:3]
	v_add_f64 v[236:237], v[240:241], 0
	;; [unrolled: 1-line block ×11, first 2 shown]
	scratch_load_dwordx4 v[236:239], off, off offset:128
	v_add_f64 v[24:25], v[24:25], v[254:255]
	v_add_f64 v[20:21], v[24:25], v[20:21]
	;; [unrolled: 1-line block ×12, first 2 shown]
	v_accvgpr_read_b32 v6, a138
	v_accvgpr_read_b32 v8, a140
	;; [unrolled: 1-line block ×3, first 2 shown]
	v_add_f64 v[240:241], v[4:5], v[34:35]
	v_accvgpr_read_b32 v7, a139
	v_mul_f64 v[4:5], v[82:83], v[8:9]
	v_add_f64 v[0:1], v[240:241], v[0:1]
	v_fma_f64 v[4:5], v[80:81], v[6:7], -v[4:5]
	v_accvgpr_read_b32 v6, a142
	v_add_f64 v[0:1], v[0:1], v[10:11]
	v_accvgpr_read_b32 v8, a144
	v_accvgpr_read_b32 v9, a145
	v_add_f64 v[0:1], v[0:1], v[4:5]
	v_accvgpr_read_b32 v7, a143
	v_mul_f64 v[4:5], v[102:103], v[8:9]
	v_fma_f64 v[4:5], v[100:101], v[6:7], -v[4:5]
	v_accvgpr_read_b32 v6, a146
	v_accvgpr_read_b32 v8, a148
	v_accvgpr_read_b32 v9, a149
	v_add_f64 v[0:1], v[0:1], v[4:5]
	v_accvgpr_read_b32 v7, a147
	v_mul_f64 v[4:5], v[106:107], v[8:9]
	v_fma_f64 v[4:5], v[104:105], v[6:7], -v[4:5]
	v_accvgpr_read_b32 v6, a150
	;; [unrolled: 7-line block ×6, first 2 shown]
	v_accvgpr_read_b32 v8, a136
	v_accvgpr_read_b32 v9, a137
	v_add_f64 v[0:1], v[0:1], v[4:5]
	v_accvgpr_read_b32 v7, a135
	v_mul_f64 v[4:5], v[126:127], v[8:9]
	v_fma_f64 v[4:5], v[124:125], v[6:7], -v[4:5]
	v_add_f64 v[0:1], v[0:1], v[4:5]
	v_mul_f64 v[4:5], v[130:131], v[38:39]
	v_fma_f64 v[4:5], v[128:129], v[36:37], -v[4:5]
	v_add_f64 v[0:1], v[0:1], v[4:5]
	;; [unrolled: 3-line block ×22, first 2 shown]
	s_waitcnt vmcnt(0)
	v_add_f64 v[4:5], v[236:237], -v[0:1]
	v_accvgpr_read_b32 v0, a124
	v_add_f64 v[6:7], v[238:239], -v[2:3]
	v_cmp_lt_u32_e32 vcc, 6, v0
	scratch_store_dwordx4 off, v[4:7], off offset:128
	s_and_saveexec_b64 s[0:1], vcc
	s_cbranch_execz .LBB61_385
; %bb.384:
	scratch_load_dwordx4 v[2:5], off, s59
	v_mov_b32_e32 v6, 0
	v_mov_b32_e32 v7, v6
	;; [unrolled: 1-line block ×4, first 2 shown]
	v_accvgpr_read_b32 v0, a125
	scratch_store_dwordx4 off, v[6:9], off offset:112
	s_waitcnt vmcnt(1)
	ds_write_b128 v0, v[2:5]
.LBB61_385:
	s_or_b64 exec, exec, s[0:1]
	s_waitcnt lgkmcnt(0)
	; wave barrier
	scratch_load_dwordx4 v[16:19], off, off offset:128
	scratch_load_dwordx4 v[20:23], off, off offset:144
	;; [unrolled: 1-line block ×30, first 2 shown]
	v_mov_b32_e32 v2, 0
	ds_read_b128 v[84:87], v2 offset:1104
	ds_read_b128 v[96:99], v2 offset:1120
	;; [unrolled: 1-line block ×17, first 2 shown]
	scratch_load_dwordx4 a[126:129], off, off offset:608
	scratch_load_dwordx4 a[130:133], off, off offset:624
	;; [unrolled: 1-line block ×4, first 2 shown]
	ds_read_b128 v[228:231], v2 offset:1472
	ds_read_b128 v[236:239], v2 offset:1488
	scratch_load_dwordx4 a[142:145], off, off offset:672
	scratch_load_dwordx4 a[146:149], off, off offset:688
	ds_read_b128 v[252:255], v2 offset:1504
	ds_read_b128 v[240:243], v2 offset:1520
	;; [unrolled: 1-line block ×3, first 2 shown]
	s_waitcnt vmcnt(35) lgkmcnt(14)
	v_mul_f64 v[0:1], v[84:85], v[18:19]
	s_waitcnt vmcnt(34)
	v_mul_f64 v[40:41], v[96:97], v[22:23]
	v_fmac_f64_e32 v[0:1], v[86:87], v[16:17]
	s_waitcnt vmcnt(33)
	v_mul_f64 v[42:43], v[104:105], v[26:27]
	v_fmac_f64_e32 v[40:41], v[98:99], v[20:21]
	v_add_f64 v[0:1], v[0:1], 0
	s_waitcnt vmcnt(32)
	v_mul_f64 v[48:49], v[108:109], v[30:31]
	v_fmac_f64_e32 v[42:43], v[106:107], v[24:25]
	v_add_f64 v[0:1], v[0:1], v[40:41]
	;; [unrolled: 4-line block ×6, first 2 shown]
	s_waitcnt vmcnt(27) lgkmcnt(13)
	v_mul_f64 v[206:207], v[140:141], v[62:63]
	v_fmac_f64_e32 v[204:205], v[126:127], v[52:53]
	v_add_f64 v[0:1], v[0:1], v[58:59]
	s_waitcnt vmcnt(26) lgkmcnt(12)
	v_mul_f64 v[208:209], v[152:153], v[66:67]
	v_fmac_f64_e32 v[206:207], v[142:143], v[60:61]
	v_add_f64 v[0:1], v[0:1], v[204:205]
	;; [unrolled: 4-line block ×6, first 2 shown]
	ds_read_b128 v[204:207], v2 offset:1376
	ds_read_b128 v[208:211], v2 offset:1392
	s_waitcnt vmcnt(21) lgkmcnt(9)
	v_mul_f64 v[218:219], v[192:193], v[90:91]
	v_fmac_f64_e32 v[216:217], v[190:191], v[80:81]
	v_add_f64 v[0:1], v[0:1], v[214:215]
	s_waitcnt vmcnt(20) lgkmcnt(8)
	v_mul_f64 v[220:221], v[196:197], v[94:95]
	v_fmac_f64_e32 v[218:219], v[194:195], v[88:89]
	v_add_f64 v[0:1], v[0:1], v[216:217]
	v_fmac_f64_e32 v[220:221], v[198:199], v[92:93]
	v_add_f64 v[0:1], v[0:1], v[218:219]
	s_waitcnt vmcnt(19) lgkmcnt(7)
	v_mul_f64 v[40:41], v[200:201], v[102:103]
	ds_read_b128 v[212:215], v2 offset:1408
	ds_read_b128 v[216:219], v2 offset:1424
	v_add_f64 v[0:1], v[0:1], v[220:221]
	v_fmac_f64_e32 v[40:41], v[202:203], v[100:101]
	v_add_f64 v[0:1], v[0:1], v[40:41]
	s_waitcnt vmcnt(18) lgkmcnt(3)
	v_mul_f64 v[40:41], v[204:205], v[130:131]
	v_fmac_f64_e32 v[40:41], v[206:207], v[128:129]
	ds_read_b128 v[220:223], v2 offset:1440
	v_add_f64 v[0:1], v[0:1], v[40:41]
	s_waitcnt vmcnt(17) lgkmcnt(3)
	v_mul_f64 v[40:41], v[208:209], v[134:135]
	v_fmac_f64_e32 v[40:41], v[210:211], v[132:133]
	s_waitcnt vmcnt(16) lgkmcnt(2)
	v_mul_f64 v[48:49], v[212:213], v[138:139]
	v_add_f64 v[0:1], v[0:1], v[40:41]
	v_fmac_f64_e32 v[48:49], v[214:215], v[136:137]
	s_waitcnt vmcnt(15) lgkmcnt(1)
	v_mul_f64 v[56:57], v[216:217], v[146:147]
	v_add_f64 v[0:1], v[0:1], v[48:49]
	v_fmac_f64_e32 v[56:57], v[218:219], v[144:145]
	v_add_f64 v[0:1], v[0:1], v[56:57]
	s_waitcnt vmcnt(14) lgkmcnt(0)
	v_mul_f64 v[56:57], v[220:221], v[150:151]
	v_fmac_f64_e32 v[56:57], v[222:223], v[148:149]
	v_add_f64 v[0:1], v[0:1], v[56:57]
	s_waitcnt vmcnt(13)
	v_mul_f64 v[56:57], v[224:225], v[158:159]
	v_fmac_f64_e32 v[56:57], v[226:227], v[156:157]
	s_waitcnt vmcnt(12)
	v_mul_f64 v[232:233], v[228:229], v[162:163]
	v_add_f64 v[0:1], v[0:1], v[56:57]
	v_fmac_f64_e32 v[232:233], v[230:231], v[160:161]
	v_add_f64 v[0:1], v[0:1], v[232:233]
	s_waitcnt vmcnt(11)
	v_mul_f64 v[232:233], v[236:237], v[170:171]
	v_mul_f64 v[18:19], v[86:87], v[18:19]
	v_fmac_f64_e32 v[232:233], v[238:239], v[168:169]
	v_fma_f64 v[244:245], v[84:85], v[16:17], -v[18:19]
	s_waitcnt vmcnt(10)
	v_mul_f64 v[84:85], v[252:253], v[174:175]
	v_add_f64 v[0:1], v[0:1], v[232:233]
	v_fmac_f64_e32 v[84:85], v[254:255], v[172:173]
	v_add_f64 v[0:1], v[0:1], v[84:85]
	ds_read_b128 v[84:87], v2 offset:1536
	scratch_load_dwordx4 v[56:59], off, off offset:704
	scratch_load_dwordx4 v[48:51], off, off offset:720
	v_mul_f64 v[30:31], v[110:111], v[30:31]
	v_mul_f64 v[22:23], v[98:99], v[22:23]
	;; [unrolled: 1-line block ×3, first 2 shown]
	v_fma_f64 v[250:251], v[108:109], v[28:29], -v[30:31]
	s_waitcnt vmcnt(11)
	v_mul_f64 v[28:29], v[240:241], v[182:183]
	v_fma_f64 v[246:247], v[96:97], v[20:21], -v[22:23]
	v_fma_f64 v[248:249], v[104:105], v[24:25], -v[26:27]
	v_fmac_f64_e32 v[28:29], v[242:243], v[180:181]
	ds_read_b128 v[104:107], v2 offset:1568
	s_waitcnt vmcnt(10) lgkmcnt(1)
	v_mul_f64 v[96:97], v[84:85], v[6:7]
	v_add_f64 v[0:1], v[0:1], v[28:29]
	v_fmac_f64_e32 v[96:97], v[86:87], v[4:5]
	v_add_f64 v[0:1], v[0:1], v[96:97]
	ds_read_b128 v[96:99], v2 offset:1552
	v_accvgpr_write_b32 a153, v7
	v_mul_f64 v[38:39], v[118:119], v[38:39]
	v_mul_f64 v[34:35], v[114:115], v[34:35]
	v_accvgpr_write_b32 a152, v6
	v_accvgpr_write_b32 a151, v5
	;; [unrolled: 1-line block ×3, first 2 shown]
	v_fma_f64 v[36:37], v[116:117], v[36:37], -v[38:39]
	scratch_load_dwordx4 v[38:41], off, off offset:736
	v_mul_f64 v[6:7], v[122:123], v[46:47]
	v_mul_f64 v[46:47], v[126:127], v[54:55]
	v_fma_f64 v[232:233], v[112:113], v[32:33], -v[34:35]
	v_fma_f64 v[32:33], v[120:121], v[44:45], -v[6:7]
	;; [unrolled: 1-line block ×3, first 2 shown]
	scratch_load_dwordx4 v[52:55], off, off offset:752
	ds_read_b128 v[112:115], v2 offset:1600
	s_waitcnt vmcnt(11) lgkmcnt(1)
	v_mul_f64 v[44:45], v[96:97], v[10:11]
	v_fmac_f64_e32 v[44:45], v[98:99], v[8:9]
	v_add_f64 v[0:1], v[0:1], v[44:45]
	scratch_load_dwordx4 v[44:47], off, off offset:768
	s_waitcnt vmcnt(11)
	v_mov_b64_e32 v[4:5], v[12:13]
	v_mov_b64_e32 v[6:7], v[14:15]
	v_accvgpr_write_b32 a157, v11
	v_mul_f64 v[108:109], v[104:105], v[6:7]
	v_accvgpr_write_b32 a156, v10
	v_accvgpr_write_b32 a155, v9
	;; [unrolled: 1-line block ×3, first 2 shown]
	v_mul_f64 v[10:11], v[142:143], v[62:63]
	v_fmac_f64_e32 v[108:109], v[106:107], v[4:5]
	v_fma_f64 v[24:25], v[140:141], v[60:61], -v[10:11]
	scratch_load_dwordx4 v[60:63], off, off offset:784
	v_add_f64 v[0:1], v[0:1], v[108:109]
	ds_read_b128 v[108:111], v2 offset:1584
	v_mul_f64 v[66:67], v[154:155], v[66:67]
	v_fma_f64 v[20:21], v[152:153], v[64:65], -v[66:67]
	scratch_load_dwordx4 v[64:67], off, off offset:800
	s_waitcnt vmcnt(12)
	v_accvgpr_read_b32 v4, a126
	v_accvgpr_write_b32 a161, v15
	v_accvgpr_read_b32 v6, a128
	v_accvgpr_read_b32 v7, a129
	v_accvgpr_write_b32 a160, v14
	v_accvgpr_write_b32 a159, v13
	;; [unrolled: 1-line block ×3, first 2 shown]
	v_mul_f64 v[14:15], v[166:167], v[70:71]
	v_accvgpr_read_b32 v5, a127
	s_waitcnt lgkmcnt(0)
	v_mul_f64 v[116:117], v[108:109], v[6:7]
	v_fma_f64 v[16:17], v[164:165], v[68:69], -v[14:15]
	v_mul_f64 v[68:69], v[178:179], v[74:75]
	v_fmac_f64_e32 v[116:117], v[110:111], v[4:5]
	s_waitcnt vmcnt(11)
	v_accvgpr_read_b32 v4, a130
	v_fma_f64 v[14:15], v[176:177], v[72:73], -v[68:69]
	scratch_load_dwordx4 v[68:71], off, off offset:816
	v_accvgpr_read_b32 v6, a132
	v_accvgpr_read_b32 v7, a133
	;; [unrolled: 1-line block ×3, first 2 shown]
	v_mul_f64 v[18:19], v[112:113], v[6:7]
	v_add_f64 v[0:1], v[0:1], v[116:117]
	v_fmac_f64_e32 v[18:19], v[114:115], v[4:5]
	scratch_load_dwordx4 v[72:75], off, off offset:832
	v_add_f64 v[0:1], v[0:1], v[18:19]
	v_mul_f64 v[18:19], v[186:187], v[78:79]
	v_fma_f64 v[18:19], v[184:185], v[76:77], -v[18:19]
	ds_read_b128 v[116:119], v2 offset:1616
	v_mul_f64 v[76:77], v[190:191], v[82:83]
	v_fma_f64 v[12:13], v[188:189], v[80:81], -v[76:77]
	scratch_load_dwordx4 v[80:83], off, off offset:848
	scratch_load_dwordx4 v[76:79], off, off offset:864
	s_waitcnt vmcnt(14)
	v_accvgpr_read_b32 v4, a134
	v_mul_f64 v[22:23], v[194:195], v[90:91]
	v_accvgpr_read_b32 v6, a136
	v_accvgpr_read_b32 v7, a137
	v_fma_f64 v[22:23], v[192:193], v[88:89], -v[22:23]
	v_accvgpr_read_b32 v5, a135
	s_waitcnt lgkmcnt(0)
	v_mul_f64 v[88:89], v[116:117], v[6:7]
	v_fmac_f64_e32 v[88:89], v[118:119], v[4:5]
	v_add_f64 v[0:1], v[0:1], v[88:89]
	v_mul_f64 v[88:89], v[198:199], v[94:95]
	ds_read_b128 v[120:123], v2 offset:1632
	v_fma_f64 v[10:11], v[196:197], v[92:93], -v[88:89]
	scratch_load_dwordx4 v[92:95], off, off offset:880
	scratch_load_dwordx4 v[88:91], off, off offset:896
	s_waitcnt vmcnt(15)
	v_accvgpr_read_b32 v4, a138
	v_mul_f64 v[26:27], v[202:203], v[102:103]
	v_accvgpr_read_b32 v6, a140
	v_accvgpr_read_b32 v7, a141
	v_fma_f64 v[26:27], v[200:201], v[100:101], -v[26:27]
	v_accvgpr_read_b32 v5, a139
	s_waitcnt lgkmcnt(0)
	v_mul_f64 v[100:101], v[120:121], v[6:7]
	v_fmac_f64_e32 v[100:101], v[122:123], v[4:5]
	v_add_f64 v[0:1], v[0:1], v[100:101]
	v_mul_f64 v[100:101], v[206:207], v[130:131]
	v_fma_f64 v[8:9], v[204:205], v[128:129], -v[100:101]
	scratch_load_dwordx4 v[100:103], off, off offset:912
	ds_read_b128 v[124:127], v2 offset:1648
	ds_read_b128 v[128:131], v2 offset:1664
	s_waitcnt vmcnt(15)
	v_accvgpr_read_b32 v4, a142
	v_accvgpr_read_b32 v6, a144
	;; [unrolled: 1-line block ×4, first 2 shown]
	s_waitcnt lgkmcnt(1)
	v_mul_f64 v[30:31], v[124:125], v[6:7]
	v_fmac_f64_e32 v[30:31], v[126:127], v[4:5]
	v_add_f64 v[0:1], v[0:1], v[30:31]
	v_mul_f64 v[30:31], v[210:211], v[134:135]
	v_fma_f64 v[30:31], v[208:209], v[132:133], -v[30:31]
	s_waitcnt vmcnt(14)
	v_accvgpr_read_b32 v4, a146
	ds_read_b128 v[132:135], v2 offset:1680
	v_accvgpr_read_b32 v6, a148
	v_accvgpr_read_b32 v7, a149
	v_mul_f64 v[138:139], v[214:215], v[138:139]
	s_waitcnt lgkmcnt(1)
	v_mul_f64 v[140:141], v[128:129], v[6:7]
	v_fma_f64 v[6:7], v[212:213], v[136:137], -v[138:139]
	ds_read_b128 v[136:139], v2 offset:1696
	v_accvgpr_read_b32 v5, a147
	v_fmac_f64_e32 v[140:141], v[130:131], v[4:5]
	s_waitcnt vmcnt(13) lgkmcnt(1)
	v_mul_f64 v[34:35], v[132:133], v[58:59]
	v_add_f64 v[0:1], v[0:1], v[140:141]
	v_fmac_f64_e32 v[34:35], v[134:135], v[56:57]
	v_add_f64 v[0:1], v[0:1], v[34:35]
	s_waitcnt vmcnt(12) lgkmcnt(0)
	v_mul_f64 v[34:35], v[136:137], v[50:51]
	v_fmac_f64_e32 v[34:35], v[138:139], v[48:49]
	ds_read_b128 v[140:143], v2 offset:1712
	v_add_f64 v[0:1], v[0:1], v[34:35]
	v_mul_f64 v[34:35], v[218:219], v[146:147]
	v_fma_f64 v[34:35], v[216:217], v[144:145], -v[34:35]
	ds_read_b128 v[144:147], v2 offset:1728
	v_mul_f64 v[150:151], v[222:223], v[150:151]
	v_fma_f64 v[4:5], v[220:221], v[148:149], -v[150:151]
	ds_read_b128 v[148:151], v2 offset:1744
	s_waitcnt vmcnt(11) lgkmcnt(2)
	v_mul_f64 v[152:153], v[140:141], v[40:41]
	v_fmac_f64_e32 v[152:153], v[142:143], v[38:39]
	s_waitcnt vmcnt(10) lgkmcnt(1)
	v_mul_f64 v[42:43], v[144:145], v[54:55]
	v_add_f64 v[0:1], v[0:1], v[152:153]
	v_fmac_f64_e32 v[42:43], v[146:147], v[52:53]
	v_add_f64 v[0:1], v[0:1], v[42:43]
	ds_read_b128 v[152:155], v2 offset:1760
	s_waitcnt vmcnt(9) lgkmcnt(1)
	v_mul_f64 v[42:43], v[148:149], v[46:47]
	v_fmac_f64_e32 v[42:43], v[150:151], v[44:45]
	v_add_f64 v[0:1], v[0:1], v[42:43]
	v_mul_f64 v[42:43], v[226:227], v[158:159]
	v_fma_f64 v[42:43], v[224:225], v[156:157], -v[42:43]
	ds_read_b128 v[156:159], v2 offset:1776
	s_waitcnt vmcnt(8) lgkmcnt(1)
	v_mul_f64 v[164:165], v[152:153], v[62:63]
	v_fmac_f64_e32 v[164:165], v[154:155], v[60:61]
	v_mul_f64 v[162:163], v[230:231], v[162:163]
	v_fma_f64 v[234:235], v[228:229], v[160:161], -v[162:163]
	ds_read_b128 v[160:163], v2 offset:1792
	v_add_f64 v[0:1], v[0:1], v[164:165]
	s_waitcnt vmcnt(7) lgkmcnt(1)
	v_mul_f64 v[164:165], v[156:157], v[66:67]
	v_fmac_f64_e32 v[164:165], v[158:159], v[64:65]
	v_add_f64 v[0:1], v[0:1], v[164:165]
	ds_read_b128 v[164:167], v2 offset:1808
	v_mul_f64 v[170:171], v[238:239], v[170:171]
	v_fma_f64 v[236:237], v[236:237], v[168:169], -v[170:171]
	ds_read_b128 v[168:171], v2 offset:1824
	s_waitcnt vmcnt(6) lgkmcnt(2)
	v_mul_f64 v[176:177], v[160:161], v[70:71]
	v_fmac_f64_e32 v[176:177], v[162:163], v[68:69]
	v_add_f64 v[0:1], v[0:1], v[176:177]
	s_waitcnt vmcnt(5) lgkmcnt(1)
	v_mul_f64 v[176:177], v[164:165], v[74:75]
	v_fmac_f64_e32 v[176:177], v[166:167], v[72:73]
	v_mul_f64 v[174:175], v[254:255], v[174:175]
	v_add_f64 v[0:1], v[0:1], v[176:177]
	v_fma_f64 v[238:239], v[252:253], v[172:173], -v[174:175]
	ds_read_b128 v[172:175], v2 offset:1840
	s_waitcnt vmcnt(4) lgkmcnt(1)
	v_mul_f64 v[176:177], v[168:169], v[82:83]
	v_fmac_f64_e32 v[176:177], v[170:171], v[80:81]
	v_add_f64 v[0:1], v[0:1], v[176:177]
	ds_read_b128 v[176:179], v2 offset:1856
	v_mul_f64 v[182:183], v[242:243], v[182:183]
	v_fma_f64 v[240:241], v[240:241], v[180:181], -v[182:183]
	ds_read_b128 v[180:183], v2 offset:1872
	ds_read_b128 v[192:195], v2 offset:1904
	s_waitcnt vmcnt(3) lgkmcnt(3)
	v_mul_f64 v[184:185], v[172:173], v[78:79]
	v_fmac_f64_e32 v[184:185], v[174:175], v[76:77]
	v_add_f64 v[0:1], v[0:1], v[184:185]
	s_waitcnt vmcnt(2) lgkmcnt(2)
	v_mul_f64 v[184:185], v[176:177], v[94:95]
	v_fmac_f64_e32 v[184:185], v[178:179], v[92:93]
	v_add_f64 v[0:1], v[0:1], v[184:185]
	;; [unrolled: 4-line block ×3, first 2 shown]
	ds_read_b128 v[184:187], v2 offset:1888
	ds_read_b128 v[200:203], v2 offset:1920
	;; [unrolled: 1-line block ×5, first 2 shown]
	s_waitcnt vmcnt(0) lgkmcnt(4)
	v_mul_f64 v[188:189], v[184:185], v[102:103]
	v_fmac_f64_e32 v[188:189], v[186:187], v[100:101]
	v_add_f64 v[0:1], v[0:1], v[188:189]
	scratch_load_dwordx4 v[188:191], off, off offset:928
	s_waitcnt vmcnt(0)
	v_mul_f64 v[196:197], v[192:193], v[190:191]
	v_fmac_f64_e32 v[196:197], v[194:195], v[188:189]
	v_add_f64 v[0:1], v[0:1], v[196:197]
	scratch_load_dwordx4 v[196:199], off, off offset:944
	s_waitcnt vmcnt(0) lgkmcnt(3)
	v_mul_f64 v[204:205], v[200:201], v[198:199]
	v_fmac_f64_e32 v[204:205], v[202:203], v[196:197]
	v_add_f64 v[0:1], v[0:1], v[204:205]
	scratch_load_dwordx4 v[204:207], off, off offset:960
	s_waitcnt vmcnt(0) lgkmcnt(2)
	;; [unrolled: 5-line block ×4, first 2 shown]
	v_mul_f64 v[228:229], v[224:225], v[222:223]
	v_fmac_f64_e32 v[228:229], v[226:227], v[220:221]
	v_add_f64 v[0:1], v[0:1], v[228:229]
	v_add_f64 v[228:229], v[244:245], 0
	;; [unrolled: 1-line block ×10, first 2 shown]
	scratch_load_dwordx4 v[228:231], off, off offset:112
	v_add_f64 v[20:21], v[24:25], v[20:21]
	v_add_f64 v[16:17], v[20:21], v[16:17]
	;; [unrolled: 1-line block ×14, first 2 shown]
	v_accvgpr_read_b32 v8, a150
	v_add_f64 v[4:5], v[252:253], v[234:235]
	v_accvgpr_read_b32 v10, a152
	v_accvgpr_read_b32 v11, a153
	v_add_f64 v[4:5], v[4:5], v[236:237]
	v_accvgpr_read_b32 v9, a151
	v_mul_f64 v[6:7], v[86:87], v[10:11]
	v_add_f64 v[4:5], v[4:5], v[238:239]
	v_fma_f64 v[6:7], v[84:85], v[8:9], -v[6:7]
	v_accvgpr_read_b32 v8, a154
	v_add_f64 v[4:5], v[4:5], v[240:241]
	v_accvgpr_read_b32 v10, a156
	v_accvgpr_read_b32 v11, a157
	v_add_f64 v[4:5], v[4:5], v[6:7]
	v_accvgpr_read_b32 v9, a155
	v_mul_f64 v[6:7], v[98:99], v[10:11]
	v_fma_f64 v[6:7], v[96:97], v[8:9], -v[6:7]
	v_accvgpr_read_b32 v8, a158
	v_accvgpr_read_b32 v10, a160
	v_accvgpr_read_b32 v11, a161
	v_add_f64 v[4:5], v[4:5], v[6:7]
	v_accvgpr_read_b32 v9, a159
	v_mul_f64 v[6:7], v[106:107], v[10:11]
	v_fma_f64 v[6:7], v[104:105], v[8:9], -v[6:7]
	v_accvgpr_read_b32 v8, a126
	;; [unrolled: 7-line block ×7, first 2 shown]
	v_accvgpr_read_b32 v10, a148
	v_accvgpr_read_b32 v11, a149
	v_add_f64 v[4:5], v[4:5], v[6:7]
	v_accvgpr_read_b32 v9, a147
	v_mul_f64 v[6:7], v[130:131], v[10:11]
	v_fma_f64 v[6:7], v[128:129], v[8:9], -v[6:7]
	v_add_f64 v[4:5], v[4:5], v[6:7]
	v_mul_f64 v[6:7], v[134:135], v[58:59]
	v_fma_f64 v[6:7], v[132:133], v[56:57], -v[6:7]
	v_add_f64 v[4:5], v[4:5], v[6:7]
	;; [unrolled: 3-line block ×20, first 2 shown]
	s_waitcnt vmcnt(0)
	v_add_f64 v[6:7], v[230:231], -v[0:1]
	v_accvgpr_read_b32 v0, a124
	v_add_f64 v[4:5], v[228:229], -v[4:5]
	v_cmp_lt_u32_e32 vcc, 5, v0
	scratch_store_dwordx4 off, v[4:7], off offset:112
	s_and_saveexec_b64 s[0:1], vcc
	s_cbranch_execz .LBB61_387
; %bb.386:
	scratch_load_dwordx4 v[6:9], off, s58
	v_mov_b32_e32 v3, v2
	v_mov_b32_e32 v4, v2
	;; [unrolled: 1-line block ×3, first 2 shown]
	v_accvgpr_read_b32 v0, a125
	scratch_store_dwordx4 off, v[2:5], off offset:96
	s_waitcnt vmcnt(1)
	ds_write_b128 v0, v[6:9]
.LBB61_387:
	s_or_b64 exec, exec, s[0:1]
	s_waitcnt lgkmcnt(0)
	; wave barrier
	scratch_load_dwordx4 v[16:19], off, off offset:112
	scratch_load_dwordx4 v[20:23], off, off offset:128
	;; [unrolled: 1-line block ×17, first 2 shown]
	ds_read_b128 v[112:115], v2 offset:1088
	ds_read_b128 v[96:99], v2 offset:1104
	ds_read_b128 v[84:87], v2 offset:1120
	scratch_load_dwordx4 v[120:123], off, off offset:384
	ds_read_b128 v[184:187], v2 offset:1136
	ds_read_b128 v[140:143], v2 offset:1152
	ds_read_b128 v[104:107], v2 offset:1168
	scratch_load_dwordx4 v[132:135], off, off offset:400
	;; [unrolled: 4-line block ×3, first 2 shown]
	ds_read_b128 v[200:203], v2 offset:1232
	ds_read_b128 v[192:195], v2 offset:1248
	;; [unrolled: 1-line block ×5, first 2 shown]
	scratch_load_dwordx4 v[144:147], off, off offset:432
	ds_read_b128 v[180:183], v2 offset:1312
	ds_read_b128 v[152:155], v2 offset:1328
	;; [unrolled: 1-line block ×3, first 2 shown]
	scratch_load_dwordx4 v[148:151], off, off offset:448
	scratch_load_dwordx4 v[156:159], off, off offset:464
	;; [unrolled: 1-line block ×13, first 2 shown]
	ds_read_b128 v[204:207], v2 offset:1360
	scratch_load_dwordx4 a[142:145], off, off offset:656
	scratch_load_dwordx4 a[146:149], off, off offset:672
	ds_read_b128 v[228:231], v2 offset:1456
	ds_read_b128 v[232:235], v2 offset:1472
	;; [unrolled: 1-line block ×4, first 2 shown]
	s_waitcnt vmcnt(35) lgkmcnt(14)
	v_mul_f64 v[0:1], v[112:113], v[18:19]
	s_waitcnt vmcnt(34)
	v_mul_f64 v[48:49], v[96:97], v[22:23]
	v_fmac_f64_e32 v[0:1], v[114:115], v[16:17]
	s_waitcnt vmcnt(33)
	v_mul_f64 v[50:51], v[84:85], v[26:27]
	v_fmac_f64_e32 v[48:49], v[98:99], v[20:21]
	v_add_f64 v[0:1], v[0:1], 0
	s_waitcnt vmcnt(32)
	v_mul_f64 v[56:57], v[184:185], v[30:31]
	v_fmac_f64_e32 v[50:51], v[86:87], v[24:25]
	v_add_f64 v[0:1], v[0:1], v[48:49]
	;; [unrolled: 4-line block ×6, first 2 shown]
	s_waitcnt vmcnt(27) lgkmcnt(13)
	v_mul_f64 v[210:211], v[108:109], v[54:55]
	v_fmac_f64_e32 v[208:209], v[166:167], v[44:45]
	v_add_f64 v[0:1], v[0:1], v[66:67]
	s_waitcnt vmcnt(26) lgkmcnt(12)
	v_mul_f64 v[212:213], v[200:201], v[62:63]
	v_fmac_f64_e32 v[210:211], v[110:111], v[52:53]
	v_add_f64 v[0:1], v[0:1], v[208:209]
	;; [unrolled: 4-line block ×8, first 2 shown]
	ds_read_b128 v[208:211], v2 offset:1376
	v_fmac_f64_e32 v[224:225], v[154:155], v[92:93]
	v_add_f64 v[0:1], v[0:1], v[222:223]
	s_waitcnt vmcnt(19) lgkmcnt(6)
	v_mul_f64 v[48:49], v[128:129], v[102:103]
	ds_read_b128 v[212:215], v2 offset:1392
	ds_read_b128 v[216:219], v2 offset:1408
	v_add_f64 v[0:1], v[0:1], v[224:225]
	v_fmac_f64_e32 v[48:49], v[130:131], v[100:101]
	v_add_f64 v[0:1], v[0:1], v[48:49]
	s_waitcnt vmcnt(18) lgkmcnt(7)
	v_mul_f64 v[48:49], v[204:205], v[122:123]
	v_fmac_f64_e32 v[48:49], v[206:207], v[120:121]
	ds_read_b128 v[220:223], v2 offset:1424
	ds_read_b128 v[224:227], v2 offset:1440
	v_add_f64 v[0:1], v[0:1], v[48:49]
	s_waitcnt vmcnt(17) lgkmcnt(4)
	v_mul_f64 v[48:49], v[208:209], v[134:135]
	v_fmac_f64_e32 v[48:49], v[210:211], v[132:133]
	s_waitcnt vmcnt(16) lgkmcnt(3)
	v_mul_f64 v[56:57], v[212:213], v[138:139]
	v_add_f64 v[0:1], v[0:1], v[48:49]
	v_fmac_f64_e32 v[56:57], v[214:215], v[136:137]
	s_waitcnt vmcnt(15) lgkmcnt(2)
	v_mul_f64 v[64:65], v[216:217], v[146:147]
	v_add_f64 v[0:1], v[0:1], v[56:57]
	v_fmac_f64_e32 v[64:65], v[218:219], v[144:145]
	v_add_f64 v[0:1], v[0:1], v[64:65]
	s_waitcnt vmcnt(14) lgkmcnt(1)
	v_mul_f64 v[64:65], v[220:221], v[150:151]
	v_fmac_f64_e32 v[64:65], v[222:223], v[148:149]
	v_add_f64 v[0:1], v[0:1], v[64:65]
	s_waitcnt vmcnt(13) lgkmcnt(0)
	v_mul_f64 v[64:65], v[224:225], v[158:159]
	v_fmac_f64_e32 v[64:65], v[226:227], v[156:157]
	v_mul_f64 v[30:31], v[186:187], v[30:31]
	v_add_f64 v[0:1], v[0:1], v[64:65]
	v_fma_f64 v[248:249], v[184:185], v[28:29], -v[30:31]
	scratch_load_dwordx4 v[64:67], off, off offset:688
	scratch_load_dwordx4 v[184:187], off, off offset:704
	v_mul_f64 v[26:27], v[86:87], v[26:27]
	s_waitcnt vmcnt(14)
	v_mul_f64 v[240:241], v[228:229], v[162:163]
	v_fma_f64 v[246:247], v[84:85], v[24:25], -v[26:27]
	ds_read_b128 v[84:87], v2 offset:1520
	v_fmac_f64_e32 v[240:241], v[230:231], v[160:161]
	v_add_f64 v[0:1], v[0:1], v[240:241]
	s_waitcnt vmcnt(13)
	v_mul_f64 v[240:241], v[232:233], v[170:171]
	v_mul_f64 v[18:19], v[114:115], v[18:19]
	v_fmac_f64_e32 v[240:241], v[234:235], v[168:169]
	v_fma_f64 v[242:243], v[112:113], v[16:17], -v[18:19]
	s_waitcnt vmcnt(12)
	v_mul_f64 v[112:113], v[236:237], v[174:175]
	v_add_f64 v[0:1], v[0:1], v[240:241]
	v_fmac_f64_e32 v[112:113], v[238:239], v[172:173]
	v_mul_f64 v[22:23], v[98:99], v[22:23]
	s_waitcnt vmcnt(11)
	v_mul_f64 v[28:29], v[252:253], v[198:199]
	v_mul_f64 v[38:39], v[106:107], v[38:39]
	v_add_f64 v[0:1], v[0:1], v[112:113]
	v_fma_f64 v[244:245], v[96:97], v[20:21], -v[22:23]
	v_fmac_f64_e32 v[28:29], v[254:255], v[196:197]
	v_fma_f64 v[240:241], v[104:105], v[36:37], -v[38:39]
	ds_read_b128 v[104:107], v2 offset:1552
	s_waitcnt vmcnt(10) lgkmcnt(1)
	v_mul_f64 v[96:97], v[84:85], v[6:7]
	v_add_f64 v[0:1], v[0:1], v[28:29]
	v_fmac_f64_e32 v[96:97], v[86:87], v[4:5]
	scratch_load_dwordx4 v[56:59], off, off offset:720
	v_mul_f64 v[42:43], v[190:191], v[42:43]
	v_add_f64 v[0:1], v[0:1], v[96:97]
	ds_read_b128 v[96:99], v2 offset:1536
	ds_read_b128 v[112:115], v2 offset:1584
	v_fma_f64 v[42:43], v[188:189], v[40:41], -v[42:43]
	v_mul_f64 v[40:41], v[166:167], v[46:47]
	v_fma_f64 v[36:37], v[164:165], v[44:45], -v[40:41]
	scratch_load_dwordx4 v[44:47], off, off offset:736
	v_accvgpr_write_b32 a153, v7
	v_accvgpr_write_b32 a152, v6
	v_accvgpr_write_b32 a151, v5
	v_accvgpr_write_b32 a150, v4
	s_waitcnt vmcnt(11) lgkmcnt(1)
	v_mul_f64 v[6:7], v[96:97], v[10:11]
	v_fmac_f64_e32 v[6:7], v[98:99], v[8:9]
	v_accvgpr_write_b32 a157, v11
	v_mul_f64 v[34:35], v[142:143], v[34:35]
	v_accvgpr_write_b32 a156, v10
	v_accvgpr_write_b32 a155, v9
	;; [unrolled: 1-line block ×3, first 2 shown]
	v_add_f64 v[0:1], v[0:1], v[6:7]
	scratch_load_dwordx4 v[48:51], off, off offset:752
	v_mul_f64 v[6:7], v[110:111], v[54:55]
	s_waitcnt vmcnt(11)
	v_mul_f64 v[10:11], v[104:105], v[14:15]
	v_fma_f64 v[250:251], v[140:141], v[32:33], -v[34:35]
	v_fma_f64 v[32:33], v[108:109], v[52:53], -v[6:7]
	v_fmac_f64_e32 v[10:11], v[106:107], v[12:13]
	scratch_load_dwordx4 v[52:55], off, off offset:768
	v_add_f64 v[0:1], v[0:1], v[10:11]
	v_mul_f64 v[10:11], v[202:203], v[62:63]
	ds_read_b128 v[108:111], v2 offset:1568
	v_fma_f64 v[28:29], v[200:201], v[60:61], -v[10:11]
	scratch_load_dwordx4 v[60:63], off, off offset:784
	v_mul_f64 v[70:71], v[194:195], v[70:71]
	v_fma_f64 v[24:25], v[192:193], v[68:69], -v[70:71]
	v_mul_f64 v[68:69], v[178:179], v[74:75]
	s_waitcnt vmcnt(12)
	v_accvgpr_read_b32 v4, a126
	v_fma_f64 v[20:21], v[176:177], v[72:73], -v[68:69]
	scratch_load_dwordx4 v[68:71], off, off offset:800
	v_accvgpr_write_b32 a161, v15
	v_accvgpr_read_b32 v6, a128
	v_accvgpr_read_b32 v7, a129
	v_accvgpr_write_b32 a160, v14
	v_accvgpr_write_b32 a159, v13
	;; [unrolled: 1-line block ×3, first 2 shown]
	v_accvgpr_read_b32 v5, a127
	s_waitcnt lgkmcnt(0)
	v_mul_f64 v[14:15], v[108:109], v[6:7]
	v_fmac_f64_e32 v[14:15], v[110:111], v[4:5]
	s_waitcnt vmcnt(12)
	v_accvgpr_read_b32 v4, a130
	v_accvgpr_read_b32 v6, a132
	;; [unrolled: 1-line block ×3, first 2 shown]
	v_add_f64 v[0:1], v[0:1], v[14:15]
	v_accvgpr_read_b32 v5, a131
	v_mul_f64 v[14:15], v[112:113], v[6:7]
	scratch_load_dwordx4 v[72:75], off, off offset:816
	v_fmac_f64_e32 v[14:15], v[114:115], v[4:5]
	v_add_f64 v[0:1], v[0:1], v[14:15]
	v_mul_f64 v[14:15], v[118:119], v[78:79]
	v_fma_f64 v[16:17], v[116:117], v[76:77], -v[14:15]
	ds_read_b128 v[116:119], v2 offset:1600
	v_mul_f64 v[18:19], v[126:127], v[82:83]
	v_fma_f64 v[18:19], v[124:125], v[80:81], -v[18:19]
	scratch_load_dwordx4 v[80:83], off, off offset:832
	scratch_load_dwordx4 v[76:79], off, off offset:848
	s_waitcnt vmcnt(14)
	v_accvgpr_read_b32 v4, a134
	v_accvgpr_read_b32 v6, a136
	v_accvgpr_read_b32 v7, a137
	v_accvgpr_read_b32 v5, a135
	s_waitcnt lgkmcnt(0)
	v_mul_f64 v[22:23], v[116:117], v[6:7]
	v_fmac_f64_e32 v[22:23], v[118:119], v[4:5]
	v_mul_f64 v[90:91], v[182:183], v[90:91]
	v_add_f64 v[0:1], v[0:1], v[22:23]
	v_mul_f64 v[22:23], v[154:155], v[94:95]
	v_fma_f64 v[14:15], v[180:181], v[88:89], -v[90:91]
	ds_read_b128 v[124:127], v2 offset:1616
	v_fma_f64 v[22:23], v[152:153], v[92:93], -v[22:23]
	scratch_load_dwordx4 v[92:95], off, off offset:864
	scratch_load_dwordx4 v[88:91], off, off offset:880
	v_mul_f64 v[102:103], v[130:131], v[102:103]
	v_fma_f64 v[12:13], v[128:129], v[100:101], -v[102:103]
	scratch_load_dwordx4 v[100:103], off, off offset:896
	s_waitcnt vmcnt(16)
	v_accvgpr_read_b32 v4, a138
	v_accvgpr_read_b32 v6, a140
	;; [unrolled: 1-line block ×3, first 2 shown]
	ds_read_b128 v[128:131], v2 offset:1632
	v_accvgpr_read_b32 v5, a139
	s_waitcnt lgkmcnt(1)
	v_mul_f64 v[26:27], v[124:125], v[6:7]
	v_fmac_f64_e32 v[26:27], v[126:127], v[4:5]
	v_add_f64 v[0:1], v[0:1], v[26:27]
	v_mul_f64 v[26:27], v[206:207], v[122:123]
	v_fma_f64 v[26:27], v[204:205], v[120:121], -v[26:27]
	ds_read_b128 v[120:123], v2 offset:1648
	s_waitcnt vmcnt(15)
	v_accvgpr_read_b32 v4, a142
	v_accvgpr_read_b32 v6, a144
	;; [unrolled: 1-line block ×3, first 2 shown]
	v_mul_f64 v[134:135], v[210:211], v[134:135]
	v_accvgpr_read_b32 v5, a143
	s_waitcnt lgkmcnt(1)
	v_mul_f64 v[140:141], v[128:129], v[6:7]
	v_fma_f64 v[10:11], v[208:209], v[132:133], -v[134:135]
	ds_read_b128 v[132:135], v2 offset:1664
	v_fmac_f64_e32 v[140:141], v[130:131], v[4:5]
	s_waitcnt vmcnt(14)
	v_accvgpr_read_b32 v4, a146
	v_mul_f64 v[138:139], v[214:215], v[138:139]
	v_accvgpr_read_b32 v6, a148
	v_accvgpr_read_b32 v7, a149
	v_fma_f64 v[8:9], v[212:213], v[136:137], -v[138:139]
	ds_read_b128 v[136:139], v2 offset:1680
	v_accvgpr_read_b32 v5, a147
	s_waitcnt lgkmcnt(2)
	v_mul_f64 v[30:31], v[120:121], v[6:7]
	v_add_f64 v[0:1], v[0:1], v[140:141]
	v_fmac_f64_e32 v[30:31], v[122:123], v[4:5]
	v_add_f64 v[0:1], v[0:1], v[30:31]
	s_waitcnt vmcnt(13) lgkmcnt(1)
	v_mul_f64 v[30:31], v[132:133], v[66:67]
	s_waitcnt vmcnt(12)
	v_mov_b64_e32 v[4:5], v[184:185]
	v_fmac_f64_e32 v[30:31], v[134:135], v[64:65]
	v_mov_b64_e32 v[6:7], v[186:187]
	v_add_f64 v[0:1], v[0:1], v[30:31]
	s_waitcnt lgkmcnt(0)
	v_mul_f64 v[30:31], v[136:137], v[6:7]
	v_fmac_f64_e32 v[30:31], v[138:139], v[4:5]
	ds_read_b128 v[140:143], v2 offset:1696
	v_add_f64 v[0:1], v[0:1], v[30:31]
	v_mul_f64 v[30:31], v[218:219], v[146:147]
	v_fma_f64 v[30:31], v[216:217], v[144:145], -v[30:31]
	ds_read_b128 v[144:147], v2 offset:1712
	s_waitcnt vmcnt(11) lgkmcnt(1)
	v_mul_f64 v[34:35], v[140:141], v[58:59]
	v_fmac_f64_e32 v[34:35], v[142:143], v[56:57]
	v_add_f64 v[0:1], v[0:1], v[34:35]
	v_mul_f64 v[34:35], v[222:223], v[150:151]
	s_waitcnt vmcnt(10) lgkmcnt(0)
	v_mul_f64 v[152:153], v[144:145], v[46:47]
	v_fma_f64 v[34:35], v[220:221], v[148:149], -v[34:35]
	ds_read_b128 v[148:151], v2 offset:1728
	v_fmac_f64_e32 v[152:153], v[146:147], v[44:45]
	v_add_f64 v[0:1], v[0:1], v[152:153]
	ds_read_b128 v[152:155], v2 offset:1744
	v_mul_f64 v[158:159], v[226:227], v[158:159]
	v_fma_f64 v[6:7], v[224:225], v[156:157], -v[158:159]
	ds_read_b128 v[156:159], v2 offset:1760
	v_mul_f64 v[162:163], v[230:231], v[162:163]
	s_waitcnt vmcnt(9) lgkmcnt(2)
	v_mul_f64 v[164:165], v[148:149], v[50:51]
	v_fma_f64 v[4:5], v[228:229], v[160:161], -v[162:163]
	ds_read_b128 v[160:163], v2 offset:1776
	v_fmac_f64_e32 v[164:165], v[150:151], v[48:49]
	s_waitcnt vmcnt(8) lgkmcnt(2)
	v_mul_f64 v[38:39], v[152:153], v[54:55]
	v_add_f64 v[0:1], v[0:1], v[164:165]
	v_fmac_f64_e32 v[38:39], v[154:155], v[52:53]
	v_add_f64 v[0:1], v[0:1], v[38:39]
	s_waitcnt vmcnt(7) lgkmcnt(1)
	v_mul_f64 v[38:39], v[156:157], v[62:63]
	v_fmac_f64_e32 v[38:39], v[158:159], v[60:61]
	v_add_f64 v[0:1], v[0:1], v[38:39]
	s_waitcnt vmcnt(6) lgkmcnt(0)
	v_mul_f64 v[38:39], v[160:161], v[70:71]
	ds_read_b128 v[164:167], v2 offset:1792
	v_fmac_f64_e32 v[38:39], v[162:163], v[68:69]
	v_add_f64 v[0:1], v[0:1], v[38:39]
	v_mul_f64 v[38:39], v[234:235], v[170:171]
	v_fma_f64 v[38:39], v[232:233], v[168:169], -v[38:39]
	ds_read_b128 v[168:171], v2 offset:1808
	s_waitcnt vmcnt(5) lgkmcnt(1)
	v_mul_f64 v[40:41], v[164:165], v[74:75]
	v_fmac_f64_e32 v[40:41], v[166:167], v[72:73]
	v_add_f64 v[40:41], v[0:1], v[40:41]
	v_mul_f64 v[0:1], v[238:239], v[174:175]
	v_fma_f64 v[0:1], v[236:237], v[172:173], -v[0:1]
	ds_read_b128 v[172:175], v2 offset:1824
	s_waitcnt vmcnt(4) lgkmcnt(1)
	v_mul_f64 v[176:177], v[168:169], v[82:83]
	v_fmac_f64_e32 v[176:177], v[170:171], v[80:81]
	v_add_f64 v[40:41], v[40:41], v[176:177]
	ds_read_b128 v[176:179], v2 offset:1840
	v_mul_f64 v[180:181], v[254:255], v[198:199]
	v_accvgpr_write_b32 a162, v184
	v_fma_f64 v[252:253], v[252:253], v[196:197], -v[180:181]
	ds_read_b128 v[180:183], v2 offset:1856
	ds_read_b128 v[192:195], v2 offset:1888
	v_accvgpr_write_b32 a163, v185
	v_accvgpr_write_b32 a164, v186
	;; [unrolled: 1-line block ×3, first 2 shown]
	s_waitcnt vmcnt(3) lgkmcnt(3)
	v_mul_f64 v[184:185], v[172:173], v[78:79]
	v_fmac_f64_e32 v[184:185], v[174:175], v[76:77]
	v_add_f64 v[40:41], v[40:41], v[184:185]
	s_waitcnt vmcnt(2) lgkmcnt(2)
	v_mul_f64 v[184:185], v[176:177], v[94:95]
	v_fmac_f64_e32 v[184:185], v[178:179], v[92:93]
	v_add_f64 v[40:41], v[40:41], v[184:185]
	;; [unrolled: 4-line block ×3, first 2 shown]
	ds_read_b128 v[184:187], v2 offset:1872
	ds_read_b128 v[200:203], v2 offset:1904
	scratch_load_dwordx4 v[236:239], off, off offset:96
	scratch_load_dwordx4 v[232:235], off, off offset:992
	ds_read_b128 v[208:211], v2 offset:1920
	ds_read_b128 v[216:219], v2 offset:1936
	s_waitcnt vmcnt(2) lgkmcnt(3)
	v_mul_f64 v[188:189], v[184:185], v[102:103]
	v_fmac_f64_e32 v[188:189], v[186:187], v[100:101]
	v_add_f64 v[40:41], v[40:41], v[188:189]
	scratch_load_dwordx4 v[188:191], off, off offset:912
	ds_read_b128 v[224:227], v2 offset:1952
	s_waitcnt vmcnt(0)
	v_mul_f64 v[196:197], v[192:193], v[190:191]
	v_fmac_f64_e32 v[196:197], v[194:195], v[188:189]
	v_add_f64 v[40:41], v[40:41], v[196:197]
	scratch_load_dwordx4 v[196:199], off, off offset:928
	s_waitcnt vmcnt(0) lgkmcnt(3)
	v_mul_f64 v[204:205], v[200:201], v[198:199]
	v_fmac_f64_e32 v[204:205], v[202:203], v[196:197]
	v_add_f64 v[40:41], v[40:41], v[204:205]
	scratch_load_dwordx4 v[204:207], off, off offset:944
	s_waitcnt vmcnt(0) lgkmcnt(2)
	;; [unrolled: 5-line block ×4, first 2 shown]
	v_mul_f64 v[228:229], v[224:225], v[222:223]
	v_fmac_f64_e32 v[228:229], v[226:227], v[220:221]
	v_add_f64 v[40:41], v[40:41], v[228:229]
	ds_read_b128 v[228:231], v2 offset:1968
	s_waitcnt lgkmcnt(0)
	v_mul_f64 v[2:3], v[228:229], v[234:235]
	v_fmac_f64_e32 v[2:3], v[230:231], v[232:233]
	v_add_f64 v[2:3], v[40:41], v[2:3]
	v_add_f64 v[40:41], v[242:243], 0
	;; [unrolled: 1-line block ×25, first 2 shown]
	v_accvgpr_read_b32 v6, a150
	v_accvgpr_read_b32 v8, a152
	;; [unrolled: 1-line block ×3, first 2 shown]
	v_add_f64 v[254:255], v[4:5], v[38:39]
	v_accvgpr_read_b32 v7, a151
	v_mul_f64 v[4:5], v[86:87], v[8:9]
	v_add_f64 v[0:1], v[254:255], v[0:1]
	v_fma_f64 v[4:5], v[84:85], v[6:7], -v[4:5]
	v_accvgpr_read_b32 v6, a154
	v_add_f64 v[0:1], v[0:1], v[252:253]
	v_accvgpr_read_b32 v8, a156
	v_accvgpr_read_b32 v9, a157
	v_add_f64 v[0:1], v[0:1], v[4:5]
	v_accvgpr_read_b32 v7, a155
	v_mul_f64 v[4:5], v[98:99], v[8:9]
	v_fma_f64 v[4:5], v[96:97], v[6:7], -v[4:5]
	v_accvgpr_read_b32 v6, a158
	v_accvgpr_read_b32 v8, a160
	v_accvgpr_read_b32 v9, a161
	v_add_f64 v[0:1], v[0:1], v[4:5]
	v_accvgpr_read_b32 v7, a159
	v_mul_f64 v[4:5], v[106:107], v[8:9]
	v_fma_f64 v[4:5], v[104:105], v[6:7], -v[4:5]
	v_accvgpr_read_b32 v6, a126
	;; [unrolled: 7-line block ×7, first 2 shown]
	v_accvgpr_read_b32 v8, a148
	v_accvgpr_read_b32 v9, a149
	v_add_f64 v[0:1], v[0:1], v[4:5]
	v_accvgpr_read_b32 v7, a147
	v_mul_f64 v[4:5], v[122:123], v[8:9]
	v_fma_f64 v[4:5], v[120:121], v[6:7], -v[4:5]
	v_add_f64 v[0:1], v[0:1], v[4:5]
	v_mul_f64 v[4:5], v[134:135], v[66:67]
	v_accvgpr_read_b32 v6, a162
	v_fma_f64 v[4:5], v[132:133], v[64:65], -v[4:5]
	v_accvgpr_read_b32 v8, a164
	v_accvgpr_read_b32 v9, a165
	v_add_f64 v[0:1], v[0:1], v[4:5]
	v_accvgpr_read_b32 v7, a163
	v_mul_f64 v[4:5], v[138:139], v[8:9]
	v_fma_f64 v[4:5], v[136:137], v[6:7], -v[4:5]
	v_add_f64 v[0:1], v[0:1], v[4:5]
	v_mul_f64 v[4:5], v[142:143], v[58:59]
	v_fma_f64 v[4:5], v[140:141], v[56:57], -v[4:5]
	v_add_f64 v[0:1], v[0:1], v[4:5]
	;; [unrolled: 3-line block ×19, first 2 shown]
	v_add_f64 v[4:5], v[236:237], -v[0:1]
	v_accvgpr_read_b32 v0, a124
	v_add_f64 v[6:7], v[238:239], -v[2:3]
	v_cmp_lt_u32_e32 vcc, 4, v0
	scratch_store_dwordx4 off, v[4:7], off offset:96
	s_and_saveexec_b64 s[0:1], vcc
	s_cbranch_execz .LBB61_389
; %bb.388:
	scratch_load_dwordx4 v[2:5], off, s57
	v_mov_b32_e32 v6, 0
	v_mov_b32_e32 v7, v6
	;; [unrolled: 1-line block ×4, first 2 shown]
	v_accvgpr_read_b32 v0, a125
	scratch_store_dwordx4 off, v[6:9], off offset:80
	s_waitcnt vmcnt(1)
	ds_write_b128 v0, v[2:5]
.LBB61_389:
	s_or_b64 exec, exec, s[0:1]
	s_waitcnt lgkmcnt(0)
	; wave barrier
	scratch_load_dwordx4 v[24:27], off, off offset:96
	scratch_load_dwordx4 v[28:31], off, off offset:112
	;; [unrolled: 1-line block ×30, first 2 shown]
	v_mov_b32_e32 v2, 0
	ds_read_b128 v[80:83], v2 offset:1072
	ds_read_b128 v[96:99], v2 offset:1088
	;; [unrolled: 1-line block ×17, first 2 shown]
	scratch_load_dwordx4 a[130:133], off, off offset:576
	scratch_load_dwordx4 a[134:137], off, off offset:592
	;; [unrolled: 1-line block ×6, first 2 shown]
	ds_read_b128 v[224:227], v2 offset:1408
	ds_read_b128 v[228:231], v2 offset:1424
	;; [unrolled: 1-line block ×6, first 2 shown]
	scratch_load_dwordx4 a[154:157], off, off offset:672
	ds_read_b128 v[244:247], v2 offset:1504
	ds_read_b128 v[248:251], v2 offset:1520
	s_waitcnt vmcnt(36) lgkmcnt(14)
	v_mul_f64 v[0:1], v[80:81], v[26:27]
	s_waitcnt vmcnt(35)
	v_mul_f64 v[8:9], v[96:97], v[30:31]
	v_fmac_f64_e32 v[0:1], v[82:83], v[24:25]
	s_waitcnt vmcnt(34)
	v_mul_f64 v[10:11], v[100:101], v[34:35]
	v_fmac_f64_e32 v[8:9], v[98:99], v[28:29]
	v_add_f64 v[0:1], v[0:1], 0
	s_waitcnt vmcnt(33)
	v_mul_f64 v[12:13], v[104:105], v[38:39]
	v_fmac_f64_e32 v[10:11], v[102:103], v[32:33]
	v_add_f64 v[0:1], v[0:1], v[8:9]
	;; [unrolled: 4-line block ×9, first 2 shown]
	s_waitcnt vmcnt(25) lgkmcnt(13)
	v_mul_f64 v[212:213], v[184:185], v[70:71]
	v_fmac_f64_e32 v[210:211], v[182:183], v[64:65]
	v_add_f64 v[0:1], v[0:1], v[208:209]
	s_waitcnt vmcnt(24) lgkmcnt(12)
	v_mul_f64 v[214:215], v[188:189], v[74:75]
	v_fmac_f64_e32 v[212:213], v[186:187], v[68:69]
	v_add_f64 v[0:1], v[0:1], v[210:211]
	s_waitcnt vmcnt(23) lgkmcnt(11)
	v_mul_f64 v[216:217], v[192:193], v[78:79]
	v_fmac_f64_e32 v[214:215], v[190:191], v[72:73]
	v_add_f64 v[0:1], v[0:1], v[212:213]
	s_waitcnt vmcnt(22) lgkmcnt(10)
	v_mul_f64 v[218:219], v[196:197], v[86:87]
	v_fmac_f64_e32 v[216:217], v[194:195], v[76:77]
	v_add_f64 v[0:1], v[0:1], v[214:215]
	ds_read_b128 v[208:211], v2 offset:1344
	ds_read_b128 v[212:215], v2 offset:1360
	v_fmac_f64_e32 v[218:219], v[198:199], v[84:85]
	v_add_f64 v[0:1], v[0:1], v[216:217]
	s_waitcnt vmcnt(21) lgkmcnt(11)
	v_mul_f64 v[220:221], v[200:201], v[90:91]
	v_add_f64 v[0:1], v[0:1], v[218:219]
	ds_read_b128 v[216:219], v2 offset:1376
	v_fmac_f64_e32 v[220:221], v[202:203], v[88:89]
	s_waitcnt vmcnt(20) lgkmcnt(11)
	v_mul_f64 v[8:9], v[204:205], v[94:95]
	v_add_f64 v[0:1], v[0:1], v[220:221]
	v_fmac_f64_e32 v[8:9], v[206:207], v[92:93]
	ds_read_b128 v[220:223], v2 offset:1392
	v_add_f64 v[0:1], v[0:1], v[8:9]
	s_waitcnt vmcnt(19) lgkmcnt(3)
	v_mul_f64 v[8:9], v[208:209], v[122:123]
	v_fmac_f64_e32 v[8:9], v[210:211], v[120:121]
	s_waitcnt vmcnt(18) lgkmcnt(2)
	v_mul_f64 v[12:13], v[212:213], v[126:127]
	v_add_f64 v[0:1], v[0:1], v[8:9]
	v_fmac_f64_e32 v[12:13], v[214:215], v[124:125]
	s_waitcnt vmcnt(17) lgkmcnt(1)
	v_mul_f64 v[16:17], v[216:217], v[130:131]
	v_add_f64 v[0:1], v[0:1], v[12:13]
	v_fmac_f64_e32 v[16:17], v[218:219], v[128:129]
	v_add_f64 v[0:1], v[0:1], v[16:17]
	s_waitcnt vmcnt(16) lgkmcnt(0)
	v_mul_f64 v[16:17], v[220:221], v[134:135]
	v_fmac_f64_e32 v[16:17], v[222:223], v[132:133]
	v_add_f64 v[0:1], v[0:1], v[16:17]
	s_waitcnt vmcnt(15)
	v_mul_f64 v[16:17], v[224:225], v[138:139]
	v_fmac_f64_e32 v[16:17], v[226:227], v[136:137]
	s_waitcnt vmcnt(14)
	v_mul_f64 v[20:21], v[228:229], v[142:143]
	v_add_f64 v[0:1], v[0:1], v[16:17]
	v_fmac_f64_e32 v[20:21], v[230:231], v[140:141]
	s_waitcnt vmcnt(13)
	v_mul_f64 v[6:7], v[232:233], v[146:147]
	v_add_f64 v[0:1], v[0:1], v[20:21]
	v_fmac_f64_e32 v[6:7], v[234:235], v[144:145]
	v_add_f64 v[0:1], v[0:1], v[6:7]
	s_waitcnt vmcnt(12)
	v_mul_f64 v[6:7], v[236:237], v[154:155]
	v_fmac_f64_e32 v[6:7], v[238:239], v[152:153]
	v_add_f64 v[0:1], v[0:1], v[6:7]
	s_waitcnt vmcnt(11)
	v_mul_f64 v[6:7], v[240:241], v[158:159]
	v_fmac_f64_e32 v[6:7], v[242:243], v[156:157]
	v_mul_f64 v[10:11], v[106:107], v[38:39]
	v_add_f64 v[0:1], v[0:1], v[6:7]
	v_mul_f64 v[6:7], v[98:99], v[30:31]
	v_fma_f64 v[20:21], v[104:105], v[36:37], -v[10:11]
	v_mul_f64 v[36:37], v[110:111], v[42:43]
	v_mul_f64 v[26:27], v[82:83], v[26:27]
	v_fma_f64 v[30:31], v[96:97], v[28:29], -v[6:7]
	v_mul_f64 v[28:29], v[102:103], v[34:35]
	v_fma_f64 v[16:17], v[108:109], v[40:41], -v[36:37]
	scratch_load_dwordx4 v[36:39], off, off offset:688
	v_fma_f64 v[80:81], v[80:81], v[24:25], -v[26:27]
	v_fma_f64 v[24:25], v[100:101], v[32:33], -v[28:29]
	s_waitcnt vmcnt(11)
	v_mul_f64 v[32:33], v[252:253], v[166:167]
	v_fmac_f64_e32 v[32:33], v[254:255], v[164:165]
	v_mul_f64 v[40:41], v[118:119], v[50:51]
	v_add_f64 v[0:1], v[0:1], v[32:33]
	s_waitcnt vmcnt(10)
	v_mul_f64 v[32:33], v[244:245], v[170:171]
	v_fma_f64 v[12:13], v[116:117], v[48:49], -v[40:41]
	scratch_load_dwordx4 v[40:43], off, off offset:704
	v_fmac_f64_e32 v[32:33], v[246:247], v[168:169]
	v_add_f64 v[0:1], v[0:1], v[32:33]
	ds_read_b128 v[32:35], v2 offset:1536
	ds_read_b128 v[96:99], v2 offset:1552
	v_mul_f64 v[14:15], v[114:115], v[46:47]
	v_fma_f64 v[14:15], v[112:113], v[44:45], -v[14:15]
	v_mul_f64 v[44:45], v[150:151], v[54:55]
	s_waitcnt vmcnt(10)
	v_mul_f64 v[18:19], v[248:249], v[178:179]
	s_waitcnt vmcnt(9)
	v_accvgpr_read_b32 v4, a126
	v_fma_f64 v[10:11], v[148:149], v[52:53], -v[44:45]
	scratch_load_dwordx4 v[44:47], off, off offset:720
	v_fmac_f64_e32 v[18:19], v[250:251], v[176:177]
	v_accvgpr_read_b32 v6, a128
	v_accvgpr_read_b32 v7, a129
	v_add_f64 v[0:1], v[0:1], v[18:19]
	v_accvgpr_read_b32 v5, a127
	s_waitcnt lgkmcnt(1)
	v_mul_f64 v[18:19], v[32:33], v[6:7]
	scratch_load_dwordx4 v[48:51], off, off offset:736
	scratch_load_dwordx4 v[52:55], off, off offset:752
	v_fmac_f64_e32 v[18:19], v[34:35], v[4:5]
	ds_read_b128 v[100:103], v2 offset:1568
	ds_read_b128 v[104:107], v2 offset:1584
	s_waitcnt vmcnt(11)
	v_accvgpr_read_b32 v4, a130
	v_add_f64 v[0:1], v[0:1], v[18:19]
	v_mul_f64 v[18:19], v[162:163], v[58:59]
	v_accvgpr_read_b32 v6, a132
	v_accvgpr_read_b32 v7, a133
	v_fma_f64 v[18:19], v[160:161], v[56:57], -v[18:19]
	v_accvgpr_read_b32 v5, a131
	s_waitcnt lgkmcnt(2)
	v_mul_f64 v[56:57], v[96:97], v[6:7]
	v_fmac_f64_e32 v[56:57], v[98:99], v[4:5]
	s_waitcnt vmcnt(10)
	v_accvgpr_read_b32 v4, a134
	v_mul_f64 v[22:23], v[174:175], v[62:63]
	v_accvgpr_read_b32 v6, a136
	v_accvgpr_read_b32 v7, a137
	v_fma_f64 v[22:23], v[172:173], v[60:61], -v[22:23]
	v_add_f64 v[0:1], v[0:1], v[56:57]
	v_mul_f64 v[56:57], v[182:183], v[66:67]
	v_accvgpr_read_b32 v5, a135
	s_waitcnt lgkmcnt(1)
	v_mul_f64 v[60:61], v[100:101], v[6:7]
	v_fma_f64 v[160:161], v[180:181], v[64:65], -v[56:57]
	scratch_load_dwordx4 v[56:59], off, off offset:768
	v_fmac_f64_e32 v[60:61], v[102:103], v[4:5]
	v_add_f64 v[0:1], v[0:1], v[60:61]
	v_mul_f64 v[60:61], v[186:187], v[70:71]
	ds_read_b128 v[108:111], v2 offset:1600
	s_waitcnt vmcnt(10)
	v_accvgpr_read_b32 v4, a138
	v_fma_f64 v[162:163], v[184:185], v[68:69], -v[60:61]
	scratch_load_dwordx4 v[60:63], off, off offset:784
	v_mul_f64 v[64:65], v[190:191], v[74:75]
	v_accvgpr_read_b32 v6, a140
	v_accvgpr_read_b32 v7, a141
	v_fma_f64 v[172:173], v[188:189], v[72:73], -v[64:65]
	v_accvgpr_read_b32 v5, a139
	s_waitcnt lgkmcnt(1)
	v_mul_f64 v[72:73], v[104:105], v[6:7]
	scratch_load_dwordx4 v[64:67], off, off offset:800
	v_fmac_f64_e32 v[72:73], v[106:107], v[4:5]
	s_waitcnt vmcnt(11)
	v_accvgpr_read_b32 v4, a142
	v_mul_f64 v[68:69], v[194:195], v[78:79]
	v_accvgpr_read_b32 v6, a144
	v_accvgpr_read_b32 v7, a145
	v_fma_f64 v[174:175], v[192:193], v[76:77], -v[68:69]
	scratch_load_dwordx4 v[68:71], off, off offset:816
	v_accvgpr_read_b32 v5, a143
	s_waitcnt lgkmcnt(0)
	v_mul_f64 v[76:77], v[108:109], v[6:7]
	v_add_f64 v[0:1], v[0:1], v[72:73]
	v_mul_f64 v[72:73], v[198:199], v[86:87]
	v_fmac_f64_e32 v[76:77], v[110:111], v[4:5]
	v_fma_f64 v[180:181], v[196:197], v[84:85], -v[72:73]
	scratch_load_dwordx4 v[72:75], off, off offset:832
	v_add_f64 v[0:1], v[0:1], v[76:77]
	v_mul_f64 v[76:77], v[202:203], v[90:91]
	v_fma_f64 v[182:183], v[200:201], v[88:89], -v[76:77]
	scratch_load_dwordx4 v[76:79], off, off offset:848
	ds_read_b128 v[116:119], v2 offset:1616
	ds_read_b128 v[112:115], v2 offset:1632
	s_waitcnt vmcnt(13)
	v_accvgpr_read_b32 v4, a146
	v_mul_f64 v[84:85], v[206:207], v[94:95]
	scratch_load_dwordx4 v[88:91], off, off offset:864
	v_accvgpr_read_b32 v6, a148
	v_accvgpr_read_b32 v7, a149
	v_fma_f64 v[8:9], v[204:205], v[92:93], -v[84:85]
	v_accvgpr_read_b32 v5, a147
	s_waitcnt lgkmcnt(1)
	v_mul_f64 v[92:93], v[116:117], v[6:7]
	scratch_load_dwordx4 v[84:87], off, off offset:880
	v_fmac_f64_e32 v[92:93], v[118:119], v[4:5]
	v_add_f64 v[0:1], v[0:1], v[92:93]
	v_mul_f64 v[92:93], v[214:215], v[126:127]
	v_fma_f64 v[6:7], v[212:213], v[124:125], -v[92:93]
	scratch_load_dwordx4 v[92:95], off, off offset:896
	v_mul_f64 v[146:147], v[234:235], v[146:147]
	v_mul_f64 v[154:155], v[238:239], v[154:155]
	;; [unrolled: 1-line block ×5, first 2 shown]
	v_fma_f64 v[230:231], v[232:233], v[144:145], -v[146:147]
	v_fma_f64 v[232:233], v[236:237], v[152:153], -v[154:155]
	;; [unrolled: 1-line block ×4, first 2 shown]
	scratch_load_dwordx4 v[248:251], off, off offset:912
	v_mul_f64 v[26:27], v[210:211], v[122:123]
	v_fma_f64 v[26:27], v[208:209], v[120:121], -v[26:27]
	v_mul_f64 v[82:83], v[218:219], v[130:131]
	ds_read_b128 v[120:123], v2 offset:1648
	v_fma_f64 v[82:83], v[216:217], v[128:129], -v[82:83]
	s_waitcnt vmcnt(16)
	v_accvgpr_read_b32 v126, a150
	v_accvgpr_read_b32 v128, a152
	;; [unrolled: 1-line block ×4, first 2 shown]
	s_waitcnt lgkmcnt(1)
	v_mul_f64 v[124:125], v[112:113], v[128:129]
	s_waitcnt vmcnt(15)
	v_accvgpr_read_b32 v148, a154
	v_fmac_f64_e32 v[124:125], v[114:115], v[126:127]
	v_accvgpr_read_b32 v150, a156
	v_accvgpr_read_b32 v151, a157
	v_add_f64 v[0:1], v[0:1], v[124:125]
	ds_read_b128 v[124:127], v2 offset:1664
	v_accvgpr_read_b32 v149, a155
	s_waitcnt lgkmcnt(1)
	v_mul_f64 v[128:129], v[120:121], v[150:151]
	v_fmac_f64_e32 v[128:129], v[122:123], v[148:149]
	v_add_f64 v[0:1], v[0:1], v[128:129]
	v_mul_f64 v[128:129], v[222:223], v[134:135]
	v_fma_f64 v[4:5], v[220:221], v[132:133], -v[128:129]
	ds_read_b128 v[128:131], v2 offset:1680
	ds_read_b128 v[132:135], v2 offset:1696
	s_waitcnt vmcnt(14) lgkmcnt(2)
	v_mul_f64 v[28:29], v[124:125], v[38:39]
	v_fmac_f64_e32 v[28:29], v[126:127], v[36:37]
	v_add_f64 v[0:1], v[0:1], v[28:29]
	v_mul_f64 v[28:29], v[226:227], v[138:139]
	v_fma_f64 v[28:29], v[224:225], v[136:137], -v[28:29]
	s_waitcnt vmcnt(13) lgkmcnt(1)
	v_mul_f64 v[136:137], v[128:129], v[42:43]
	v_fmac_f64_e32 v[136:137], v[130:131], v[40:41]
	v_add_f64 v[0:1], v[0:1], v[136:137]
	ds_read_b128 v[136:139], v2 offset:1712
	v_add_f64 v[80:81], v[80:81], 0
	v_fma_f64 v[228:229], v[228:229], v[140:141], -v[142:143]
	ds_read_b128 v[140:143], v2 offset:1728
	v_add_f64 v[30:31], v[80:81], v[30:31]
	s_waitcnt vmcnt(12) lgkmcnt(2)
	v_mul_f64 v[148:149], v[132:133], v[46:47]
	v_add_f64 v[24:25], v[30:31], v[24:25]
	v_fmac_f64_e32 v[148:149], v[134:135], v[44:45]
	v_add_f64 v[20:21], v[24:25], v[20:21]
	v_add_f64 v[0:1], v[0:1], v[148:149]
	s_waitcnt vmcnt(11) lgkmcnt(1)
	v_mul_f64 v[148:149], v[136:137], v[50:51]
	v_add_f64 v[16:17], v[20:21], v[16:17]
	v_fmac_f64_e32 v[148:149], v[138:139], v[48:49]
	v_add_f64 v[14:15], v[16:17], v[14:15]
	v_add_f64 v[0:1], v[0:1], v[148:149]
	ds_read_b128 v[144:147], v2 offset:1744
	s_waitcnt vmcnt(10) lgkmcnt(1)
	v_mul_f64 v[148:149], v[140:141], v[54:55]
	v_add_f64 v[12:13], v[14:15], v[12:13]
	v_fmac_f64_e32 v[148:149], v[142:143], v[52:53]
	v_add_f64 v[10:11], v[12:13], v[10:11]
	v_add_f64 v[0:1], v[0:1], v[148:149]
	ds_read_b128 v[148:151], v2 offset:1760
	v_add_f64 v[10:11], v[10:11], v[18:19]
	v_add_f64 v[10:11], v[10:11], v[22:23]
	ds_read_b128 v[152:155], v2 offset:1776
	v_add_f64 v[10:11], v[10:11], v[160:161]
	s_waitcnt vmcnt(9) lgkmcnt(2)
	v_mul_f64 v[184:185], v[144:145], v[58:59]
	v_mul_f64 v[158:159], v[242:243], v[158:159]
	v_add_f64 v[10:11], v[10:11], v[162:163]
	v_fmac_f64_e32 v[184:185], v[146:147], v[56:57]
	v_fma_f64 v[234:235], v[240:241], v[156:157], -v[158:159]
	ds_read_b128 v[156:159], v2 offset:1792
	v_add_f64 v[10:11], v[10:11], v[172:173]
	v_add_f64 v[0:1], v[0:1], v[184:185]
	s_waitcnt vmcnt(8) lgkmcnt(2)
	v_mul_f64 v[184:185], v[148:149], v[62:63]
	v_add_f64 v[10:11], v[10:11], v[174:175]
	v_fmac_f64_e32 v[184:185], v[150:151], v[60:61]
	ds_read_b128 v[240:243], v2 offset:1808
	ds_read_b128 v[164:167], v2 offset:1824
	v_add_f64 v[10:11], v[10:11], v[180:181]
	v_add_f64 v[0:1], v[0:1], v[184:185]
	s_waitcnt vmcnt(7) lgkmcnt(3)
	v_mul_f64 v[184:185], v[152:153], v[66:67]
	v_add_f64 v[10:11], v[10:11], v[182:183]
	v_fmac_f64_e32 v[184:185], v[154:155], v[64:65]
	v_add_f64 v[8:9], v[10:11], v[8:9]
	v_add_f64 v[0:1], v[0:1], v[184:185]
	s_waitcnt vmcnt(6) lgkmcnt(2)
	v_mul_f64 v[184:185], v[156:157], v[70:71]
	v_mul_f64 v[170:171], v[246:247], v[170:171]
	v_add_f64 v[8:9], v[8:9], v[26:27]
	v_fmac_f64_e32 v[184:185], v[158:159], v[68:69]
	v_fma_f64 v[238:239], v[244:245], v[168:169], -v[170:171]
	ds_read_b128 v[168:171], v2 offset:1840
	ds_read_b128 v[244:247], v2 offset:1856
	v_add_f64 v[6:7], v[8:9], v[6:7]
	v_add_f64 v[0:1], v[0:1], v[184:185]
	s_waitcnt vmcnt(5) lgkmcnt(3)
	v_mul_f64 v[184:185], v[240:241], v[74:75]
	v_add_f64 v[6:7], v[6:7], v[82:83]
	v_fmac_f64_e32 v[184:185], v[242:243], v[72:73]
	v_add_f64 v[4:5], v[6:7], v[4:5]
	v_add_f64 v[0:1], v[0:1], v[184:185]
	s_waitcnt vmcnt(4) lgkmcnt(2)
	v_mul_f64 v[184:185], v[164:165], v[78:79]
	v_add_f64 v[4:5], v[4:5], v[28:29]
	v_fmac_f64_e32 v[184:185], v[166:167], v[76:77]
	ds_read_b128 v[176:179], v2 offset:1872
	ds_read_b128 v[192:195], v2 offset:1904
	v_add_f64 v[4:5], v[4:5], v[228:229]
	v_add_f64 v[0:1], v[0:1], v[184:185]
	v_add_f64 v[4:5], v[4:5], v[230:231]
	scratch_load_dwordx4 v[228:231], off, off offset:80
	s_waitcnt vmcnt(4) lgkmcnt(3)
	v_mul_f64 v[184:185], v[168:169], v[90:91]
	v_fmac_f64_e32 v[184:185], v[170:171], v[88:89]
	v_add_f64 v[0:1], v[0:1], v[184:185]
	s_waitcnt vmcnt(3) lgkmcnt(2)
	v_mul_f64 v[184:185], v[244:245], v[86:87]
	v_fmac_f64_e32 v[184:185], v[246:247], v[84:85]
	v_add_f64 v[0:1], v[0:1], v[184:185]
	;; [unrolled: 4-line block ×3, first 2 shown]
	ds_read_b128 v[184:187], v2 offset:1888
	ds_read_b128 v[200:203], v2 offset:1920
	;; [unrolled: 1-line block ×5, first 2 shown]
	s_waitcnt vmcnt(1) lgkmcnt(4)
	v_mul_f64 v[188:189], v[184:185], v[250:251]
	v_fmac_f64_e32 v[188:189], v[186:187], v[248:249]
	v_add_f64 v[0:1], v[0:1], v[188:189]
	scratch_load_dwordx4 v[188:191], off, off offset:928
	v_accvgpr_read_b32 v8, a126
	v_accvgpr_read_b32 v10, a128
	;; [unrolled: 1-line block ×4, first 2 shown]
	v_mul_f64 v[6:7], v[34:35], v[10:11]
	v_fma_f64 v[6:7], v[32:33], v[8:9], -v[6:7]
	v_accvgpr_read_b32 v8, a130
	v_accvgpr_read_b32 v10, a132
	;; [unrolled: 1-line block ×4, first 2 shown]
	s_waitcnt vmcnt(0)
	v_mul_f64 v[196:197], v[192:193], v[190:191]
	v_fmac_f64_e32 v[196:197], v[194:195], v[188:189]
	v_add_f64 v[0:1], v[0:1], v[196:197]
	scratch_load_dwordx4 v[196:199], off, off offset:944
	s_waitcnt vmcnt(0) lgkmcnt(3)
	v_mul_f64 v[204:205], v[200:201], v[198:199]
	v_fmac_f64_e32 v[204:205], v[202:203], v[196:197]
	v_add_f64 v[0:1], v[0:1], v[204:205]
	scratch_load_dwordx4 v[204:207], off, off offset:960
	s_waitcnt vmcnt(0) lgkmcnt(2)
	;; [unrolled: 5-line block ×4, first 2 shown]
	v_mul_f64 v[254:255], v[224:225], v[222:223]
	v_fmac_f64_e32 v[254:255], v[226:227], v[220:221]
	v_add_f64 v[0:1], v[0:1], v[254:255]
	v_add_f64 v[254:255], v[4:5], v[232:233]
	;; [unrolled: 1-line block ×7, first 2 shown]
	v_mul_f64 v[6:7], v[98:99], v[10:11]
	v_fma_f64 v[6:7], v[96:97], v[8:9], -v[6:7]
	v_accvgpr_read_b32 v8, a134
	v_accvgpr_read_b32 v10, a136
	v_accvgpr_read_b32 v11, a137
	v_add_f64 v[4:5], v[4:5], v[6:7]
	v_accvgpr_read_b32 v9, a135
	v_mul_f64 v[6:7], v[102:103], v[10:11]
	v_fma_f64 v[6:7], v[100:101], v[8:9], -v[6:7]
	v_accvgpr_read_b32 v8, a138
	v_accvgpr_read_b32 v10, a140
	v_accvgpr_read_b32 v11, a141
	v_add_f64 v[4:5], v[4:5], v[6:7]
	v_accvgpr_read_b32 v9, a139
	;; [unrolled: 7-line block ×6, first 2 shown]
	v_mul_f64 v[6:7], v[122:123], v[10:11]
	v_fma_f64 v[6:7], v[120:121], v[8:9], -v[6:7]
	v_add_f64 v[4:5], v[4:5], v[6:7]
	v_mul_f64 v[6:7], v[126:127], v[38:39]
	v_fma_f64 v[6:7], v[124:125], v[36:37], -v[6:7]
	v_add_f64 v[4:5], v[4:5], v[6:7]
	;; [unrolled: 3-line block ×21, first 2 shown]
	v_add_f64 v[6:7], v[230:231], -v[0:1]
	v_accvgpr_read_b32 v0, a124
	v_add_f64 v[4:5], v[228:229], -v[4:5]
	v_cmp_lt_u32_e32 vcc, 3, v0
	scratch_store_dwordx4 off, v[4:7], off offset:80
	s_and_saveexec_b64 s[0:1], vcc
	s_cbranch_execz .LBB61_391
; %bb.390:
	scratch_load_dwordx4 v[6:9], off, s85
	v_mov_b32_e32 v3, v2
	v_mov_b32_e32 v4, v2
	;; [unrolled: 1-line block ×3, first 2 shown]
	v_accvgpr_read_b32 v0, a125
	scratch_store_dwordx4 off, v[2:5], off offset:64
	s_waitcnt vmcnt(1)
	ds_write_b128 v0, v[6:9]
.LBB61_391:
	s_or_b64 exec, exec, s[0:1]
	s_waitcnt lgkmcnt(0)
	; wave barrier
	scratch_load_dwordx4 v[8:11], off, off offset:80
	scratch_load_dwordx4 v[12:15], off, off offset:96
	;; [unrolled: 1-line block ×17, first 2 shown]
	ds_read_b128 v[180:183], v2 offset:1056
	ds_read_b128 v[108:111], v2 offset:1072
	scratch_load_dwordx4 v[92:95], off, off offset:352
	ds_read_b128 v[184:187], v2 offset:1088
	ds_read_b128 v[172:175], v2 offset:1104
	;; [unrolled: 1-line block ×5, first 2 shown]
	scratch_load_dwordx4 v[100:103], off, off offset:368
	ds_read_b128 v[160:163], v2 offset:1168
	ds_read_b128 v[128:131], v2 offset:1184
	scratch_load_dwordx4 v[116:119], off, off offset:384
	ds_read_b128 v[196:199], v2 offset:1200
	ds_read_b128 v[176:179], v2 offset:1216
	;; [unrolled: 1-line block ×5, first 2 shown]
	scratch_load_dwordx4 v[124:127], off, off offset:400
	ds_read_b128 v[168:171], v2 offset:1280
	ds_read_b128 v[156:159], v2 offset:1296
	;; [unrolled: 1-line block ×3, first 2 shown]
	scratch_load_dwordx4 v[136:139], off, off offset:416
	scratch_load_dwordx4 v[140:143], off, off offset:432
	;; [unrolled: 1-line block ×9, first 2 shown]
	ds_read_b128 v[208:211], v2 offset:1328
	scratch_load_dwordx4 a[138:141], off, off offset:592
	scratch_load_dwordx4 a[142:145], off, off offset:608
	;; [unrolled: 1-line block ×3, first 2 shown]
	ds_read_b128 v[232:235], v2 offset:1424
	ds_read_b128 v[236:239], v2 offset:1440
	scratch_load_dwordx4 a[150:153], off, off offset:656
	scratch_load_dwordx4 a[154:157], off, off offset:672
	;; [unrolled: 1-line block ×3, first 2 shown]
	ds_read_b128 v[240:243], v2 offset:1472
	ds_read_b128 v[228:231], v2 offset:1408
	scratch_load_dwordx4 a[134:137], off, off offset:576
	ds_read_b128 v[244:247], v2 offset:1504
	s_waitcnt vmcnt(36) lgkmcnt(14)
	v_mul_f64 v[0:1], v[180:181], v[10:11]
	s_waitcnt vmcnt(35)
	v_mul_f64 v[56:57], v[108:109], v[14:15]
	v_fmac_f64_e32 v[0:1], v[182:183], v[8:9]
	s_waitcnt vmcnt(34)
	v_mul_f64 v[58:59], v[184:185], v[18:19]
	v_fmac_f64_e32 v[56:57], v[110:111], v[12:13]
	v_add_f64 v[0:1], v[0:1], 0
	s_waitcnt vmcnt(33)
	v_mul_f64 v[60:61], v[172:173], v[22:23]
	v_fmac_f64_e32 v[58:59], v[186:187], v[16:17]
	v_add_f64 v[0:1], v[0:1], v[56:57]
	;; [unrolled: 4-line block ×7, first 2 shown]
	s_waitcnt vmcnt(27) lgkmcnt(13)
	v_mul_f64 v[212:213], v[196:197], v[46:47]
	v_fmac_f64_e32 v[74:75], v[130:131], v[38:39]
	v_add_f64 v[0:1], v[0:1], v[72:73]
	s_waitcnt vmcnt(26) lgkmcnt(12)
	v_mul_f64 v[214:215], v[176:177], v[50:51]
	v_fmac_f64_e32 v[212:213], v[198:199], v[44:45]
	v_add_f64 v[0:1], v[0:1], v[74:75]
	s_waitcnt vmcnt(25) lgkmcnt(11)
	v_mul_f64 v[216:217], v[164:165], v[54:55]
	v_fmac_f64_e32 v[214:215], v[178:179], v[48:49]
	v_add_f64 v[0:1], v[0:1], v[212:213]
	s_waitcnt vmcnt(24) lgkmcnt(10)
	v_mul_f64 v[218:219], v[148:149], v[66:67]
	v_fmac_f64_e32 v[216:217], v[166:167], v[52:53]
	v_add_f64 v[0:1], v[0:1], v[214:215]
	s_waitcnt vmcnt(23) lgkmcnt(9)
	v_mul_f64 v[220:221], v[120:121], v[78:79]
	v_fmac_f64_e32 v[218:219], v[150:151], v[64:65]
	v_add_f64 v[0:1], v[0:1], v[216:217]
	s_waitcnt vmcnt(22) lgkmcnt(8)
	v_mul_f64 v[222:223], v[168:169], v[82:83]
	v_fmac_f64_e32 v[220:221], v[122:123], v[76:77]
	v_add_f64 v[0:1], v[0:1], v[218:219]
	s_waitcnt vmcnt(21) lgkmcnt(7)
	v_mul_f64 v[224:225], v[156:157], v[86:87]
	v_fmac_f64_e32 v[222:223], v[170:171], v[80:81]
	v_add_f64 v[0:1], v[0:1], v[220:221]
	v_fmac_f64_e32 v[224:225], v[158:159], v[84:85]
	v_add_f64 v[0:1], v[0:1], v[222:223]
	s_waitcnt vmcnt(20) lgkmcnt(6)
	v_mul_f64 v[56:57], v[132:133], v[90:91]
	v_add_f64 v[0:1], v[0:1], v[224:225]
	v_fmac_f64_e32 v[56:57], v[134:135], v[88:89]
	v_add_f64 v[0:1], v[0:1], v[56:57]
	ds_read_b128 v[212:215], v2 offset:1344
	s_waitcnt vmcnt(19) lgkmcnt(6)
	v_mul_f64 v[56:57], v[208:209], v[94:95]
	v_fmac_f64_e32 v[56:57], v[210:211], v[92:93]
	v_add_f64 v[0:1], v[0:1], v[56:57]
	scratch_load_dwordx4 v[56:59], off, off offset:560
	ds_read_b128 v[216:219], v2 offset:1360
	ds_read_b128 v[220:223], v2 offset:1376
	s_waitcnt vmcnt(19) lgkmcnt(2)
	v_mul_f64 v[60:61], v[212:213], v[102:103]
	ds_read_b128 v[224:227], v2 offset:1392
	v_fmac_f64_e32 v[60:61], v[214:215], v[100:101]
	s_waitcnt vmcnt(18) lgkmcnt(2)
	v_mul_f64 v[68:69], v[216:217], v[118:119]
	v_add_f64 v[0:1], v[0:1], v[60:61]
	v_fmac_f64_e32 v[68:69], v[218:219], v[116:117]
	v_add_f64 v[0:1], v[0:1], v[68:69]
	s_waitcnt vmcnt(17) lgkmcnt(1)
	v_mul_f64 v[68:69], v[220:221], v[126:127]
	v_fmac_f64_e32 v[68:69], v[222:223], v[124:125]
	v_add_f64 v[0:1], v[0:1], v[68:69]
	s_waitcnt vmcnt(16) lgkmcnt(0)
	v_mul_f64 v[68:69], v[224:225], v[138:139]
	v_mul_f64 v[10:11], v[182:183], v[10:11]
	v_fmac_f64_e32 v[68:69], v[226:227], v[136:137]
	s_waitcnt vmcnt(15)
	v_mul_f64 v[72:73], v[228:229], v[142:143]
	v_fma_f64 v[248:249], v[180:181], v[8:9], -v[10:11]
	ds_read_b128 v[180:183], v2 offset:1456
	v_add_f64 v[0:1], v[0:1], v[68:69]
	v_fmac_f64_e32 v[72:73], v[230:231], v[140:141]
	s_waitcnt vmcnt(14)
	v_mul_f64 v[8:9], v[232:233], v[146:147]
	v_add_f64 v[0:1], v[0:1], v[72:73]
	v_fmac_f64_e32 v[8:9], v[234:235], v[144:145]
	v_add_f64 v[0:1], v[0:1], v[8:9]
	s_waitcnt vmcnt(13)
	v_mul_f64 v[8:9], v[236:237], v[154:155]
	v_fmac_f64_e32 v[8:9], v[238:239], v[152:153]
	v_add_f64 v[0:1], v[0:1], v[8:9]
	s_waitcnt vmcnt(12) lgkmcnt(0)
	v_mul_f64 v[8:9], v[180:181], v[190:191]
	v_fmac_f64_e32 v[8:9], v[182:183], v[188:189]
	v_add_f64 v[0:1], v[0:1], v[8:9]
	v_mul_f64 v[8:9], v[110:111], v[14:15]
	v_fma_f64 v[250:251], v[108:109], v[12:13], -v[8:9]
	v_mul_f64 v[12:13], v[186:187], v[18:19]
	v_fma_f64 v[254:255], v[184:185], v[16:17], -v[12:13]
	v_mul_f64 v[12:13], v[174:175], v[22:23]
	v_fma_f64 v[252:253], v[172:173], v[20:21], -v[12:13]
	scratch_load_dwordx4 v[172:175], off, off offset:640
	ds_read_b128 v[184:187], v2 offset:1488
	v_accvgpr_write_b32 a133, v37
	v_mul_f64 v[6:7], v[98:99], v[6:7]
	v_accvgpr_write_b32 a132, v36
	v_accvgpr_write_b32 a131, v35
	;; [unrolled: 1-line block ×3, first 2 shown]
	s_waitcnt vmcnt(12)
	v_mul_f64 v[16:17], v[240:241], v[194:195]
	v_fma_f64 v[36:37], v[96:97], v[4:5], -v[6:7]
	ds_read_b128 v[96:99], v2 offset:1520
	v_fmac_f64_e32 v[16:17], v[242:243], v[192:193]
	v_add_f64 v[0:1], v[0:1], v[16:17]
	s_waitcnt vmcnt(11) lgkmcnt(1)
	v_mul_f64 v[16:17], v[184:185], v[202:203]
	v_fmac_f64_e32 v[16:17], v[186:187], v[200:201]
	s_waitcnt vmcnt(10)
	v_mul_f64 v[10:11], v[244:245], v[206:207]
	s_waitcnt vmcnt(9)
	v_accvgpr_read_b32 v4, a126
	scratch_load_dwordx4 v[72:75], off, off offset:704
	v_add_f64 v[0:1], v[0:1], v[16:17]
	v_mul_f64 v[24:25], v[106:107], v[28:29]
	v_fmac_f64_e32 v[10:11], v[246:247], v[204:205]
	v_accvgpr_read_b32 v6, a128
	v_accvgpr_read_b32 v7, a129
	v_mul_f64 v[20:21], v[114:115], v[32:33]
	v_fma_f64 v[32:33], v[104:105], v[26:27], -v[24:25]
	v_add_f64 v[0:1], v[0:1], v[10:11]
	v_accvgpr_read_b32 v5, a127
	ds_read_b128 v[104:107], v2 offset:1536
	s_waitcnt lgkmcnt(1)
	v_mul_f64 v[10:11], v[96:97], v[6:7]
	scratch_load_dwordx4 v[68:71], off, off offset:720
	scratch_load_dwordx4 v[60:63], off, off offset:736
	v_fmac_f64_e32 v[10:11], v[98:99], v[4:5]
	v_accvgpr_read_b32 v4, a130
	v_accvgpr_read_b32 v6, a132
	;; [unrolled: 1-line block ×4, first 2 shown]
	v_mul_f64 v[28:29], v[162:163], v[6:7]
	v_fma_f64 v[42:43], v[112:113], v[30:31], -v[20:21]
	v_fma_f64 v[30:31], v[160:161], v[4:5], -v[28:29]
	ds_read_b128 v[108:111], v2 offset:1552
	ds_read_b128 v[112:115], v2 offset:1568
	v_add_f64 v[0:1], v[0:1], v[10:11]
	v_mul_f64 v[10:11], v[130:131], v[40:41]
	v_mul_f64 v[14:15], v[198:199], v[46:47]
	s_waitcnt vmcnt(4)
	v_mov_b64_e32 v[4:5], v[56:57]
	v_mov_b64_e32 v[6:7], v[58:59]
	s_waitcnt lgkmcnt(2)
	v_mul_f64 v[40:41], v[104:105], v[6:7]
	v_fmac_f64_e32 v[40:41], v[106:107], v[4:5]
	v_accvgpr_write_b32 a133, v59
	v_accvgpr_read_b32 v4, a134
	v_accvgpr_write_b32 a132, v58
	v_accvgpr_write_b32 a131, v57
	;; [unrolled: 1-line block ×3, first 2 shown]
	scratch_load_dwordx4 v[56:59], off, off offset:752
	v_accvgpr_read_b32 v6, a136
	v_accvgpr_read_b32 v7, a137
	v_fma_f64 v[20:21], v[196:197], v[44:45], -v[14:15]
	v_accvgpr_read_b32 v5, a135
	s_waitcnt lgkmcnt(1)
	v_mul_f64 v[44:45], v[108:109], v[6:7]
	v_add_f64 v[0:1], v[0:1], v[40:41]
	v_fmac_f64_e32 v[44:45], v[110:111], v[4:5]
	v_add_f64 v[0:1], v[0:1], v[44:45]
	v_mul_f64 v[44:45], v[166:167], v[54:55]
	v_mul_f64 v[40:41], v[178:179], v[50:51]
	v_fma_f64 v[178:179], v[164:165], v[52:53], -v[44:45]
	scratch_load_dwordx4 v[44:47], off, off offset:768
	v_fma_f64 v[176:177], v[176:177], v[48:49], -v[40:41]
	v_mul_f64 v[48:49], v[150:151], v[66:67]
	v_fma_f64 v[16:17], v[148:149], v[64:65], -v[48:49]
	scratch_load_dwordx4 v[48:51], off, off offset:784
	scratch_load_dwordx4 v[52:55], off, off offset:800
	v_accvgpr_read_b32 v4, a138
	v_accvgpr_read_b32 v6, a140
	;; [unrolled: 1-line block ×4, first 2 shown]
	s_waitcnt lgkmcnt(0)
	v_mul_f64 v[64:65], v[112:113], v[6:7]
	v_mul_f64 v[18:19], v[122:123], v[78:79]
	v_fmac_f64_e32 v[64:65], v[114:115], v[4:5]
	v_fma_f64 v[18:19], v[120:121], v[76:77], -v[18:19]
	ds_read_b128 v[120:123], v2 offset:1584
	v_add_f64 v[0:1], v[0:1], v[64:65]
	v_mul_f64 v[64:65], v[170:171], v[82:83]
	v_fma_f64 v[14:15], v[168:169], v[80:81], -v[64:65]
	scratch_load_dwordx4 v[64:67], off, off offset:816
	scratch_load_dwordx4 v[76:79], off, off offset:832
	v_accvgpr_read_b32 v4, a142
	v_accvgpr_read_b32 v6, a144
	;; [unrolled: 1-line block ×3, first 2 shown]
	v_mul_f64 v[80:81], v[134:135], v[90:91]
	v_fma_f64 v[26:27], v[128:129], v[38:39], -v[10:11]
	v_accvgpr_read_b32 v5, a143
	s_waitcnt lgkmcnt(0)
	v_mul_f64 v[22:23], v[120:121], v[6:7]
	v_fma_f64 v[12:13], v[132:133], v[88:89], -v[80:81]
	ds_read_b128 v[132:135], v2 offset:1600
	ds_read_b128 v[128:131], v2 offset:1616
	v_fmac_f64_e32 v[22:23], v[122:123], v[4:5]
	v_add_f64 v[0:1], v[0:1], v[22:23]
	v_mul_f64 v[22:23], v[158:159], v[86:87]
	v_accvgpr_read_b32 v4, a146
	v_fma_f64 v[22:23], v[156:157], v[84:85], -v[22:23]
	scratch_load_dwordx4 v[84:87], off, off offset:848
	scratch_load_dwordx4 v[80:83], off, off offset:864
	v_accvgpr_read_b32 v6, a148
	v_accvgpr_read_b32 v7, a149
	;; [unrolled: 1-line block ×3, first 2 shown]
	s_waitcnt lgkmcnt(1)
	v_mul_f64 v[88:89], v[132:133], v[6:7]
	v_fmac_f64_e32 v[88:89], v[134:135], v[4:5]
	v_add_f64 v[0:1], v[0:1], v[88:89]
	v_mul_f64 v[88:89], v[214:215], v[102:103]
	v_fma_f64 v[10:11], v[212:213], v[100:101], -v[88:89]
	scratch_load_dwordx4 v[88:91], off, off offset:880
	v_mul_f64 v[24:25], v[210:211], v[94:95]
	v_fma_f64 v[24:25], v[208:209], v[92:93], -v[24:25]
	ds_read_b128 v[92:95], v2 offset:1632
	s_waitcnt vmcnt(12)
	v_mov_b64_e32 v[4:5], v[172:173]
	v_mov_b64_e32 v[6:7], v[174:175]
	s_waitcnt lgkmcnt(1)
	v_mul_f64 v[100:101], v[128:129], v[6:7]
	v_fmac_f64_e32 v[100:101], v[130:131], v[4:5]
	v_accvgpr_read_b32 v4, a150
	v_mul_f64 v[28:29], v[218:219], v[118:119]
	v_accvgpr_read_b32 v6, a152
	v_accvgpr_read_b32 v7, a153
	v_fma_f64 v[28:29], v[216:217], v[116:117], -v[28:29]
	v_add_f64 v[0:1], v[0:1], v[100:101]
	ds_read_b128 v[100:103], v2 offset:1648
	v_accvgpr_read_b32 v5, a151
	s_waitcnt lgkmcnt(1)
	v_mul_f64 v[116:117], v[92:93], v[6:7]
	v_fmac_f64_e32 v[116:117], v[94:95], v[4:5]
	v_add_f64 v[0:1], v[0:1], v[116:117]
	v_mul_f64 v[116:117], v[222:223], v[126:127]
	v_fma_f64 v[8:9], v[220:221], v[124:125], -v[116:117]
	ds_read_b128 v[116:119], v2 offset:1664
	ds_read_b128 v[124:127], v2 offset:1680
	v_accvgpr_read_b32 v4, a154
	v_accvgpr_read_b32 v6, a156
	;; [unrolled: 1-line block ×4, first 2 shown]
	s_waitcnt lgkmcnt(2)
	v_mul_f64 v[34:35], v[100:101], v[6:7]
	v_fmac_f64_e32 v[34:35], v[102:103], v[4:5]
	v_accvgpr_read_b32 v4, a158
	v_add_f64 v[0:1], v[0:1], v[34:35]
	v_mul_f64 v[34:35], v[226:227], v[138:139]
	v_accvgpr_read_b32 v6, a160
	v_accvgpr_read_b32 v7, a161
	v_fma_f64 v[34:35], v[224:225], v[136:137], -v[34:35]
	v_accvgpr_read_b32 v5, a159
	s_waitcnt lgkmcnt(1)
	v_mul_f64 v[136:137], v[116:117], v[6:7]
	v_fmac_f64_e32 v[136:137], v[118:119], v[4:5]
	v_add_f64 v[0:1], v[0:1], v[136:137]
	ds_read_b128 v[136:139], v2 offset:1696
	s_waitcnt vmcnt(11) lgkmcnt(1)
	v_mul_f64 v[38:39], v[124:125], v[74:75]
	v_mul_f64 v[142:143], v[230:231], v[142:143]
	v_fmac_f64_e32 v[38:39], v[126:127], v[72:73]
	v_fma_f64 v[6:7], v[228:229], v[140:141], -v[142:143]
	ds_read_b128 v[140:143], v2 offset:1712
	v_add_f64 v[0:1], v[0:1], v[38:39]
	s_waitcnt vmcnt(10) lgkmcnt(1)
	v_mul_f64 v[38:39], v[136:137], v[70:71]
	v_fmac_f64_e32 v[38:39], v[138:139], v[68:69]
	v_add_f64 v[0:1], v[0:1], v[38:39]
	v_mul_f64 v[38:39], v[234:235], v[146:147]
	v_fma_f64 v[38:39], v[232:233], v[144:145], -v[38:39]
	ds_read_b128 v[144:147], v2 offset:1728
	s_waitcnt vmcnt(9) lgkmcnt(1)
	v_mul_f64 v[148:149], v[140:141], v[62:63]
	v_fmac_f64_e32 v[148:149], v[142:143], v[60:61]
	v_add_f64 v[0:1], v[0:1], v[148:149]
	ds_read_b128 v[148:151], v2 offset:1744
	s_waitcnt vmcnt(8) lgkmcnt(1)
	v_mul_f64 v[156:157], v[144:145], v[58:59]
	v_mul_f64 v[154:155], v[238:239], v[154:155]
	v_fmac_f64_e32 v[156:157], v[146:147], v[56:57]
	v_fma_f64 v[236:237], v[236:237], v[152:153], -v[154:155]
	ds_read_b128 v[152:155], v2 offset:1760
	v_add_f64 v[0:1], v[0:1], v[156:157]
	v_mul_f64 v[156:157], v[182:183], v[190:191]
	v_fma_f64 v[238:239], v[180:181], v[188:189], -v[156:157]
	ds_read_b128 v[156:159], v2 offset:1776
	s_waitcnt vmcnt(7) lgkmcnt(2)
	v_mul_f64 v[160:161], v[148:149], v[46:47]
	v_fmac_f64_e32 v[160:161], v[150:151], v[44:45]
	v_add_f64 v[0:1], v[0:1], v[160:161]
	s_waitcnt vmcnt(6) lgkmcnt(1)
	v_mul_f64 v[160:161], v[152:153], v[50:51]
	v_fmac_f64_e32 v[160:161], v[154:155], v[48:49]
	v_add_f64 v[0:1], v[0:1], v[160:161]
	s_waitcnt vmcnt(5) lgkmcnt(0)
	v_mul_f64 v[164:165], v[156:157], v[54:55]
	ds_read_b128 v[160:163], v2 offset:1792
	v_fmac_f64_e32 v[164:165], v[158:159], v[52:53]
	v_add_f64 v[0:1], v[0:1], v[164:165]
	v_mul_f64 v[164:165], v[242:243], v[194:195]
	v_fma_f64 v[4:5], v[240:241], v[192:193], -v[164:165]
	ds_read_b128 v[164:167], v2 offset:1808
	s_waitcnt vmcnt(4) lgkmcnt(1)
	v_mul_f64 v[40:41], v[160:161], v[66:67]
	v_fmac_f64_e32 v[40:41], v[162:163], v[64:65]
	v_add_f64 v[0:1], v[0:1], v[40:41]
	v_mul_f64 v[40:41], v[186:187], v[202:203]
	ds_read_b128 v[168:171], v2 offset:1824
	v_accvgpr_write_b32 a162, v172
	v_fma_f64 v[240:241], v[184:185], v[200:201], -v[40:41]
	s_waitcnt vmcnt(3) lgkmcnt(1)
	v_mul_f64 v[40:41], v[164:165], v[78:79]
	v_accvgpr_write_b32 a163, v173
	v_accvgpr_write_b32 a164, v174
	;; [unrolled: 1-line block ×3, first 2 shown]
	v_fmac_f64_e32 v[40:41], v[166:167], v[76:77]
	ds_read_b128 v[172:175], v2 offset:1840
	v_add_f64 v[40:41], v[0:1], v[40:41]
	v_mul_f64 v[0:1], v[246:247], v[206:207]
	v_fma_f64 v[0:1], v[244:245], v[204:205], -v[0:1]
	ds_read_b128 v[242:245], v2 offset:1856
	ds_read_b128 v[184:187], v2 offset:1872
	s_waitcnt vmcnt(2) lgkmcnt(3)
	v_mul_f64 v[180:181], v[168:169], v[86:87]
	v_fmac_f64_e32 v[180:181], v[170:171], v[84:85]
	v_add_f64 v[40:41], v[40:41], v[180:181]
	s_waitcnt vmcnt(1) lgkmcnt(2)
	v_mul_f64 v[180:181], v[172:173], v[82:83]
	v_fmac_f64_e32 v[180:181], v[174:175], v[80:81]
	v_add_f64 v[40:41], v[40:41], v[180:181]
	scratch_load_dwordx4 v[232:235], off, off offset:992
	s_waitcnt vmcnt(1) lgkmcnt(1)
	v_mul_f64 v[180:181], v[242:243], v[90:91]
	v_fmac_f64_e32 v[180:181], v[244:245], v[88:89]
	v_add_f64 v[40:41], v[40:41], v[180:181]
	scratch_load_dwordx4 v[180:183], off, off offset:896
	ds_read_b128 v[192:195], v2 offset:1888
	ds_read_b128 v[200:203], v2 offset:1904
	;; [unrolled: 1-line block ×5, first 2 shown]
	s_waitcnt vmcnt(0) lgkmcnt(5)
	v_mul_f64 v[188:189], v[184:185], v[182:183]
	v_fmac_f64_e32 v[188:189], v[186:187], v[180:181]
	v_add_f64 v[40:41], v[40:41], v[188:189]
	scratch_load_dwordx4 v[188:191], off, off offset:912
	s_waitcnt vmcnt(0) lgkmcnt(4)
	v_mul_f64 v[196:197], v[192:193], v[190:191]
	v_fmac_f64_e32 v[196:197], v[194:195], v[188:189]
	v_add_f64 v[40:41], v[40:41], v[196:197]
	scratch_load_dwordx4 v[196:199], off, off offset:928
	;; [unrolled: 5-line block ×5, first 2 shown]
	s_waitcnt vmcnt(0) lgkmcnt(0)
	v_mul_f64 v[228:229], v[224:225], v[222:223]
	v_fmac_f64_e32 v[228:229], v[226:227], v[220:221]
	v_add_f64 v[40:41], v[40:41], v[228:229]
	ds_read_b128 v[228:231], v2 offset:1968
	s_waitcnt lgkmcnt(0)
	v_mul_f64 v[2:3], v[228:229], v[234:235]
	v_fmac_f64_e32 v[2:3], v[230:231], v[232:233]
	v_add_f64 v[2:3], v[40:41], v[2:3]
	v_add_f64 v[40:41], v[248:249], 0
	v_add_f64 v[40:41], v[40:41], v[250:251]
	v_add_f64 v[40:41], v[40:41], v[254:255]
	v_add_f64 v[40:41], v[40:41], v[252:253]
	v_add_f64 v[40:41], v[40:41], v[42:43]
	v_add_f64 v[36:37], v[40:41], v[36:37]
	v_add_f64 v[32:33], v[36:37], v[32:33]
	v_add_f64 v[30:31], v[32:33], v[30:31]
	v_add_f64 v[26:27], v[30:31], v[26:27]
	v_add_f64 v[20:21], v[26:27], v[20:21]
	v_add_f64 v[20:21], v[20:21], v[176:177]
	v_add_f64 v[20:21], v[20:21], v[178:179]
	v_add_f64 v[16:17], v[20:21], v[16:17]
	v_add_f64 v[16:17], v[16:17], v[18:19]
	v_add_f64 v[14:15], v[16:17], v[14:15]
	v_add_f64 v[14:15], v[14:15], v[22:23]
	v_add_f64 v[12:13], v[14:15], v[12:13]
	v_add_f64 v[12:13], v[12:13], v[24:25]
	v_add_f64 v[10:11], v[12:13], v[10:11]
	v_add_f64 v[10:11], v[10:11], v[28:29]
	v_add_f64 v[8:9], v[10:11], v[8:9]
	v_add_f64 v[8:9], v[8:9], v[34:35]
	v_add_f64 v[6:7], v[8:9], v[6:7]
	v_add_f64 v[6:7], v[6:7], v[38:39]
	v_add_f64 v[6:7], v[6:7], v[236:237]
	v_add_f64 v[6:7], v[6:7], v[238:239]
	scratch_load_dwordx4 v[236:239], off, off offset:64
	v_add_f64 v[254:255], v[6:7], v[4:5]
	v_accvgpr_read_b32 v6, a126
	v_add_f64 v[4:5], v[254:255], v[240:241]
	v_accvgpr_read_b32 v8, a128
	v_accvgpr_read_b32 v9, a129
	v_add_f64 v[0:1], v[4:5], v[0:1]
	v_accvgpr_read_b32 v7, a127
	v_mul_f64 v[4:5], v[98:99], v[8:9]
	v_fma_f64 v[4:5], v[96:97], v[6:7], -v[4:5]
	v_accvgpr_read_b32 v6, a130
	v_accvgpr_read_b32 v8, a132
	v_accvgpr_read_b32 v9, a133
	v_add_f64 v[0:1], v[0:1], v[4:5]
	v_accvgpr_read_b32 v7, a131
	v_mul_f64 v[4:5], v[106:107], v[8:9]
	v_fma_f64 v[4:5], v[104:105], v[6:7], -v[4:5]
	v_accvgpr_read_b32 v6, a134
	;; [unrolled: 7-line block ×9, first 2 shown]
	v_accvgpr_read_b32 v8, a160
	v_accvgpr_read_b32 v9, a161
	v_add_f64 v[0:1], v[0:1], v[4:5]
	v_accvgpr_read_b32 v7, a159
	v_mul_f64 v[4:5], v[118:119], v[8:9]
	v_fma_f64 v[4:5], v[116:117], v[6:7], -v[4:5]
	v_add_f64 v[0:1], v[0:1], v[4:5]
	v_mul_f64 v[4:5], v[126:127], v[74:75]
	v_fma_f64 v[4:5], v[124:125], v[72:73], -v[4:5]
	v_add_f64 v[0:1], v[0:1], v[4:5]
	;; [unrolled: 3-line block ×20, first 2 shown]
	s_waitcnt vmcnt(0)
	v_add_f64 v[4:5], v[236:237], -v[0:1]
	v_accvgpr_read_b32 v0, a124
	v_add_f64 v[6:7], v[238:239], -v[2:3]
	v_cmp_lt_u32_e32 vcc, 2, v0
	scratch_store_dwordx4 off, v[4:7], off offset:64
	s_and_saveexec_b64 s[0:1], vcc
	s_cbranch_execz .LBB61_393
; %bb.392:
	scratch_load_dwordx4 v[2:5], off, s86
	v_mov_b32_e32 v6, 0
	v_mov_b32_e32 v7, v6
	;; [unrolled: 1-line block ×4, first 2 shown]
	v_accvgpr_read_b32 v0, a125
	scratch_store_dwordx4 off, v[6:9], off offset:48
	s_waitcnt vmcnt(1)
	ds_write_b128 v0, v[2:5]
.LBB61_393:
	s_or_b64 exec, exec, s[0:1]
	s_waitcnt lgkmcnt(0)
	; wave barrier
	scratch_load_dwordx4 v[16:19], off, off offset:64
	scratch_load_dwordx4 v[20:23], off, off offset:80
	;; [unrolled: 1-line block ×30, first 2 shown]
	v_mov_b32_e32 v2, 0
	ds_read_b128 v[88:91], v2 offset:1040
	ds_read_b128 v[96:99], v2 offset:1056
	;; [unrolled: 1-line block ×19, first 2 shown]
	scratch_load_dwordx4 a[130:133], off, off offset:608
	scratch_load_dwordx4 a[134:137], off, off offset:624
	ds_read_b128 v[232:235], v2 offset:1408
	ds_read_b128 v[236:239], v2 offset:1424
	;; [unrolled: 1-line block ×4, first 2 shown]
	scratch_load_dwordx4 a[138:141], off, off offset:640
	scratch_load_dwordx4 a[142:145], off, off offset:656
	ds_read_b128 v[248:251], v2 offset:1472
	ds_read_b128 v[252:255], v2 offset:1488
	scratch_load_dwordx4 a[146:149], off, off offset:672
	scratch_load_dwordx4 a[150:153], off, off offset:688
	;; [unrolled: 1-line block ×3, first 2 shown]
	s_waitcnt vmcnt(36) lgkmcnt(14)
	v_mul_f64 v[0:1], v[88:89], v[18:19]
	s_waitcnt vmcnt(35)
	v_mul_f64 v[4:5], v[96:97], v[22:23]
	v_fmac_f64_e32 v[0:1], v[90:91], v[16:17]
	s_waitcnt vmcnt(34)
	v_mul_f64 v[6:7], v[100:101], v[26:27]
	v_fmac_f64_e32 v[4:5], v[98:99], v[20:21]
	v_add_f64 v[0:1], v[0:1], 0
	s_waitcnt vmcnt(33)
	v_mul_f64 v[8:9], v[104:105], v[30:31]
	v_fmac_f64_e32 v[6:7], v[102:103], v[24:25]
	v_add_f64 v[0:1], v[0:1], v[4:5]
	;; [unrolled: 4-line block ×9, first 2 shown]
	s_waitcnt vmcnt(25) lgkmcnt(13)
	v_mul_f64 v[212:213], v[180:181], v[62:63]
	v_fmac_f64_e32 v[210:211], v[178:179], v[56:57]
	v_add_f64 v[0:1], v[0:1], v[208:209]
	s_waitcnt vmcnt(24) lgkmcnt(12)
	v_mul_f64 v[214:215], v[184:185], v[66:67]
	v_fmac_f64_e32 v[212:213], v[182:183], v[60:61]
	v_add_f64 v[0:1], v[0:1], v[210:211]
	;; [unrolled: 4-line block ×4, first 2 shown]
	v_fmac_f64_e32 v[218:219], v[194:195], v[72:73]
	v_add_f64 v[0:1], v[0:1], v[216:217]
	v_add_f64 v[0:1], v[0:1], v[218:219]
	scratch_load_dwordx4 v[216:219], off, off offset:544
	scratch_load_dwordx4 v[8:11], off, off offset:560
	ds_read_b128 v[204:207], v2 offset:1312
	ds_read_b128 v[208:211], v2 offset:1328
	s_waitcnt vmcnt(23) lgkmcnt(11)
	v_mul_f64 v[220:221], v[196:197], v[78:79]
	v_fmac_f64_e32 v[220:221], v[198:199], v[76:77]
	s_waitcnt vmcnt(22) lgkmcnt(10)
	v_mul_f64 v[4:5], v[200:201], v[82:83]
	v_add_f64 v[0:1], v[0:1], v[220:221]
	v_fmac_f64_e32 v[4:5], v[202:203], v[80:81]
	ds_read_b128 v[212:215], v2 offset:1344
	ds_read_b128 v[220:223], v2 offset:1360
	scratch_load_dwordx4 v[12:15], off, off offset:576
	v_add_f64 v[0:1], v[0:1], v[4:5]
	s_waitcnt vmcnt(22) lgkmcnt(3)
	v_mul_f64 v[4:5], v[204:205], v[86:87]
	v_fmac_f64_e32 v[4:5], v[206:207], v[84:85]
	v_add_f64 v[0:1], v[0:1], v[4:5]
	s_waitcnt vmcnt(21) lgkmcnt(2)
	v_mul_f64 v[4:5], v[208:209], v[94:95]
	v_fmac_f64_e32 v[4:5], v[210:211], v[92:93]
	;; [unrolled: 4-line block ×4, first 2 shown]
	v_add_f64 v[0:1], v[0:1], v[4:5]
	s_waitcnt vmcnt(18)
	v_mul_f64 v[4:5], v[224:225], v[126:127]
	v_fmac_f64_e32 v[4:5], v[226:227], v[124:125]
	v_add_f64 v[0:1], v[0:1], v[4:5]
	s_waitcnt vmcnt(17)
	v_mul_f64 v[4:5], v[228:229], v[130:131]
	v_fmac_f64_e32 v[4:5], v[230:231], v[128:129]
	v_add_f64 v[0:1], v[0:1], v[4:5]
	v_mul_f64 v[4:5], v[90:91], v[18:19]
	v_fma_f64 v[4:5], v[88:89], v[16:17], -v[4:5]
	v_accvgpr_write_b32 a163, v5
	v_accvgpr_write_b32 a162, v4
	s_waitcnt vmcnt(16)
	v_mul_f64 v[4:5], v[232:233], v[134:135]
	v_fmac_f64_e32 v[4:5], v[234:235], v[132:133]
	v_add_f64 v[0:1], v[0:1], v[4:5]
	s_waitcnt vmcnt(15)
	v_mul_f64 v[4:5], v[236:237], v[138:139]
	v_fmac_f64_e32 v[4:5], v[238:239], v[136:137]
	v_add_f64 v[0:1], v[0:1], v[4:5]
	;; [unrolled: 4-line block ×3, first 2 shown]
	s_waitcnt vmcnt(13)
	v_mul_f64 v[4:5], v[244:245], v[150:151]
	v_fmac_f64_e32 v[4:5], v[246:247], v[148:149]
	v_mul_f64 v[6:7], v[98:99], v[22:23]
	v_add_f64 v[0:1], v[0:1], v[4:5]
	s_waitcnt vmcnt(12)
	v_mul_f64 v[4:5], v[248:249], v[154:155]
	v_fma_f64 v[96:97], v[96:97], v[20:21], -v[6:7]
	v_mul_f64 v[6:7], v[102:103], v[26:27]
	v_fmac_f64_e32 v[4:5], v[250:251], v[152:153]
	v_fma_f64 v[88:89], v[100:101], v[24:25], -v[6:7]
	v_mul_f64 v[6:7], v[106:107], v[30:31]
	v_add_f64 v[0:1], v[0:1], v[4:5]
	v_mul_f64 v[4:5], v[110:111], v[34:35]
	v_fma_f64 v[30:31], v[104:105], v[28:29], -v[6:7]
	v_fma_f64 v[28:29], v[108:109], v[32:33], -v[4:5]
	v_mul_f64 v[4:5], v[114:115], v[38:39]
	v_fma_f64 v[24:25], v[112:113], v[36:37], -v[4:5]
	ds_read_b128 v[4:7], v2 offset:1504
	v_mul_f64 v[32:33], v[146:147], v[42:43]
	v_fma_f64 v[18:19], v[144:145], v[40:41], -v[32:33]
	s_waitcnt vmcnt(11)
	v_mul_f64 v[20:21], v[252:253], v[162:163]
	ds_read_b128 v[144:147], v2 offset:1520
	v_fmac_f64_e32 v[20:21], v[254:255], v[160:161]
	v_add_f64 v[0:1], v[0:1], v[20:21]
	s_waitcnt vmcnt(10) lgkmcnt(1)
	v_mul_f64 v[20:21], v[4:5], v[166:167]
	ds_read_b128 v[36:39], v2 offset:1536
	v_fmac_f64_e32 v[20:21], v[6:7], v[164:165]
	v_mul_f64 v[22:23], v[158:159], v[46:47]
	v_add_f64 v[0:1], v[0:1], v[20:21]
	v_mul_f64 v[20:21], v[170:171], v[50:51]
	scratch_load_dwordx4 v[40:43], off, off offset:704
	v_fma_f64 v[90:91], v[156:157], v[44:45], -v[22:23]
	v_fma_f64 v[156:157], v[168:169], v[48:49], -v[20:21]
	v_mul_f64 v[20:21], v[174:175], v[54:55]
	scratch_load_dwordx4 v[44:47], off, off offset:720
	v_fma_f64 v[158:159], v[172:173], v[52:53], -v[20:21]
	ds_read_b128 v[20:23], v2 offset:1552
	s_waitcnt vmcnt(4) lgkmcnt(2)
	v_mul_f64 v[48:49], v[144:145], v[218:219]
	v_fmac_f64_e32 v[48:49], v[146:147], v[216:217]
	v_add_f64 v[0:1], v[0:1], v[48:49]
	v_mul_f64 v[48:49], v[178:179], v[58:59]
	s_waitcnt vmcnt(3) lgkmcnt(1)
	v_mul_f64 v[52:53], v[36:37], v[10:11]
	v_fma_f64 v[168:169], v[176:177], v[56:57], -v[48:49]
	scratch_load_dwordx4 v[48:51], off, off offset:736
	v_fmac_f64_e32 v[52:53], v[38:39], v[8:9]
	v_add_f64 v[0:1], v[0:1], v[52:53]
	v_mul_f64 v[52:53], v[182:183], v[62:63]
	v_fma_f64 v[170:171], v[180:181], v[60:61], -v[52:53]
	scratch_load_dwordx4 v[52:55], off, off offset:752
	v_accvgpr_write_b32 a157, v11
	v_accvgpr_write_b32 a156, v10
	;; [unrolled: 1-line block ×4, first 2 shown]
	ds_read_b128 v[100:103], v2 offset:1568
	s_waitcnt vmcnt(4)
	v_mov_b64_e32 v[8:9], v[12:13]
	v_mul_f64 v[56:57], v[186:187], v[66:67]
	v_mov_b64_e32 v[10:11], v[14:15]
	v_fma_f64 v[172:173], v[184:185], v[64:65], -v[56:57]
	s_waitcnt lgkmcnt(1)
	v_mul_f64 v[64:65], v[20:21], v[10:11]
	v_fmac_f64_e32 v[64:65], v[22:23], v[8:9]
	v_accvgpr_read_b32 v8, a126
	v_mul_f64 v[60:61], v[190:191], v[70:71]
	v_accvgpr_read_b32 v10, a128
	v_accvgpr_read_b32 v11, a129
	v_fma_f64 v[174:175], v[188:189], v[68:69], -v[60:61]
	v_accvgpr_read_b32 v9, a127
	s_waitcnt lgkmcnt(0)
	v_mul_f64 v[68:69], v[100:101], v[10:11]
	v_add_f64 v[0:1], v[0:1], v[64:65]
	v_fmac_f64_e32 v[68:69], v[102:103], v[8:9]
	v_mul_f64 v[64:65], v[194:195], v[74:75]
	v_add_f64 v[0:1], v[0:1], v[68:69]
	v_mul_f64 v[68:69], v[198:199], v[78:79]
	scratch_load_dwordx4 v[56:59], off, off offset:768
	scratch_load_dwordx4 v[60:63], off, off offset:784
	v_fma_f64 v[176:177], v[192:193], v[72:73], -v[64:65]
	scratch_load_dwordx4 v[64:67], off, off offset:800
	v_fma_f64 v[178:179], v[196:197], v[76:77], -v[68:69]
	scratch_load_dwordx4 v[68:71], off, off offset:816
	ds_read_b128 v[108:111], v2 offset:1584
	ds_read_b128 v[104:107], v2 offset:1600
	v_accvgpr_read_b32 v8, a130
	v_accvgpr_read_b32 v10, a132
	;; [unrolled: 1-line block ×4, first 2 shown]
	s_waitcnt lgkmcnt(1)
	v_mul_f64 v[26:27], v[108:109], v[10:11]
	v_fmac_f64_e32 v[26:27], v[110:111], v[8:9]
	v_accvgpr_read_b32 v8, a134
	ds_read_b128 v[112:115], v2 offset:1616
	v_accvgpr_read_b32 v10, a136
	v_accvgpr_read_b32 v11, a137
	v_add_f64 v[0:1], v[0:1], v[26:27]
	v_accvgpr_read_b32 v9, a135
	s_waitcnt lgkmcnt(1)
	v_mul_f64 v[26:27], v[104:105], v[10:11]
	v_mul_f64 v[72:73], v[202:203], v[82:83]
	v_fmac_f64_e32 v[26:27], v[106:107], v[8:9]
	v_accvgpr_read_b32 v8, a138
	v_accvgpr_write_b32 a161, v15
	v_fma_f64 v[16:17], v[200:201], v[80:81], -v[72:73]
	v_add_f64 v[0:1], v[0:1], v[26:27]
	v_mul_f64 v[26:27], v[210:211], v[94:95]
	v_mul_f64 v[80:81], v[214:215], v[118:119]
	v_accvgpr_read_b32 v10, a140
	v_accvgpr_read_b32 v11, a141
	v_accvgpr_write_b32 a160, v14
	v_accvgpr_write_b32 a159, v13
	;; [unrolled: 1-line block ×3, first 2 shown]
	v_fma_f64 v[26:27], v[208:209], v[92:93], -v[26:27]
	v_fma_f64 v[12:13], v[212:213], v[116:117], -v[80:81]
	ds_read_b128 v[116:119], v2 offset:1632
	v_accvgpr_read_b32 v9, a139
	s_waitcnt lgkmcnt(1)
	v_mul_f64 v[92:93], v[112:113], v[10:11]
	v_mul_f64 v[72:73], v[206:207], v[86:87]
	v_fmac_f64_e32 v[92:93], v[114:115], v[8:9]
	v_fma_f64 v[14:15], v[204:205], v[84:85], -v[72:73]
	v_mul_f64 v[84:85], v[222:223], v[122:123]
	v_add_f64 v[0:1], v[0:1], v[92:93]
	v_mul_f64 v[92:93], v[226:227], v[126:127]
	v_fma_f64 v[98:99], v[220:221], v[120:121], -v[84:85]
	v_fma_f64 v[10:11], v[224:225], v[124:125], -v[92:93]
	ds_read_b128 v[120:123], v2 offset:1648
	ds_read_b128 v[124:127], v2 offset:1664
	v_accvgpr_read_b32 v92, a142
	v_accvgpr_read_b32 v94, a144
	;; [unrolled: 1-line block ×4, first 2 shown]
	s_waitcnt lgkmcnt(2)
	v_mul_f64 v[34:35], v[116:117], v[94:95]
	v_fmac_f64_e32 v[34:35], v[118:119], v[92:93]
	v_accvgpr_read_b32 v183, a149
	v_add_f64 v[0:1], v[0:1], v[34:35]
	v_mul_f64 v[34:35], v[230:231], v[130:131]
	v_accvgpr_read_b32 v182, a148
	v_fma_f64 v[34:35], v[228:229], v[128:129], -v[34:35]
	v_accvgpr_read_b32 v181, a147
	v_accvgpr_read_b32 v180, a146
	s_waitcnt lgkmcnt(1)
	v_mul_f64 v[128:129], v[120:121], v[182:183]
	v_fmac_f64_e32 v[128:129], v[122:123], v[180:181]
	v_add_f64 v[0:1], v[0:1], v[128:129]
	v_mul_f64 v[128:129], v[234:235], v[134:135]
	v_fma_f64 v[228:229], v[232:233], v[132:133], -v[128:129]
	v_accvgpr_read_b32 v132, a150
	scratch_load_dwordx4 v[76:79], off, off offset:832
	scratch_load_dwordx4 v[72:75], off, off offset:848
	ds_read_b128 v[128:131], v2 offset:1680
	v_accvgpr_read_b32 v134, a152
	v_accvgpr_read_b32 v135, a153
	;; [unrolled: 1-line block ×3, first 2 shown]
	s_waitcnt lgkmcnt(1)
	v_mul_f64 v[180:181], v[124:125], v[134:135]
	v_fmac_f64_e32 v[180:181], v[126:127], v[132:133]
	ds_read_b128 v[132:135], v2 offset:1696
	v_mul_f64 v[138:139], v[238:239], v[138:139]
	v_fma_f64 v[230:231], v[236:237], v[136:137], -v[138:139]
	ds_read_b128 v[136:139], v2 offset:1712
	v_add_f64 v[0:1], v[0:1], v[180:181]
	s_waitcnt vmcnt(9) lgkmcnt(2)
	v_mul_f64 v[180:181], v[128:129], v[42:43]
	v_mul_f64 v[142:143], v[242:243], v[142:143]
	v_fmac_f64_e32 v[180:181], v[130:131], v[40:41]
	v_fma_f64 v[232:233], v[240:241], v[140:141], -v[142:143]
	ds_read_b128 v[140:143], v2 offset:1728
	scratch_load_dwordx4 v[80:83], off, off offset:864
	scratch_load_dwordx4 v[84:87], off, off offset:880
	v_add_f64 v[0:1], v[0:1], v[180:181]
	s_waitcnt vmcnt(10) lgkmcnt(2)
	v_mul_f64 v[180:181], v[132:133], v[46:47]
	v_fmac_f64_e32 v[180:181], v[134:135], v[44:45]
	v_add_f64 v[0:1], v[0:1], v[180:181]
	s_waitcnt vmcnt(9) lgkmcnt(1)
	v_mul_f64 v[180:181], v[136:137], v[50:51]
	v_fmac_f64_e32 v[180:181], v[138:139], v[48:49]
	scratch_load_dwordx4 v[92:95], off, off offset:896
	v_add_f64 v[0:1], v[0:1], v[180:181]
	s_waitcnt vmcnt(9) lgkmcnt(0)
	v_mul_f64 v[180:181], v[140:141], v[54:55]
	v_fmac_f64_e32 v[180:181], v[142:143], v[52:53]
	v_add_f64 v[0:1], v[0:1], v[180:181]
	scratch_load_dwordx4 v[180:183], off, off offset:912
	scratch_load_dwordx4 v[188:191], off, off offset:928
	;; [unrolled: 1-line block ×6, first 2 shown]
	ds_read_b128 v[240:243], v2 offset:1744
	v_mul_f64 v[150:151], v[246:247], v[150:151]
	v_fma_f64 v[8:9], v[244:245], v[148:149], -v[150:151]
	ds_read_b128 v[148:151], v2 offset:1760
	ds_read_b128 v[244:247], v2 offset:1792
	s_waitcnt vmcnt(14) lgkmcnt(2)
	v_mul_f64 v[32:33], v[240:241], v[58:59]
	v_fmac_f64_e32 v[32:33], v[242:243], v[56:57]
	v_add_f64 v[0:1], v[0:1], v[32:33]
	v_mul_f64 v[32:33], v[250:251], v[154:155]
	v_fma_f64 v[234:235], v[248:249], v[152:153], -v[32:33]
	ds_read_b128 v[152:155], v2 offset:1776
	s_waitcnt vmcnt(13) lgkmcnt(2)
	v_mul_f64 v[32:33], v[148:149], v[62:63]
	v_fmac_f64_e32 v[32:33], v[150:151], v[60:61]
	v_add_f64 v[0:1], v[0:1], v[32:33]
	v_mul_f64 v[6:7], v[6:7], v[166:167]
	s_waitcnt vmcnt(12) lgkmcnt(0)
	v_mul_f64 v[32:33], v[152:153], v[66:67]
	v_fmac_f64_e32 v[32:33], v[154:155], v[64:65]
	v_add_f64 v[0:1], v[0:1], v[32:33]
	v_mul_f64 v[32:33], v[254:255], v[162:163]
	v_fma_f64 v[236:237], v[252:253], v[160:161], -v[32:33]
	ds_read_b128 v[160:163], v2 offset:1808
	s_waitcnt vmcnt(11)
	v_mul_f64 v[32:33], v[244:245], v[70:71]
	v_fmac_f64_e32 v[32:33], v[246:247], v[68:69]
	v_fma_f64 v[238:239], v[4:5], v[164:165], -v[6:7]
	ds_read_b128 v[164:167], v2 offset:1824
	v_add_f64 v[0:1], v[0:1], v[32:33]
	v_mul_f64 v[32:33], v[146:147], v[218:219]
	v_fma_f64 v[252:253], v[144:145], v[216:217], -v[32:33]
	ds_read_b128 v[144:147], v2 offset:1856
	ds_read_b128 v[248:251], v2 offset:1872
	;; [unrolled: 1-line block ×8, first 2 shown]
	s_waitcnt vmcnt(10) lgkmcnt(9)
	v_mul_f64 v[4:5], v[160:161], v[78:79]
	v_fmac_f64_e32 v[4:5], v[162:163], v[76:77]
	v_add_f64 v[0:1], v[0:1], v[4:5]
	ds_read_b128 v[4:7], v2 offset:1840
	s_waitcnt vmcnt(9) lgkmcnt(9)
	v_mul_f64 v[32:33], v[164:165], v[74:75]
	v_fmac_f64_e32 v[32:33], v[166:167], v[72:73]
	v_add_f64 v[0:1], v[0:1], v[32:33]
	s_waitcnt vmcnt(8) lgkmcnt(0)
	v_mul_f64 v[32:33], v[4:5], v[82:83]
	v_fmac_f64_e32 v[32:33], v[6:7], v[80:81]
	v_add_f64 v[0:1], v[0:1], v[32:33]
	s_waitcnt vmcnt(7)
	v_mul_f64 v[32:33], v[144:145], v[86:87]
	v_fmac_f64_e32 v[32:33], v[146:147], v[84:85]
	v_add_f64 v[0:1], v[0:1], v[32:33]
	v_mul_f64 v[6:7], v[6:7], v[82:83]
	v_fma_f64 v[4:5], v[4:5], v[80:81], -v[6:7]
	s_waitcnt vmcnt(6)
	v_mul_f64 v[32:33], v[248:249], v[94:95]
	v_fmac_f64_e32 v[32:33], v[250:251], v[92:93]
	v_add_f64 v[0:1], v[0:1], v[32:33]
	v_mul_f64 v[6:7], v[146:147], v[86:87]
	v_fma_f64 v[6:7], v[144:145], v[84:85], -v[6:7]
	s_waitcnt vmcnt(5)
	v_mul_f64 v[32:33], v[184:185], v[182:183]
	v_fmac_f64_e32 v[32:33], v[186:187], v[180:181]
	v_add_f64 v[0:1], v[0:1], v[32:33]
	s_waitcnt vmcnt(4)
	v_mul_f64 v[32:33], v[192:193], v[190:191]
	v_fmac_f64_e32 v[32:33], v[194:195], v[188:189]
	v_add_f64 v[0:1], v[0:1], v[32:33]
	;; [unrolled: 4-line block ×6, first 2 shown]
	v_accvgpr_read_b32 v32, a162
	v_accvgpr_read_b32 v33, a163
	v_add_f64 v[32:33], v[32:33], 0
	v_add_f64 v[32:33], v[32:33], v[96:97]
	;; [unrolled: 1-line block ×25, first 2 shown]
	scratch_load_dwordx4 v[228:231], off, off offset:48
	v_add_f64 v[10:11], v[10:11], v[232:233]
	v_add_f64 v[254:255], v[10:11], v[8:9]
	v_accvgpr_read_b32 v12, a154
	v_add_f64 v[8:9], v[254:255], v[234:235]
	v_accvgpr_read_b32 v14, a156
	v_accvgpr_read_b32 v15, a157
	v_add_f64 v[8:9], v[8:9], v[236:237]
	v_accvgpr_read_b32 v13, a155
	v_mul_f64 v[10:11], v[38:39], v[14:15]
	v_add_f64 v[8:9], v[8:9], v[238:239]
	v_fma_f64 v[10:11], v[36:37], v[12:13], -v[10:11]
	v_accvgpr_read_b32 v12, a158
	v_add_f64 v[8:9], v[8:9], v[252:253]
	v_accvgpr_read_b32 v14, a160
	v_accvgpr_read_b32 v15, a161
	v_add_f64 v[8:9], v[8:9], v[10:11]
	v_accvgpr_read_b32 v13, a159
	v_mul_f64 v[10:11], v[22:23], v[14:15]
	v_fma_f64 v[10:11], v[20:21], v[12:13], -v[10:11]
	v_accvgpr_read_b32 v12, a126
	v_accvgpr_read_b32 v14, a128
	v_accvgpr_read_b32 v15, a129
	v_add_f64 v[8:9], v[8:9], v[10:11]
	v_accvgpr_read_b32 v13, a127
	v_mul_f64 v[10:11], v[102:103], v[14:15]
	v_fma_f64 v[10:11], v[100:101], v[12:13], -v[10:11]
	v_accvgpr_read_b32 v12, a130
	;; [unrolled: 7-line block ×7, first 2 shown]
	v_accvgpr_read_b32 v14, a152
	v_accvgpr_read_b32 v15, a153
	v_add_f64 v[8:9], v[8:9], v[10:11]
	v_accvgpr_read_b32 v13, a151
	v_mul_f64 v[10:11], v[126:127], v[14:15]
	v_fma_f64 v[10:11], v[124:125], v[12:13], -v[10:11]
	v_add_f64 v[8:9], v[8:9], v[10:11]
	v_mul_f64 v[10:11], v[130:131], v[42:43]
	v_fma_f64 v[10:11], v[128:129], v[40:41], -v[10:11]
	v_add_f64 v[8:9], v[8:9], v[10:11]
	;; [unrolled: 3-line block ×11, first 2 shown]
	v_add_f64 v[4:5], v[8:9], v[4:5]
	v_add_f64 v[4:5], v[4:5], v[6:7]
	v_mul_f64 v[6:7], v[250:251], v[94:95]
	v_fma_f64 v[6:7], v[248:249], v[92:93], -v[6:7]
	v_add_f64 v[4:5], v[4:5], v[6:7]
	v_mul_f64 v[6:7], v[186:187], v[182:183]
	v_fma_f64 v[6:7], v[184:185], v[180:181], -v[6:7]
	;; [unrolled: 3-line block ×7, first 2 shown]
	v_add_f64 v[4:5], v[4:5], v[6:7]
	s_waitcnt vmcnt(0)
	v_add_f64 v[6:7], v[230:231], -v[0:1]
	v_accvgpr_read_b32 v0, a124
	v_add_f64 v[4:5], v[228:229], -v[4:5]
	v_cmp_lt_u32_e32 vcc, 1, v0
	scratch_store_dwordx4 off, v[4:7], off offset:48
	s_and_saveexec_b64 s[0:1], vcc
	s_cbranch_execz .LBB61_395
; %bb.394:
	scratch_load_dwordx4 v[6:9], off, s87
	v_mov_b32_e32 v3, v2
	v_mov_b32_e32 v4, v2
	;; [unrolled: 1-line block ×3, first 2 shown]
	v_accvgpr_read_b32 v0, a125
	scratch_store_dwordx4 off, v[2:5], off offset:32
	s_waitcnt vmcnt(1)
	ds_write_b128 v0, v[6:9]
.LBB61_395:
	s_or_b64 exec, exec, s[0:1]
	s_waitcnt lgkmcnt(0)
	; wave barrier
	scratch_load_dwordx4 v[4:7], off, off offset:48
	scratch_load_dwordx4 v[8:11], off, off offset:64
	;; [unrolled: 1-line block ×17, first 2 shown]
	ds_read_b128 v[172:175], v2 offset:1024
	ds_read_b128 v[108:111], v2 offset:1040
	scratch_load_dwordx4 v[84:87], off, off offset:320
	ds_read_b128 v[176:179], v2 offset:1056
	ds_read_b128 v[164:167], v2 offset:1072
	;; [unrolled: 1-line block ×5, first 2 shown]
	scratch_load_dwordx4 v[92:95], off, off offset:336
	ds_read_b128 v[148:151], v2 offset:1136
	ds_read_b128 v[112:115], v2 offset:1152
	scratch_load_dwordx4 v[116:119], off, off offset:352
	ds_read_b128 v[180:183], v2 offset:1168
	ds_read_b128 v[168:171], v2 offset:1184
	;; [unrolled: 1-line block ×5, first 2 shown]
	scratch_load_dwordx4 v[120:123], off, off offset:368
	ds_read_b128 v[156:159], v2 offset:1248
	ds_read_b128 v[140:143], v2 offset:1264
	;; [unrolled: 1-line block ×3, first 2 shown]
	scratch_load_dwordx4 v[124:127], off, off offset:384
	scratch_load_dwordx4 v[128:131], off, off offset:400
	;; [unrolled: 1-line block ×9, first 2 shown]
	ds_read_b128 v[204:207], v2 offset:1296
	scratch_load_dwordx4 a[130:133], off, off offset:560
	scratch_load_dwordx4 a[134:137], off, off offset:592
	;; [unrolled: 1-line block ×3, first 2 shown]
	ds_read_b128 v[232:235], v2 offset:1392
	ds_read_b128 v[236:239], v2 offset:1408
	scratch_load_dwordx4 a[146:149], off, off offset:624
	scratch_load_dwordx4 a[150:153], off, off offset:640
	;; [unrolled: 1-line block ×5, first 2 shown]
	ds_read_b128 v[228:231], v2 offset:1376
	s_waitcnt vmcnt(37) lgkmcnt(14)
	v_mul_f64 v[0:1], v[172:173], v[6:7]
	s_waitcnt vmcnt(36)
	v_mul_f64 v[24:25], v[108:109], v[10:11]
	v_fmac_f64_e32 v[0:1], v[174:175], v[4:5]
	s_waitcnt vmcnt(35)
	v_mul_f64 v[26:27], v[176:177], v[14:15]
	v_fmac_f64_e32 v[24:25], v[110:111], v[8:9]
	v_add_f64 v[0:1], v[0:1], 0
	s_waitcnt vmcnt(34)
	v_mul_f64 v[28:29], v[164:165], v[38:39]
	v_fmac_f64_e32 v[26:27], v[178:179], v[12:13]
	v_add_f64 v[0:1], v[0:1], v[24:25]
	;; [unrolled: 4-line block ×5, first 2 shown]
	s_waitcnt vmcnt(30) lgkmcnt(13)
	v_mul_f64 v[208:209], v[148:149], v[250:251]
	v_fmac_f64_e32 v[34:35], v[90:91], v[40:41]
	v_add_f64 v[0:1], v[0:1], v[32:33]
	s_waitcnt vmcnt(29) lgkmcnt(12)
	v_mul_f64 v[210:211], v[112:113], v[50:51]
	v_fmac_f64_e32 v[208:209], v[150:151], v[248:249]
	v_add_f64 v[0:1], v[0:1], v[34:35]
	;; [unrolled: 4-line block ×6, first 2 shown]
	v_fmac_f64_e32 v[218:219], v[138:139], v[64:65]
	v_add_f64 v[0:1], v[0:1], v[216:217]
	v_add_f64 v[0:1], v[0:1], v[218:219]
	scratch_load_dwordx4 v[216:219], off, off offset:528
	s_waitcnt vmcnt(25) lgkmcnt(7)
	v_mul_f64 v[220:221], v[104:105], v[70:71]
	s_waitcnt vmcnt(24) lgkmcnt(6)
	v_mul_f64 v[222:223], v[156:157], v[74:75]
	v_fmac_f64_e32 v[220:221], v[106:107], v[68:69]
	s_waitcnt vmcnt(23) lgkmcnt(5)
	v_mul_f64 v[224:225], v[140:141], v[78:79]
	v_fmac_f64_e32 v[222:223], v[158:159], v[72:73]
	v_add_f64 v[0:1], v[0:1], v[220:221]
	ds_read_b128 v[208:211], v2 offset:1312
	v_fmac_f64_e32 v[224:225], v[142:143], v[76:77]
	v_add_f64 v[0:1], v[0:1], v[222:223]
	s_waitcnt vmcnt(22) lgkmcnt(5)
	v_mul_f64 v[24:25], v[132:133], v[82:83]
	ds_read_b128 v[212:215], v2 offset:1328
	ds_read_b128 v[220:223], v2 offset:1344
	v_add_f64 v[0:1], v[0:1], v[224:225]
	v_fmac_f64_e32 v[24:25], v[134:135], v[80:81]
	v_add_f64 v[0:1], v[0:1], v[24:25]
	s_waitcnt vmcnt(21) lgkmcnt(6)
	v_mul_f64 v[24:25], v[204:205], v[86:87]
	v_fmac_f64_e32 v[24:25], v[206:207], v[84:85]
	v_add_f64 v[0:1], v[0:1], v[24:25]
	s_waitcnt vmcnt(20) lgkmcnt(2)
	v_mul_f64 v[24:25], v[208:209], v[94:95]
	ds_read_b128 v[224:227], v2 offset:1360
	v_fmac_f64_e32 v[24:25], v[210:211], v[92:93]
	s_waitcnt vmcnt(19) lgkmcnt(2)
	v_mul_f64 v[28:29], v[212:213], v[118:119]
	v_add_f64 v[0:1], v[0:1], v[24:25]
	v_fmac_f64_e32 v[28:29], v[214:215], v[116:117]
	v_add_f64 v[0:1], v[0:1], v[28:29]
	s_waitcnt vmcnt(18) lgkmcnt(1)
	v_mul_f64 v[28:29], v[220:221], v[122:123]
	v_fmac_f64_e32 v[28:29], v[222:223], v[120:121]
	v_add_f64 v[0:1], v[0:1], v[28:29]
	s_waitcnt vmcnt(17) lgkmcnt(0)
	v_mul_f64 v[28:29], v[224:225], v[126:127]
	v_fmac_f64_e32 v[28:29], v[226:227], v[124:125]
	s_waitcnt vmcnt(16)
	v_mul_f64 v[32:33], v[228:229], v[130:131]
	v_add_f64 v[0:1], v[0:1], v[28:29]
	v_fmac_f64_e32 v[32:33], v[230:231], v[128:129]
	v_add_f64 v[0:1], v[0:1], v[32:33]
	scratch_load_dwordx4 v[30:33], off, off offset:576
	v_mul_f64 v[6:7], v[174:175], v[6:7]
	v_fma_f64 v[254:255], v[172:173], v[4:5], -v[6:7]
	s_waitcnt vmcnt(16)
	v_mul_f64 v[4:5], v[232:233], v[146:147]
	v_fmac_f64_e32 v[4:5], v[234:235], v[144:145]
	v_add_f64 v[0:1], v[0:1], v[4:5]
	s_waitcnt vmcnt(15)
	v_mul_f64 v[4:5], v[236:237], v[162:163]
	v_accvgpr_write_b32 a141, v43
	v_fmac_f64_e32 v[4:5], v[238:239], v[160:161]
	v_accvgpr_write_b32 a138, v40
	ds_read_b128 v[172:175], v2 offset:1424
	v_add_f64 v[0:1], v[0:1], v[4:5]
	v_mul_f64 v[4:5], v[110:111], v[10:11]
	v_mul_f64 v[6:7], v[166:167], v[38:39]
	v_accvgpr_write_b32 a140, v42
	v_accvgpr_write_b32 a139, v41
	v_fma_f64 v[252:253], v[108:109], v[8:9], -v[4:5]
	v_fma_f64 v[40:41], v[164:165], v[36:37], -v[6:7]
	v_accvgpr_read_b32 v4, a138
	v_mul_f64 v[8:9], v[178:179], v[14:15]
	v_accvgpr_read_b32 v5, a139
	v_accvgpr_read_b32 v6, a140
	;; [unrolled: 1-line block ×3, first 2 shown]
	scratch_load_dwordx4 a[138:141], off, off offset:656
	v_fma_f64 v[44:45], v[176:177], v[12:13], -v[8:9]
	ds_read_b128 v[176:179], v2 offset:1440
	v_mul_f64 v[36:37], v[150:151], v[250:251]
	s_waitcnt vmcnt(15) lgkmcnt(1)
	v_mul_f64 v[240:241], v[172:173], v[186:187]
	ds_read_b128 v[164:167], v2 offset:1456
	v_fma_f64 v[24:25], v[148:149], v[248:249], -v[36:37]
	scratch_load_dwordx4 v[148:151], off, off offset:672
	v_fmac_f64_e32 v[240:241], v[174:175], v[184:185]
	v_mul_f64 v[16:17], v[102:103], v[244:245]
	v_add_f64 v[0:1], v[0:1], v[240:241]
	v_fma_f64 v[38:39], v[100:101], v[242:243], -v[16:17]
	ds_read_b128 v[240:243], v2 offset:1472
	s_waitcnt vmcnt(15) lgkmcnt(2)
	v_mul_f64 v[12:13], v[176:177], v[190:191]
	v_fmac_f64_e32 v[12:13], v[178:179], v[188:189]
	ds_read_b128 v[244:247], v2 offset:1488
	ds_read_b128 v[248:251], v2 offset:1504
	v_add_f64 v[0:1], v[0:1], v[12:13]
	s_waitcnt vmcnt(14) lgkmcnt(3)
	v_mul_f64 v[12:13], v[164:165], v[194:195]
	v_fmac_f64_e32 v[12:13], v[166:167], v[192:193]
	v_add_f64 v[0:1], v[0:1], v[12:13]
	v_mul_f64 v[10:11], v[98:99], v[20:21]
	v_mul_f64 v[20:21], v[90:91], v[6:7]
	s_waitcnt vmcnt(13) lgkmcnt(2)
	v_mul_f64 v[12:13], v[240:241], v[198:199]
	v_fma_f64 v[26:27], v[88:89], v[4:5], -v[20:21]
	v_fmac_f64_e32 v[12:13], v[242:243], v[196:197]
	ds_read_b128 v[88:91], v2 offset:1520
	v_add_f64 v[0:1], v[0:1], v[12:13]
	s_waitcnt vmcnt(12) lgkmcnt(2)
	v_mul_f64 v[12:13], v[244:245], v[202:203]
	v_fmac_f64_e32 v[12:13], v[246:247], v[200:201]
	v_add_f64 v[0:1], v[0:1], v[12:13]
	v_mul_f64 v[12:13], v[114:115], v[50:51]
	s_waitcnt vmcnt(4)
	v_accvgpr_read_b32 v4, a126
	v_fma_f64 v[22:23], v[112:113], v[48:49], -v[12:13]
	v_mul_f64 v[16:17], v[182:183], v[54:55]
	s_waitcnt vmcnt(3) lgkmcnt(1)
	v_mul_f64 v[48:49], v[248:249], v[218:219]
	v_accvgpr_read_b32 v6, a128
	v_accvgpr_read_b32 v7, a129
	v_fma_f64 v[28:29], v[96:97], v[18:19], -v[10:11]
	v_fma_f64 v[18:19], v[180:181], v[52:53], -v[16:17]
	v_fmac_f64_e32 v[48:49], v[250:251], v[216:217]
	v_accvgpr_read_b32 v5, a127
	ds_read_b128 v[96:99], v2 offset:1536
	s_waitcnt lgkmcnt(1)
	v_mul_f64 v[52:53], v[88:89], v[6:7]
	v_add_f64 v[0:1], v[0:1], v[48:49]
	v_mul_f64 v[48:49], v[170:171], v[58:59]
	v_fmac_f64_e32 v[52:53], v[90:91], v[4:5]
	v_fma_f64 v[168:169], v[168:169], v[56:57], -v[48:49]
	scratch_load_dwordx4 v[48:51], off, off offset:720
	v_add_f64 v[0:1], v[0:1], v[52:53]
	v_mul_f64 v[52:53], v[154:155], v[62:63]
	v_fma_f64 v[170:171], v[152:153], v[60:61], -v[52:53]
	scratch_load_dwordx4 v[52:55], off, off offset:736
	v_accvgpr_read_b32 v4, a130
	v_mul_f64 v[56:57], v[138:139], v[66:67]
	v_accvgpr_read_b32 v6, a132
	v_accvgpr_read_b32 v7, a133
	v_fma_f64 v[180:181], v[136:137], v[64:65], -v[56:57]
	scratch_load_dwordx4 v[56:59], off, off offset:752
	v_mul_f64 v[60:61], v[106:107], v[70:71]
	v_accvgpr_read_b32 v5, a131
	s_waitcnt lgkmcnt(0)
	v_mul_f64 v[64:65], v[96:97], v[6:7]
	v_fma_f64 v[182:183], v[104:105], v[68:69], -v[60:61]
	scratch_load_dwordx4 v[60:63], off, off offset:768
	v_fmac_f64_e32 v[64:65], v[98:99], v[4:5]
	v_add_f64 v[0:1], v[0:1], v[64:65]
	v_mul_f64 v[64:65], v[158:159], v[74:75]
	ds_read_b128 v[100:103], v2 offset:1552
	v_fma_f64 v[16:17], v[156:157], v[72:73], -v[64:65]
	scratch_load_dwordx4 v[64:67], off, off offset:784
	scratch_load_dwordx4 v[68:71], off, off offset:800
	s_waitcnt vmcnt(8)
	v_mov_b64_e32 v[4:5], v[30:31]
	v_mov_b64_e32 v[6:7], v[32:33]
	s_waitcnt lgkmcnt(0)
	v_mul_f64 v[20:21], v[100:101], v[6:7]
	v_fmac_f64_e32 v[20:21], v[102:103], v[4:5]
	v_add_f64 v[0:1], v[0:1], v[20:21]
	v_mul_f64 v[20:21], v[142:143], v[78:79]
	v_fma_f64 v[20:21], v[140:141], v[76:77], -v[20:21]
	ds_read_b128 v[108:111], v2 offset:1568
	ds_read_b128 v[104:107], v2 offset:1584
	scratch_load_dwordx4 v[76:79], off, off offset:816
	v_accvgpr_read_b32 v4, a134
	v_mul_f64 v[72:73], v[134:135], v[82:83]
	v_accvgpr_read_b32 v6, a136
	v_accvgpr_read_b32 v7, a137
	v_fma_f64 v[14:15], v[132:133], v[80:81], -v[72:73]
	v_accvgpr_read_b32 v5, a135
	s_waitcnt lgkmcnt(1)
	v_mul_f64 v[80:81], v[108:109], v[6:7]
	v_fmac_f64_e32 v[80:81], v[110:111], v[4:5]
	v_accvgpr_read_b32 v4, a142
	ds_read_b128 v[112:115], v2 offset:1600
	v_accvgpr_write_b32 a165, v33
	v_accvgpr_read_b32 v6, a144
	v_accvgpr_read_b32 v7, a145
	v_accvgpr_write_b32 a164, v32
	v_accvgpr_write_b32 a163, v31
	;; [unrolled: 1-line block ×3, first 2 shown]
	v_add_f64 v[0:1], v[0:1], v[80:81]
	v_accvgpr_read_b32 v5, a143
	s_waitcnt lgkmcnt(1)
	v_mul_f64 v[80:81], v[104:105], v[6:7]
	v_mul_f64 v[32:33], v[214:215], v[118:119]
	v_fmac_f64_e32 v[80:81], v[106:107], v[4:5]
	v_fma_f64 v[32:33], v[212:213], v[116:117], -v[32:33]
	ds_read_b128 v[116:119], v2 offset:1616
	v_accvgpr_read_b32 v4, a146
	v_accvgpr_read_b32 v6, a148
	;; [unrolled: 1-line block ×4, first 2 shown]
	s_waitcnt lgkmcnt(1)
	v_mul_f64 v[30:31], v[112:113], v[6:7]
	v_mul_f64 v[34:35], v[206:207], v[86:87]
	v_add_f64 v[0:1], v[0:1], v[80:81]
	v_fmac_f64_e32 v[30:31], v[114:115], v[4:5]
	v_accvgpr_read_b32 v4, a150
	v_fma_f64 v[34:35], v[204:205], v[84:85], -v[34:35]
	v_mul_f64 v[84:85], v[222:223], v[122:123]
	v_add_f64 v[0:1], v[0:1], v[30:31]
	v_mul_f64 v[30:31], v[226:227], v[126:127]
	v_accvgpr_read_b32 v6, a152
	v_accvgpr_read_b32 v7, a153
	v_fma_f64 v[10:11], v[220:221], v[120:121], -v[84:85]
	v_fma_f64 v[30:31], v[224:225], v[124:125], -v[30:31]
	ds_read_b128 v[120:123], v2 offset:1632
	v_accvgpr_read_b32 v5, a151
	s_waitcnt lgkmcnt(1)
	v_mul_f64 v[124:125], v[116:117], v[6:7]
	v_fmac_f64_e32 v[124:125], v[118:119], v[4:5]
	v_add_f64 v[0:1], v[0:1], v[124:125]
	v_mul_f64 v[124:125], v[230:231], v[130:131]
	v_fma_f64 v[8:9], v[228:229], v[128:129], -v[124:125]
	ds_read_b128 v[124:127], v2 offset:1648
	s_waitcnt vmcnt(8)
	v_accvgpr_read_b32 v4, a138
	v_accvgpr_read_b32 v6, a140
	;; [unrolled: 1-line block ×4, first 2 shown]
	s_waitcnt lgkmcnt(1)
	v_mul_f64 v[36:37], v[120:121], v[6:7]
	v_fmac_f64_e32 v[36:37], v[122:123], v[4:5]
	ds_read_b128 v[128:131], v2 offset:1664
	ds_read_b128 v[132:135], v2 offset:1680
	s_waitcnt vmcnt(7)
	v_mov_b64_e32 v[4:5], v[148:149]
	v_mov_b64_e32 v[6:7], v[150:151]
	s_waitcnt lgkmcnt(2)
	v_mul_f64 v[136:137], v[124:125], v[6:7]
	v_fmac_f64_e32 v[136:137], v[126:127], v[4:5]
	v_accvgpr_read_b32 v4, a154
	v_add_f64 v[0:1], v[0:1], v[36:37]
	v_accvgpr_read_b32 v6, a156
	v_accvgpr_read_b32 v7, a157
	v_add_f64 v[0:1], v[0:1], v[136:137]
	v_accvgpr_read_b32 v5, a155
	s_waitcnt lgkmcnt(1)
	v_mul_f64 v[136:137], v[128:129], v[6:7]
	v_fmac_f64_e32 v[136:137], v[130:131], v[4:5]
	v_accvgpr_read_b32 v4, a158
	v_accvgpr_read_b32 v6, a160
	;; [unrolled: 1-line block ×4, first 2 shown]
	s_waitcnt lgkmcnt(0)
	v_mul_f64 v[140:141], v[132:133], v[6:7]
	v_add_f64 v[0:1], v[0:1], v[136:137]
	v_mul_f64 v[136:137], v[238:239], v[162:163]
	v_fmac_f64_e32 v[140:141], v[134:135], v[4:5]
	v_fma_f64 v[236:237], v[236:237], v[160:161], -v[136:137]
	ds_read_b128 v[136:139], v2 offset:1696
	v_add_f64 v[0:1], v[0:1], v[140:141]
	v_mul_f64 v[140:141], v[174:175], v[186:187]
	v_fma_f64 v[238:239], v[172:173], v[184:185], -v[140:141]
	ds_read_b128 v[140:143], v2 offset:1712
	v_mul_f64 v[36:37], v[234:235], v[146:147]
	v_fma_f64 v[36:37], v[232:233], v[144:145], -v[36:37]
	v_accvgpr_write_b32 a169, v151
	s_waitcnt vmcnt(6) lgkmcnt(1)
	v_mul_f64 v[144:145], v[136:137], v[50:51]
	v_accvgpr_write_b32 a168, v150
	v_accvgpr_write_b32 a167, v149
	v_accvgpr_write_b32 a166, v148
	v_fmac_f64_e32 v[144:145], v[138:139], v[48:49]
	s_waitcnt vmcnt(5) lgkmcnt(0)
	v_mul_f64 v[148:149], v[140:141], v[54:55]
	v_add_f64 v[0:1], v[0:1], v[144:145]
	v_fmac_f64_e32 v[148:149], v[142:143], v[52:53]
	ds_read_b128 v[144:147], v2 offset:1728
	v_add_f64 v[0:1], v[0:1], v[148:149]
	v_mul_f64 v[148:149], v[178:179], v[190:191]
	scratch_load_dwordx4 v[72:75], off, off offset:832
	v_fma_f64 v[6:7], v[176:177], v[188:189], -v[148:149]
	ds_read_b128 v[148:151], v2 offset:1744
	v_mul_f64 v[80:81], v[210:211], v[94:95]
	v_fma_f64 v[12:13], v[208:209], v[92:93], -v[80:81]
	scratch_load_dwordx4 v[80:83], off, off offset:848
	scratch_load_dwordx4 v[84:87], off, off offset:864
	ds_read_b128 v[152:155], v2 offset:1760
	s_waitcnt vmcnt(7) lgkmcnt(2)
	v_mul_f64 v[42:43], v[144:145], v[58:59]
	v_fmac_f64_e32 v[42:43], v[146:147], v[56:57]
	s_waitcnt vmcnt(6) lgkmcnt(1)
	v_mul_f64 v[156:157], v[148:149], v[62:63]
	v_add_f64 v[0:1], v[0:1], v[42:43]
	v_fmac_f64_e32 v[156:157], v[150:151], v[60:61]
	v_add_f64 v[0:1], v[0:1], v[156:157]
	ds_read_b128 v[156:159], v2 offset:1776
	s_waitcnt vmcnt(5) lgkmcnt(1)
	v_mul_f64 v[160:161], v[152:153], v[66:67]
	v_fmac_f64_e32 v[160:161], v[154:155], v[64:65]
	v_add_f64 v[0:1], v[0:1], v[160:161]
	v_mul_f64 v[160:161], v[242:243], v[198:199]
	v_fma_f64 v[4:5], v[240:241], v[196:197], -v[160:161]
	ds_read_b128 v[160:163], v2 offset:1792
	scratch_load_dwordx4 v[92:95], off, off offset:880
	v_mul_f64 v[42:43], v[166:167], v[194:195]
	s_waitcnt vmcnt(5) lgkmcnt(1)
	v_mul_f64 v[46:47], v[156:157], v[70:71]
	v_fma_f64 v[42:43], v[164:165], v[192:193], -v[42:43]
	v_fmac_f64_e32 v[46:47], v[158:159], v[68:69]
	v_mul_f64 v[164:165], v[246:247], v[202:203]
	v_fma_f64 v[240:241], v[244:245], v[200:201], -v[164:165]
	ds_read_b128 v[164:167], v2 offset:1808
	v_add_f64 v[0:1], v[0:1], v[46:47]
	s_waitcnt vmcnt(4) lgkmcnt(1)
	v_mul_f64 v[46:47], v[160:161], v[78:79]
	v_fmac_f64_e32 v[46:47], v[162:163], v[76:77]
	v_add_f64 v[46:47], v[0:1], v[46:47]
	v_mul_f64 v[0:1], v[250:251], v[218:219]
	v_fma_f64 v[0:1], v[248:249], v[216:217], -v[0:1]
	scratch_load_dwordx4 v[246:249], off, off offset:896
	ds_read_b128 v[242:245], v2 offset:1824
	ds_read_b128 v[172:175], v2 offset:1840
	ds_read_b128 v[192:195], v2 offset:1888
	ds_read_b128 v[200:203], v2 offset:1904
	scratch_load_dwordx4 v[232:235], off, off offset:992
	ds_read_b128 v[208:211], v2 offset:1920
	ds_read_b128 v[216:219], v2 offset:1936
	;; [unrolled: 1-line block ×3, first 2 shown]
	s_waitcnt vmcnt(5) lgkmcnt(7)
	v_mul_f64 v[176:177], v[164:165], v[74:75]
	v_fmac_f64_e32 v[176:177], v[166:167], v[72:73]
	v_add_f64 v[46:47], v[46:47], v[176:177]
	s_waitcnt vmcnt(4) lgkmcnt(6)
	v_mul_f64 v[176:177], v[242:243], v[82:83]
	v_fmac_f64_e32 v[176:177], v[244:245], v[80:81]
	v_add_f64 v[46:47], v[46:47], v[176:177]
	s_waitcnt vmcnt(3) lgkmcnt(5)
	v_mul_f64 v[176:177], v[172:173], v[86:87]
	v_fmac_f64_e32 v[176:177], v[174:175], v[84:85]
	v_add_f64 v[46:47], v[46:47], v[176:177]
	ds_read_b128 v[176:179], v2 offset:1856
	s_waitcnt vmcnt(2) lgkmcnt(0)
	v_mul_f64 v[184:185], v[176:177], v[94:95]
	v_fmac_f64_e32 v[184:185], v[178:179], v[92:93]
	v_add_f64 v[46:47], v[46:47], v[184:185]
	ds_read_b128 v[184:187], v2 offset:1872
	s_waitcnt vmcnt(1) lgkmcnt(0)
	v_mul_f64 v[188:189], v[184:185], v[248:249]
	v_fmac_f64_e32 v[188:189], v[186:187], v[246:247]
	v_add_f64 v[46:47], v[46:47], v[188:189]
	scratch_load_dwordx4 v[188:191], off, off offset:912
	s_waitcnt vmcnt(0)
	v_mul_f64 v[196:197], v[192:193], v[190:191]
	v_fmac_f64_e32 v[196:197], v[194:195], v[188:189]
	v_add_f64 v[46:47], v[46:47], v[196:197]
	scratch_load_dwordx4 v[196:199], off, off offset:928
	s_waitcnt vmcnt(0)
	;; [unrolled: 5-line block ×5, first 2 shown]
	v_mul_f64 v[228:229], v[224:225], v[222:223]
	v_fmac_f64_e32 v[228:229], v[226:227], v[220:221]
	v_add_f64 v[46:47], v[46:47], v[228:229]
	ds_read_b128 v[228:231], v2 offset:1968
	s_waitcnt lgkmcnt(0)
	v_mul_f64 v[2:3], v[228:229], v[234:235]
	v_fmac_f64_e32 v[2:3], v[230:231], v[232:233]
	v_add_f64 v[2:3], v[46:47], v[2:3]
	v_add_f64 v[46:47], v[254:255], 0
	v_add_f64 v[46:47], v[46:47], v[252:253]
	v_add_f64 v[44:45], v[46:47], v[44:45]
	v_add_f64 v[40:41], v[44:45], v[40:41]
	v_add_f64 v[38:39], v[40:41], v[38:39]
	v_add_f64 v[28:29], v[38:39], v[28:29]
	v_add_f64 v[26:27], v[28:29], v[26:27]
	v_add_f64 v[24:25], v[26:27], v[24:25]
	v_add_f64 v[22:23], v[24:25], v[22:23]
	v_add_f64 v[18:19], v[22:23], v[18:19]
	v_add_f64 v[18:19], v[18:19], v[168:169]
	v_add_f64 v[18:19], v[18:19], v[170:171]
	v_add_f64 v[18:19], v[18:19], v[180:181]
	v_add_f64 v[18:19], v[18:19], v[182:183]
	v_add_f64 v[16:17], v[18:19], v[16:17]
	v_add_f64 v[16:17], v[16:17], v[20:21]
	v_add_f64 v[14:15], v[16:17], v[14:15]
	v_add_f64 v[14:15], v[14:15], v[34:35]
	v_add_f64 v[12:13], v[14:15], v[12:13]
	v_add_f64 v[12:13], v[12:13], v[32:33]
	v_add_f64 v[10:11], v[12:13], v[10:11]
	v_add_f64 v[10:11], v[10:11], v[30:31]
	v_add_f64 v[8:9], v[10:11], v[8:9]
	v_add_f64 v[8:9], v[8:9], v[36:37]
	v_add_f64 v[8:9], v[8:9], v[236:237]
	v_add_f64 v[8:9], v[8:9], v[238:239]
	scratch_load_dwordx4 v[236:239], off, off offset:32
	v_add_f64 v[6:7], v[8:9], v[6:7]
	v_add_f64 v[6:7], v[6:7], v[42:43]
	v_add_f64 v[254:255], v[6:7], v[4:5]
	v_accvgpr_read_b32 v6, a126
	v_add_f64 v[4:5], v[254:255], v[240:241]
	v_accvgpr_read_b32 v8, a128
	v_accvgpr_read_b32 v9, a129
	v_add_f64 v[0:1], v[4:5], v[0:1]
	v_accvgpr_read_b32 v7, a127
	v_mul_f64 v[4:5], v[90:91], v[8:9]
	v_fma_f64 v[4:5], v[88:89], v[6:7], -v[4:5]
	v_accvgpr_read_b32 v6, a130
	v_accvgpr_read_b32 v8, a132
	v_accvgpr_read_b32 v9, a133
	v_add_f64 v[0:1], v[0:1], v[4:5]
	v_accvgpr_read_b32 v7, a131
	v_mul_f64 v[4:5], v[98:99], v[8:9]
	v_fma_f64 v[4:5], v[96:97], v[6:7], -v[4:5]
	v_accvgpr_read_b32 v6, a162
	;; [unrolled: 7-line block ×10, first 2 shown]
	v_accvgpr_read_b32 v8, a160
	v_accvgpr_read_b32 v9, a161
	v_add_f64 v[0:1], v[0:1], v[4:5]
	v_accvgpr_read_b32 v7, a159
	v_mul_f64 v[4:5], v[134:135], v[8:9]
	v_fma_f64 v[4:5], v[132:133], v[6:7], -v[4:5]
	v_add_f64 v[0:1], v[0:1], v[4:5]
	v_mul_f64 v[4:5], v[138:139], v[50:51]
	v_fma_f64 v[4:5], v[136:137], v[48:49], -v[4:5]
	v_add_f64 v[0:1], v[0:1], v[4:5]
	;; [unrolled: 3-line block ×19, first 2 shown]
	s_waitcnt vmcnt(0)
	v_add_f64 v[4:5], v[236:237], -v[0:1]
	v_accvgpr_read_b32 v0, a124
	v_add_f64 v[6:7], v[238:239], -v[2:3]
	v_cmp_ne_u32_e32 vcc, 0, v0
	scratch_store_dwordx4 off, v[4:7], off offset:32
	s_and_saveexec_b64 s[0:1], vcc
	s_cbranch_execz .LBB61_397
; %bb.396:
	scratch_load_dwordx4 v[2:5], off, off offset:16
	v_mov_b32_e32 v6, 0
	v_mov_b32_e32 v7, v6
	;; [unrolled: 1-line block ×4, first 2 shown]
	v_accvgpr_read_b32 v0, a125
	scratch_store_dwordx4 off, v[6:9], off offset:16
	s_waitcnt vmcnt(1)
	ds_write_b128 v0, v[2:5]
.LBB61_397:
	s_or_b64 exec, exec, s[0:1]
	s_waitcnt lgkmcnt(0)
	; wave barrier
	scratch_load_dwordx4 v[8:11], off, off offset:32
	scratch_load_dwordx4 v[12:15], off, off offset:48
	;; [unrolled: 1-line block ×30, first 2 shown]
	v_mov_b32_e32 v240, 0
	ds_read_b128 v[88:91], v240 offset:1008
	ds_read_b128 v[92:95], v240 offset:1024
	;; [unrolled: 1-line block ×17, first 2 shown]
	scratch_load_dwordx4 a[124:127], off, off offset:544
	scratch_load_dwordx4 a[128:131], off, off offset:560
	ds_read_b128 v[220:223], v240 offset:1344
	ds_read_b128 v[224:227], v240 offset:1360
	;; [unrolled: 1-line block ×6, first 2 shown]
	scratch_load_dwordx4 a[132:135], off, off offset:576
	scratch_load_dwordx4 a[136:139], off, off offset:592
	;; [unrolled: 1-line block ×4, first 2 shown]
	ds_read_b128 v[246:249], v240 offset:1440
	ds_read_b128 v[250:253], v240 offset:1456
	scratch_load_dwordx4 a[148:151], off, off offset:640
	scratch_load_dwordx4 a[152:155], off, off offset:656
	;; [unrolled: 1-line block ×4, first 2 shown]
	s_and_b64 vcc, exec, s[18:19]
	s_waitcnt vmcnt(39) lgkmcnt(14)
	v_mul_f64 v[0:1], v[88:89], v[10:11]
	s_waitcnt vmcnt(38)
	v_mul_f64 v[2:3], v[92:93], v[14:15]
	v_fmac_f64_e32 v[0:1], v[90:91], v[8:9]
	s_waitcnt vmcnt(37)
	v_mul_f64 v[4:5], v[96:97], v[18:19]
	v_fmac_f64_e32 v[2:3], v[94:95], v[12:13]
	v_add_f64 v[0:1], v[0:1], 0
	s_waitcnt vmcnt(36)
	v_mul_f64 v[6:7], v[100:101], v[22:23]
	v_fmac_f64_e32 v[4:5], v[98:99], v[16:17]
	v_add_f64 v[0:1], v[0:1], v[2:3]
	;; [unrolled: 4-line block ×9, first 2 shown]
	s_waitcnt vmcnt(28) lgkmcnt(13)
	v_mul_f64 v[210:211], v[172:173], v[54:55]
	v_fmac_f64_e32 v[208:209], v[170:171], v[48:49]
	v_add_f64 v[0:1], v[0:1], v[206:207]
	scratch_load_dwordx4 v[200:203], off, off offset:512
	v_fmac_f64_e32 v[210:211], v[174:175], v[52:53]
	v_add_f64 v[0:1], v[0:1], v[208:209]
	v_add_f64 v[0:1], v[0:1], v[210:211]
	scratch_load_dwordx4 v[208:211], off, off offset:528
	s_waitcnt vmcnt(29) lgkmcnt(12)
	v_mul_f64 v[212:213], v[176:177], v[58:59]
	s_waitcnt vmcnt(28) lgkmcnt(11)
	v_mul_f64 v[214:215], v[180:181], v[62:63]
	v_fmac_f64_e32 v[212:213], v[178:179], v[56:57]
	ds_read_b128 v[196:199], v240 offset:1280
	ds_read_b128 v[204:207], v240 offset:1296
	s_waitcnt vmcnt(27) lgkmcnt(12)
	v_mul_f64 v[216:217], v[184:185], v[66:67]
	v_fmac_f64_e32 v[214:215], v[182:183], v[60:61]
	v_add_f64 v[0:1], v[0:1], v[212:213]
	s_waitcnt vmcnt(26) lgkmcnt(11)
	v_mul_f64 v[218:219], v[188:189], v[70:71]
	v_fmac_f64_e32 v[216:217], v[186:187], v[64:65]
	v_add_f64 v[0:1], v[0:1], v[214:215]
	v_fmac_f64_e32 v[218:219], v[190:191], v[68:69]
	v_add_f64 v[0:1], v[0:1], v[216:217]
	s_waitcnt vmcnt(25) lgkmcnt(10)
	v_mul_f64 v[2:3], v[192:193], v[74:75]
	v_add_f64 v[0:1], v[0:1], v[218:219]
	v_fmac_f64_e32 v[2:3], v[194:195], v[72:73]
	ds_read_b128 v[212:215], v240 offset:1312
	ds_read_b128 v[216:219], v240 offset:1328
	v_add_f64 v[0:1], v[0:1], v[2:3]
	s_waitcnt vmcnt(24) lgkmcnt(3)
	v_mul_f64 v[2:3], v[196:197], v[78:79]
	v_fmac_f64_e32 v[2:3], v[198:199], v[76:77]
	v_add_f64 v[0:1], v[0:1], v[2:3]
	s_waitcnt vmcnt(23) lgkmcnt(2)
	v_mul_f64 v[2:3], v[204:205], v[82:83]
	v_fmac_f64_e32 v[2:3], v[206:207], v[80:81]
	;; [unrolled: 4-line block ×4, first 2 shown]
	v_add_f64 v[0:1], v[0:1], v[2:3]
	s_waitcnt vmcnt(20)
	v_mul_f64 v[2:3], v[220:221], v[118:119]
	v_fmac_f64_e32 v[2:3], v[222:223], v[116:117]
	v_add_f64 v[0:1], v[0:1], v[2:3]
	s_waitcnt vmcnt(19)
	v_mul_f64 v[2:3], v[224:225], v[122:123]
	v_fmac_f64_e32 v[2:3], v[226:227], v[120:121]
	;; [unrolled: 4-line block ×4, first 2 shown]
	v_add_f64 v[0:1], v[0:1], v[2:3]
	v_mul_f64 v[2:3], v[90:91], v[10:11]
	v_fma_f64 v[2:3], v[88:89], v[8:9], -v[2:3]
	v_accvgpr_write_b32 a169, v3
	v_accvgpr_write_b32 a168, v2
	v_mul_f64 v[2:3], v[94:95], v[14:15]
	v_fma_f64 v[254:255], v[92:93], v[12:13], -v[2:3]
	v_mul_f64 v[2:3], v[98:99], v[18:19]
	v_fma_f64 v[92:93], v[96:97], v[16:17], -v[2:3]
	s_waitcnt vmcnt(16)
	v_mul_f64 v[2:3], v[236:237], v[134:135]
	v_fmac_f64_e32 v[2:3], v[238:239], v[132:133]
	v_add_f64 v[0:1], v[0:1], v[2:3]
	s_waitcnt vmcnt(15)
	v_mul_f64 v[2:3], v[242:243], v[142:143]
	v_fmac_f64_e32 v[2:3], v[244:245], v[140:141]
	v_add_f64 v[4:5], v[0:1], v[2:3]
	v_mul_f64 v[0:1], v[102:103], v[22:23]
	v_fma_f64 v[88:89], v[100:101], v[20:21], -v[0:1]
	v_mul_f64 v[0:1], v[106:107], v[26:27]
	v_fma_f64 v[90:91], v[104:105], v[24:25], -v[0:1]
	;; [unrolled: 2-line block ×3, first 2 shown]
	ds_read_b128 v[0:3], v240 offset:1472
	s_waitcnt vmcnt(14)
	v_mul_f64 v[6:7], v[246:247], v[146:147]
	v_fmac_f64_e32 v[6:7], v[248:249], v[144:145]
	v_add_f64 v[4:5], v[4:5], v[6:7]
	s_waitcnt vmcnt(13)
	v_mul_f64 v[6:7], v[250:251], v[154:155]
	v_fmac_f64_e32 v[6:7], v[252:253], v[152:153]
	v_mul_f64 v[8:9], v[150:151], v[38:39]
	v_add_f64 v[4:5], v[4:5], v[6:7]
	v_fma_f64 v[148:149], v[148:149], v[36:37], -v[8:9]
	ds_read_b128 v[8:11], v240 offset:1504
	s_waitcnt vmcnt(12) lgkmcnt(1)
	v_mul_f64 v[6:7], v[0:1], v[158:159]
	v_fmac_f64_e32 v[6:7], v[2:3], v[156:157]
	v_add_f64 v[18:19], v[4:5], v[6:7]
	v_mul_f64 v[4:5], v[138:139], v[34:35]
	v_fma_f64 v[24:25], v[136:137], v[32:33], -v[4:5]
	ds_read_b128 v[4:7], v240 offset:1488
	v_mul_f64 v[20:21], v[162:163], v[42:43]
	v_mul_f64 v[36:37], v[166:167], v[46:47]
	v_fma_f64 v[150:151], v[160:161], v[40:41], -v[20:21]
	v_fma_f64 v[160:161], v[164:165], v[44:45], -v[36:37]
	ds_read_b128 v[36:39], v240 offset:1536
	s_waitcnt vmcnt(1) lgkmcnt(1)
	v_mul_f64 v[20:21], v[4:5], v[202:203]
	v_fmac_f64_e32 v[20:21], v[6:7], v[200:201]
	v_add_f64 v[18:19], v[18:19], v[20:21]
	s_waitcnt vmcnt(0)
	v_mul_f64 v[20:21], v[8:9], v[210:211]
	v_fmac_f64_e32 v[20:21], v[10:11], v[208:209]
	v_add_f64 v[96:97], v[18:19], v[20:21]
	ds_read_b128 v[16:19], v240 offset:1520
	ds_read_b128 v[100:103], v240 offset:1568
	v_mul_f64 v[40:41], v[170:171], v[50:51]
	v_fma_f64 v[162:163], v[168:169], v[48:49], -v[40:41]
	scratch_load_dwordx4 v[40:43], off, off offset:704
	v_accvgpr_read_b32 v12, a124
	v_accvgpr_read_b32 v14, a126
	;; [unrolled: 1-line block ×4, first 2 shown]
	s_waitcnt lgkmcnt(1)
	v_mul_f64 v[48:49], v[16:17], v[14:15]
	v_accvgpr_write_b32 a167, v15
	v_mul_f64 v[44:45], v[174:175], v[54:55]
	v_fmac_f64_e32 v[48:49], v[18:19], v[12:13]
	v_accvgpr_write_b32 a166, v14
	v_accvgpr_write_b32 a165, v13
	;; [unrolled: 1-line block ×3, first 2 shown]
	v_accvgpr_read_b32 v12, a128
	v_fma_f64 v[164:165], v[172:173], v[52:53], -v[44:45]
	scratch_load_dwordx4 v[44:47], off, off offset:720
	v_accvgpr_read_b32 v14, a130
	v_accvgpr_read_b32 v15, a131
	v_add_f64 v[52:53], v[96:97], v[48:49]
	v_mul_f64 v[48:49], v[178:179], v[58:59]
	v_accvgpr_read_b32 v13, a129
	v_mul_f64 v[54:55], v[36:37], v[14:15]
	v_fma_f64 v[166:167], v[176:177], v[56:57], -v[48:49]
	scratch_load_dwordx4 v[48:51], off, off offset:736
	v_fmac_f64_e32 v[54:55], v[38:39], v[12:13]
	v_add_f64 v[104:105], v[52:53], v[54:55]
	v_mul_f64 v[52:53], v[182:183], v[62:63]
	v_fma_f64 v[168:169], v[180:181], v[60:61], -v[52:53]
	scratch_load_dwordx4 v[52:55], off, off offset:752
	v_mul_f64 v[56:57], v[186:187], v[66:67]
	v_fma_f64 v[170:171], v[184:185], v[64:65], -v[56:57]
	scratch_load_dwordx4 v[56:59], off, off offset:768
	;; [unrolled: 3-line block ×3, first 2 shown]
	ds_read_b128 v[96:99], v240 offset:1552
	v_accvgpr_read_b32 v12, a132
	v_accvgpr_read_b32 v14, a134
	v_accvgpr_read_b32 v15, a135
	v_mul_f64 v[154:155], v[252:253], v[154:155]
	v_accvgpr_read_b32 v13, a133
	v_fma_f64 v[250:251], v[250:251], v[152:153], -v[154:155]
	ds_read_b128 v[152:155], v240 offset:1776
	s_waitcnt lgkmcnt(1)
	v_mul_f64 v[64:65], v[96:97], v[14:15]
	v_fmac_f64_e32 v[64:65], v[98:99], v[12:13]
	v_add_f64 v[108:109], v[104:105], v[64:65]
	v_accvgpr_read_b32 v12, a136
	ds_read_b128 v[104:107], v240 offset:1584
	v_mul_f64 v[64:65], v[194:195], v[74:75]
	v_accvgpr_read_b32 v14, a138
	v_accvgpr_read_b32 v15, a139
	v_fma_f64 v[174:175], v[192:193], v[72:73], -v[64:65]
	v_accvgpr_read_b32 v13, a137
	v_mul_f64 v[72:73], v[100:101], v[14:15]
	v_fmac_f64_e32 v[72:73], v[102:103], v[12:13]
	v_accvgpr_read_b32 v12, a140
	v_mul_f64 v[68:69], v[198:199], v[78:79]
	v_accvgpr_read_b32 v14, a142
	v_accvgpr_read_b32 v15, a143
	v_fma_f64 v[22:23], v[196:197], v[76:77], -v[68:69]
	v_add_f64 v[76:77], v[108:109], v[72:73]
	v_mul_f64 v[72:73], v[206:207], v[82:83]
	ds_read_b128 v[108:111], v240 offset:1600
	v_accvgpr_read_b32 v13, a141
	s_waitcnt lgkmcnt(1)
	v_mul_f64 v[78:79], v[104:105], v[14:15]
	v_accvgpr_write_b32 a127, v19
	v_fma_f64 v[94:95], v[204:205], v[80:81], -v[72:73]
	v_mul_f64 v[72:73], v[214:215], v[86:87]
	v_fmac_f64_e32 v[78:79], v[106:107], v[12:13]
	v_accvgpr_write_b32 a126, v18
	v_accvgpr_write_b32 a125, v17
	;; [unrolled: 1-line block ×3, first 2 shown]
	v_fma_f64 v[18:19], v[212:213], v[84:85], -v[72:73]
	v_add_f64 v[84:85], v[76:77], v[78:79]
	v_mul_f64 v[76:77], v[218:219], v[114:115]
	v_fma_f64 v[16:17], v[216:217], v[112:113], -v[76:77]
	ds_read_b128 v[112:115], v240 offset:1616
	v_accvgpr_read_b32 v12, a144
	v_mul_f64 v[30:31], v[222:223], v[118:119]
	v_accvgpr_read_b32 v14, a146
	v_accvgpr_read_b32 v15, a147
	v_fma_f64 v[30:31], v[220:221], v[116:117], -v[30:31]
	v_mul_f64 v[116:117], v[226:227], v[122:123]
	s_waitcnt lgkmcnt(1)
	v_mul_f64 v[86:87], v[108:109], v[14:15]
	v_fma_f64 v[14:15], v[224:225], v[120:121], -v[116:117]
	ds_read_b128 v[116:119], v240 offset:1632
	v_accvgpr_read_b32 v32, a148
	v_accvgpr_read_b32 v34, a150
	;; [unrolled: 1-line block ×5, first 2 shown]
	s_waitcnt lgkmcnt(1)
	v_mul_f64 v[20:21], v[112:113], v[34:35]
	v_mul_f64 v[120:121], v[230:231], v[126:127]
	v_fmac_f64_e32 v[86:87], v[110:111], v[12:13]
	v_fmac_f64_e32 v[20:21], v[114:115], v[32:33]
	v_fma_f64 v[12:13], v[228:229], v[124:125], -v[120:121]
	ds_read_b128 v[120:123], v240 offset:1648
	ds_read_b128 v[124:127], v240 offset:1664
	v_accvgpr_read_b32 v32, a152
	v_accvgpr_read_b32 v34, a154
	v_accvgpr_read_b32 v35, a155
	v_accvgpr_read_b32 v33, a153
	s_waitcnt lgkmcnt(2)
	v_mul_f64 v[28:29], v[116:117], v[34:35]
	v_add_f64 v[136:137], v[84:85], v[86:87]
	v_fmac_f64_e32 v[28:29], v[118:119], v[32:33]
	v_accvgpr_read_b32 v32, a156
	v_add_f64 v[20:21], v[136:137], v[20:21]
	v_accvgpr_read_b32 v34, a158
	v_accvgpr_read_b32 v35, a159
	v_add_f64 v[20:21], v[20:21], v[28:29]
	v_accvgpr_read_b32 v33, a157
	s_waitcnt lgkmcnt(1)
	v_mul_f64 v[28:29], v[120:121], v[34:35]
	v_fmac_f64_e32 v[28:29], v[122:123], v[32:33]
	v_add_f64 v[20:21], v[20:21], v[28:29]
	v_mul_f64 v[28:29], v[234:235], v[130:131]
	v_fma_f64 v[28:29], v[232:233], v[128:129], -v[28:29]
	ds_read_b128 v[128:131], v240 offset:1680
	v_accvgpr_read_b32 v32, a160
	v_accvgpr_read_b32 v34, a162
	;; [unrolled: 1-line block ×4, first 2 shown]
	s_waitcnt lgkmcnt(1)
	v_mul_f64 v[136:137], v[124:125], v[34:35]
	v_fmac_f64_e32 v[136:137], v[126:127], v[32:33]
	v_mul_f64 v[134:135], v[238:239], v[134:135]
	v_fma_f64 v[232:233], v[236:237], v[132:133], -v[134:135]
	ds_read_b128 v[132:135], v240 offset:1696
	v_add_f64 v[20:21], v[20:21], v[136:137]
	s_waitcnt vmcnt(5) lgkmcnt(1)
	v_mul_f64 v[136:137], v[128:129], v[42:43]
	v_fmac_f64_e32 v[136:137], v[130:131], v[40:41]
	v_add_f64 v[20:21], v[20:21], v[136:137]
	ds_read_b128 v[136:139], v240 offset:1712
	scratch_load_dwordx4 v[64:67], off, off offset:800
	scratch_load_dwordx4 v[68:71], off, off offset:816
	v_mul_f64 v[142:143], v[244:245], v[142:143]
	v_fma_f64 v[234:235], v[242:243], v[140:141], -v[142:143]
	ds_read_b128 v[140:143], v240 offset:1728
	s_waitcnt vmcnt(6) lgkmcnt(2)
	v_mul_f64 v[176:177], v[132:133], v[46:47]
	v_mul_f64 v[146:147], v[248:249], v[146:147]
	v_fmac_f64_e32 v[176:177], v[134:135], v[44:45]
	v_fma_f64 v[236:237], v[246:247], v[144:145], -v[146:147]
	ds_read_b128 v[144:147], v240 offset:1744
	ds_read_b128 v[242:245], v240 offset:1760
	scratch_load_dwordx4 v[72:75], off, off offset:832
	scratch_load_dwordx4 v[80:83], off, off offset:848
	v_add_f64 v[20:21], v[20:21], v[176:177]
	s_waitcnt vmcnt(7) lgkmcnt(3)
	v_mul_f64 v[176:177], v[136:137], v[50:51]
	v_fmac_f64_e32 v[176:177], v[138:139], v[48:49]
	v_add_f64 v[20:21], v[20:21], v[176:177]
	s_waitcnt vmcnt(6) lgkmcnt(2)
	v_mul_f64 v[176:177], v[140:141], v[54:55]
	v_fmac_f64_e32 v[176:177], v[142:143], v[52:53]
	scratch_load_dwordx4 v[76:79], off, off offset:864
	scratch_load_dwordx4 v[84:87], off, off offset:880
	v_add_f64 v[20:21], v[20:21], v[176:177]
	s_waitcnt vmcnt(7) lgkmcnt(1)
	v_mul_f64 v[176:177], v[144:145], v[58:59]
	v_fmac_f64_e32 v[176:177], v[146:147], v[56:57]
	v_add_f64 v[20:21], v[20:21], v[176:177]
	s_waitcnt vmcnt(6) lgkmcnt(0)
	v_mul_f64 v[176:177], v[242:243], v[62:63]
	v_fmac_f64_e32 v[176:177], v[244:245], v[60:61]
	v_mul_f64 v[2:3], v[2:3], v[158:159]
	v_fma_f64 v[0:1], v[0:1], v[156:157], -v[2:3]
	v_add_f64 v[2:3], v[20:21], v[176:177]
	scratch_load_dwordx4 v[176:179], off, off offset:896
	scratch_load_dwordx4 v[184:187], off, off offset:912
	;; [unrolled: 1-line block ×3, first 2 shown]
	v_mul_f64 v[6:7], v[6:7], v[202:203]
	v_fma_f64 v[238:239], v[4:5], v[200:201], -v[6:7]
	scratch_load_dwordx4 v[200:203], off, off offset:944
	v_mul_f64 v[10:11], v[10:11], v[210:211]
	v_fma_f64 v[252:253], v[8:9], v[208:209], -v[10:11]
	scratch_load_dwordx4 v[208:211], off, off offset:960
	scratch_load_dwordx4 v[216:219], off, off offset:976
	;; [unrolled: 1-line block ×3, first 2 shown]
	ds_read_b128 v[156:159], v240 offset:1792
	ds_read_b128 v[32:35], v240 offset:1808
	;; [unrolled: 1-line block ×12, first 2 shown]
	s_waitcnt vmcnt(12)
	v_mul_f64 v[20:21], v[152:153], v[66:67]
	v_fmac_f64_e32 v[20:21], v[154:155], v[64:65]
	v_add_f64 v[2:3], v[2:3], v[20:21]
	s_waitcnt vmcnt(11) lgkmcnt(11)
	v_mul_f64 v[20:21], v[156:157], v[70:71]
	v_fmac_f64_e32 v[20:21], v[158:159], v[68:69]
	v_add_f64 v[2:3], v[2:3], v[20:21]
	s_waitcnt vmcnt(10) lgkmcnt(10)
	;; [unrolled: 4-line block ×12, first 2 shown]
	v_mul_f64 v[20:21], v[228:229], v[226:227]
	v_fmac_f64_e32 v[20:21], v[230:231], v[224:225]
	v_add_f64 v[20:21], v[2:3], v[20:21]
	v_accvgpr_read_b32 v2, a168
	v_accvgpr_read_b32 v3, a169
	v_add_f64 v[2:3], v[2:3], 0
	v_add_f64 v[2:3], v[2:3], v[254:255]
	;; [unrolled: 1-line block ×27, first 2 shown]
	scratch_load_dwordx4 v[232:235], off, off offset:16
	v_add_f64 v[2:3], v[2:3], v[236:237]
	v_accvgpr_read_b32 v12, a124
	v_accvgpr_read_b32 v16, a164
	v_add_f64 v[2:3], v[2:3], v[250:251]
	v_accvgpr_read_b32 v14, a126
	v_accvgpr_read_b32 v15, a127
	;; [unrolled: 1-line block ×4, first 2 shown]
	v_add_f64 v[254:255], v[2:3], v[0:1]
	v_accvgpr_read_b32 v13, a125
	v_accvgpr_read_b32 v17, a165
	v_mul_f64 v[2:3], v[14:15], v[18:19]
	v_add_f64 v[0:1], v[254:255], v[238:239]
	v_fma_f64 v[2:3], v[12:13], v[16:17], -v[2:3]
	v_accvgpr_read_b32 v12, a128
	v_add_f64 v[0:1], v[0:1], v[252:253]
	v_accvgpr_read_b32 v14, a130
	v_accvgpr_read_b32 v15, a131
	v_add_f64 v[0:1], v[0:1], v[2:3]
	v_accvgpr_read_b32 v13, a129
	v_mul_f64 v[2:3], v[38:39], v[14:15]
	v_fma_f64 v[2:3], v[36:37], v[12:13], -v[2:3]
	v_accvgpr_read_b32 v12, a132
	v_accvgpr_read_b32 v14, a134
	v_accvgpr_read_b32 v15, a135
	v_add_f64 v[0:1], v[0:1], v[2:3]
	v_accvgpr_read_b32 v13, a133
	v_mul_f64 v[2:3], v[98:99], v[14:15]
	v_fma_f64 v[2:3], v[96:97], v[12:13], -v[2:3]
	v_accvgpr_read_b32 v12, a136
	;; [unrolled: 7-line block ×8, first 2 shown]
	v_accvgpr_read_b32 v14, a162
	v_accvgpr_read_b32 v15, a163
	v_add_f64 v[0:1], v[0:1], v[2:3]
	v_accvgpr_read_b32 v13, a161
	v_mul_f64 v[2:3], v[126:127], v[14:15]
	v_fma_f64 v[2:3], v[124:125], v[12:13], -v[2:3]
	v_add_f64 v[0:1], v[0:1], v[2:3]
	v_mul_f64 v[2:3], v[130:131], v[42:43]
	v_fma_f64 v[2:3], v[128:129], v[40:41], -v[2:3]
	v_add_f64 v[0:1], v[0:1], v[2:3]
	;; [unrolled: 3-line block ×20, first 2 shown]
	s_waitcnt vmcnt(0)
	v_add_f64 v[0:1], v[232:233], -v[0:1]
	v_add_f64 v[2:3], v[234:235], -v[20:21]
	scratch_store_dwordx4 off, v[0:3], off offset:16
	s_cbranch_vccz .LBB61_520
; %bb.398:
	global_load_dword v0, v240, s[16:17] offset:240
	s_waitcnt vmcnt(0)
	v_readfirstlane_b32 s0, v0
	s_add_i32 s0, s0, -1
	s_cmp_lg_u32 s0, 60
	s_cbranch_scc0 .LBB61_400
; %bb.399:
	s_lshl_b32 s0, s0, 4
	s_add_i32 s0, s0, 16
	scratch_load_dwordx4 v[0:3], off, s0
	scratch_load_dwordx4 v[4:7], off, s56
	s_waitcnt vmcnt(1)
	scratch_store_dwordx4 off, v[0:3], s56
	s_waitcnt vmcnt(1)
	scratch_store_dwordx4 off, v[4:7], s0
.LBB61_400:
	v_mov_b32_e32 v0, 0
	global_load_dword v1, v0, s[16:17] offset:236
	s_waitcnt vmcnt(0)
	v_readfirstlane_b32 s0, v1
	s_add_i32 s0, s0, -1
	s_cmp_eq_u32 s0, 59
	s_cbranch_scc1 .LBB61_402
; %bb.401:
	s_lshl_b32 s0, s0, 4
	s_add_i32 s0, s0, 16
	scratch_load_dwordx4 v[2:5], off, s0
	scratch_load_dwordx4 v[6:9], off, s55
	s_waitcnt vmcnt(1)
	scratch_store_dwordx4 off, v[2:5], s55
	s_waitcnt vmcnt(1)
	scratch_store_dwordx4 off, v[6:9], s0
.LBB61_402:
	global_load_dword v0, v0, s[16:17] offset:232
	s_waitcnt vmcnt(0)
	v_readfirstlane_b32 s0, v0
	s_add_i32 s0, s0, -1
	s_cmp_eq_u32 s0, 58
	s_cbranch_scc1 .LBB61_404
; %bb.403:
	s_lshl_b32 s0, s0, 4
	s_add_i32 s0, s0, 16
	scratch_load_dwordx4 v[0:3], off, s0
	scratch_load_dwordx4 v[4:7], off, s54
	s_waitcnt vmcnt(1)
	scratch_store_dwordx4 off, v[0:3], s54
	s_waitcnt vmcnt(1)
	scratch_store_dwordx4 off, v[4:7], s0
.LBB61_404:
	v_mov_b32_e32 v0, 0
	global_load_dword v1, v0, s[16:17] offset:228
	s_waitcnt vmcnt(0)
	v_readfirstlane_b32 s0, v1
	s_add_i32 s0, s0, -1
	s_cmp_eq_u32 s0, 57
	s_cbranch_scc1 .LBB61_406
; %bb.405:
	s_lshl_b32 s0, s0, 4
	s_add_i32 s0, s0, 16
	scratch_load_dwordx4 v[2:5], off, s0
	scratch_load_dwordx4 v[6:9], off, s53
	s_waitcnt vmcnt(1)
	scratch_store_dwordx4 off, v[2:5], s53
	s_waitcnt vmcnt(1)
	scratch_store_dwordx4 off, v[6:9], s0
.LBB61_406:
	global_load_dword v0, v0, s[16:17] offset:224
	s_waitcnt vmcnt(0)
	v_readfirstlane_b32 s0, v0
	s_add_i32 s0, s0, -1
	s_cmp_eq_u32 s0, 56
	s_cbranch_scc1 .LBB61_408
; %bb.407:
	s_lshl_b32 s0, s0, 4
	s_add_i32 s0, s0, 16
	scratch_load_dwordx4 v[0:3], off, s0
	scratch_load_dwordx4 v[4:7], off, s52
	s_waitcnt vmcnt(1)
	scratch_store_dwordx4 off, v[0:3], s52
	s_waitcnt vmcnt(1)
	scratch_store_dwordx4 off, v[4:7], s0
.LBB61_408:
	;; [unrolled: 33-line block ×29, first 2 shown]
	v_mov_b32_e32 v0, 0
	global_load_dword v1, v0, s[16:17] offset:4
	s_waitcnt vmcnt(0)
	v_readfirstlane_b32 s0, v1
	s_add_i32 s0, s0, -1
	s_cmp_eq_u32 s0, 1
	s_cbranch_scc1 .LBB61_518
; %bb.517:
	s_lshl_b32 s0, s0, 4
	s_add_i32 s0, s0, 16
	scratch_load_dwordx4 v[2:5], off, s0
	scratch_load_dwordx4 v[6:9], off, s87
	s_waitcnt vmcnt(1)
	scratch_store_dwordx4 off, v[2:5], s87
	s_waitcnt vmcnt(1)
	scratch_store_dwordx4 off, v[6:9], s0
.LBB61_518:
	global_load_dword v0, v0, s[16:17]
	s_waitcnt vmcnt(0)
	v_readfirstlane_b32 s0, v0
	s_add_i32 s0, s0, -1
	s_cmp_eq_u32 s0, 0
	s_cbranch_scc1 .LBB61_520
; %bb.519:
	s_lshl_b32 s0, s0, 4
	s_add_i32 s0, s0, 16
	scratch_load_dwordx4 v[0:3], off, s0
	scratch_load_dwordx4 v[4:7], off, off offset:16
	s_waitcnt vmcnt(1)
	scratch_store_dwordx4 off, v[0:3], off offset:16
	s_waitcnt vmcnt(1)
	scratch_store_dwordx4 off, v[4:7], s0
.LBB61_520:
	scratch_load_dwordx4 v[0:3], off, off offset:16
	s_nop 0
	scratch_load_dwordx4 v[4:7], off, s87
	scratch_load_dwordx4 v[8:11], off, s86
	;; [unrolled: 1-line block ×31, first 2 shown]
	v_accvgpr_read_b32 v129, a1
	v_accvgpr_read_b32 v128, a0
	;; [unrolled: 1-line block ×22, first 2 shown]
	s_waitcnt vmcnt(31)
	global_store_dwordx4 v[128:129], v[0:3], off
	s_nop 1
	v_accvgpr_read_b32 v0, a2
	v_accvgpr_read_b32 v1, a3
	s_waitcnt vmcnt(31)
	global_store_dwordx4 v[0:1], v[4:7], off
	scratch_load_dwordx4 v[0:3], off, s26
	s_nop 0
	scratch_load_dwordx4 v[4:7], off, s27
	v_accvgpr_read_b32 v129, a5
	v_accvgpr_read_b32 v128, a4
	s_waitcnt vmcnt(33)
	global_store_dwordx4 v[128:129], v[8:11], off
	scratch_load_dwordx4 v[8:11], off, s28
	s_nop 0
	scratch_load_dwordx4 v[128:131], off, s29
	s_waitcnt vmcnt(35)
	global_store_dwordx4 v[132:133], v[12:15], off
	scratch_load_dwordx4 v[12:15], off, s30
	s_nop 0
	scratch_load_dwordx4 v[132:135], off, s33
	s_waitcnt vmcnt(37)
	global_store_dwordx4 v[136:137], v[16:19], off
	v_accvgpr_read_b32 v137, a13
	v_accvgpr_read_b32 v136, a12
	v_accvgpr_read_b32 v17, a11
	v_accvgpr_read_b32 v16, a10
	s_waitcnt vmcnt(37)
	global_store_dwordx4 v[16:17], v[20:23], off
	scratch_load_dwordx4 v[16:19], off, s31
	s_nop 0
	scratch_load_dwordx4 v[20:23], off, s34
	s_waitcnt vmcnt(39)
	global_store_dwordx4 v[136:137], v[24:27], off
	scratch_load_dwordx4 v[24:27], off, s35
	s_nop 0
	scratch_load_dwordx4 v[136:139], off, s36
	s_waitcnt vmcnt(41)
	global_store_dwordx4 v[140:141], v[28:31], off
	scratch_load_dwordx4 v[28:31], off, s37
	s_nop 0
	scratch_load_dwordx4 v[140:143], off, s39
	s_waitcnt vmcnt(43)
	global_store_dwordx4 v[144:145], v[32:35], off
	v_accvgpr_read_b32 v145, a21
	v_accvgpr_read_b32 v144, a20
	v_accvgpr_read_b32 v33, a19
	v_accvgpr_read_b32 v32, a18
	s_waitcnt vmcnt(43)
	global_store_dwordx4 v[32:33], v[36:39], off
	scratch_load_dwordx4 v[32:35], off, s38
	s_nop 0
	scratch_load_dwordx4 v[36:39], off, s40
	s_waitcnt vmcnt(45)
	global_store_dwordx4 v[144:145], v[40:43], off
	scratch_load_dwordx4 v[40:43], off, s41
	s_nop 0
	scratch_load_dwordx4 v[144:147], off, s42
	s_waitcnt vmcnt(47)
	global_store_dwordx4 v[148:149], v[44:47], off
	scratch_load_dwordx4 v[44:47], off, s43
	s_nop 0
	scratch_load_dwordx4 v[148:151], off, s45
	s_waitcnt vmcnt(49)
	global_store_dwordx4 v[152:153], v[48:51], off
	v_accvgpr_read_b32 v153, a29
	v_accvgpr_read_b32 v152, a28
	v_accvgpr_read_b32 v49, a27
	v_accvgpr_read_b32 v48, a26
	s_waitcnt vmcnt(49)
	global_store_dwordx4 v[48:49], v[52:55], off
	scratch_load_dwordx4 v[48:51], off, s44
	s_nop 0
	scratch_load_dwordx4 v[52:55], off, s46
	s_waitcnt vmcnt(51)
	global_store_dwordx4 v[152:153], v[56:59], off
	scratch_load_dwordx4 v[56:59], off, s47
	s_nop 0
	scratch_load_dwordx4 v[152:155], off, s48
	s_waitcnt vmcnt(53)
	global_store_dwordx4 v[156:157], v[60:63], off
	scratch_load_dwordx4 v[60:63], off, s49
	s_nop 0
	scratch_load_dwordx4 v[156:159], off, s51
	s_waitcnt vmcnt(55)
	global_store_dwordx4 v[160:161], v[64:67], off
	v_accvgpr_read_b32 v161, a37
	v_accvgpr_read_b32 v160, a36
	v_accvgpr_read_b32 v65, a35
	v_accvgpr_read_b32 v64, a34
	s_waitcnt vmcnt(55)
	global_store_dwordx4 v[64:65], v[68:71], off
	scratch_load_dwordx4 v[64:67], off, s50
	s_nop 0
	scratch_load_dwordx4 v[68:71], off, s52
	s_waitcnt vmcnt(57)
	global_store_dwordx4 v[160:161], v[72:75], off
	scratch_load_dwordx4 v[72:75], off, s53
	s_nop 0
	scratch_load_dwordx4 v[160:163], off, s54
	s_waitcnt vmcnt(59)
	global_store_dwordx4 v[164:165], v[76:79], off
	scratch_load_dwordx4 v[76:79], off, s55
	s_nop 0
	scratch_load_dwordx4 v[164:167], off, s56
	s_waitcnt vmcnt(61)
	global_store_dwordx4 v[168:169], v[80:83], off
	s_nop 1
	v_accvgpr_read_b32 v81, a43
	v_accvgpr_read_b32 v80, a42
	s_waitcnt vmcnt(61)
	global_store_dwordx4 v[80:81], v[84:87], off
	v_accvgpr_read_b32 v81, a45
	v_accvgpr_read_b32 v80, a44
	s_waitcnt vmcnt(61)
	global_store_dwordx4 v[80:81], v[88:91], off
	;; [unrolled: 4-line block ×11, first 2 shown]
	s_nop 1
	v_accvgpr_read_b32 v0, a64
	v_accvgpr_read_b32 v1, a65
	s_waitcnt vmcnt(58)
	global_store_dwordx4 v[0:1], v[4:7], off
	v_accvgpr_read_b32 v0, a66
	v_accvgpr_read_b32 v1, a67
	s_waitcnt vmcnt(57)
	global_store_dwordx4 v[0:1], v[8:11], off
	;; [unrolled: 4-line block ×29, first 2 shown]
	v_accvgpr_read_b32 v0, a122
	v_accvgpr_read_b32 v1, a123
	global_store_dwordx4 v[0:1], v[124:127], off
	s_endpgm
	.section	.rodata,"a",@progbits
	.p2align	6, 0x0
	.amdhsa_kernel _ZN9rocsolver6v33100L18getri_kernel_smallILi62E19rocblas_complex_numIdEPS3_EEvT1_iilPiilS6_bb
		.amdhsa_group_segment_fixed_size 1992
		.amdhsa_private_segment_fixed_size 1024
		.amdhsa_kernarg_size 60
		.amdhsa_user_sgpr_count 2
		.amdhsa_user_sgpr_dispatch_ptr 0
		.amdhsa_user_sgpr_queue_ptr 0
		.amdhsa_user_sgpr_kernarg_segment_ptr 1
		.amdhsa_user_sgpr_dispatch_id 0
		.amdhsa_user_sgpr_kernarg_preload_length 0
		.amdhsa_user_sgpr_kernarg_preload_offset 0
		.amdhsa_user_sgpr_private_segment_size 0
		.amdhsa_uses_dynamic_stack 0
		.amdhsa_enable_private_segment 1
		.amdhsa_system_sgpr_workgroup_id_x 1
		.amdhsa_system_sgpr_workgroup_id_y 0
		.amdhsa_system_sgpr_workgroup_id_z 0
		.amdhsa_system_sgpr_workgroup_info 0
		.amdhsa_system_vgpr_workitem_id 0
		.amdhsa_next_free_vgpr 426
		.amdhsa_next_free_sgpr 88
		.amdhsa_accum_offset 256
		.amdhsa_reserve_vcc 1
		.amdhsa_float_round_mode_32 0
		.amdhsa_float_round_mode_16_64 0
		.amdhsa_float_denorm_mode_32 3
		.amdhsa_float_denorm_mode_16_64 3
		.amdhsa_dx10_clamp 1
		.amdhsa_ieee_mode 1
		.amdhsa_fp16_overflow 0
		.amdhsa_tg_split 0
		.amdhsa_exception_fp_ieee_invalid_op 0
		.amdhsa_exception_fp_denorm_src 0
		.amdhsa_exception_fp_ieee_div_zero 0
		.amdhsa_exception_fp_ieee_overflow 0
		.amdhsa_exception_fp_ieee_underflow 0
		.amdhsa_exception_fp_ieee_inexact 0
		.amdhsa_exception_int_div_zero 0
	.end_amdhsa_kernel
	.section	.text._ZN9rocsolver6v33100L18getri_kernel_smallILi62E19rocblas_complex_numIdEPS3_EEvT1_iilPiilS6_bb,"axG",@progbits,_ZN9rocsolver6v33100L18getri_kernel_smallILi62E19rocblas_complex_numIdEPS3_EEvT1_iilPiilS6_bb,comdat
.Lfunc_end61:
	.size	_ZN9rocsolver6v33100L18getri_kernel_smallILi62E19rocblas_complex_numIdEPS3_EEvT1_iilPiilS6_bb, .Lfunc_end61-_ZN9rocsolver6v33100L18getri_kernel_smallILi62E19rocblas_complex_numIdEPS3_EEvT1_iilPiilS6_bb
                                        ; -- End function
	.set _ZN9rocsolver6v33100L18getri_kernel_smallILi62E19rocblas_complex_numIdEPS3_EEvT1_iilPiilS6_bb.num_vgpr, 256
	.set _ZN9rocsolver6v33100L18getri_kernel_smallILi62E19rocblas_complex_numIdEPS3_EEvT1_iilPiilS6_bb.num_agpr, 170
	.set _ZN9rocsolver6v33100L18getri_kernel_smallILi62E19rocblas_complex_numIdEPS3_EEvT1_iilPiilS6_bb.numbered_sgpr, 88
	.set _ZN9rocsolver6v33100L18getri_kernel_smallILi62E19rocblas_complex_numIdEPS3_EEvT1_iilPiilS6_bb.num_named_barrier, 0
	.set _ZN9rocsolver6v33100L18getri_kernel_smallILi62E19rocblas_complex_numIdEPS3_EEvT1_iilPiilS6_bb.private_seg_size, 1024
	.set _ZN9rocsolver6v33100L18getri_kernel_smallILi62E19rocblas_complex_numIdEPS3_EEvT1_iilPiilS6_bb.uses_vcc, 1
	.set _ZN9rocsolver6v33100L18getri_kernel_smallILi62E19rocblas_complex_numIdEPS3_EEvT1_iilPiilS6_bb.uses_flat_scratch, 0
	.set _ZN9rocsolver6v33100L18getri_kernel_smallILi62E19rocblas_complex_numIdEPS3_EEvT1_iilPiilS6_bb.has_dyn_sized_stack, 0
	.set _ZN9rocsolver6v33100L18getri_kernel_smallILi62E19rocblas_complex_numIdEPS3_EEvT1_iilPiilS6_bb.has_recursion, 0
	.set _ZN9rocsolver6v33100L18getri_kernel_smallILi62E19rocblas_complex_numIdEPS3_EEvT1_iilPiilS6_bb.has_indirect_call, 0
	.section	.AMDGPU.csdata,"",@progbits
; Kernel info:
; codeLenInByte = 162356
; TotalNumSgprs: 94
; NumVgprs: 256
; NumAgprs: 170
; TotalNumVgprs: 426
; ScratchSize: 1024
; MemoryBound: 0
; FloatMode: 240
; IeeeMode: 1
; LDSByteSize: 1992 bytes/workgroup (compile time only)
; SGPRBlocks: 11
; VGPRBlocks: 53
; NumSGPRsForWavesPerEU: 94
; NumVGPRsForWavesPerEU: 426
; AccumOffset: 256
; Occupancy: 1
; WaveLimiterHint : 1
; COMPUTE_PGM_RSRC2:SCRATCH_EN: 1
; COMPUTE_PGM_RSRC2:USER_SGPR: 2
; COMPUTE_PGM_RSRC2:TRAP_HANDLER: 0
; COMPUTE_PGM_RSRC2:TGID_X_EN: 1
; COMPUTE_PGM_RSRC2:TGID_Y_EN: 0
; COMPUTE_PGM_RSRC2:TGID_Z_EN: 0
; COMPUTE_PGM_RSRC2:TIDIG_COMP_CNT: 0
; COMPUTE_PGM_RSRC3_GFX90A:ACCUM_OFFSET: 63
; COMPUTE_PGM_RSRC3_GFX90A:TG_SPLIT: 0
	.section	.text._ZN9rocsolver6v33100L18getri_kernel_smallILi63E19rocblas_complex_numIdEPS3_EEvT1_iilPiilS6_bb,"axG",@progbits,_ZN9rocsolver6v33100L18getri_kernel_smallILi63E19rocblas_complex_numIdEPS3_EEvT1_iilPiilS6_bb,comdat
	.globl	_ZN9rocsolver6v33100L18getri_kernel_smallILi63E19rocblas_complex_numIdEPS3_EEvT1_iilPiilS6_bb ; -- Begin function _ZN9rocsolver6v33100L18getri_kernel_smallILi63E19rocblas_complex_numIdEPS3_EEvT1_iilPiilS6_bb
	.p2align	8
	.type	_ZN9rocsolver6v33100L18getri_kernel_smallILi63E19rocblas_complex_numIdEPS3_EEvT1_iilPiilS6_bb,@function
_ZN9rocsolver6v33100L18getri_kernel_smallILi63E19rocblas_complex_numIdEPS3_EEvT1_iilPiilS6_bb: ; @_ZN9rocsolver6v33100L18getri_kernel_smallILi63E19rocblas_complex_numIdEPS3_EEvT1_iilPiilS6_bb
; %bb.0:
	v_mov_b32_e32 v252, v0
	v_cmp_gt_u32_e32 vcc, 63, v252
	s_and_saveexec_b64 s[4:5], vcc
	s_cbranch_execz .LBB62_278
; %bb.1:
	s_load_dword s4, s[0:1], 0x38
	s_load_dwordx4 s[12:15], s[0:1], 0x10
	s_load_dwordx4 s[8:11], s[0:1], 0x28
                                        ; implicit-def: $sgpr16_sgpr17
	s_waitcnt lgkmcnt(0)
	s_bitcmp1_b32 s4, 8
	s_cselect_b64 s[18:19], -1, 0
	s_ashr_i32 s3, s2, 31
	s_bfe_u32 s4, s4, 0x10008
	s_cmp_eq_u32 s4, 0
	s_cbranch_scc1 .LBB62_3
; %bb.2:
	s_load_dword s4, s[0:1], 0x20
	s_mul_i32 s5, s8, s3
	s_mul_hi_u32 s6, s8, s2
	s_mul_i32 s7, s9, s2
	s_add_i32 s6, s6, s5
	s_add_i32 s7, s6, s7
	s_mul_i32 s6, s8, s2
	s_waitcnt lgkmcnt(0)
	s_ashr_i32 s5, s4, 31
	s_lshl_b64 s[6:7], s[6:7], 2
	s_add_u32 s6, s14, s6
	s_addc_u32 s7, s15, s7
	s_lshl_b64 s[4:5], s[4:5], 2
	s_add_u32 s16, s6, s4
	s_addc_u32 s17, s7, s5
.LBB62_3:
	s_load_dwordx4 s[4:7], s[0:1], 0x0
	s_load_dword s8, s[0:1], 0x38
	s_mul_i32 s9, s12, s3
	s_mul_hi_u32 s14, s12, s2
	s_mul_i32 s12, s12, s2
	s_waitcnt lgkmcnt(0)
	s_ashr_i32 s1, s6, 31
	s_mov_b32 s0, s6
	s_add_i32 s6, s14, s9
	s_mul_i32 s9, s13, s2
	s_add_i32 s13, s6, s9
	s_lshl_b64 s[12:13], s[12:13], 4
	s_add_u32 s4, s4, s12
	s_addc_u32 s5, s5, s13
	s_lshl_b64 s[0:1], s[0:1], 4
	s_add_u32 s0, s4, s0
	s_addc_u32 s1, s5, s1
	v_lshlrev_b32_e32 v38, 4, v252
	v_mov_b32_e32 v39, 0
	v_lshl_add_u64 v[0:1], s[0:1], 0, v[38:39]
	s_ashr_i32 s5, s7, 31
	s_mov_b32 s4, s7
	v_accvgpr_write_b32 a0, v0
	v_accvgpr_write_b32 a1, v1
	v_lshl_add_u64 v[0:1], s[4:5], 4, v[0:1]
	s_add_i32 s4, s7, s7
	v_add_u32_e32 v14, s4, v252
	v_ashrrev_i32_e32 v15, 31, v14
	v_lshl_add_u64 v[10:11], v[14:15], 4, s[0:1]
	v_add_u32_e32 v14, s7, v14
	v_add_u32_e32 v22, s7, v14
	v_ashrrev_i32_e32 v23, 31, v22
	v_accvgpr_write_b32 a3, v1
	v_ashrrev_i32_e32 v15, 31, v14
	v_lshl_add_u64 v[18:19], v[22:23], 4, s[0:1]
	v_add_u32_e32 v22, s7, v22
	global_load_dwordx4 v[2:5], v38, s[0:1]
	global_load_dwordx4 v[6:9], v[0:1], off
	v_accvgpr_write_b32 a2, v0
	v_lshl_add_u64 v[0:1], v[14:15], 4, s[0:1]
	v_add_u32_e32 v30, s7, v22
	v_accvgpr_write_b32 a4, v10
	v_accvgpr_write_b32 a7, v1
	v_ashrrev_i32_e32 v23, 31, v22
	v_ashrrev_i32_e32 v31, 31, v30
	v_accvgpr_write_b32 a5, v11
	global_load_dwordx4 v[10:13], v[10:11], off
	v_accvgpr_write_b32 a6, v0
	global_load_dwordx4 v[14:17], v[0:1], off
	v_lshl_add_u64 v[0:1], v[22:23], 4, s[0:1]
	v_lshl_add_u64 v[26:27], v[30:31], 4, s[0:1]
	v_add_u32_e32 v30, s7, v30
	v_accvgpr_write_b32 a8, v18
	v_accvgpr_write_b32 a11, v1
	v_ashrrev_i32_e32 v31, 31, v30
	v_accvgpr_write_b32 a9, v19
	global_load_dwordx4 v[18:21], v[18:19], off
	v_accvgpr_write_b32 a10, v0
	global_load_dwordx4 v[22:25], v[0:1], off
	v_lshl_add_u64 v[0:1], v[30:31], 4, s[0:1]
	v_add_u32_e32 v30, s7, v30
	v_add_u32_e32 v40, s7, v30
	v_accvgpr_write_b32 a12, v26
	v_ashrrev_i32_e32 v31, 31, v30
	v_ashrrev_i32_e32 v41, 31, v40
	v_add_u32_e32 v42, s7, v40
	v_accvgpr_write_b32 a15, v1
	v_accvgpr_write_b32 a13, v27
	global_load_dwordx4 v[26:29], v[26:27], off
	v_lshl_add_u64 v[34:35], v[30:31], 4, s[0:1]
	v_accvgpr_write_b32 a14, v0
	global_load_dwordx4 v[30:33], v[0:1], off
	v_lshl_add_u64 v[0:1], v[40:41], 4, s[0:1]
	v_add_u32_e32 v48, s7, v42
	v_accvgpr_write_b32 a16, v34
	v_ashrrev_i32_e32 v43, 31, v42
	v_ashrrev_i32_e32 v49, 31, v48
	v_add_u32_e32 v50, s7, v48
	v_accvgpr_write_b32 a19, v1
	v_accvgpr_write_b32 a17, v35
	global_load_dwordx4 v[34:37], v[34:35], off
	v_lshl_add_u64 v[44:45], v[42:43], 4, s[0:1]
	v_accvgpr_write_b32 a18, v0
	global_load_dwordx4 v[40:43], v[0:1], off
	v_lshl_add_u64 v[0:1], v[48:49], 4, s[0:1]
	v_add_u32_e32 v56, s7, v50
	v_accvgpr_write_b32 a20, v44
	v_ashrrev_i32_e32 v51, 31, v50
	v_ashrrev_i32_e32 v57, 31, v56
	v_accvgpr_write_b32 a23, v1
	v_accvgpr_write_b32 a21, v45
	global_load_dwordx4 v[44:47], v[44:45], off
	v_lshl_add_u64 v[52:53], v[50:51], 4, s[0:1]
	v_accvgpr_write_b32 a22, v0
	global_load_dwordx4 v[48:51], v[0:1], off
	v_lshl_add_u64 v[0:1], v[56:57], 4, s[0:1]
	v_add_u32_e32 v56, s7, v56
	v_add_u32_e32 v64, s7, v56
	;; [unrolled: 1-line block ×5, first 2 shown]
	v_ashrrev_i32_e32 v81, 31, v80
	v_lshl_add_u64 v[76:77], v[80:81], 4, s[0:1]
	v_add_u32_e32 v80, s7, v80
	v_add_u32_e32 v88, s7, v80
	v_accvgpr_write_b32 a24, v52
	v_ashrrev_i32_e32 v57, 31, v56
	v_ashrrev_i32_e32 v89, 31, v88
	v_accvgpr_write_b32 a25, v53
	global_load_dwordx4 v[52:55], v[52:53], off
	v_lshl_add_u64 v[60:61], v[56:57], 4, s[0:1]
	v_lshl_add_u64 v[84:85], v[88:89], 4, s[0:1]
	v_add_u32_e32 v88, s7, v88
	v_ashrrev_i32_e32 v65, 31, v64
	v_accvgpr_write_b32 a27, v1
	global_load_dwordx4 v[56:59], v[0:1], off
	v_accvgpr_write_b32 a28, v60
	v_ashrrev_i32_e32 v67, 31, v66
	v_add_u32_e32 v96, s7, v88
	v_accvgpr_write_b32 a26, v0
	v_accvgpr_write_b32 a29, v61
	global_load_dwordx4 v[60:63], v[60:61], off
	v_lshl_add_u64 v[0:1], v[64:65], 4, s[0:1]
	v_lshl_add_u64 v[68:69], v[66:67], 4, s[0:1]
	v_ashrrev_i32_e32 v97, 31, v96
	v_ashrrev_i32_e32 v73, 31, v72
	v_accvgpr_write_b32 a31, v1
	global_load_dwordx4 v[64:67], v[0:1], off
	v_accvgpr_write_b32 a32, v68
	v_lshl_add_u64 v[92:93], v[96:97], 4, s[0:1]
	v_add_u32_e32 v96, s7, v96
	v_accvgpr_write_b32 a30, v0
	v_accvgpr_write_b32 a33, v69
	global_load_dwordx4 v[68:71], v[68:69], off
	v_lshl_add_u64 v[0:1], v[72:73], 4, s[0:1]
	v_add_u32_e32 v104, s7, v96
	v_accvgpr_write_b32 a35, v1
	global_load_dwordx4 v[72:75], v[0:1], off
	v_accvgpr_write_b32 a36, v76
	v_ashrrev_i32_e32 v81, 31, v80
	v_ashrrev_i32_e32 v105, 31, v104
	v_accvgpr_write_b32 a34, v0
	v_accvgpr_write_b32 a37, v77
	global_load_dwordx4 v[76:79], v[76:77], off
	v_lshl_add_u64 v[0:1], v[80:81], 4, s[0:1]
	v_lshl_add_u64 v[100:101], v[104:105], 4, s[0:1]
	v_add_u32_e32 v104, s7, v104
	v_accvgpr_write_b32 a39, v1
	global_load_dwordx4 v[80:83], v[0:1], off
	v_accvgpr_write_b32 a40, v84
	v_ashrrev_i32_e32 v89, 31, v88
	v_add_u32_e32 v112, s7, v104
	v_accvgpr_write_b32 a38, v0
	v_accvgpr_write_b32 a41, v85
	global_load_dwordx4 v[84:87], v[84:85], off
	v_lshl_add_u64 v[0:1], v[88:89], 4, s[0:1]
	v_ashrrev_i32_e32 v113, 31, v112
	v_accvgpr_write_b32 a43, v1
	global_load_dwordx4 v[88:91], v[0:1], off
	v_accvgpr_write_b32 a44, v92
	v_ashrrev_i32_e32 v97, 31, v96
	v_lshl_add_u64 v[108:109], v[112:113], 4, s[0:1]
	v_add_u32_e32 v112, s7, v112
	v_accvgpr_write_b32 a42, v0
	v_accvgpr_write_b32 a45, v93
	global_load_dwordx4 v[92:95], v[92:93], off
	v_lshl_add_u64 v[0:1], v[96:97], 4, s[0:1]
	v_add_u32_e32 v120, s7, v112
	v_accvgpr_write_b32 a47, v1
	global_load_dwordx4 v[96:99], v[0:1], off
	v_accvgpr_write_b32 a48, v100
	v_ashrrev_i32_e32 v105, 31, v104
	v_ashrrev_i32_e32 v121, 31, v120
	v_accvgpr_write_b32 a46, v0
	v_accvgpr_write_b32 a49, v101
	global_load_dwordx4 v[100:103], v[100:101], off
	v_lshl_add_u64 v[0:1], v[104:105], 4, s[0:1]
	v_lshl_add_u64 v[116:117], v[120:121], 4, s[0:1]
	v_add_u32_e32 v120, s7, v120
	v_accvgpr_write_b32 a51, v1
	global_load_dwordx4 v[104:107], v[0:1], off
	v_accvgpr_write_b32 a52, v108
	v_ashrrev_i32_e32 v113, 31, v112
	v_add_u32_e32 v128, s7, v120
	v_accvgpr_write_b32 a50, v0
	v_accvgpr_write_b32 a53, v109
	global_load_dwordx4 v[108:111], v[108:109], off
	v_lshl_add_u64 v[0:1], v[112:113], 4, s[0:1]
	v_ashrrev_i32_e32 v129, 31, v128
	v_accvgpr_write_b32 a55, v1
	global_load_dwordx4 v[112:115], v[0:1], off
	v_accvgpr_write_b32 a56, v116
	v_ashrrev_i32_e32 v121, 31, v120
	v_lshl_add_u64 v[124:125], v[128:129], 4, s[0:1]
	v_add_u32_e32 v128, s7, v128
	v_accvgpr_write_b32 a54, v0
	v_accvgpr_write_b32 a57, v117
	global_load_dwordx4 v[116:119], v[116:117], off
	v_lshl_add_u64 v[0:1], v[120:121], 4, s[0:1]
	v_add_u32_e32 v136, s7, v128
	v_accvgpr_write_b32 a59, v1
	global_load_dwordx4 v[120:123], v[0:1], off
	v_accvgpr_write_b32 a60, v124
	v_ashrrev_i32_e32 v129, 31, v128
	v_ashrrev_i32_e32 v137, 31, v136
	v_accvgpr_write_b32 a58, v0
	v_accvgpr_write_b32 a61, v125
	global_load_dwordx4 v[124:127], v[124:125], off
	v_lshl_add_u64 v[0:1], v[128:129], 4, s[0:1]
	v_lshl_add_u64 v[132:133], v[136:137], 4, s[0:1]
	global_load_dwordx4 v[128:131], v[0:1], off
	v_accvgpr_write_b32 a64, v132
	v_accvgpr_write_b32 a65, v133
	global_load_dwordx4 v[132:135], v[132:133], off
	s_waitcnt vmcnt(32)
	scratch_store_dwordx4 off, v[2:5], off offset:16
	s_waitcnt vmcnt(32)
	scratch_store_dwordx4 off, v[6:9], off offset:32
	;; [unrolled: 2-line block ×33, first 2 shown]
	v_add_u32_e32 v2, s7, v136
	v_add_u32_e32 v10, s7, v2
	v_ashrrev_i32_e32 v11, 31, v10
	v_lshl_add_u64 v[6:7], v[10:11], 4, s[0:1]
	v_add_u32_e32 v10, s7, v10
	v_add_u32_e32 v18, s7, v10
	v_ashrrev_i32_e32 v19, 31, v18
	v_lshl_add_u64 v[14:15], v[18:19], 4, s[0:1]
	;; [unrolled: 4-line block ×4, first 2 shown]
	v_add_u32_e32 v34, s7, v34
	v_add_u32_e32 v44, s7, v34
	v_ashrrev_i32_e32 v45, 31, v44
	v_accvgpr_write_b32 a63, v1
	v_ashrrev_i32_e32 v3, 31, v2
	v_lshl_add_u64 v[40:41], v[44:45], 4, s[0:1]
	v_add_u32_e32 v44, s7, v44
	v_accvgpr_write_b32 a62, v0
	v_lshl_add_u64 v[0:1], v[2:3], 4, s[0:1]
	v_add_u32_e32 v52, s7, v44
	v_accvgpr_write_b32 a67, v1
	v_accvgpr_write_b32 a69, v7
	v_ashrrev_i32_e32 v11, 31, v10
	v_ashrrev_i32_e32 v53, 31, v52
	v_accvgpr_write_b32 a66, v0
	global_load_dwordx4 v[2:5], v[0:1], off
	v_accvgpr_write_b32 a68, v6
	global_load_dwordx4 v[6:9], v[6:7], off
	v_lshl_add_u64 v[0:1], v[10:11], 4, s[0:1]
	v_lshl_add_u64 v[48:49], v[52:53], 4, s[0:1]
	v_add_u32_e32 v52, s7, v52
	v_accvgpr_write_b32 a71, v1
	v_accvgpr_write_b32 a73, v15
	v_ashrrev_i32_e32 v19, 31, v18
	v_add_u32_e32 v60, s7, v52
	v_accvgpr_write_b32 a70, v0
	global_load_dwordx4 v[10:13], v[0:1], off
	v_accvgpr_write_b32 a72, v14
	global_load_dwordx4 v[14:17], v[14:15], off
	v_lshl_add_u64 v[0:1], v[18:19], 4, s[0:1]
	v_ashrrev_i32_e32 v61, 31, v60
	v_accvgpr_write_b32 a75, v1
	v_accvgpr_write_b32 a77, v23
	v_ashrrev_i32_e32 v27, 31, v26
	v_lshl_add_u64 v[56:57], v[60:61], 4, s[0:1]
	v_add_u32_e32 v60, s7, v60
	v_accvgpr_write_b32 a74, v0
	global_load_dwordx4 v[18:21], v[0:1], off
	v_accvgpr_write_b32 a76, v22
	global_load_dwordx4 v[22:25], v[22:23], off
	v_lshl_add_u64 v[0:1], v[26:27], 4, s[0:1]
	v_add_u32_e32 v68, s7, v60
	v_accvgpr_write_b32 a79, v1
	v_accvgpr_write_b32 a81, v31
	v_ashrrev_i32_e32 v35, 31, v34
	v_ashrrev_i32_e32 v69, 31, v68
	v_accvgpr_write_b32 a78, v0
	global_load_dwordx4 v[26:29], v[0:1], off
	v_accvgpr_write_b32 a80, v30
	global_load_dwordx4 v[30:33], v[30:31], off
	v_lshl_add_u64 v[0:1], v[34:35], 4, s[0:1]
	v_lshl_add_u64 v[64:65], v[68:69], 4, s[0:1]
	v_add_u32_e32 v68, s7, v68
	v_accvgpr_write_b32 a83, v1
	v_accvgpr_write_b32 a85, v41
	v_ashrrev_i32_e32 v45, 31, v44
	v_add_u32_e32 v76, s7, v68
	v_accvgpr_write_b32 a82, v0
	global_load_dwordx4 v[34:37], v[0:1], off
	v_accvgpr_write_b32 a84, v40
	global_load_dwordx4 v[40:43], v[40:41], off
	v_lshl_add_u64 v[0:1], v[44:45], 4, s[0:1]
	v_ashrrev_i32_e32 v77, 31, v76
	v_accvgpr_write_b32 a87, v1
	v_accvgpr_write_b32 a89, v49
	v_ashrrev_i32_e32 v53, 31, v52
	v_lshl_add_u64 v[72:73], v[76:77], 4, s[0:1]
	v_add_u32_e32 v76, s7, v76
	v_accvgpr_write_b32 a86, v0
	global_load_dwordx4 v[44:47], v[0:1], off
	v_accvgpr_write_b32 a88, v48
	global_load_dwordx4 v[48:51], v[48:49], off
	;; [unrolled: 32-line block ×4, first 2 shown]
	v_lshl_add_u64 v[0:1], v[100:101], 4, s[0:1]
	v_add_u32_e32 v116, s7, v108
	v_accvgpr_write_b32 a115, v1
	v_accvgpr_write_b32 a117, v105
	v_ashrrev_i32_e32 v109, 31, v108
	v_ashrrev_i32_e32 v117, 31, v116
	v_accvgpr_write_b32 a114, v0
	global_load_dwordx4 v[100:103], v[0:1], off
	v_accvgpr_write_b32 a116, v104
	global_load_dwordx4 v[104:107], v[104:105], off
	v_lshl_add_u64 v[0:1], v[108:109], 4, s[0:1]
	v_lshl_add_u64 v[112:113], v[116:117], 4, s[0:1]
	v_add_u32_e32 v116, s7, v116
	v_accvgpr_write_b32 a119, v1
	v_accvgpr_write_b32 a121, v113
	v_ashrrev_i32_e32 v117, 31, v116
	v_accvgpr_write_b32 a118, v0
	global_load_dwordx4 v[108:111], v[0:1], off
	v_accvgpr_write_b32 a120, v112
	global_load_dwordx4 v[112:115], v[112:113], off
	v_lshl_add_u64 v[0:1], v[116:117], 4, s[0:1]
	v_add_u32_e32 v116, s7, v116
	v_ashrrev_i32_e32 v117, 31, v116
	v_lshl_add_u64 v[120:121], v[116:117], 4, s[0:1]
	s_movk_i32 s0, 0x50
	s_add_i32 s60, s0, 16
	s_movk_i32 s0, 0x60
	s_add_i32 s61, s0, 16
	;; [unrolled: 2-line block ×7, first 2 shown]
	s_movk_i32 s0, 0xc0
	global_load_dwordx4 v[116:119], v[0:1], off
	v_accvgpr_write_b32 a125, v121
	s_add_i32 s67, s0, 16
	s_movk_i32 s0, 0xd0
	v_accvgpr_write_b32 a124, v120
	global_load_dwordx4 v[120:123], v[120:121], off
	s_add_i32 s68, s0, 16
	s_movk_i32 s0, 0xe0
	s_add_i32 s69, s0, 16
	s_movk_i32 s0, 0xf0
	;; [unrolled: 2-line block ×49, first 2 shown]
	v_accvgpr_write_b32 a123, v1
	s_add_i32 s29, s0, 16
	v_accvgpr_write_b32 a122, v0
	s_mov_b32 s88, 32
	s_mov_b32 s87, 48
	;; [unrolled: 1-line block ×3, first 2 shown]
	s_movk_i32 s59, 0x50
	s_bitcmp0_b32 s8, 0
	s_mov_b64 s[4:5], -1
	s_waitcnt vmcnt(29)
	scratch_store_dwordx4 off, v[2:5], off offset:544
	s_waitcnt vmcnt(29)
	scratch_store_dwordx4 off, v[6:9], off offset:560
	;; [unrolled: 2-line block ×30, first 2 shown]
	s_cbranch_scc1 .LBB62_276
; %bb.4:
	v_cmp_eq_u32_e64 s[0:1], 0, v252
	s_and_saveexec_b64 s[4:5], s[0:1]
; %bb.5:
	v_mov_b32_e32 v0, 0
	ds_write_b32 v0, v0 offset:2016
; %bb.6:
	s_or_b64 exec, exec, s[4:5]
	s_waitcnt lgkmcnt(0)
	; wave barrier
	scratch_load_dwordx4 v[2:5], v38, off offset:16
	s_waitcnt vmcnt(0)
	v_cmp_eq_f64_e32 vcc, 0, v[2:3]
	v_cmp_eq_f64_e64 s[4:5], 0, v[4:5]
	s_and_b64 s[4:5], vcc, s[4:5]
	s_and_saveexec_b64 s[6:7], s[4:5]
	s_cbranch_execz .LBB62_10
; %bb.7:
	v_mov_b32_e32 v1, 0
	ds_read_b32 v0, v1 offset:2016
	v_add_u32_e32 v2, 1, v252
	s_waitcnt lgkmcnt(0)
	v_readfirstlane_b32 s4, v0
	s_cmp_eq_u32 s4, 0
	s_cselect_b64 s[8:9], -1, 0
	v_cmp_gt_i32_e32 vcc, s4, v2
	s_or_b64 s[8:9], s[8:9], vcc
	s_and_b64 exec, exec, s[8:9]
	s_cbranch_execz .LBB62_10
; %bb.8:
	s_mov_b64 s[8:9], 0
	v_mov_b32_e32 v3, s4
.LBB62_9:                               ; =>This Inner Loop Header: Depth=1
	ds_cmpst_rtn_b32 v3, v1, v3, v2 offset:2016
	s_waitcnt lgkmcnt(0)
	v_cmp_ne_u32_e32 vcc, 0, v3
	v_cmp_le_i32_e64 s[4:5], v3, v2
	s_and_b64 s[4:5], vcc, s[4:5]
	s_and_b64 s[4:5], exec, s[4:5]
	s_or_b64 s[8:9], s[4:5], s[8:9]
	s_andn2_b64 exec, exec, s[8:9]
	s_cbranch_execnz .LBB62_9
.LBB62_10:
	s_or_b64 exec, exec, s[6:7]
	v_mov_b32_e32 v2, 0
	; wave barrier
	ds_read_b32 v1, v2 offset:2016
	s_and_saveexec_b64 s[4:5], s[0:1]
	s_cbranch_execz .LBB62_12
; %bb.11:
	s_lshl_b64 s[6:7], s[2:3], 2
	s_add_u32 s6, s10, s6
	s_addc_u32 s7, s11, s7
	s_waitcnt lgkmcnt(0)
	global_store_dword v2, v1, s[6:7]
.LBB62_12:
	s_or_b64 exec, exec, s[4:5]
	s_waitcnt lgkmcnt(0)
	v_cmp_ne_u32_e32 vcc, 0, v1
	s_mov_b64 s[4:5], 0
	s_cbranch_vccnz .LBB62_276
; %bb.13:
	v_add_u32_e32 v14, 16, v38
	scratch_load_dwordx4 v[2:5], v14, off
                                        ; implicit-def: $vgpr6_vgpr7
                                        ; implicit-def: $vgpr10_vgpr11
	s_waitcnt vmcnt(0)
	v_cmp_ngt_f64_e64 s[4:5], |v[2:3]|, |v[4:5]|
	s_and_saveexec_b64 s[6:7], s[4:5]
	s_xor_b64 s[4:5], exec, s[6:7]
	s_cbranch_execz .LBB62_15
; %bb.14:
	v_div_scale_f64 v[6:7], s[6:7], v[4:5], v[4:5], v[2:3]
	v_rcp_f64_e32 v[8:9], v[6:7]
	v_div_scale_f64 v[10:11], vcc, v[2:3], v[4:5], v[2:3]
	v_fma_f64 v[12:13], -v[6:7], v[8:9], 1.0
	v_fmac_f64_e32 v[8:9], v[8:9], v[12:13]
	v_fma_f64 v[12:13], -v[6:7], v[8:9], 1.0
	v_fmac_f64_e32 v[8:9], v[8:9], v[12:13]
	v_mul_f64 v[12:13], v[10:11], v[8:9]
	v_fma_f64 v[6:7], -v[6:7], v[12:13], v[10:11]
	v_div_fmas_f64 v[6:7], v[6:7], v[8:9], v[12:13]
	v_div_fixup_f64 v[6:7], v[6:7], v[4:5], v[2:3]
	v_fmac_f64_e32 v[4:5], v[2:3], v[6:7]
	v_div_scale_f64 v[2:3], s[6:7], v[4:5], v[4:5], 1.0
	v_rcp_f64_e32 v[8:9], v[2:3]
	s_nop 0
	v_fma_f64 v[10:11], -v[2:3], v[8:9], 1.0
	v_fmac_f64_e32 v[8:9], v[8:9], v[10:11]
	v_fma_f64 v[10:11], -v[2:3], v[8:9], 1.0
	v_fmac_f64_e32 v[8:9], v[8:9], v[10:11]
	v_div_scale_f64 v[10:11], vcc, 1.0, v[4:5], 1.0
	v_mul_f64 v[12:13], v[10:11], v[8:9]
	v_fma_f64 v[2:3], -v[2:3], v[12:13], v[10:11]
	s_nop 1
	v_div_fmas_f64 v[2:3], v[2:3], v[8:9], v[12:13]
	v_div_fixup_f64 v[8:9], v[2:3], v[4:5], 1.0
	v_mul_f64 v[6:7], v[6:7], v[8:9]
	v_xor_b32_e32 v9, 0x80000000, v9
	v_xor_b32_e32 v11, 0x80000000, v7
	v_mov_b32_e32 v10, v6
                                        ; implicit-def: $vgpr2_vgpr3
.LBB62_15:
	s_andn2_saveexec_b64 s[4:5], s[4:5]
	s_cbranch_execz .LBB62_17
; %bb.16:
	v_div_scale_f64 v[6:7], s[6:7], v[2:3], v[2:3], v[4:5]
	v_rcp_f64_e32 v[8:9], v[6:7]
	v_div_scale_f64 v[10:11], vcc, v[4:5], v[2:3], v[4:5]
	v_fma_f64 v[12:13], -v[6:7], v[8:9], 1.0
	v_fmac_f64_e32 v[8:9], v[8:9], v[12:13]
	v_fma_f64 v[12:13], -v[6:7], v[8:9], 1.0
	v_fmac_f64_e32 v[8:9], v[8:9], v[12:13]
	v_mul_f64 v[12:13], v[10:11], v[8:9]
	v_fma_f64 v[6:7], -v[6:7], v[12:13], v[10:11]
	v_div_fmas_f64 v[6:7], v[6:7], v[8:9], v[12:13]
	v_div_fixup_f64 v[8:9], v[6:7], v[2:3], v[4:5]
	v_fmac_f64_e32 v[2:3], v[4:5], v[8:9]
	v_div_scale_f64 v[4:5], s[6:7], v[2:3], v[2:3], 1.0
	v_rcp_f64_e32 v[6:7], v[4:5]
	s_nop 0
	v_fma_f64 v[10:11], -v[4:5], v[6:7], 1.0
	v_fmac_f64_e32 v[6:7], v[6:7], v[10:11]
	v_fma_f64 v[10:11], -v[4:5], v[6:7], 1.0
	v_fmac_f64_e32 v[6:7], v[6:7], v[10:11]
	v_div_scale_f64 v[10:11], vcc, 1.0, v[2:3], 1.0
	v_mul_f64 v[12:13], v[10:11], v[6:7]
	v_fma_f64 v[4:5], -v[4:5], v[12:13], v[10:11]
	s_nop 1
	v_div_fmas_f64 v[4:5], v[4:5], v[6:7], v[12:13]
	v_div_fixup_f64 v[6:7], v[4:5], v[2:3], 1.0
	v_xor_b32_e32 v11, 0x80000000, v7
	v_mov_b32_e32 v10, v6
	v_mul_f64 v[8:9], v[8:9], -v[6:7]
.LBB62_17:
	s_or_b64 exec, exec, s[4:5]
	scratch_store_dwordx4 v14, v[6:9], off
	scratch_load_dwordx4 v[2:5], off, s88
	v_xor_b32_e32 v13, 0x80000000, v9
	v_mov_b32_e32 v12, v8
	v_add_u32_e32 v1, 0x3f0, v38
	ds_write_b128 v38, v[10:13]
	s_waitcnt vmcnt(0)
	ds_write_b128 v38, v[2:5] offset:1008
	s_waitcnt lgkmcnt(0)
	; wave barrier
	s_and_saveexec_b64 s[4:5], s[0:1]
	s_cbranch_execz .LBB62_19
; %bb.18:
	scratch_load_dwordx4 v[2:5], v14, off
	ds_read_b128 v[6:9], v1
	v_mov_b32_e32 v0, 0
	ds_read_b128 v[10:13], v0 offset:16
	s_waitcnt vmcnt(0) lgkmcnt(1)
	v_mul_f64 v[16:17], v[8:9], v[4:5]
	v_mul_f64 v[4:5], v[6:7], v[4:5]
	v_fma_f64 v[6:7], v[6:7], v[2:3], -v[16:17]
	v_fmac_f64_e32 v[4:5], v[8:9], v[2:3]
	v_add_f64 v[2:3], v[6:7], 0
	v_add_f64 v[6:7], v[4:5], 0
	s_waitcnt lgkmcnt(0)
	v_mul_f64 v[8:9], v[6:7], v[12:13]
	v_mul_f64 v[4:5], v[2:3], v[12:13]
	v_fma_f64 v[2:3], v[2:3], v[10:11], -v[8:9]
	v_fmac_f64_e32 v[4:5], v[6:7], v[10:11]
	scratch_store_dwordx4 off, v[2:5], off offset:32
.LBB62_19:
	s_or_b64 exec, exec, s[4:5]
	; wave barrier
	scratch_load_dwordx4 v[2:5], off, s87
	v_cmp_gt_u32_e32 vcc, 2, v252
	s_waitcnt vmcnt(0)
	ds_write_b128 v1, v[2:5]
	s_waitcnt lgkmcnt(0)
	; wave barrier
	s_and_saveexec_b64 s[4:5], vcc
	s_cbranch_execz .LBB62_23
; %bb.20:
	scratch_load_dwordx4 v[2:5], v14, off
	ds_read_b128 v[6:9], v1
	s_waitcnt vmcnt(0) lgkmcnt(0)
	v_mul_f64 v[10:11], v[8:9], v[4:5]
	v_mul_f64 v[12:13], v[6:7], v[4:5]
	v_fma_f64 v[4:5], v[6:7], v[2:3], -v[10:11]
	v_fmac_f64_e32 v[12:13], v[8:9], v[2:3]
	v_add_f64 v[4:5], v[4:5], 0
	v_add_f64 v[2:3], v[12:13], 0
	s_and_saveexec_b64 s[6:7], s[0:1]
	s_cbranch_execz .LBB62_22
; %bb.21:
	scratch_load_dwordx4 v[6:9], off, off offset:32
	v_mov_b32_e32 v0, 0
	ds_read_b128 v[10:13], v0 offset:1024
	s_waitcnt vmcnt(0) lgkmcnt(0)
	v_mul_f64 v[16:17], v[10:11], v[8:9]
	v_mul_f64 v[8:9], v[12:13], v[8:9]
	v_fmac_f64_e32 v[16:17], v[12:13], v[6:7]
	v_fma_f64 v[6:7], v[10:11], v[6:7], -v[8:9]
	v_add_f64 v[2:3], v[2:3], v[16:17]
	v_add_f64 v[4:5], v[4:5], v[6:7]
.LBB62_22:
	s_or_b64 exec, exec, s[6:7]
	v_mov_b32_e32 v0, 0
	ds_read_b128 v[6:9], v0 offset:32
	s_waitcnt lgkmcnt(0)
	v_mul_f64 v[12:13], v[2:3], v[8:9]
	v_mul_f64 v[10:11], v[4:5], v[8:9]
	v_fma_f64 v[8:9], v[4:5], v[6:7], -v[12:13]
	v_fmac_f64_e32 v[10:11], v[2:3], v[6:7]
	scratch_store_dwordx4 off, v[8:11], off offset:48
.LBB62_23:
	s_or_b64 exec, exec, s[4:5]
	; wave barrier
	scratch_load_dwordx4 v[2:5], off, s86
	v_cmp_gt_u32_e64 s[4:5], 3, v252
	v_add_u32_e32 v6, -1, v252
	s_waitcnt vmcnt(0)
	ds_write_b128 v1, v[2:5]
	s_waitcnt lgkmcnt(0)
	; wave barrier
	s_and_saveexec_b64 s[6:7], s[4:5]
	s_cbranch_execz .LBB62_27
; %bb.24:
	v_add_u32_e32 v7, -1, v252
	v_add_u32_e32 v8, 0x3f0, v38
	v_add_u32_e32 v9, 16, v38
	v_mov_b64_e32 v[2:3], 0
	s_mov_b64 s[8:9], 0
	v_mov_b64_e32 v[4:5], 0
.LBB62_25:                              ; =>This Inner Loop Header: Depth=1
	scratch_load_dwordx4 v[10:13], v9, off
	ds_read_b128 v[16:19], v8
	v_add_u32_e32 v7, 1, v7
	v_cmp_lt_u32_e64 s[4:5], 1, v7
	v_add_u32_e32 v8, 16, v8
	v_add_u32_e32 v9, 16, v9
	s_or_b64 s[8:9], s[4:5], s[8:9]
	s_waitcnt vmcnt(0) lgkmcnt(0)
	v_mul_f64 v[20:21], v[18:19], v[12:13]
	v_mul_f64 v[12:13], v[16:17], v[12:13]
	v_fma_f64 v[16:17], v[16:17], v[10:11], -v[20:21]
	v_fmac_f64_e32 v[12:13], v[18:19], v[10:11]
	v_add_f64 v[4:5], v[4:5], v[16:17]
	v_add_f64 v[2:3], v[2:3], v[12:13]
	s_andn2_b64 exec, exec, s[8:9]
	s_cbranch_execnz .LBB62_25
; %bb.26:
	s_or_b64 exec, exec, s[8:9]
	v_mov_b32_e32 v0, 0
	ds_read_b128 v[8:11], v0 offset:48
	s_waitcnt lgkmcnt(0)
	v_mul_f64 v[16:17], v[2:3], v[10:11]
	v_mul_f64 v[12:13], v[4:5], v[10:11]
	v_fma_f64 v[10:11], v[4:5], v[8:9], -v[16:17]
	v_fmac_f64_e32 v[12:13], v[2:3], v[8:9]
	scratch_store_dwordx4 off, v[10:13], off offset:64
.LBB62_27:
	s_or_b64 exec, exec, s[6:7]
	; wave barrier
	scratch_load_dwordx4 v[2:5], off, s59
	v_cmp_gt_u32_e64 s[4:5], 4, v252
	s_waitcnt vmcnt(0)
	ds_write_b128 v1, v[2:5]
	s_waitcnt lgkmcnt(0)
	; wave barrier
	s_and_saveexec_b64 s[8:9], s[4:5]
	s_cbranch_execz .LBB62_31
; %bb.28:
	v_add_u32_e32 v7, -1, v252
	v_add_u32_e32 v8, 0x3f0, v38
	v_add_u32_e32 v9, 16, v38
	v_mov_b64_e32 v[2:3], 0
	s_mov_b64 s[12:13], 0
	v_mov_b64_e32 v[4:5], 0
.LBB62_29:                              ; =>This Inner Loop Header: Depth=1
	scratch_load_dwordx4 v[10:13], v9, off
	ds_read_b128 v[16:19], v8
	v_add_u32_e32 v7, 1, v7
	v_cmp_lt_u32_e64 s[6:7], 2, v7
	v_add_u32_e32 v8, 16, v8
	v_add_u32_e32 v9, 16, v9
	s_or_b64 s[12:13], s[6:7], s[12:13]
	s_waitcnt vmcnt(0) lgkmcnt(0)
	v_mul_f64 v[20:21], v[18:19], v[12:13]
	v_mul_f64 v[12:13], v[16:17], v[12:13]
	v_fma_f64 v[16:17], v[16:17], v[10:11], -v[20:21]
	v_fmac_f64_e32 v[12:13], v[18:19], v[10:11]
	v_add_f64 v[4:5], v[4:5], v[16:17]
	v_add_f64 v[2:3], v[2:3], v[12:13]
	s_andn2_b64 exec, exec, s[12:13]
	s_cbranch_execnz .LBB62_29
; %bb.30:
	s_or_b64 exec, exec, s[12:13]
	v_mov_b32_e32 v0, 0
	ds_read_b128 v[8:11], v0 offset:64
	s_waitcnt lgkmcnt(0)
	v_mul_f64 v[16:17], v[2:3], v[10:11]
	v_mul_f64 v[12:13], v[4:5], v[10:11]
	v_fma_f64 v[10:11], v[4:5], v[8:9], -v[16:17]
	v_fmac_f64_e32 v[12:13], v[2:3], v[8:9]
	scratch_store_dwordx4 off, v[10:13], off offset:80
.LBB62_31:
	s_or_b64 exec, exec, s[8:9]
	; wave barrier
	scratch_load_dwordx4 v[2:5], off, s60
	v_cmp_gt_u32_e64 s[6:7], 5, v252
	;; [unrolled: 45-line block ×5, first 2 shown]
	s_waitcnt vmcnt(0)
	ds_write_b128 v1, v[2:5]
	s_waitcnt lgkmcnt(0)
	; wave barrier
	s_and_saveexec_b64 s[12:13], s[8:9]
	s_cbranch_execz .LBB62_59
; %bb.44:
	scratch_load_dwordx4 v[2:5], v14, off
	ds_read_b128 v[8:11], v1
	v_cmp_ne_u32_e64 s[8:9], 7, v252
	s_waitcnt vmcnt(0) lgkmcnt(0)
	v_mul_f64 v[12:13], v[10:11], v[4:5]
	v_mul_f64 v[16:17], v[8:9], v[4:5]
	v_fma_f64 v[4:5], v[8:9], v[2:3], -v[12:13]
	v_fmac_f64_e32 v[16:17], v[10:11], v[2:3]
	v_add_f64 v[4:5], v[4:5], 0
	v_add_f64 v[2:3], v[16:17], 0
	s_and_saveexec_b64 s[14:15], s[8:9]
	s_cbranch_execz .LBB62_58
; %bb.45:
	scratch_load_dwordx4 v[8:11], v14, off offset:16
	ds_read_b128 v[16:19], v1 offset:16
	s_waitcnt vmcnt(0) lgkmcnt(0)
	v_mul_f64 v[12:13], v[18:19], v[10:11]
	v_mul_f64 v[10:11], v[16:17], v[10:11]
	v_fma_f64 v[12:13], v[16:17], v[8:9], -v[12:13]
	v_fmac_f64_e32 v[10:11], v[18:19], v[8:9]
	v_add_f64 v[4:5], v[4:5], v[12:13]
	v_add_f64 v[2:3], v[2:3], v[10:11]
	s_and_saveexec_b64 s[8:9], s[6:7]
	s_cbranch_execz .LBB62_57
; %bb.46:
	scratch_load_dwordx4 v[8:11], v14, off offset:32
	ds_read_b128 v[16:19], v1 offset:32
	v_cmp_ne_u32_e64 s[6:7], 5, v252
	s_waitcnt vmcnt(0) lgkmcnt(0)
	v_mul_f64 v[12:13], v[18:19], v[10:11]
	v_mul_f64 v[10:11], v[16:17], v[10:11]
	v_fma_f64 v[12:13], v[16:17], v[8:9], -v[12:13]
	v_fmac_f64_e32 v[10:11], v[18:19], v[8:9]
	v_add_f64 v[4:5], v[4:5], v[12:13]
	v_add_f64 v[2:3], v[2:3], v[10:11]
	s_and_saveexec_b64 s[20:21], s[6:7]
	s_cbranch_execz .LBB62_56
; %bb.47:
	scratch_load_dwordx4 v[8:11], v14, off offset:48
	ds_read_b128 v[16:19], v1 offset:48
	s_waitcnt vmcnt(0) lgkmcnt(0)
	v_mul_f64 v[12:13], v[18:19], v[10:11]
	v_mul_f64 v[10:11], v[16:17], v[10:11]
	v_fma_f64 v[12:13], v[16:17], v[8:9], -v[12:13]
	v_fmac_f64_e32 v[10:11], v[18:19], v[8:9]
	v_add_f64 v[4:5], v[4:5], v[12:13]
	v_add_f64 v[2:3], v[2:3], v[10:11]
	s_and_saveexec_b64 s[6:7], s[4:5]
	s_cbranch_execz .LBB62_55
; %bb.48:
	scratch_load_dwordx4 v[8:11], v14, off offset:64
	ds_read_b128 v[16:19], v1 offset:64
	v_cmp_ne_u32_e64 s[4:5], 3, v252
	s_waitcnt vmcnt(0) lgkmcnt(0)
	v_mul_f64 v[12:13], v[18:19], v[10:11]
	v_mul_f64 v[10:11], v[16:17], v[10:11]
	v_fma_f64 v[12:13], v[16:17], v[8:9], -v[12:13]
	v_fmac_f64_e32 v[10:11], v[18:19], v[8:9]
	v_add_f64 v[4:5], v[4:5], v[12:13]
	v_add_f64 v[2:3], v[2:3], v[10:11]
	s_and_saveexec_b64 s[22:23], s[4:5]
	s_cbranch_execz .LBB62_54
; %bb.49:
	scratch_load_dwordx4 v[8:11], v14, off offset:80
	ds_read_b128 v[16:19], v1 offset:80
	s_waitcnt vmcnt(0) lgkmcnt(0)
	v_mul_f64 v[12:13], v[18:19], v[10:11]
	v_mul_f64 v[10:11], v[16:17], v[10:11]
	v_fma_f64 v[12:13], v[16:17], v[8:9], -v[12:13]
	v_fmac_f64_e32 v[10:11], v[18:19], v[8:9]
	v_add_f64 v[4:5], v[4:5], v[12:13]
	v_add_f64 v[2:3], v[2:3], v[10:11]
	s_and_saveexec_b64 s[4:5], vcc
	s_cbranch_execz .LBB62_53
; %bb.50:
	scratch_load_dwordx4 v[8:11], v14, off offset:96
	ds_read_b128 v[16:19], v1 offset:96
	s_waitcnt vmcnt(0) lgkmcnt(0)
	v_mul_f64 v[12:13], v[18:19], v[10:11]
	v_mul_f64 v[10:11], v[16:17], v[10:11]
	v_fma_f64 v[12:13], v[16:17], v[8:9], -v[12:13]
	v_fmac_f64_e32 v[10:11], v[18:19], v[8:9]
	v_add_f64 v[4:5], v[4:5], v[12:13]
	v_add_f64 v[2:3], v[2:3], v[10:11]
	s_and_saveexec_b64 s[24:25], s[0:1]
	s_cbranch_execz .LBB62_52
; %bb.51:
	scratch_load_dwordx4 v[8:11], v14, off offset:112
	ds_read_b128 v[12:15], v1 offset:112
	s_waitcnt vmcnt(0) lgkmcnt(0)
	v_mul_f64 v[16:17], v[14:15], v[10:11]
	v_mul_f64 v[10:11], v[12:13], v[10:11]
	v_fma_f64 v[12:13], v[12:13], v[8:9], -v[16:17]
	v_fmac_f64_e32 v[10:11], v[14:15], v[8:9]
	v_add_f64 v[4:5], v[4:5], v[12:13]
	v_add_f64 v[2:3], v[2:3], v[10:11]
.LBB62_52:
	s_or_b64 exec, exec, s[24:25]
.LBB62_53:
	s_or_b64 exec, exec, s[4:5]
.LBB62_54:
	s_or_b64 exec, exec, s[22:23]
.LBB62_55:
	s_or_b64 exec, exec, s[6:7]
.LBB62_56:
	s_or_b64 exec, exec, s[20:21]
.LBB62_57:
	s_or_b64 exec, exec, s[8:9]
.LBB62_58:
	s_or_b64 exec, exec, s[14:15]
	v_mov_b32_e32 v0, 0
	ds_read_b128 v[8:11], v0 offset:128
	s_waitcnt lgkmcnt(0)
	v_mul_f64 v[14:15], v[2:3], v[10:11]
	v_mul_f64 v[12:13], v[4:5], v[10:11]
	v_fma_f64 v[10:11], v[4:5], v[8:9], -v[14:15]
	v_fmac_f64_e32 v[12:13], v[2:3], v[8:9]
	scratch_store_dwordx4 off, v[10:13], off offset:144
.LBB62_59:
	s_or_b64 exec, exec, s[12:13]
	; wave barrier
	scratch_load_dwordx4 v[2:5], off, s64
	v_cmp_gt_u32_e32 vcc, 9, v252
	s_waitcnt vmcnt(0)
	ds_write_b128 v1, v[2:5]
	s_waitcnt lgkmcnt(0)
	; wave barrier
	s_and_saveexec_b64 s[0:1], vcc
	s_cbranch_execz .LBB62_63
; %bb.60:
	v_add_u32_e32 v7, -1, v252
	v_add_u32_e32 v8, 0x3f0, v38
	v_add_u32_e32 v9, 16, v38
	v_mov_b64_e32 v[2:3], 0
	s_mov_b64 s[4:5], 0
	v_mov_b64_e32 v[4:5], 0
.LBB62_61:                              ; =>This Inner Loop Header: Depth=1
	scratch_load_dwordx4 v[10:13], v9, off
	ds_read_b128 v[14:17], v8
	v_add_u32_e32 v7, 1, v7
	v_cmp_lt_u32_e32 vcc, 7, v7
	v_add_u32_e32 v8, 16, v8
	v_add_u32_e32 v9, 16, v9
	s_or_b64 s[4:5], vcc, s[4:5]
	s_waitcnt vmcnt(0) lgkmcnt(0)
	v_mul_f64 v[18:19], v[16:17], v[12:13]
	v_mul_f64 v[12:13], v[14:15], v[12:13]
	v_fma_f64 v[14:15], v[14:15], v[10:11], -v[18:19]
	v_fmac_f64_e32 v[12:13], v[16:17], v[10:11]
	v_add_f64 v[4:5], v[4:5], v[14:15]
	v_add_f64 v[2:3], v[2:3], v[12:13]
	s_andn2_b64 exec, exec, s[4:5]
	s_cbranch_execnz .LBB62_61
; %bb.62:
	s_or_b64 exec, exec, s[4:5]
	v_mov_b32_e32 v0, 0
	ds_read_b128 v[8:11], v0 offset:144
	s_waitcnt lgkmcnt(0)
	v_mul_f64 v[14:15], v[2:3], v[10:11]
	v_mul_f64 v[12:13], v[4:5], v[10:11]
	v_fma_f64 v[10:11], v[4:5], v[8:9], -v[14:15]
	v_fmac_f64_e32 v[12:13], v[2:3], v[8:9]
	scratch_store_dwordx4 off, v[10:13], off offset:160
.LBB62_63:
	s_or_b64 exec, exec, s[0:1]
	; wave barrier
	scratch_load_dwordx4 v[2:5], off, s65
	v_cmp_gt_u32_e32 vcc, 10, v252
	s_waitcnt vmcnt(0)
	ds_write_b128 v1, v[2:5]
	s_waitcnt lgkmcnt(0)
	; wave barrier
	s_and_saveexec_b64 s[0:1], vcc
	s_cbranch_execz .LBB62_67
; %bb.64:
	v_add_u32_e32 v7, -1, v252
	v_add_u32_e32 v8, 0x3f0, v38
	v_add_u32_e32 v9, 16, v38
	v_mov_b64_e32 v[2:3], 0
	s_mov_b64 s[4:5], 0
	v_mov_b64_e32 v[4:5], 0
.LBB62_65:                              ; =>This Inner Loop Header: Depth=1
	scratch_load_dwordx4 v[10:13], v9, off
	ds_read_b128 v[14:17], v8
	v_add_u32_e32 v7, 1, v7
	v_cmp_lt_u32_e32 vcc, 8, v7
	v_add_u32_e32 v8, 16, v8
	v_add_u32_e32 v9, 16, v9
	s_or_b64 s[4:5], vcc, s[4:5]
	s_waitcnt vmcnt(0) lgkmcnt(0)
	v_mul_f64 v[18:19], v[16:17], v[12:13]
	v_mul_f64 v[12:13], v[14:15], v[12:13]
	v_fma_f64 v[14:15], v[14:15], v[10:11], -v[18:19]
	v_fmac_f64_e32 v[12:13], v[16:17], v[10:11]
	v_add_f64 v[4:5], v[4:5], v[14:15]
	v_add_f64 v[2:3], v[2:3], v[12:13]
	s_andn2_b64 exec, exec, s[4:5]
	s_cbranch_execnz .LBB62_65
; %bb.66:
	s_or_b64 exec, exec, s[4:5]
	v_mov_b32_e32 v0, 0
	ds_read_b128 v[8:11], v0 offset:160
	s_waitcnt lgkmcnt(0)
	v_mul_f64 v[14:15], v[2:3], v[10:11]
	v_mul_f64 v[12:13], v[4:5], v[10:11]
	v_fma_f64 v[10:11], v[4:5], v[8:9], -v[14:15]
	v_fmac_f64_e32 v[12:13], v[2:3], v[8:9]
	scratch_store_dwordx4 off, v[10:13], off offset:176
.LBB62_67:
	;; [unrolled: 45-line block ×10, first 2 shown]
	s_or_b64 exec, exec, s[0:1]
	; wave barrier
	scratch_load_dwordx4 v[2:5], off, s74
	v_cmp_gt_u32_e32 vcc, 19, v252
	s_waitcnt vmcnt(0)
	ds_write_b128 v1, v[2:5]
	s_waitcnt lgkmcnt(0)
	; wave barrier
	s_and_saveexec_b64 s[0:1], vcc
	s_cbranch_execz .LBB62_103
; %bb.100:
	v_add_u32_e32 v7, -1, v252
	v_add_u32_e32 v8, 0x3f0, v38
	v_add_u32_e32 v9, 16, v38
	v_mov_b64_e32 v[2:3], 0
	s_mov_b64 s[4:5], 0
	v_mov_b64_e32 v[4:5], 0
.LBB62_101:                             ; =>This Inner Loop Header: Depth=1
	scratch_load_dwordx4 v[10:13], v9, off
	ds_read_b128 v[14:17], v8
	v_add_u32_e32 v7, 1, v7
	v_cmp_lt_u32_e32 vcc, 17, v7
	v_add_u32_e32 v8, 16, v8
	v_add_u32_e32 v9, 16, v9
	s_or_b64 s[4:5], vcc, s[4:5]
	s_waitcnt vmcnt(0) lgkmcnt(0)
	v_mul_f64 v[18:19], v[16:17], v[12:13]
	v_mul_f64 v[12:13], v[14:15], v[12:13]
	v_fma_f64 v[14:15], v[14:15], v[10:11], -v[18:19]
	v_fmac_f64_e32 v[12:13], v[16:17], v[10:11]
	v_add_f64 v[4:5], v[4:5], v[14:15]
	v_add_f64 v[2:3], v[2:3], v[12:13]
	s_andn2_b64 exec, exec, s[4:5]
	s_cbranch_execnz .LBB62_101
; %bb.102:
	s_or_b64 exec, exec, s[4:5]
	v_mov_b32_e32 v0, 0
	ds_read_b128 v[8:11], v0 offset:304
	s_waitcnt lgkmcnt(0)
	v_mul_f64 v[14:15], v[2:3], v[10:11]
	v_mul_f64 v[12:13], v[4:5], v[10:11]
	v_fma_f64 v[10:11], v[4:5], v[8:9], -v[14:15]
	v_fmac_f64_e32 v[12:13], v[2:3], v[8:9]
	scratch_store_dwordx4 off, v[10:13], off offset:320
.LBB62_103:
	s_or_b64 exec, exec, s[0:1]
	; wave barrier
	scratch_load_dwordx4 v[2:5], off, s75
	v_cmp_gt_u32_e32 vcc, 20, v252
	s_waitcnt vmcnt(0)
	ds_write_b128 v1, v[2:5]
	s_waitcnt lgkmcnt(0)
	; wave barrier
	s_and_saveexec_b64 s[0:1], vcc
	s_cbranch_execz .LBB62_107
; %bb.104:
	v_add_u32_e32 v7, -1, v252
	v_add_u32_e32 v8, 0x3f0, v38
	v_add_u32_e32 v9, 16, v38
	v_mov_b64_e32 v[2:3], 0
	s_mov_b64 s[4:5], 0
	v_mov_b64_e32 v[4:5], 0
.LBB62_105:                             ; =>This Inner Loop Header: Depth=1
	scratch_load_dwordx4 v[10:13], v9, off
	ds_read_b128 v[14:17], v8
	v_add_u32_e32 v7, 1, v7
	v_cmp_lt_u32_e32 vcc, 18, v7
	v_add_u32_e32 v8, 16, v8
	v_add_u32_e32 v9, 16, v9
	s_or_b64 s[4:5], vcc, s[4:5]
	s_waitcnt vmcnt(0) lgkmcnt(0)
	v_mul_f64 v[18:19], v[16:17], v[12:13]
	v_mul_f64 v[12:13], v[14:15], v[12:13]
	v_fma_f64 v[14:15], v[14:15], v[10:11], -v[18:19]
	v_fmac_f64_e32 v[12:13], v[16:17], v[10:11]
	v_add_f64 v[4:5], v[4:5], v[14:15]
	v_add_f64 v[2:3], v[2:3], v[12:13]
	s_andn2_b64 exec, exec, s[4:5]
	s_cbranch_execnz .LBB62_105
; %bb.106:
	s_or_b64 exec, exec, s[4:5]
	v_mov_b32_e32 v0, 0
	ds_read_b128 v[8:11], v0 offset:320
	s_waitcnt lgkmcnt(0)
	v_mul_f64 v[14:15], v[2:3], v[10:11]
	v_mul_f64 v[12:13], v[4:5], v[10:11]
	v_fma_f64 v[10:11], v[4:5], v[8:9], -v[14:15]
	v_fmac_f64_e32 v[12:13], v[2:3], v[8:9]
	scratch_store_dwordx4 off, v[10:13], off offset:336
.LBB62_107:
	s_or_b64 exec, exec, s[0:1]
	; wave barrier
	scratch_load_dwordx4 v[2:5], off, s76
	v_cmp_gt_u32_e32 vcc, 21, v252
	s_waitcnt vmcnt(0)
	ds_write_b128 v1, v[2:5]
	s_waitcnt lgkmcnt(0)
	; wave barrier
	s_and_saveexec_b64 s[0:1], vcc
	s_cbranch_execz .LBB62_111
; %bb.108:
	v_add_u32_e32 v7, -1, v252
	v_add_u32_e32 v8, 0x3f0, v38
	v_add_u32_e32 v9, 16, v38
	v_mov_b64_e32 v[2:3], 0
	s_mov_b64 s[4:5], 0
	v_mov_b64_e32 v[4:5], 0
.LBB62_109:                             ; =>This Inner Loop Header: Depth=1
	scratch_load_dwordx4 v[10:13], v9, off
	ds_read_b128 v[14:17], v8
	v_add_u32_e32 v7, 1, v7
	v_cmp_lt_u32_e32 vcc, 19, v7
	v_add_u32_e32 v8, 16, v8
	v_add_u32_e32 v9, 16, v9
	s_or_b64 s[4:5], vcc, s[4:5]
	s_waitcnt vmcnt(0) lgkmcnt(0)
	v_mul_f64 v[18:19], v[16:17], v[12:13]
	v_mul_f64 v[12:13], v[14:15], v[12:13]
	v_fma_f64 v[14:15], v[14:15], v[10:11], -v[18:19]
	v_fmac_f64_e32 v[12:13], v[16:17], v[10:11]
	v_add_f64 v[4:5], v[4:5], v[14:15]
	v_add_f64 v[2:3], v[2:3], v[12:13]
	s_andn2_b64 exec, exec, s[4:5]
	s_cbranch_execnz .LBB62_109
; %bb.110:
	s_or_b64 exec, exec, s[4:5]
	v_mov_b32_e32 v0, 0
	ds_read_b128 v[8:11], v0 offset:336
	s_waitcnt lgkmcnt(0)
	v_mul_f64 v[14:15], v[2:3], v[10:11]
	v_mul_f64 v[12:13], v[4:5], v[10:11]
	v_fma_f64 v[10:11], v[4:5], v[8:9], -v[14:15]
	v_fmac_f64_e32 v[12:13], v[2:3], v[8:9]
	scratch_store_dwordx4 off, v[10:13], off offset:352
.LBB62_111:
	s_or_b64 exec, exec, s[0:1]
	; wave barrier
	scratch_load_dwordx4 v[2:5], off, s77
	v_cmp_gt_u32_e32 vcc, 22, v252
	s_waitcnt vmcnt(0)
	ds_write_b128 v1, v[2:5]
	s_waitcnt lgkmcnt(0)
	; wave barrier
	s_and_saveexec_b64 s[0:1], vcc
	s_cbranch_execz .LBB62_115
; %bb.112:
	v_add_u32_e32 v7, -1, v252
	v_add_u32_e32 v8, 0x3f0, v38
	v_add_u32_e32 v9, 16, v38
	v_mov_b64_e32 v[2:3], 0
	s_mov_b64 s[4:5], 0
	v_mov_b64_e32 v[4:5], 0
.LBB62_113:                             ; =>This Inner Loop Header: Depth=1
	scratch_load_dwordx4 v[10:13], v9, off
	ds_read_b128 v[14:17], v8
	v_add_u32_e32 v7, 1, v7
	v_cmp_lt_u32_e32 vcc, 20, v7
	v_add_u32_e32 v8, 16, v8
	v_add_u32_e32 v9, 16, v9
	s_or_b64 s[4:5], vcc, s[4:5]
	s_waitcnt vmcnt(0) lgkmcnt(0)
	v_mul_f64 v[18:19], v[16:17], v[12:13]
	v_mul_f64 v[12:13], v[14:15], v[12:13]
	v_fma_f64 v[14:15], v[14:15], v[10:11], -v[18:19]
	v_fmac_f64_e32 v[12:13], v[16:17], v[10:11]
	v_add_f64 v[4:5], v[4:5], v[14:15]
	v_add_f64 v[2:3], v[2:3], v[12:13]
	s_andn2_b64 exec, exec, s[4:5]
	s_cbranch_execnz .LBB62_113
; %bb.114:
	s_or_b64 exec, exec, s[4:5]
	v_mov_b32_e32 v0, 0
	ds_read_b128 v[8:11], v0 offset:352
	s_waitcnt lgkmcnt(0)
	v_mul_f64 v[14:15], v[2:3], v[10:11]
	v_mul_f64 v[12:13], v[4:5], v[10:11]
	v_fma_f64 v[10:11], v[4:5], v[8:9], -v[14:15]
	v_fmac_f64_e32 v[12:13], v[2:3], v[8:9]
	scratch_store_dwordx4 off, v[10:13], off offset:368
.LBB62_115:
	s_or_b64 exec, exec, s[0:1]
	; wave barrier
	scratch_load_dwordx4 v[2:5], off, s78
	v_cmp_gt_u32_e32 vcc, 23, v252
	s_waitcnt vmcnt(0)
	ds_write_b128 v1, v[2:5]
	s_waitcnt lgkmcnt(0)
	; wave barrier
	s_and_saveexec_b64 s[0:1], vcc
	s_cbranch_execz .LBB62_119
; %bb.116:
	v_add_u32_e32 v7, -1, v252
	v_add_u32_e32 v8, 0x3f0, v38
	v_add_u32_e32 v9, 16, v38
	v_mov_b64_e32 v[2:3], 0
	s_mov_b64 s[4:5], 0
	v_mov_b64_e32 v[4:5], 0
.LBB62_117:                             ; =>This Inner Loop Header: Depth=1
	scratch_load_dwordx4 v[10:13], v9, off
	ds_read_b128 v[14:17], v8
	v_add_u32_e32 v7, 1, v7
	v_cmp_lt_u32_e32 vcc, 21, v7
	v_add_u32_e32 v8, 16, v8
	v_add_u32_e32 v9, 16, v9
	s_or_b64 s[4:5], vcc, s[4:5]
	s_waitcnt vmcnt(0) lgkmcnt(0)
	v_mul_f64 v[18:19], v[16:17], v[12:13]
	v_mul_f64 v[12:13], v[14:15], v[12:13]
	v_fma_f64 v[14:15], v[14:15], v[10:11], -v[18:19]
	v_fmac_f64_e32 v[12:13], v[16:17], v[10:11]
	v_add_f64 v[4:5], v[4:5], v[14:15]
	v_add_f64 v[2:3], v[2:3], v[12:13]
	s_andn2_b64 exec, exec, s[4:5]
	s_cbranch_execnz .LBB62_117
; %bb.118:
	s_or_b64 exec, exec, s[4:5]
	v_mov_b32_e32 v0, 0
	ds_read_b128 v[8:11], v0 offset:368
	s_waitcnt lgkmcnt(0)
	v_mul_f64 v[14:15], v[2:3], v[10:11]
	v_mul_f64 v[12:13], v[4:5], v[10:11]
	v_fma_f64 v[10:11], v[4:5], v[8:9], -v[14:15]
	v_fmac_f64_e32 v[12:13], v[2:3], v[8:9]
	scratch_store_dwordx4 off, v[10:13], off offset:384
.LBB62_119:
	s_or_b64 exec, exec, s[0:1]
	; wave barrier
	scratch_load_dwordx4 v[2:5], off, s79
	v_cmp_gt_u32_e32 vcc, 24, v252
	s_waitcnt vmcnt(0)
	ds_write_b128 v1, v[2:5]
	s_waitcnt lgkmcnt(0)
	; wave barrier
	s_and_saveexec_b64 s[0:1], vcc
	s_cbranch_execz .LBB62_123
; %bb.120:
	v_add_u32_e32 v7, -1, v252
	v_add_u32_e32 v8, 0x3f0, v38
	v_add_u32_e32 v9, 16, v38
	v_mov_b64_e32 v[2:3], 0
	s_mov_b64 s[4:5], 0
	v_mov_b64_e32 v[4:5], 0
.LBB62_121:                             ; =>This Inner Loop Header: Depth=1
	scratch_load_dwordx4 v[10:13], v9, off
	ds_read_b128 v[14:17], v8
	v_add_u32_e32 v7, 1, v7
	v_cmp_lt_u32_e32 vcc, 22, v7
	v_add_u32_e32 v8, 16, v8
	v_add_u32_e32 v9, 16, v9
	s_or_b64 s[4:5], vcc, s[4:5]
	s_waitcnt vmcnt(0) lgkmcnt(0)
	v_mul_f64 v[18:19], v[16:17], v[12:13]
	v_mul_f64 v[12:13], v[14:15], v[12:13]
	v_fma_f64 v[14:15], v[14:15], v[10:11], -v[18:19]
	v_fmac_f64_e32 v[12:13], v[16:17], v[10:11]
	v_add_f64 v[4:5], v[4:5], v[14:15]
	v_add_f64 v[2:3], v[2:3], v[12:13]
	s_andn2_b64 exec, exec, s[4:5]
	s_cbranch_execnz .LBB62_121
; %bb.122:
	s_or_b64 exec, exec, s[4:5]
	v_mov_b32_e32 v0, 0
	ds_read_b128 v[8:11], v0 offset:384
	s_waitcnt lgkmcnt(0)
	v_mul_f64 v[14:15], v[2:3], v[10:11]
	v_mul_f64 v[12:13], v[4:5], v[10:11]
	v_fma_f64 v[10:11], v[4:5], v[8:9], -v[14:15]
	v_fmac_f64_e32 v[12:13], v[2:3], v[8:9]
	scratch_store_dwordx4 off, v[10:13], off offset:400
.LBB62_123:
	s_or_b64 exec, exec, s[0:1]
	; wave barrier
	scratch_load_dwordx4 v[2:5], off, s80
	v_cmp_gt_u32_e32 vcc, 25, v252
	s_waitcnt vmcnt(0)
	ds_write_b128 v1, v[2:5]
	s_waitcnt lgkmcnt(0)
	; wave barrier
	s_and_saveexec_b64 s[0:1], vcc
	s_cbranch_execz .LBB62_127
; %bb.124:
	v_add_u32_e32 v7, -1, v252
	v_add_u32_e32 v8, 0x3f0, v38
	v_add_u32_e32 v9, 16, v38
	v_mov_b64_e32 v[2:3], 0
	s_mov_b64 s[4:5], 0
	v_mov_b64_e32 v[4:5], 0
.LBB62_125:                             ; =>This Inner Loop Header: Depth=1
	scratch_load_dwordx4 v[10:13], v9, off
	ds_read_b128 v[14:17], v8
	v_add_u32_e32 v7, 1, v7
	v_cmp_lt_u32_e32 vcc, 23, v7
	v_add_u32_e32 v8, 16, v8
	v_add_u32_e32 v9, 16, v9
	s_or_b64 s[4:5], vcc, s[4:5]
	s_waitcnt vmcnt(0) lgkmcnt(0)
	v_mul_f64 v[18:19], v[16:17], v[12:13]
	v_mul_f64 v[12:13], v[14:15], v[12:13]
	v_fma_f64 v[14:15], v[14:15], v[10:11], -v[18:19]
	v_fmac_f64_e32 v[12:13], v[16:17], v[10:11]
	v_add_f64 v[4:5], v[4:5], v[14:15]
	v_add_f64 v[2:3], v[2:3], v[12:13]
	s_andn2_b64 exec, exec, s[4:5]
	s_cbranch_execnz .LBB62_125
; %bb.126:
	s_or_b64 exec, exec, s[4:5]
	v_mov_b32_e32 v0, 0
	ds_read_b128 v[8:11], v0 offset:400
	s_waitcnt lgkmcnt(0)
	v_mul_f64 v[14:15], v[2:3], v[10:11]
	v_mul_f64 v[12:13], v[4:5], v[10:11]
	v_fma_f64 v[10:11], v[4:5], v[8:9], -v[14:15]
	v_fmac_f64_e32 v[12:13], v[2:3], v[8:9]
	scratch_store_dwordx4 off, v[10:13], off offset:416
.LBB62_127:
	s_or_b64 exec, exec, s[0:1]
	; wave barrier
	scratch_load_dwordx4 v[2:5], off, s81
	v_cmp_gt_u32_e32 vcc, 26, v252
	s_waitcnt vmcnt(0)
	ds_write_b128 v1, v[2:5]
	s_waitcnt lgkmcnt(0)
	; wave barrier
	s_and_saveexec_b64 s[0:1], vcc
	s_cbranch_execz .LBB62_131
; %bb.128:
	v_add_u32_e32 v7, -1, v252
	v_add_u32_e32 v8, 0x3f0, v38
	v_add_u32_e32 v9, 16, v38
	v_mov_b64_e32 v[2:3], 0
	s_mov_b64 s[4:5], 0
	v_mov_b64_e32 v[4:5], 0
.LBB62_129:                             ; =>This Inner Loop Header: Depth=1
	scratch_load_dwordx4 v[10:13], v9, off
	ds_read_b128 v[14:17], v8
	v_add_u32_e32 v7, 1, v7
	v_cmp_lt_u32_e32 vcc, 24, v7
	v_add_u32_e32 v8, 16, v8
	v_add_u32_e32 v9, 16, v9
	s_or_b64 s[4:5], vcc, s[4:5]
	s_waitcnt vmcnt(0) lgkmcnt(0)
	v_mul_f64 v[18:19], v[16:17], v[12:13]
	v_mul_f64 v[12:13], v[14:15], v[12:13]
	v_fma_f64 v[14:15], v[14:15], v[10:11], -v[18:19]
	v_fmac_f64_e32 v[12:13], v[16:17], v[10:11]
	v_add_f64 v[4:5], v[4:5], v[14:15]
	v_add_f64 v[2:3], v[2:3], v[12:13]
	s_andn2_b64 exec, exec, s[4:5]
	s_cbranch_execnz .LBB62_129
; %bb.130:
	s_or_b64 exec, exec, s[4:5]
	v_mov_b32_e32 v0, 0
	ds_read_b128 v[8:11], v0 offset:416
	s_waitcnt lgkmcnt(0)
	v_mul_f64 v[14:15], v[2:3], v[10:11]
	v_mul_f64 v[12:13], v[4:5], v[10:11]
	v_fma_f64 v[10:11], v[4:5], v[8:9], -v[14:15]
	v_fmac_f64_e32 v[12:13], v[2:3], v[8:9]
	scratch_store_dwordx4 off, v[10:13], off offset:432
.LBB62_131:
	s_or_b64 exec, exec, s[0:1]
	; wave barrier
	scratch_load_dwordx4 v[2:5], off, s82
	v_cmp_gt_u32_e32 vcc, 27, v252
	s_waitcnt vmcnt(0)
	ds_write_b128 v1, v[2:5]
	s_waitcnt lgkmcnt(0)
	; wave barrier
	s_and_saveexec_b64 s[0:1], vcc
	s_cbranch_execz .LBB62_135
; %bb.132:
	v_add_u32_e32 v7, -1, v252
	v_add_u32_e32 v8, 0x3f0, v38
	v_add_u32_e32 v9, 16, v38
	v_mov_b64_e32 v[2:3], 0
	s_mov_b64 s[4:5], 0
	v_mov_b64_e32 v[4:5], 0
.LBB62_133:                             ; =>This Inner Loop Header: Depth=1
	scratch_load_dwordx4 v[10:13], v9, off
	ds_read_b128 v[14:17], v8
	v_add_u32_e32 v7, 1, v7
	v_cmp_lt_u32_e32 vcc, 25, v7
	v_add_u32_e32 v8, 16, v8
	v_add_u32_e32 v9, 16, v9
	s_or_b64 s[4:5], vcc, s[4:5]
	s_waitcnt vmcnt(0) lgkmcnt(0)
	v_mul_f64 v[18:19], v[16:17], v[12:13]
	v_mul_f64 v[12:13], v[14:15], v[12:13]
	v_fma_f64 v[14:15], v[14:15], v[10:11], -v[18:19]
	v_fmac_f64_e32 v[12:13], v[16:17], v[10:11]
	v_add_f64 v[4:5], v[4:5], v[14:15]
	v_add_f64 v[2:3], v[2:3], v[12:13]
	s_andn2_b64 exec, exec, s[4:5]
	s_cbranch_execnz .LBB62_133
; %bb.134:
	s_or_b64 exec, exec, s[4:5]
	v_mov_b32_e32 v0, 0
	ds_read_b128 v[8:11], v0 offset:432
	s_waitcnt lgkmcnt(0)
	v_mul_f64 v[14:15], v[2:3], v[10:11]
	v_mul_f64 v[12:13], v[4:5], v[10:11]
	v_fma_f64 v[10:11], v[4:5], v[8:9], -v[14:15]
	v_fmac_f64_e32 v[12:13], v[2:3], v[8:9]
	scratch_store_dwordx4 off, v[10:13], off offset:448
.LBB62_135:
	s_or_b64 exec, exec, s[0:1]
	; wave barrier
	scratch_load_dwordx4 v[2:5], off, s83
	v_cmp_gt_u32_e32 vcc, 28, v252
	s_waitcnt vmcnt(0)
	ds_write_b128 v1, v[2:5]
	s_waitcnt lgkmcnt(0)
	; wave barrier
	s_and_saveexec_b64 s[0:1], vcc
	s_cbranch_execz .LBB62_139
; %bb.136:
	v_add_u32_e32 v7, -1, v252
	v_add_u32_e32 v8, 0x3f0, v38
	v_add_u32_e32 v9, 16, v38
	v_mov_b64_e32 v[2:3], 0
	s_mov_b64 s[4:5], 0
	v_mov_b64_e32 v[4:5], 0
.LBB62_137:                             ; =>This Inner Loop Header: Depth=1
	scratch_load_dwordx4 v[10:13], v9, off
	ds_read_b128 v[14:17], v8
	v_add_u32_e32 v7, 1, v7
	v_cmp_lt_u32_e32 vcc, 26, v7
	v_add_u32_e32 v8, 16, v8
	v_add_u32_e32 v9, 16, v9
	s_or_b64 s[4:5], vcc, s[4:5]
	s_waitcnt vmcnt(0) lgkmcnt(0)
	v_mul_f64 v[18:19], v[16:17], v[12:13]
	v_mul_f64 v[12:13], v[14:15], v[12:13]
	v_fma_f64 v[14:15], v[14:15], v[10:11], -v[18:19]
	v_fmac_f64_e32 v[12:13], v[16:17], v[10:11]
	v_add_f64 v[4:5], v[4:5], v[14:15]
	v_add_f64 v[2:3], v[2:3], v[12:13]
	s_andn2_b64 exec, exec, s[4:5]
	s_cbranch_execnz .LBB62_137
; %bb.138:
	s_or_b64 exec, exec, s[4:5]
	v_mov_b32_e32 v0, 0
	ds_read_b128 v[8:11], v0 offset:448
	s_waitcnt lgkmcnt(0)
	v_mul_f64 v[14:15], v[2:3], v[10:11]
	v_mul_f64 v[12:13], v[4:5], v[10:11]
	v_fma_f64 v[10:11], v[4:5], v[8:9], -v[14:15]
	v_fmac_f64_e32 v[12:13], v[2:3], v[8:9]
	scratch_store_dwordx4 off, v[10:13], off offset:464
.LBB62_139:
	s_or_b64 exec, exec, s[0:1]
	; wave barrier
	scratch_load_dwordx4 v[2:5], off, s84
	v_cmp_gt_u32_e32 vcc, 29, v252
	s_waitcnt vmcnt(0)
	ds_write_b128 v1, v[2:5]
	s_waitcnt lgkmcnt(0)
	; wave barrier
	s_and_saveexec_b64 s[0:1], vcc
	s_cbranch_execz .LBB62_143
; %bb.140:
	v_add_u32_e32 v7, -1, v252
	v_add_u32_e32 v8, 0x3f0, v38
	v_add_u32_e32 v9, 16, v38
	v_mov_b64_e32 v[2:3], 0
	s_mov_b64 s[4:5], 0
	v_mov_b64_e32 v[4:5], 0
.LBB62_141:                             ; =>This Inner Loop Header: Depth=1
	scratch_load_dwordx4 v[10:13], v9, off
	ds_read_b128 v[14:17], v8
	v_add_u32_e32 v7, 1, v7
	v_cmp_lt_u32_e32 vcc, 27, v7
	v_add_u32_e32 v8, 16, v8
	v_add_u32_e32 v9, 16, v9
	s_or_b64 s[4:5], vcc, s[4:5]
	s_waitcnt vmcnt(0) lgkmcnt(0)
	v_mul_f64 v[18:19], v[16:17], v[12:13]
	v_mul_f64 v[12:13], v[14:15], v[12:13]
	v_fma_f64 v[14:15], v[14:15], v[10:11], -v[18:19]
	v_fmac_f64_e32 v[12:13], v[16:17], v[10:11]
	v_add_f64 v[4:5], v[4:5], v[14:15]
	v_add_f64 v[2:3], v[2:3], v[12:13]
	s_andn2_b64 exec, exec, s[4:5]
	s_cbranch_execnz .LBB62_141
; %bb.142:
	s_or_b64 exec, exec, s[4:5]
	v_mov_b32_e32 v0, 0
	ds_read_b128 v[8:11], v0 offset:464
	s_waitcnt lgkmcnt(0)
	v_mul_f64 v[14:15], v[2:3], v[10:11]
	v_mul_f64 v[12:13], v[4:5], v[10:11]
	v_fma_f64 v[10:11], v[4:5], v[8:9], -v[14:15]
	v_fmac_f64_e32 v[12:13], v[2:3], v[8:9]
	scratch_store_dwordx4 off, v[10:13], off offset:480
.LBB62_143:
	s_or_b64 exec, exec, s[0:1]
	; wave barrier
	scratch_load_dwordx4 v[2:5], off, s85
	v_cmp_gt_u32_e32 vcc, 30, v252
	s_waitcnt vmcnt(0)
	ds_write_b128 v1, v[2:5]
	s_waitcnt lgkmcnt(0)
	; wave barrier
	s_and_saveexec_b64 s[0:1], vcc
	s_cbranch_execz .LBB62_147
; %bb.144:
	v_add_u32_e32 v7, -1, v252
	v_add_u32_e32 v8, 0x3f0, v38
	v_add_u32_e32 v9, 16, v38
	v_mov_b64_e32 v[2:3], 0
	s_mov_b64 s[4:5], 0
	v_mov_b64_e32 v[4:5], 0
.LBB62_145:                             ; =>This Inner Loop Header: Depth=1
	scratch_load_dwordx4 v[10:13], v9, off
	ds_read_b128 v[14:17], v8
	v_add_u32_e32 v7, 1, v7
	v_cmp_lt_u32_e32 vcc, 28, v7
	v_add_u32_e32 v8, 16, v8
	v_add_u32_e32 v9, 16, v9
	s_or_b64 s[4:5], vcc, s[4:5]
	s_waitcnt vmcnt(0) lgkmcnt(0)
	v_mul_f64 v[18:19], v[16:17], v[12:13]
	v_mul_f64 v[12:13], v[14:15], v[12:13]
	v_fma_f64 v[14:15], v[14:15], v[10:11], -v[18:19]
	v_fmac_f64_e32 v[12:13], v[16:17], v[10:11]
	v_add_f64 v[4:5], v[4:5], v[14:15]
	v_add_f64 v[2:3], v[2:3], v[12:13]
	s_andn2_b64 exec, exec, s[4:5]
	s_cbranch_execnz .LBB62_145
; %bb.146:
	s_or_b64 exec, exec, s[4:5]
	v_mov_b32_e32 v0, 0
	ds_read_b128 v[8:11], v0 offset:480
	s_waitcnt lgkmcnt(0)
	v_mul_f64 v[14:15], v[2:3], v[10:11]
	v_mul_f64 v[12:13], v[4:5], v[10:11]
	v_fma_f64 v[10:11], v[4:5], v[8:9], -v[14:15]
	v_fmac_f64_e32 v[12:13], v[2:3], v[8:9]
	scratch_store_dwordx4 off, v[10:13], off offset:496
.LBB62_147:
	s_or_b64 exec, exec, s[0:1]
	; wave barrier
	scratch_load_dwordx4 v[2:5], off, s57
	v_cmp_gt_u32_e32 vcc, 31, v252
	s_waitcnt vmcnt(0)
	ds_write_b128 v1, v[2:5]
	s_waitcnt lgkmcnt(0)
	; wave barrier
	s_and_saveexec_b64 s[0:1], vcc
	s_cbranch_execz .LBB62_151
; %bb.148:
	v_add_u32_e32 v7, -1, v252
	v_add_u32_e32 v8, 0x3f0, v38
	v_add_u32_e32 v9, 16, v38
	v_mov_b64_e32 v[2:3], 0
	s_mov_b64 s[4:5], 0
	v_mov_b64_e32 v[4:5], 0
.LBB62_149:                             ; =>This Inner Loop Header: Depth=1
	scratch_load_dwordx4 v[10:13], v9, off
	ds_read_b128 v[14:17], v8
	v_add_u32_e32 v7, 1, v7
	v_cmp_lt_u32_e32 vcc, 29, v7
	v_add_u32_e32 v8, 16, v8
	v_add_u32_e32 v9, 16, v9
	s_or_b64 s[4:5], vcc, s[4:5]
	s_waitcnt vmcnt(0) lgkmcnt(0)
	v_mul_f64 v[18:19], v[16:17], v[12:13]
	v_mul_f64 v[12:13], v[14:15], v[12:13]
	v_fma_f64 v[14:15], v[14:15], v[10:11], -v[18:19]
	v_fmac_f64_e32 v[12:13], v[16:17], v[10:11]
	v_add_f64 v[4:5], v[4:5], v[14:15]
	v_add_f64 v[2:3], v[2:3], v[12:13]
	s_andn2_b64 exec, exec, s[4:5]
	s_cbranch_execnz .LBB62_149
; %bb.150:
	s_or_b64 exec, exec, s[4:5]
	v_mov_b32_e32 v0, 0
	ds_read_b128 v[8:11], v0 offset:496
	s_waitcnt lgkmcnt(0)
	v_mul_f64 v[14:15], v[2:3], v[10:11]
	v_mul_f64 v[12:13], v[4:5], v[10:11]
	v_fma_f64 v[10:11], v[4:5], v[8:9], -v[14:15]
	v_fmac_f64_e32 v[12:13], v[2:3], v[8:9]
	scratch_store_dwordx4 off, v[10:13], off offset:512
.LBB62_151:
	s_or_b64 exec, exec, s[0:1]
	; wave barrier
	scratch_load_dwordx4 v[2:5], off, s58
	v_cmp_gt_u32_e32 vcc, 32, v252
	s_waitcnt vmcnt(0)
	ds_write_b128 v1, v[2:5]
	s_waitcnt lgkmcnt(0)
	; wave barrier
	s_and_saveexec_b64 s[0:1], vcc
	s_cbranch_execz .LBB62_155
; %bb.152:
	v_add_u32_e32 v7, -1, v252
	v_add_u32_e32 v8, 0x3f0, v38
	v_add_u32_e32 v9, 16, v38
	v_mov_b64_e32 v[2:3], 0
	s_mov_b64 s[4:5], 0
	v_mov_b64_e32 v[4:5], 0
.LBB62_153:                             ; =>This Inner Loop Header: Depth=1
	scratch_load_dwordx4 v[10:13], v9, off
	ds_read_b128 v[14:17], v8
	v_add_u32_e32 v7, 1, v7
	v_cmp_lt_u32_e32 vcc, 30, v7
	v_add_u32_e32 v8, 16, v8
	v_add_u32_e32 v9, 16, v9
	s_or_b64 s[4:5], vcc, s[4:5]
	s_waitcnt vmcnt(0) lgkmcnt(0)
	v_mul_f64 v[18:19], v[16:17], v[12:13]
	v_mul_f64 v[12:13], v[14:15], v[12:13]
	v_fma_f64 v[14:15], v[14:15], v[10:11], -v[18:19]
	v_fmac_f64_e32 v[12:13], v[16:17], v[10:11]
	v_add_f64 v[4:5], v[4:5], v[14:15]
	v_add_f64 v[2:3], v[2:3], v[12:13]
	s_andn2_b64 exec, exec, s[4:5]
	s_cbranch_execnz .LBB62_153
; %bb.154:
	s_or_b64 exec, exec, s[4:5]
	v_mov_b32_e32 v0, 0
	ds_read_b128 v[8:11], v0 offset:512
	s_waitcnt lgkmcnt(0)
	v_mul_f64 v[14:15], v[2:3], v[10:11]
	v_mul_f64 v[12:13], v[4:5], v[10:11]
	v_fma_f64 v[10:11], v[4:5], v[8:9], -v[14:15]
	v_fmac_f64_e32 v[12:13], v[2:3], v[8:9]
	scratch_store_dwordx4 off, v[10:13], off offset:528
.LBB62_155:
	s_or_b64 exec, exec, s[0:1]
	; wave barrier
	scratch_load_dwordx4 v[2:5], off, s55
	v_cmp_gt_u32_e32 vcc, 33, v252
	s_waitcnt vmcnt(0)
	ds_write_b128 v1, v[2:5]
	s_waitcnt lgkmcnt(0)
	; wave barrier
	s_and_saveexec_b64 s[0:1], vcc
	s_cbranch_execz .LBB62_159
; %bb.156:
	v_add_u32_e32 v7, -1, v252
	v_add_u32_e32 v8, 0x3f0, v38
	v_add_u32_e32 v9, 16, v38
	v_mov_b64_e32 v[2:3], 0
	s_mov_b64 s[4:5], 0
	v_mov_b64_e32 v[4:5], 0
.LBB62_157:                             ; =>This Inner Loop Header: Depth=1
	scratch_load_dwordx4 v[10:13], v9, off
	ds_read_b128 v[14:17], v8
	v_add_u32_e32 v7, 1, v7
	v_cmp_lt_u32_e32 vcc, 31, v7
	v_add_u32_e32 v8, 16, v8
	v_add_u32_e32 v9, 16, v9
	s_or_b64 s[4:5], vcc, s[4:5]
	s_waitcnt vmcnt(0) lgkmcnt(0)
	v_mul_f64 v[18:19], v[16:17], v[12:13]
	v_mul_f64 v[12:13], v[14:15], v[12:13]
	v_fma_f64 v[14:15], v[14:15], v[10:11], -v[18:19]
	v_fmac_f64_e32 v[12:13], v[16:17], v[10:11]
	v_add_f64 v[4:5], v[4:5], v[14:15]
	v_add_f64 v[2:3], v[2:3], v[12:13]
	s_andn2_b64 exec, exec, s[4:5]
	s_cbranch_execnz .LBB62_157
; %bb.158:
	s_or_b64 exec, exec, s[4:5]
	v_mov_b32_e32 v0, 0
	ds_read_b128 v[8:11], v0 offset:528
	s_waitcnt lgkmcnt(0)
	v_mul_f64 v[14:15], v[2:3], v[10:11]
	v_mul_f64 v[12:13], v[4:5], v[10:11]
	v_fma_f64 v[10:11], v[4:5], v[8:9], -v[14:15]
	v_fmac_f64_e32 v[12:13], v[2:3], v[8:9]
	scratch_store_dwordx4 off, v[10:13], off offset:544
.LBB62_159:
	s_or_b64 exec, exec, s[0:1]
	; wave barrier
	scratch_load_dwordx4 v[2:5], off, s56
	v_cmp_gt_u32_e32 vcc, 34, v252
	s_waitcnt vmcnt(0)
	ds_write_b128 v1, v[2:5]
	s_waitcnt lgkmcnt(0)
	; wave barrier
	s_and_saveexec_b64 s[0:1], vcc
	s_cbranch_execz .LBB62_163
; %bb.160:
	v_add_u32_e32 v7, -1, v252
	v_add_u32_e32 v8, 0x3f0, v38
	v_add_u32_e32 v9, 16, v38
	v_mov_b64_e32 v[2:3], 0
	s_mov_b64 s[4:5], 0
	v_mov_b64_e32 v[4:5], 0
.LBB62_161:                             ; =>This Inner Loop Header: Depth=1
	scratch_load_dwordx4 v[10:13], v9, off
	ds_read_b128 v[14:17], v8
	v_add_u32_e32 v7, 1, v7
	v_cmp_lt_u32_e32 vcc, 32, v7
	v_add_u32_e32 v8, 16, v8
	v_add_u32_e32 v9, 16, v9
	s_or_b64 s[4:5], vcc, s[4:5]
	s_waitcnt vmcnt(0) lgkmcnt(0)
	v_mul_f64 v[18:19], v[16:17], v[12:13]
	v_mul_f64 v[12:13], v[14:15], v[12:13]
	v_fma_f64 v[14:15], v[14:15], v[10:11], -v[18:19]
	v_fmac_f64_e32 v[12:13], v[16:17], v[10:11]
	v_add_f64 v[4:5], v[4:5], v[14:15]
	v_add_f64 v[2:3], v[2:3], v[12:13]
	s_andn2_b64 exec, exec, s[4:5]
	s_cbranch_execnz .LBB62_161
; %bb.162:
	s_or_b64 exec, exec, s[4:5]
	v_mov_b32_e32 v0, 0
	ds_read_b128 v[8:11], v0 offset:544
	s_waitcnt lgkmcnt(0)
	v_mul_f64 v[14:15], v[2:3], v[10:11]
	v_mul_f64 v[12:13], v[4:5], v[10:11]
	v_fma_f64 v[10:11], v[4:5], v[8:9], -v[14:15]
	v_fmac_f64_e32 v[12:13], v[2:3], v[8:9]
	scratch_store_dwordx4 off, v[10:13], off offset:560
.LBB62_163:
	s_or_b64 exec, exec, s[0:1]
	; wave barrier
	scratch_load_dwordx4 v[2:5], off, s53
	v_cmp_gt_u32_e32 vcc, 35, v252
	s_waitcnt vmcnt(0)
	ds_write_b128 v1, v[2:5]
	s_waitcnt lgkmcnt(0)
	; wave barrier
	s_and_saveexec_b64 s[0:1], vcc
	s_cbranch_execz .LBB62_167
; %bb.164:
	v_add_u32_e32 v7, -1, v252
	v_add_u32_e32 v8, 0x3f0, v38
	v_add_u32_e32 v9, 16, v38
	v_mov_b64_e32 v[2:3], 0
	s_mov_b64 s[4:5], 0
	v_mov_b64_e32 v[4:5], 0
.LBB62_165:                             ; =>This Inner Loop Header: Depth=1
	scratch_load_dwordx4 v[10:13], v9, off
	ds_read_b128 v[14:17], v8
	v_add_u32_e32 v7, 1, v7
	v_cmp_lt_u32_e32 vcc, 33, v7
	v_add_u32_e32 v8, 16, v8
	v_add_u32_e32 v9, 16, v9
	s_or_b64 s[4:5], vcc, s[4:5]
	s_waitcnt vmcnt(0) lgkmcnt(0)
	v_mul_f64 v[18:19], v[16:17], v[12:13]
	v_mul_f64 v[12:13], v[14:15], v[12:13]
	v_fma_f64 v[14:15], v[14:15], v[10:11], -v[18:19]
	v_fmac_f64_e32 v[12:13], v[16:17], v[10:11]
	v_add_f64 v[4:5], v[4:5], v[14:15]
	v_add_f64 v[2:3], v[2:3], v[12:13]
	s_andn2_b64 exec, exec, s[4:5]
	s_cbranch_execnz .LBB62_165
; %bb.166:
	s_or_b64 exec, exec, s[4:5]
	v_mov_b32_e32 v0, 0
	ds_read_b128 v[8:11], v0 offset:560
	s_waitcnt lgkmcnt(0)
	v_mul_f64 v[14:15], v[2:3], v[10:11]
	v_mul_f64 v[12:13], v[4:5], v[10:11]
	v_fma_f64 v[10:11], v[4:5], v[8:9], -v[14:15]
	v_fmac_f64_e32 v[12:13], v[2:3], v[8:9]
	scratch_store_dwordx4 off, v[10:13], off offset:576
.LBB62_167:
	s_or_b64 exec, exec, s[0:1]
	; wave barrier
	scratch_load_dwordx4 v[2:5], off, s54
	v_cmp_gt_u32_e32 vcc, 36, v252
	s_waitcnt vmcnt(0)
	ds_write_b128 v1, v[2:5]
	s_waitcnt lgkmcnt(0)
	; wave barrier
	s_and_saveexec_b64 s[0:1], vcc
	s_cbranch_execz .LBB62_171
; %bb.168:
	v_add_u32_e32 v7, -1, v252
	v_add_u32_e32 v8, 0x3f0, v38
	v_add_u32_e32 v9, 16, v38
	v_mov_b64_e32 v[2:3], 0
	s_mov_b64 s[4:5], 0
	v_mov_b64_e32 v[4:5], 0
.LBB62_169:                             ; =>This Inner Loop Header: Depth=1
	scratch_load_dwordx4 v[10:13], v9, off
	ds_read_b128 v[14:17], v8
	v_add_u32_e32 v7, 1, v7
	v_cmp_lt_u32_e32 vcc, 34, v7
	v_add_u32_e32 v8, 16, v8
	v_add_u32_e32 v9, 16, v9
	s_or_b64 s[4:5], vcc, s[4:5]
	s_waitcnt vmcnt(0) lgkmcnt(0)
	v_mul_f64 v[18:19], v[16:17], v[12:13]
	v_mul_f64 v[12:13], v[14:15], v[12:13]
	v_fma_f64 v[14:15], v[14:15], v[10:11], -v[18:19]
	v_fmac_f64_e32 v[12:13], v[16:17], v[10:11]
	v_add_f64 v[4:5], v[4:5], v[14:15]
	v_add_f64 v[2:3], v[2:3], v[12:13]
	s_andn2_b64 exec, exec, s[4:5]
	s_cbranch_execnz .LBB62_169
; %bb.170:
	s_or_b64 exec, exec, s[4:5]
	v_mov_b32_e32 v0, 0
	ds_read_b128 v[8:11], v0 offset:576
	s_waitcnt lgkmcnt(0)
	v_mul_f64 v[14:15], v[2:3], v[10:11]
	v_mul_f64 v[12:13], v[4:5], v[10:11]
	v_fma_f64 v[10:11], v[4:5], v[8:9], -v[14:15]
	v_fmac_f64_e32 v[12:13], v[2:3], v[8:9]
	scratch_store_dwordx4 off, v[10:13], off offset:592
.LBB62_171:
	s_or_b64 exec, exec, s[0:1]
	; wave barrier
	scratch_load_dwordx4 v[2:5], off, s51
	v_cmp_gt_u32_e32 vcc, 37, v252
	s_waitcnt vmcnt(0)
	ds_write_b128 v1, v[2:5]
	s_waitcnt lgkmcnt(0)
	; wave barrier
	s_and_saveexec_b64 s[0:1], vcc
	s_cbranch_execz .LBB62_175
; %bb.172:
	v_add_u32_e32 v7, -1, v252
	v_add_u32_e32 v8, 0x3f0, v38
	v_add_u32_e32 v9, 16, v38
	v_mov_b64_e32 v[2:3], 0
	s_mov_b64 s[4:5], 0
	v_mov_b64_e32 v[4:5], 0
.LBB62_173:                             ; =>This Inner Loop Header: Depth=1
	scratch_load_dwordx4 v[10:13], v9, off
	ds_read_b128 v[14:17], v8
	v_add_u32_e32 v7, 1, v7
	v_cmp_lt_u32_e32 vcc, 35, v7
	v_add_u32_e32 v8, 16, v8
	v_add_u32_e32 v9, 16, v9
	s_or_b64 s[4:5], vcc, s[4:5]
	s_waitcnt vmcnt(0) lgkmcnt(0)
	v_mul_f64 v[18:19], v[16:17], v[12:13]
	v_mul_f64 v[12:13], v[14:15], v[12:13]
	v_fma_f64 v[14:15], v[14:15], v[10:11], -v[18:19]
	v_fmac_f64_e32 v[12:13], v[16:17], v[10:11]
	v_add_f64 v[4:5], v[4:5], v[14:15]
	v_add_f64 v[2:3], v[2:3], v[12:13]
	s_andn2_b64 exec, exec, s[4:5]
	s_cbranch_execnz .LBB62_173
; %bb.174:
	s_or_b64 exec, exec, s[4:5]
	v_mov_b32_e32 v0, 0
	ds_read_b128 v[8:11], v0 offset:592
	s_waitcnt lgkmcnt(0)
	v_mul_f64 v[14:15], v[2:3], v[10:11]
	v_mul_f64 v[12:13], v[4:5], v[10:11]
	v_fma_f64 v[10:11], v[4:5], v[8:9], -v[14:15]
	v_fmac_f64_e32 v[12:13], v[2:3], v[8:9]
	scratch_store_dwordx4 off, v[10:13], off offset:608
.LBB62_175:
	s_or_b64 exec, exec, s[0:1]
	; wave barrier
	scratch_load_dwordx4 v[2:5], off, s52
	v_cmp_gt_u32_e32 vcc, 38, v252
	s_waitcnt vmcnt(0)
	ds_write_b128 v1, v[2:5]
	s_waitcnt lgkmcnt(0)
	; wave barrier
	s_and_saveexec_b64 s[0:1], vcc
	s_cbranch_execz .LBB62_179
; %bb.176:
	v_add_u32_e32 v7, -1, v252
	v_add_u32_e32 v8, 0x3f0, v38
	v_add_u32_e32 v9, 16, v38
	v_mov_b64_e32 v[2:3], 0
	s_mov_b64 s[4:5], 0
	v_mov_b64_e32 v[4:5], 0
.LBB62_177:                             ; =>This Inner Loop Header: Depth=1
	scratch_load_dwordx4 v[10:13], v9, off
	ds_read_b128 v[14:17], v8
	v_add_u32_e32 v7, 1, v7
	v_cmp_lt_u32_e32 vcc, 36, v7
	v_add_u32_e32 v8, 16, v8
	v_add_u32_e32 v9, 16, v9
	s_or_b64 s[4:5], vcc, s[4:5]
	s_waitcnt vmcnt(0) lgkmcnt(0)
	v_mul_f64 v[18:19], v[16:17], v[12:13]
	v_mul_f64 v[12:13], v[14:15], v[12:13]
	v_fma_f64 v[14:15], v[14:15], v[10:11], -v[18:19]
	v_fmac_f64_e32 v[12:13], v[16:17], v[10:11]
	v_add_f64 v[4:5], v[4:5], v[14:15]
	v_add_f64 v[2:3], v[2:3], v[12:13]
	s_andn2_b64 exec, exec, s[4:5]
	s_cbranch_execnz .LBB62_177
; %bb.178:
	s_or_b64 exec, exec, s[4:5]
	v_mov_b32_e32 v0, 0
	ds_read_b128 v[8:11], v0 offset:608
	s_waitcnt lgkmcnt(0)
	v_mul_f64 v[14:15], v[2:3], v[10:11]
	v_mul_f64 v[12:13], v[4:5], v[10:11]
	v_fma_f64 v[10:11], v[4:5], v[8:9], -v[14:15]
	v_fmac_f64_e32 v[12:13], v[2:3], v[8:9]
	scratch_store_dwordx4 off, v[10:13], off offset:624
.LBB62_179:
	s_or_b64 exec, exec, s[0:1]
	; wave barrier
	scratch_load_dwordx4 v[2:5], off, s49
	v_cmp_gt_u32_e32 vcc, 39, v252
	s_waitcnt vmcnt(0)
	ds_write_b128 v1, v[2:5]
	s_waitcnt lgkmcnt(0)
	; wave barrier
	s_and_saveexec_b64 s[0:1], vcc
	s_cbranch_execz .LBB62_183
; %bb.180:
	v_add_u32_e32 v7, -1, v252
	v_add_u32_e32 v8, 0x3f0, v38
	v_add_u32_e32 v9, 16, v38
	v_mov_b64_e32 v[2:3], 0
	s_mov_b64 s[4:5], 0
	v_mov_b64_e32 v[4:5], 0
.LBB62_181:                             ; =>This Inner Loop Header: Depth=1
	scratch_load_dwordx4 v[10:13], v9, off
	ds_read_b128 v[14:17], v8
	v_add_u32_e32 v7, 1, v7
	v_cmp_lt_u32_e32 vcc, 37, v7
	v_add_u32_e32 v8, 16, v8
	v_add_u32_e32 v9, 16, v9
	s_or_b64 s[4:5], vcc, s[4:5]
	s_waitcnt vmcnt(0) lgkmcnt(0)
	v_mul_f64 v[18:19], v[16:17], v[12:13]
	v_mul_f64 v[12:13], v[14:15], v[12:13]
	v_fma_f64 v[14:15], v[14:15], v[10:11], -v[18:19]
	v_fmac_f64_e32 v[12:13], v[16:17], v[10:11]
	v_add_f64 v[4:5], v[4:5], v[14:15]
	v_add_f64 v[2:3], v[2:3], v[12:13]
	s_andn2_b64 exec, exec, s[4:5]
	s_cbranch_execnz .LBB62_181
; %bb.182:
	s_or_b64 exec, exec, s[4:5]
	v_mov_b32_e32 v0, 0
	ds_read_b128 v[8:11], v0 offset:624
	s_waitcnt lgkmcnt(0)
	v_mul_f64 v[14:15], v[2:3], v[10:11]
	v_mul_f64 v[12:13], v[4:5], v[10:11]
	v_fma_f64 v[10:11], v[4:5], v[8:9], -v[14:15]
	v_fmac_f64_e32 v[12:13], v[2:3], v[8:9]
	scratch_store_dwordx4 off, v[10:13], off offset:640
.LBB62_183:
	s_or_b64 exec, exec, s[0:1]
	; wave barrier
	scratch_load_dwordx4 v[2:5], off, s50
	v_cmp_gt_u32_e32 vcc, 40, v252
	s_waitcnt vmcnt(0)
	ds_write_b128 v1, v[2:5]
	s_waitcnt lgkmcnt(0)
	; wave barrier
	s_and_saveexec_b64 s[0:1], vcc
	s_cbranch_execz .LBB62_187
; %bb.184:
	v_add_u32_e32 v7, -1, v252
	v_add_u32_e32 v8, 0x3f0, v38
	v_add_u32_e32 v9, 16, v38
	v_mov_b64_e32 v[2:3], 0
	s_mov_b64 s[4:5], 0
	v_mov_b64_e32 v[4:5], 0
.LBB62_185:                             ; =>This Inner Loop Header: Depth=1
	scratch_load_dwordx4 v[10:13], v9, off
	ds_read_b128 v[14:17], v8
	v_add_u32_e32 v7, 1, v7
	v_cmp_lt_u32_e32 vcc, 38, v7
	v_add_u32_e32 v8, 16, v8
	v_add_u32_e32 v9, 16, v9
	s_or_b64 s[4:5], vcc, s[4:5]
	s_waitcnt vmcnt(0) lgkmcnt(0)
	v_mul_f64 v[18:19], v[16:17], v[12:13]
	v_mul_f64 v[12:13], v[14:15], v[12:13]
	v_fma_f64 v[14:15], v[14:15], v[10:11], -v[18:19]
	v_fmac_f64_e32 v[12:13], v[16:17], v[10:11]
	v_add_f64 v[4:5], v[4:5], v[14:15]
	v_add_f64 v[2:3], v[2:3], v[12:13]
	s_andn2_b64 exec, exec, s[4:5]
	s_cbranch_execnz .LBB62_185
; %bb.186:
	s_or_b64 exec, exec, s[4:5]
	v_mov_b32_e32 v0, 0
	ds_read_b128 v[8:11], v0 offset:640
	s_waitcnt lgkmcnt(0)
	v_mul_f64 v[14:15], v[2:3], v[10:11]
	v_mul_f64 v[12:13], v[4:5], v[10:11]
	v_fma_f64 v[10:11], v[4:5], v[8:9], -v[14:15]
	v_fmac_f64_e32 v[12:13], v[2:3], v[8:9]
	scratch_store_dwordx4 off, v[10:13], off offset:656
.LBB62_187:
	s_or_b64 exec, exec, s[0:1]
	; wave barrier
	scratch_load_dwordx4 v[2:5], off, s47
	v_cmp_gt_u32_e32 vcc, 41, v252
	s_waitcnt vmcnt(0)
	ds_write_b128 v1, v[2:5]
	s_waitcnt lgkmcnt(0)
	; wave barrier
	s_and_saveexec_b64 s[0:1], vcc
	s_cbranch_execz .LBB62_191
; %bb.188:
	v_add_u32_e32 v7, -1, v252
	v_add_u32_e32 v8, 0x3f0, v38
	v_add_u32_e32 v9, 16, v38
	v_mov_b64_e32 v[2:3], 0
	s_mov_b64 s[4:5], 0
	v_mov_b64_e32 v[4:5], 0
.LBB62_189:                             ; =>This Inner Loop Header: Depth=1
	scratch_load_dwordx4 v[10:13], v9, off
	ds_read_b128 v[14:17], v8
	v_add_u32_e32 v7, 1, v7
	v_cmp_lt_u32_e32 vcc, 39, v7
	v_add_u32_e32 v8, 16, v8
	v_add_u32_e32 v9, 16, v9
	s_or_b64 s[4:5], vcc, s[4:5]
	s_waitcnt vmcnt(0) lgkmcnt(0)
	v_mul_f64 v[18:19], v[16:17], v[12:13]
	v_mul_f64 v[12:13], v[14:15], v[12:13]
	v_fma_f64 v[14:15], v[14:15], v[10:11], -v[18:19]
	v_fmac_f64_e32 v[12:13], v[16:17], v[10:11]
	v_add_f64 v[4:5], v[4:5], v[14:15]
	v_add_f64 v[2:3], v[2:3], v[12:13]
	s_andn2_b64 exec, exec, s[4:5]
	s_cbranch_execnz .LBB62_189
; %bb.190:
	s_or_b64 exec, exec, s[4:5]
	v_mov_b32_e32 v0, 0
	ds_read_b128 v[8:11], v0 offset:656
	s_waitcnt lgkmcnt(0)
	v_mul_f64 v[14:15], v[2:3], v[10:11]
	v_mul_f64 v[12:13], v[4:5], v[10:11]
	v_fma_f64 v[10:11], v[4:5], v[8:9], -v[14:15]
	v_fmac_f64_e32 v[12:13], v[2:3], v[8:9]
	scratch_store_dwordx4 off, v[10:13], off offset:672
.LBB62_191:
	s_or_b64 exec, exec, s[0:1]
	; wave barrier
	scratch_load_dwordx4 v[2:5], off, s48
	v_cmp_gt_u32_e32 vcc, 42, v252
	s_waitcnt vmcnt(0)
	ds_write_b128 v1, v[2:5]
	s_waitcnt lgkmcnt(0)
	; wave barrier
	s_and_saveexec_b64 s[0:1], vcc
	s_cbranch_execz .LBB62_195
; %bb.192:
	v_add_u32_e32 v7, -1, v252
	v_add_u32_e32 v8, 0x3f0, v38
	v_add_u32_e32 v9, 16, v38
	v_mov_b64_e32 v[2:3], 0
	s_mov_b64 s[4:5], 0
	v_mov_b64_e32 v[4:5], 0
.LBB62_193:                             ; =>This Inner Loop Header: Depth=1
	scratch_load_dwordx4 v[10:13], v9, off
	ds_read_b128 v[14:17], v8
	v_add_u32_e32 v7, 1, v7
	v_cmp_lt_u32_e32 vcc, 40, v7
	v_add_u32_e32 v8, 16, v8
	v_add_u32_e32 v9, 16, v9
	s_or_b64 s[4:5], vcc, s[4:5]
	s_waitcnt vmcnt(0) lgkmcnt(0)
	v_mul_f64 v[18:19], v[16:17], v[12:13]
	v_mul_f64 v[12:13], v[14:15], v[12:13]
	v_fma_f64 v[14:15], v[14:15], v[10:11], -v[18:19]
	v_fmac_f64_e32 v[12:13], v[16:17], v[10:11]
	v_add_f64 v[4:5], v[4:5], v[14:15]
	v_add_f64 v[2:3], v[2:3], v[12:13]
	s_andn2_b64 exec, exec, s[4:5]
	s_cbranch_execnz .LBB62_193
; %bb.194:
	s_or_b64 exec, exec, s[4:5]
	v_mov_b32_e32 v0, 0
	ds_read_b128 v[8:11], v0 offset:672
	s_waitcnt lgkmcnt(0)
	v_mul_f64 v[14:15], v[2:3], v[10:11]
	v_mul_f64 v[12:13], v[4:5], v[10:11]
	v_fma_f64 v[10:11], v[4:5], v[8:9], -v[14:15]
	v_fmac_f64_e32 v[12:13], v[2:3], v[8:9]
	scratch_store_dwordx4 off, v[10:13], off offset:688
.LBB62_195:
	s_or_b64 exec, exec, s[0:1]
	; wave barrier
	scratch_load_dwordx4 v[2:5], off, s45
	v_cmp_gt_u32_e32 vcc, 43, v252
	s_waitcnt vmcnt(0)
	ds_write_b128 v1, v[2:5]
	s_waitcnt lgkmcnt(0)
	; wave barrier
	s_and_saveexec_b64 s[0:1], vcc
	s_cbranch_execz .LBB62_199
; %bb.196:
	v_add_u32_e32 v7, -1, v252
	v_add_u32_e32 v8, 0x3f0, v38
	v_add_u32_e32 v9, 16, v38
	v_mov_b64_e32 v[2:3], 0
	s_mov_b64 s[4:5], 0
	v_mov_b64_e32 v[4:5], 0
.LBB62_197:                             ; =>This Inner Loop Header: Depth=1
	scratch_load_dwordx4 v[10:13], v9, off
	ds_read_b128 v[14:17], v8
	v_add_u32_e32 v7, 1, v7
	v_cmp_lt_u32_e32 vcc, 41, v7
	v_add_u32_e32 v8, 16, v8
	v_add_u32_e32 v9, 16, v9
	s_or_b64 s[4:5], vcc, s[4:5]
	s_waitcnt vmcnt(0) lgkmcnt(0)
	v_mul_f64 v[18:19], v[16:17], v[12:13]
	v_mul_f64 v[12:13], v[14:15], v[12:13]
	v_fma_f64 v[14:15], v[14:15], v[10:11], -v[18:19]
	v_fmac_f64_e32 v[12:13], v[16:17], v[10:11]
	v_add_f64 v[4:5], v[4:5], v[14:15]
	v_add_f64 v[2:3], v[2:3], v[12:13]
	s_andn2_b64 exec, exec, s[4:5]
	s_cbranch_execnz .LBB62_197
; %bb.198:
	s_or_b64 exec, exec, s[4:5]
	v_mov_b32_e32 v0, 0
	ds_read_b128 v[8:11], v0 offset:688
	s_waitcnt lgkmcnt(0)
	v_mul_f64 v[14:15], v[2:3], v[10:11]
	v_mul_f64 v[12:13], v[4:5], v[10:11]
	v_fma_f64 v[10:11], v[4:5], v[8:9], -v[14:15]
	v_fmac_f64_e32 v[12:13], v[2:3], v[8:9]
	scratch_store_dwordx4 off, v[10:13], off offset:704
.LBB62_199:
	s_or_b64 exec, exec, s[0:1]
	; wave barrier
	scratch_load_dwordx4 v[2:5], off, s46
	v_cmp_gt_u32_e32 vcc, 44, v252
	s_waitcnt vmcnt(0)
	ds_write_b128 v1, v[2:5]
	s_waitcnt lgkmcnt(0)
	; wave barrier
	s_and_saveexec_b64 s[0:1], vcc
	s_cbranch_execz .LBB62_203
; %bb.200:
	v_add_u32_e32 v7, -1, v252
	v_add_u32_e32 v8, 0x3f0, v38
	v_add_u32_e32 v9, 16, v38
	v_mov_b64_e32 v[2:3], 0
	s_mov_b64 s[4:5], 0
	v_mov_b64_e32 v[4:5], 0
.LBB62_201:                             ; =>This Inner Loop Header: Depth=1
	scratch_load_dwordx4 v[10:13], v9, off
	ds_read_b128 v[14:17], v8
	v_add_u32_e32 v7, 1, v7
	v_cmp_lt_u32_e32 vcc, 42, v7
	v_add_u32_e32 v8, 16, v8
	v_add_u32_e32 v9, 16, v9
	s_or_b64 s[4:5], vcc, s[4:5]
	s_waitcnt vmcnt(0) lgkmcnt(0)
	v_mul_f64 v[18:19], v[16:17], v[12:13]
	v_mul_f64 v[12:13], v[14:15], v[12:13]
	v_fma_f64 v[14:15], v[14:15], v[10:11], -v[18:19]
	v_fmac_f64_e32 v[12:13], v[16:17], v[10:11]
	v_add_f64 v[4:5], v[4:5], v[14:15]
	v_add_f64 v[2:3], v[2:3], v[12:13]
	s_andn2_b64 exec, exec, s[4:5]
	s_cbranch_execnz .LBB62_201
; %bb.202:
	s_or_b64 exec, exec, s[4:5]
	v_mov_b32_e32 v0, 0
	ds_read_b128 v[8:11], v0 offset:704
	s_waitcnt lgkmcnt(0)
	v_mul_f64 v[14:15], v[2:3], v[10:11]
	v_mul_f64 v[12:13], v[4:5], v[10:11]
	v_fma_f64 v[10:11], v[4:5], v[8:9], -v[14:15]
	v_fmac_f64_e32 v[12:13], v[2:3], v[8:9]
	scratch_store_dwordx4 off, v[10:13], off offset:720
.LBB62_203:
	s_or_b64 exec, exec, s[0:1]
	; wave barrier
	scratch_load_dwordx4 v[2:5], off, s43
	v_cmp_gt_u32_e32 vcc, 45, v252
	s_waitcnt vmcnt(0)
	ds_write_b128 v1, v[2:5]
	s_waitcnt lgkmcnt(0)
	; wave barrier
	s_and_saveexec_b64 s[0:1], vcc
	s_cbranch_execz .LBB62_207
; %bb.204:
	v_add_u32_e32 v7, -1, v252
	v_add_u32_e32 v8, 0x3f0, v38
	v_add_u32_e32 v9, 16, v38
	v_mov_b64_e32 v[2:3], 0
	s_mov_b64 s[4:5], 0
	v_mov_b64_e32 v[4:5], 0
.LBB62_205:                             ; =>This Inner Loop Header: Depth=1
	scratch_load_dwordx4 v[10:13], v9, off
	ds_read_b128 v[14:17], v8
	v_add_u32_e32 v7, 1, v7
	v_cmp_lt_u32_e32 vcc, 43, v7
	v_add_u32_e32 v8, 16, v8
	v_add_u32_e32 v9, 16, v9
	s_or_b64 s[4:5], vcc, s[4:5]
	s_waitcnt vmcnt(0) lgkmcnt(0)
	v_mul_f64 v[18:19], v[16:17], v[12:13]
	v_mul_f64 v[12:13], v[14:15], v[12:13]
	v_fma_f64 v[14:15], v[14:15], v[10:11], -v[18:19]
	v_fmac_f64_e32 v[12:13], v[16:17], v[10:11]
	v_add_f64 v[4:5], v[4:5], v[14:15]
	v_add_f64 v[2:3], v[2:3], v[12:13]
	s_andn2_b64 exec, exec, s[4:5]
	s_cbranch_execnz .LBB62_205
; %bb.206:
	s_or_b64 exec, exec, s[4:5]
	v_mov_b32_e32 v0, 0
	ds_read_b128 v[8:11], v0 offset:720
	s_waitcnt lgkmcnt(0)
	v_mul_f64 v[14:15], v[2:3], v[10:11]
	v_mul_f64 v[12:13], v[4:5], v[10:11]
	v_fma_f64 v[10:11], v[4:5], v[8:9], -v[14:15]
	v_fmac_f64_e32 v[12:13], v[2:3], v[8:9]
	scratch_store_dwordx4 off, v[10:13], off offset:736
.LBB62_207:
	s_or_b64 exec, exec, s[0:1]
	; wave barrier
	scratch_load_dwordx4 v[2:5], off, s44
	v_cmp_gt_u32_e32 vcc, 46, v252
	s_waitcnt vmcnt(0)
	ds_write_b128 v1, v[2:5]
	s_waitcnt lgkmcnt(0)
	; wave barrier
	s_and_saveexec_b64 s[0:1], vcc
	s_cbranch_execz .LBB62_211
; %bb.208:
	v_add_u32_e32 v7, -1, v252
	v_add_u32_e32 v8, 0x3f0, v38
	v_add_u32_e32 v9, 16, v38
	v_mov_b64_e32 v[2:3], 0
	s_mov_b64 s[4:5], 0
	v_mov_b64_e32 v[4:5], 0
.LBB62_209:                             ; =>This Inner Loop Header: Depth=1
	scratch_load_dwordx4 v[10:13], v9, off
	ds_read_b128 v[14:17], v8
	v_add_u32_e32 v7, 1, v7
	v_cmp_lt_u32_e32 vcc, 44, v7
	v_add_u32_e32 v8, 16, v8
	v_add_u32_e32 v9, 16, v9
	s_or_b64 s[4:5], vcc, s[4:5]
	s_waitcnt vmcnt(0) lgkmcnt(0)
	v_mul_f64 v[18:19], v[16:17], v[12:13]
	v_mul_f64 v[12:13], v[14:15], v[12:13]
	v_fma_f64 v[14:15], v[14:15], v[10:11], -v[18:19]
	v_fmac_f64_e32 v[12:13], v[16:17], v[10:11]
	v_add_f64 v[4:5], v[4:5], v[14:15]
	v_add_f64 v[2:3], v[2:3], v[12:13]
	s_andn2_b64 exec, exec, s[4:5]
	s_cbranch_execnz .LBB62_209
; %bb.210:
	s_or_b64 exec, exec, s[4:5]
	v_mov_b32_e32 v0, 0
	ds_read_b128 v[8:11], v0 offset:736
	s_waitcnt lgkmcnt(0)
	v_mul_f64 v[14:15], v[2:3], v[10:11]
	v_mul_f64 v[12:13], v[4:5], v[10:11]
	v_fma_f64 v[10:11], v[4:5], v[8:9], -v[14:15]
	v_fmac_f64_e32 v[12:13], v[2:3], v[8:9]
	scratch_store_dwordx4 off, v[10:13], off offset:752
.LBB62_211:
	s_or_b64 exec, exec, s[0:1]
	; wave barrier
	scratch_load_dwordx4 v[2:5], off, s41
	v_cmp_gt_u32_e32 vcc, 47, v252
	s_waitcnt vmcnt(0)
	ds_write_b128 v1, v[2:5]
	s_waitcnt lgkmcnt(0)
	; wave barrier
	s_and_saveexec_b64 s[0:1], vcc
	s_cbranch_execz .LBB62_215
; %bb.212:
	v_add_u32_e32 v7, -1, v252
	v_add_u32_e32 v8, 0x3f0, v38
	v_add_u32_e32 v9, 16, v38
	v_mov_b64_e32 v[2:3], 0
	s_mov_b64 s[4:5], 0
	v_mov_b64_e32 v[4:5], 0
.LBB62_213:                             ; =>This Inner Loop Header: Depth=1
	scratch_load_dwordx4 v[10:13], v9, off
	ds_read_b128 v[14:17], v8
	v_add_u32_e32 v7, 1, v7
	v_cmp_lt_u32_e32 vcc, 45, v7
	v_add_u32_e32 v8, 16, v8
	v_add_u32_e32 v9, 16, v9
	s_or_b64 s[4:5], vcc, s[4:5]
	s_waitcnt vmcnt(0) lgkmcnt(0)
	v_mul_f64 v[18:19], v[16:17], v[12:13]
	v_mul_f64 v[12:13], v[14:15], v[12:13]
	v_fma_f64 v[14:15], v[14:15], v[10:11], -v[18:19]
	v_fmac_f64_e32 v[12:13], v[16:17], v[10:11]
	v_add_f64 v[4:5], v[4:5], v[14:15]
	v_add_f64 v[2:3], v[2:3], v[12:13]
	s_andn2_b64 exec, exec, s[4:5]
	s_cbranch_execnz .LBB62_213
; %bb.214:
	s_or_b64 exec, exec, s[4:5]
	v_mov_b32_e32 v0, 0
	ds_read_b128 v[8:11], v0 offset:752
	s_waitcnt lgkmcnt(0)
	v_mul_f64 v[14:15], v[2:3], v[10:11]
	v_mul_f64 v[12:13], v[4:5], v[10:11]
	v_fma_f64 v[10:11], v[4:5], v[8:9], -v[14:15]
	v_fmac_f64_e32 v[12:13], v[2:3], v[8:9]
	scratch_store_dwordx4 off, v[10:13], off offset:768
.LBB62_215:
	s_or_b64 exec, exec, s[0:1]
	; wave barrier
	scratch_load_dwordx4 v[2:5], off, s42
	v_cmp_gt_u32_e32 vcc, 48, v252
	s_waitcnt vmcnt(0)
	ds_write_b128 v1, v[2:5]
	s_waitcnt lgkmcnt(0)
	; wave barrier
	s_and_saveexec_b64 s[0:1], vcc
	s_cbranch_execz .LBB62_219
; %bb.216:
	v_add_u32_e32 v7, -1, v252
	v_add_u32_e32 v8, 0x3f0, v38
	v_add_u32_e32 v9, 16, v38
	v_mov_b64_e32 v[2:3], 0
	s_mov_b64 s[4:5], 0
	v_mov_b64_e32 v[4:5], 0
.LBB62_217:                             ; =>This Inner Loop Header: Depth=1
	scratch_load_dwordx4 v[10:13], v9, off
	ds_read_b128 v[14:17], v8
	v_add_u32_e32 v7, 1, v7
	v_cmp_lt_u32_e32 vcc, 46, v7
	v_add_u32_e32 v8, 16, v8
	v_add_u32_e32 v9, 16, v9
	s_or_b64 s[4:5], vcc, s[4:5]
	s_waitcnt vmcnt(0) lgkmcnt(0)
	v_mul_f64 v[18:19], v[16:17], v[12:13]
	v_mul_f64 v[12:13], v[14:15], v[12:13]
	v_fma_f64 v[14:15], v[14:15], v[10:11], -v[18:19]
	v_fmac_f64_e32 v[12:13], v[16:17], v[10:11]
	v_add_f64 v[4:5], v[4:5], v[14:15]
	v_add_f64 v[2:3], v[2:3], v[12:13]
	s_andn2_b64 exec, exec, s[4:5]
	s_cbranch_execnz .LBB62_217
; %bb.218:
	s_or_b64 exec, exec, s[4:5]
	v_mov_b32_e32 v0, 0
	ds_read_b128 v[8:11], v0 offset:768
	s_waitcnt lgkmcnt(0)
	v_mul_f64 v[14:15], v[2:3], v[10:11]
	v_mul_f64 v[12:13], v[4:5], v[10:11]
	v_fma_f64 v[10:11], v[4:5], v[8:9], -v[14:15]
	v_fmac_f64_e32 v[12:13], v[2:3], v[8:9]
	scratch_store_dwordx4 off, v[10:13], off offset:784
.LBB62_219:
	s_or_b64 exec, exec, s[0:1]
	; wave barrier
	scratch_load_dwordx4 v[2:5], off, s39
	v_cmp_gt_u32_e32 vcc, 49, v252
	s_waitcnt vmcnt(0)
	ds_write_b128 v1, v[2:5]
	s_waitcnt lgkmcnt(0)
	; wave barrier
	s_and_saveexec_b64 s[0:1], vcc
	s_cbranch_execz .LBB62_223
; %bb.220:
	v_add_u32_e32 v7, -1, v252
	v_add_u32_e32 v8, 0x3f0, v38
	v_add_u32_e32 v9, 16, v38
	v_mov_b64_e32 v[2:3], 0
	s_mov_b64 s[4:5], 0
	v_mov_b64_e32 v[4:5], 0
.LBB62_221:                             ; =>This Inner Loop Header: Depth=1
	scratch_load_dwordx4 v[10:13], v9, off
	ds_read_b128 v[14:17], v8
	v_add_u32_e32 v7, 1, v7
	v_cmp_lt_u32_e32 vcc, 47, v7
	v_add_u32_e32 v8, 16, v8
	v_add_u32_e32 v9, 16, v9
	s_or_b64 s[4:5], vcc, s[4:5]
	s_waitcnt vmcnt(0) lgkmcnt(0)
	v_mul_f64 v[18:19], v[16:17], v[12:13]
	v_mul_f64 v[12:13], v[14:15], v[12:13]
	v_fma_f64 v[14:15], v[14:15], v[10:11], -v[18:19]
	v_fmac_f64_e32 v[12:13], v[16:17], v[10:11]
	v_add_f64 v[4:5], v[4:5], v[14:15]
	v_add_f64 v[2:3], v[2:3], v[12:13]
	s_andn2_b64 exec, exec, s[4:5]
	s_cbranch_execnz .LBB62_221
; %bb.222:
	s_or_b64 exec, exec, s[4:5]
	v_mov_b32_e32 v0, 0
	ds_read_b128 v[8:11], v0 offset:784
	s_waitcnt lgkmcnt(0)
	v_mul_f64 v[14:15], v[2:3], v[10:11]
	v_mul_f64 v[12:13], v[4:5], v[10:11]
	v_fma_f64 v[10:11], v[4:5], v[8:9], -v[14:15]
	v_fmac_f64_e32 v[12:13], v[2:3], v[8:9]
	scratch_store_dwordx4 off, v[10:13], off offset:800
.LBB62_223:
	s_or_b64 exec, exec, s[0:1]
	; wave barrier
	scratch_load_dwordx4 v[2:5], off, s40
	v_cmp_gt_u32_e32 vcc, 50, v252
	s_waitcnt vmcnt(0)
	ds_write_b128 v1, v[2:5]
	s_waitcnt lgkmcnt(0)
	; wave barrier
	s_and_saveexec_b64 s[0:1], vcc
	s_cbranch_execz .LBB62_227
; %bb.224:
	v_add_u32_e32 v7, -1, v252
	v_add_u32_e32 v8, 0x3f0, v38
	v_add_u32_e32 v9, 16, v38
	v_mov_b64_e32 v[2:3], 0
	s_mov_b64 s[4:5], 0
	v_mov_b64_e32 v[4:5], 0
.LBB62_225:                             ; =>This Inner Loop Header: Depth=1
	scratch_load_dwordx4 v[10:13], v9, off
	ds_read_b128 v[14:17], v8
	v_add_u32_e32 v7, 1, v7
	v_cmp_lt_u32_e32 vcc, 48, v7
	v_add_u32_e32 v8, 16, v8
	v_add_u32_e32 v9, 16, v9
	s_or_b64 s[4:5], vcc, s[4:5]
	s_waitcnt vmcnt(0) lgkmcnt(0)
	v_mul_f64 v[18:19], v[16:17], v[12:13]
	v_mul_f64 v[12:13], v[14:15], v[12:13]
	v_fma_f64 v[14:15], v[14:15], v[10:11], -v[18:19]
	v_fmac_f64_e32 v[12:13], v[16:17], v[10:11]
	v_add_f64 v[4:5], v[4:5], v[14:15]
	v_add_f64 v[2:3], v[2:3], v[12:13]
	s_andn2_b64 exec, exec, s[4:5]
	s_cbranch_execnz .LBB62_225
; %bb.226:
	s_or_b64 exec, exec, s[4:5]
	v_mov_b32_e32 v0, 0
	ds_read_b128 v[8:11], v0 offset:800
	s_waitcnt lgkmcnt(0)
	v_mul_f64 v[14:15], v[2:3], v[10:11]
	v_mul_f64 v[12:13], v[4:5], v[10:11]
	v_fma_f64 v[10:11], v[4:5], v[8:9], -v[14:15]
	v_fmac_f64_e32 v[12:13], v[2:3], v[8:9]
	scratch_store_dwordx4 off, v[10:13], off offset:816
.LBB62_227:
	s_or_b64 exec, exec, s[0:1]
	; wave barrier
	scratch_load_dwordx4 v[2:5], off, s37
	v_cmp_gt_u32_e32 vcc, 51, v252
	s_waitcnt vmcnt(0)
	ds_write_b128 v1, v[2:5]
	s_waitcnt lgkmcnt(0)
	; wave barrier
	s_and_saveexec_b64 s[0:1], vcc
	s_cbranch_execz .LBB62_231
; %bb.228:
	v_add_u32_e32 v7, -1, v252
	v_add_u32_e32 v8, 0x3f0, v38
	v_add_u32_e32 v9, 16, v38
	v_mov_b64_e32 v[2:3], 0
	s_mov_b64 s[4:5], 0
	v_mov_b64_e32 v[4:5], 0
.LBB62_229:                             ; =>This Inner Loop Header: Depth=1
	scratch_load_dwordx4 v[10:13], v9, off
	ds_read_b128 v[14:17], v8
	v_add_u32_e32 v7, 1, v7
	v_cmp_lt_u32_e32 vcc, 49, v7
	v_add_u32_e32 v8, 16, v8
	v_add_u32_e32 v9, 16, v9
	s_or_b64 s[4:5], vcc, s[4:5]
	s_waitcnt vmcnt(0) lgkmcnt(0)
	v_mul_f64 v[18:19], v[16:17], v[12:13]
	v_mul_f64 v[12:13], v[14:15], v[12:13]
	v_fma_f64 v[14:15], v[14:15], v[10:11], -v[18:19]
	v_fmac_f64_e32 v[12:13], v[16:17], v[10:11]
	v_add_f64 v[4:5], v[4:5], v[14:15]
	v_add_f64 v[2:3], v[2:3], v[12:13]
	s_andn2_b64 exec, exec, s[4:5]
	s_cbranch_execnz .LBB62_229
; %bb.230:
	s_or_b64 exec, exec, s[4:5]
	v_mov_b32_e32 v0, 0
	ds_read_b128 v[8:11], v0 offset:816
	s_waitcnt lgkmcnt(0)
	v_mul_f64 v[14:15], v[2:3], v[10:11]
	v_mul_f64 v[12:13], v[4:5], v[10:11]
	v_fma_f64 v[10:11], v[4:5], v[8:9], -v[14:15]
	v_fmac_f64_e32 v[12:13], v[2:3], v[8:9]
	scratch_store_dwordx4 off, v[10:13], off offset:832
.LBB62_231:
	s_or_b64 exec, exec, s[0:1]
	; wave barrier
	scratch_load_dwordx4 v[2:5], off, s38
	v_cmp_gt_u32_e32 vcc, 52, v252
	s_waitcnt vmcnt(0)
	ds_write_b128 v1, v[2:5]
	s_waitcnt lgkmcnt(0)
	; wave barrier
	s_and_saveexec_b64 s[0:1], vcc
	s_cbranch_execz .LBB62_235
; %bb.232:
	v_add_u32_e32 v7, -1, v252
	v_add_u32_e32 v8, 0x3f0, v38
	v_add_u32_e32 v9, 16, v38
	v_mov_b64_e32 v[2:3], 0
	s_mov_b64 s[4:5], 0
	v_mov_b64_e32 v[4:5], 0
.LBB62_233:                             ; =>This Inner Loop Header: Depth=1
	scratch_load_dwordx4 v[10:13], v9, off
	ds_read_b128 v[14:17], v8
	v_add_u32_e32 v7, 1, v7
	v_cmp_lt_u32_e32 vcc, 50, v7
	v_add_u32_e32 v8, 16, v8
	v_add_u32_e32 v9, 16, v9
	s_or_b64 s[4:5], vcc, s[4:5]
	s_waitcnt vmcnt(0) lgkmcnt(0)
	v_mul_f64 v[18:19], v[16:17], v[12:13]
	v_mul_f64 v[12:13], v[14:15], v[12:13]
	v_fma_f64 v[14:15], v[14:15], v[10:11], -v[18:19]
	v_fmac_f64_e32 v[12:13], v[16:17], v[10:11]
	v_add_f64 v[4:5], v[4:5], v[14:15]
	v_add_f64 v[2:3], v[2:3], v[12:13]
	s_andn2_b64 exec, exec, s[4:5]
	s_cbranch_execnz .LBB62_233
; %bb.234:
	s_or_b64 exec, exec, s[4:5]
	v_mov_b32_e32 v0, 0
	ds_read_b128 v[8:11], v0 offset:832
	s_waitcnt lgkmcnt(0)
	v_mul_f64 v[14:15], v[2:3], v[10:11]
	v_mul_f64 v[12:13], v[4:5], v[10:11]
	v_fma_f64 v[10:11], v[4:5], v[8:9], -v[14:15]
	v_fmac_f64_e32 v[12:13], v[2:3], v[8:9]
	scratch_store_dwordx4 off, v[10:13], off offset:848
.LBB62_235:
	s_or_b64 exec, exec, s[0:1]
	; wave barrier
	scratch_load_dwordx4 v[2:5], off, s35
	v_cmp_gt_u32_e32 vcc, 53, v252
	s_waitcnt vmcnt(0)
	ds_write_b128 v1, v[2:5]
	s_waitcnt lgkmcnt(0)
	; wave barrier
	s_and_saveexec_b64 s[0:1], vcc
	s_cbranch_execz .LBB62_239
; %bb.236:
	v_add_u32_e32 v7, -1, v252
	v_add_u32_e32 v8, 0x3f0, v38
	v_add_u32_e32 v9, 16, v38
	v_mov_b64_e32 v[2:3], 0
	s_mov_b64 s[4:5], 0
	v_mov_b64_e32 v[4:5], 0
.LBB62_237:                             ; =>This Inner Loop Header: Depth=1
	scratch_load_dwordx4 v[10:13], v9, off
	ds_read_b128 v[14:17], v8
	v_add_u32_e32 v7, 1, v7
	v_cmp_lt_u32_e32 vcc, 51, v7
	v_add_u32_e32 v8, 16, v8
	v_add_u32_e32 v9, 16, v9
	s_or_b64 s[4:5], vcc, s[4:5]
	s_waitcnt vmcnt(0) lgkmcnt(0)
	v_mul_f64 v[18:19], v[16:17], v[12:13]
	v_mul_f64 v[12:13], v[14:15], v[12:13]
	v_fma_f64 v[14:15], v[14:15], v[10:11], -v[18:19]
	v_fmac_f64_e32 v[12:13], v[16:17], v[10:11]
	v_add_f64 v[4:5], v[4:5], v[14:15]
	v_add_f64 v[2:3], v[2:3], v[12:13]
	s_andn2_b64 exec, exec, s[4:5]
	s_cbranch_execnz .LBB62_237
; %bb.238:
	s_or_b64 exec, exec, s[4:5]
	v_mov_b32_e32 v0, 0
	ds_read_b128 v[8:11], v0 offset:848
	s_waitcnt lgkmcnt(0)
	v_mul_f64 v[14:15], v[2:3], v[10:11]
	v_mul_f64 v[12:13], v[4:5], v[10:11]
	v_fma_f64 v[10:11], v[4:5], v[8:9], -v[14:15]
	v_fmac_f64_e32 v[12:13], v[2:3], v[8:9]
	scratch_store_dwordx4 off, v[10:13], off offset:864
.LBB62_239:
	s_or_b64 exec, exec, s[0:1]
	; wave barrier
	scratch_load_dwordx4 v[2:5], off, s36
	v_cmp_gt_u32_e32 vcc, 54, v252
	s_waitcnt vmcnt(0)
	ds_write_b128 v1, v[2:5]
	s_waitcnt lgkmcnt(0)
	; wave barrier
	s_and_saveexec_b64 s[0:1], vcc
	s_cbranch_execz .LBB62_243
; %bb.240:
	v_add_u32_e32 v7, -1, v252
	v_add_u32_e32 v8, 0x3f0, v38
	v_add_u32_e32 v9, 16, v38
	v_mov_b64_e32 v[2:3], 0
	s_mov_b64 s[4:5], 0
	v_mov_b64_e32 v[4:5], 0
.LBB62_241:                             ; =>This Inner Loop Header: Depth=1
	scratch_load_dwordx4 v[10:13], v9, off
	ds_read_b128 v[14:17], v8
	v_add_u32_e32 v7, 1, v7
	v_cmp_lt_u32_e32 vcc, 52, v7
	v_add_u32_e32 v8, 16, v8
	v_add_u32_e32 v9, 16, v9
	s_or_b64 s[4:5], vcc, s[4:5]
	s_waitcnt vmcnt(0) lgkmcnt(0)
	v_mul_f64 v[18:19], v[16:17], v[12:13]
	v_mul_f64 v[12:13], v[14:15], v[12:13]
	v_fma_f64 v[14:15], v[14:15], v[10:11], -v[18:19]
	v_fmac_f64_e32 v[12:13], v[16:17], v[10:11]
	v_add_f64 v[4:5], v[4:5], v[14:15]
	v_add_f64 v[2:3], v[2:3], v[12:13]
	s_andn2_b64 exec, exec, s[4:5]
	s_cbranch_execnz .LBB62_241
; %bb.242:
	s_or_b64 exec, exec, s[4:5]
	v_mov_b32_e32 v0, 0
	ds_read_b128 v[8:11], v0 offset:864
	s_waitcnt lgkmcnt(0)
	v_mul_f64 v[14:15], v[2:3], v[10:11]
	v_mul_f64 v[12:13], v[4:5], v[10:11]
	v_fma_f64 v[10:11], v[4:5], v[8:9], -v[14:15]
	v_fmac_f64_e32 v[12:13], v[2:3], v[8:9]
	scratch_store_dwordx4 off, v[10:13], off offset:880
.LBB62_243:
	s_or_b64 exec, exec, s[0:1]
	; wave barrier
	scratch_load_dwordx4 v[2:5], off, s33
	v_cmp_gt_u32_e32 vcc, 55, v252
	s_waitcnt vmcnt(0)
	ds_write_b128 v1, v[2:5]
	s_waitcnt lgkmcnt(0)
	; wave barrier
	s_and_saveexec_b64 s[0:1], vcc
	s_cbranch_execz .LBB62_247
; %bb.244:
	v_add_u32_e32 v7, -1, v252
	v_add_u32_e32 v8, 0x3f0, v38
	v_add_u32_e32 v9, 16, v38
	v_mov_b64_e32 v[2:3], 0
	s_mov_b64 s[4:5], 0
	v_mov_b64_e32 v[4:5], 0
.LBB62_245:                             ; =>This Inner Loop Header: Depth=1
	scratch_load_dwordx4 v[10:13], v9, off
	ds_read_b128 v[14:17], v8
	v_add_u32_e32 v7, 1, v7
	v_cmp_lt_u32_e32 vcc, 53, v7
	v_add_u32_e32 v8, 16, v8
	v_add_u32_e32 v9, 16, v9
	s_or_b64 s[4:5], vcc, s[4:5]
	s_waitcnt vmcnt(0) lgkmcnt(0)
	v_mul_f64 v[18:19], v[16:17], v[12:13]
	v_mul_f64 v[12:13], v[14:15], v[12:13]
	v_fma_f64 v[14:15], v[14:15], v[10:11], -v[18:19]
	v_fmac_f64_e32 v[12:13], v[16:17], v[10:11]
	v_add_f64 v[4:5], v[4:5], v[14:15]
	v_add_f64 v[2:3], v[2:3], v[12:13]
	s_andn2_b64 exec, exec, s[4:5]
	s_cbranch_execnz .LBB62_245
; %bb.246:
	s_or_b64 exec, exec, s[4:5]
	v_mov_b32_e32 v0, 0
	ds_read_b128 v[8:11], v0 offset:880
	s_waitcnt lgkmcnt(0)
	v_mul_f64 v[14:15], v[2:3], v[10:11]
	v_mul_f64 v[12:13], v[4:5], v[10:11]
	v_fma_f64 v[10:11], v[4:5], v[8:9], -v[14:15]
	v_fmac_f64_e32 v[12:13], v[2:3], v[8:9]
	scratch_store_dwordx4 off, v[10:13], off offset:896
.LBB62_247:
	s_or_b64 exec, exec, s[0:1]
	; wave barrier
	scratch_load_dwordx4 v[2:5], off, s34
	v_cmp_gt_u32_e32 vcc, 56, v252
	s_waitcnt vmcnt(0)
	ds_write_b128 v1, v[2:5]
	s_waitcnt lgkmcnt(0)
	; wave barrier
	s_and_saveexec_b64 s[0:1], vcc
	s_cbranch_execz .LBB62_251
; %bb.248:
	v_add_u32_e32 v7, -1, v252
	v_add_u32_e32 v8, 0x3f0, v38
	v_add_u32_e32 v9, 16, v38
	v_mov_b64_e32 v[2:3], 0
	s_mov_b64 s[4:5], 0
	v_mov_b64_e32 v[4:5], 0
.LBB62_249:                             ; =>This Inner Loop Header: Depth=1
	scratch_load_dwordx4 v[10:13], v9, off
	ds_read_b128 v[14:17], v8
	v_add_u32_e32 v7, 1, v7
	v_cmp_lt_u32_e32 vcc, 54, v7
	v_add_u32_e32 v8, 16, v8
	v_add_u32_e32 v9, 16, v9
	s_or_b64 s[4:5], vcc, s[4:5]
	s_waitcnt vmcnt(0) lgkmcnt(0)
	v_mul_f64 v[18:19], v[16:17], v[12:13]
	v_mul_f64 v[12:13], v[14:15], v[12:13]
	v_fma_f64 v[14:15], v[14:15], v[10:11], -v[18:19]
	v_fmac_f64_e32 v[12:13], v[16:17], v[10:11]
	v_add_f64 v[4:5], v[4:5], v[14:15]
	v_add_f64 v[2:3], v[2:3], v[12:13]
	s_andn2_b64 exec, exec, s[4:5]
	s_cbranch_execnz .LBB62_249
; %bb.250:
	s_or_b64 exec, exec, s[4:5]
	v_mov_b32_e32 v0, 0
	ds_read_b128 v[8:11], v0 offset:896
	s_waitcnt lgkmcnt(0)
	v_mul_f64 v[14:15], v[2:3], v[10:11]
	v_mul_f64 v[12:13], v[4:5], v[10:11]
	v_fma_f64 v[10:11], v[4:5], v[8:9], -v[14:15]
	v_fmac_f64_e32 v[12:13], v[2:3], v[8:9]
	scratch_store_dwordx4 off, v[10:13], off offset:912
.LBB62_251:
	s_or_b64 exec, exec, s[0:1]
	; wave barrier
	scratch_load_dwordx4 v[2:5], off, s30
	v_cmp_gt_u32_e32 vcc, 57, v252
	s_waitcnt vmcnt(0)
	ds_write_b128 v1, v[2:5]
	s_waitcnt lgkmcnt(0)
	; wave barrier
	s_and_saveexec_b64 s[0:1], vcc
	s_cbranch_execz .LBB62_255
; %bb.252:
	v_add_u32_e32 v7, -1, v252
	v_add_u32_e32 v8, 0x3f0, v38
	v_add_u32_e32 v9, 16, v38
	v_mov_b64_e32 v[2:3], 0
	s_mov_b64 s[4:5], 0
	v_mov_b64_e32 v[4:5], 0
.LBB62_253:                             ; =>This Inner Loop Header: Depth=1
	scratch_load_dwordx4 v[10:13], v9, off
	ds_read_b128 v[14:17], v8
	v_add_u32_e32 v7, 1, v7
	v_cmp_lt_u32_e32 vcc, 55, v7
	v_add_u32_e32 v8, 16, v8
	v_add_u32_e32 v9, 16, v9
	s_or_b64 s[4:5], vcc, s[4:5]
	s_waitcnt vmcnt(0) lgkmcnt(0)
	v_mul_f64 v[18:19], v[16:17], v[12:13]
	v_mul_f64 v[12:13], v[14:15], v[12:13]
	v_fma_f64 v[14:15], v[14:15], v[10:11], -v[18:19]
	v_fmac_f64_e32 v[12:13], v[16:17], v[10:11]
	v_add_f64 v[4:5], v[4:5], v[14:15]
	v_add_f64 v[2:3], v[2:3], v[12:13]
	s_andn2_b64 exec, exec, s[4:5]
	s_cbranch_execnz .LBB62_253
; %bb.254:
	s_or_b64 exec, exec, s[4:5]
	v_mov_b32_e32 v0, 0
	ds_read_b128 v[8:11], v0 offset:912
	s_waitcnt lgkmcnt(0)
	v_mul_f64 v[14:15], v[2:3], v[10:11]
	v_mul_f64 v[12:13], v[4:5], v[10:11]
	v_fma_f64 v[10:11], v[4:5], v[8:9], -v[14:15]
	v_fmac_f64_e32 v[12:13], v[2:3], v[8:9]
	scratch_store_dwordx4 off, v[10:13], off offset:928
.LBB62_255:
	s_or_b64 exec, exec, s[0:1]
	; wave barrier
	scratch_load_dwordx4 v[2:5], off, s31
	v_cmp_gt_u32_e32 vcc, 58, v252
	s_waitcnt vmcnt(0)
	ds_write_b128 v1, v[2:5]
	s_waitcnt lgkmcnt(0)
	; wave barrier
	s_and_saveexec_b64 s[0:1], vcc
	s_cbranch_execz .LBB62_259
; %bb.256:
	v_add_u32_e32 v7, -1, v252
	v_add_u32_e32 v8, 0x3f0, v38
	v_add_u32_e32 v9, 16, v38
	v_mov_b64_e32 v[2:3], 0
	s_mov_b64 s[4:5], 0
	v_mov_b64_e32 v[4:5], 0
.LBB62_257:                             ; =>This Inner Loop Header: Depth=1
	scratch_load_dwordx4 v[10:13], v9, off
	ds_read_b128 v[14:17], v8
	v_add_u32_e32 v7, 1, v7
	v_cmp_lt_u32_e32 vcc, 56, v7
	v_add_u32_e32 v8, 16, v8
	v_add_u32_e32 v9, 16, v9
	s_or_b64 s[4:5], vcc, s[4:5]
	s_waitcnt vmcnt(0) lgkmcnt(0)
	v_mul_f64 v[18:19], v[16:17], v[12:13]
	v_mul_f64 v[12:13], v[14:15], v[12:13]
	v_fma_f64 v[14:15], v[14:15], v[10:11], -v[18:19]
	v_fmac_f64_e32 v[12:13], v[16:17], v[10:11]
	v_add_f64 v[4:5], v[4:5], v[14:15]
	v_add_f64 v[2:3], v[2:3], v[12:13]
	s_andn2_b64 exec, exec, s[4:5]
	s_cbranch_execnz .LBB62_257
; %bb.258:
	s_or_b64 exec, exec, s[4:5]
	v_mov_b32_e32 v0, 0
	ds_read_b128 v[8:11], v0 offset:928
	s_waitcnt lgkmcnt(0)
	v_mul_f64 v[14:15], v[2:3], v[10:11]
	v_mul_f64 v[12:13], v[4:5], v[10:11]
	v_fma_f64 v[10:11], v[4:5], v[8:9], -v[14:15]
	v_fmac_f64_e32 v[12:13], v[2:3], v[8:9]
	scratch_store_dwordx4 off, v[10:13], off offset:944
.LBB62_259:
	s_or_b64 exec, exec, s[0:1]
	; wave barrier
	scratch_load_dwordx4 v[2:5], off, s26
	v_cmp_gt_u32_e32 vcc, 59, v252
	s_waitcnt vmcnt(0)
	ds_write_b128 v1, v[2:5]
	s_waitcnt lgkmcnt(0)
	; wave barrier
	s_and_saveexec_b64 s[0:1], vcc
	s_cbranch_execz .LBB62_263
; %bb.260:
	v_add_u32_e32 v7, -1, v252
	v_add_u32_e32 v8, 0x3f0, v38
	v_add_u32_e32 v9, 16, v38
	v_mov_b64_e32 v[2:3], 0
	s_mov_b64 s[4:5], 0
	v_mov_b64_e32 v[4:5], 0
.LBB62_261:                             ; =>This Inner Loop Header: Depth=1
	scratch_load_dwordx4 v[10:13], v9, off
	ds_read_b128 v[14:17], v8
	v_add_u32_e32 v7, 1, v7
	v_cmp_lt_u32_e32 vcc, 57, v7
	v_add_u32_e32 v8, 16, v8
	v_add_u32_e32 v9, 16, v9
	s_or_b64 s[4:5], vcc, s[4:5]
	s_waitcnt vmcnt(0) lgkmcnt(0)
	v_mul_f64 v[18:19], v[16:17], v[12:13]
	v_mul_f64 v[12:13], v[14:15], v[12:13]
	v_fma_f64 v[14:15], v[14:15], v[10:11], -v[18:19]
	v_fmac_f64_e32 v[12:13], v[16:17], v[10:11]
	v_add_f64 v[4:5], v[4:5], v[14:15]
	v_add_f64 v[2:3], v[2:3], v[12:13]
	s_andn2_b64 exec, exec, s[4:5]
	s_cbranch_execnz .LBB62_261
; %bb.262:
	s_or_b64 exec, exec, s[4:5]
	v_mov_b32_e32 v0, 0
	ds_read_b128 v[8:11], v0 offset:944
	s_waitcnt lgkmcnt(0)
	v_mul_f64 v[14:15], v[2:3], v[10:11]
	v_mul_f64 v[12:13], v[4:5], v[10:11]
	v_fma_f64 v[10:11], v[4:5], v[8:9], -v[14:15]
	v_fmac_f64_e32 v[12:13], v[2:3], v[8:9]
	scratch_store_dwordx4 off, v[10:13], off offset:960
.LBB62_263:
	s_or_b64 exec, exec, s[0:1]
	; wave barrier
	scratch_load_dwordx4 v[2:5], off, s27
	v_cmp_gt_u32_e32 vcc, 60, v252
	s_waitcnt vmcnt(0)
	ds_write_b128 v1, v[2:5]
	s_waitcnt lgkmcnt(0)
	; wave barrier
	s_and_saveexec_b64 s[0:1], vcc
	s_cbranch_execz .LBB62_267
; %bb.264:
	v_add_u32_e32 v7, -1, v252
	v_add_u32_e32 v8, 0x3f0, v38
	v_add_u32_e32 v9, 16, v38
	v_mov_b64_e32 v[2:3], 0
	s_mov_b64 s[4:5], 0
	v_mov_b64_e32 v[4:5], 0
.LBB62_265:                             ; =>This Inner Loop Header: Depth=1
	scratch_load_dwordx4 v[10:13], v9, off
	ds_read_b128 v[14:17], v8
	v_add_u32_e32 v7, 1, v7
	v_cmp_lt_u32_e32 vcc, 58, v7
	v_add_u32_e32 v8, 16, v8
	v_add_u32_e32 v9, 16, v9
	s_or_b64 s[4:5], vcc, s[4:5]
	s_waitcnt vmcnt(0) lgkmcnt(0)
	v_mul_f64 v[18:19], v[16:17], v[12:13]
	v_mul_f64 v[12:13], v[14:15], v[12:13]
	v_fma_f64 v[14:15], v[14:15], v[10:11], -v[18:19]
	v_fmac_f64_e32 v[12:13], v[16:17], v[10:11]
	v_add_f64 v[4:5], v[4:5], v[14:15]
	v_add_f64 v[2:3], v[2:3], v[12:13]
	s_andn2_b64 exec, exec, s[4:5]
	s_cbranch_execnz .LBB62_265
; %bb.266:
	s_or_b64 exec, exec, s[4:5]
	v_mov_b32_e32 v0, 0
	ds_read_b128 v[8:11], v0 offset:960
	s_waitcnt lgkmcnt(0)
	v_mul_f64 v[14:15], v[2:3], v[10:11]
	v_mul_f64 v[12:13], v[4:5], v[10:11]
	v_fma_f64 v[10:11], v[4:5], v[8:9], -v[14:15]
	v_fmac_f64_e32 v[12:13], v[2:3], v[8:9]
	scratch_store_dwordx4 off, v[10:13], off offset:976
.LBB62_267:
	s_or_b64 exec, exec, s[0:1]
	; wave barrier
	scratch_load_dwordx4 v[2:5], off, s28
	v_cmp_gt_u32_e32 vcc, 61, v252
	s_waitcnt vmcnt(0)
	ds_write_b128 v1, v[2:5]
	s_waitcnt lgkmcnt(0)
	; wave barrier
	s_and_saveexec_b64 s[0:1], vcc
	s_cbranch_execz .LBB62_271
; %bb.268:
	v_add_u32_e32 v7, -1, v252
	v_add_u32_e32 v8, 0x3f0, v38
	v_add_u32_e32 v9, 16, v38
	v_mov_b64_e32 v[2:3], 0
	s_mov_b64 s[4:5], 0
	v_mov_b64_e32 v[4:5], 0
.LBB62_269:                             ; =>This Inner Loop Header: Depth=1
	scratch_load_dwordx4 v[10:13], v9, off
	ds_read_b128 v[14:17], v8
	v_add_u32_e32 v7, 1, v7
	v_cmp_lt_u32_e32 vcc, 59, v7
	v_add_u32_e32 v8, 16, v8
	v_add_u32_e32 v9, 16, v9
	s_or_b64 s[4:5], vcc, s[4:5]
	s_waitcnt vmcnt(0) lgkmcnt(0)
	v_mul_f64 v[18:19], v[16:17], v[12:13]
	v_mul_f64 v[12:13], v[14:15], v[12:13]
	v_fma_f64 v[14:15], v[14:15], v[10:11], -v[18:19]
	v_fmac_f64_e32 v[12:13], v[16:17], v[10:11]
	v_add_f64 v[4:5], v[4:5], v[14:15]
	v_add_f64 v[2:3], v[2:3], v[12:13]
	s_andn2_b64 exec, exec, s[4:5]
	s_cbranch_execnz .LBB62_269
; %bb.270:
	s_or_b64 exec, exec, s[4:5]
	v_mov_b32_e32 v0, 0
	ds_read_b128 v[8:11], v0 offset:976
	s_waitcnt lgkmcnt(0)
	v_mul_f64 v[14:15], v[2:3], v[10:11]
	v_mul_f64 v[12:13], v[4:5], v[10:11]
	v_fma_f64 v[10:11], v[4:5], v[8:9], -v[14:15]
	v_fmac_f64_e32 v[12:13], v[2:3], v[8:9]
	scratch_store_dwordx4 off, v[10:13], off offset:992
.LBB62_271:
	s_or_b64 exec, exec, s[0:1]
	; wave barrier
	scratch_load_dwordx4 v[2:5], off, s29
	v_cmp_ne_u32_e32 vcc, 62, v252
	s_waitcnt vmcnt(0)
	ds_write_b128 v1, v[2:5]
	s_waitcnt lgkmcnt(0)
	; wave barrier
	s_and_saveexec_b64 s[0:1], vcc
	s_cbranch_execz .LBB62_275
; %bb.272:
	v_add_u32_e32 v1, 0x3f0, v38
	v_add_u32_e32 v7, 16, v38
	v_mov_b64_e32 v[2:3], 0
	s_mov_b64 s[4:5], 0
	v_mov_b64_e32 v[4:5], 0
.LBB62_273:                             ; =>This Inner Loop Header: Depth=1
	scratch_load_dwordx4 v[8:11], v7, off
	ds_read_b128 v[12:15], v1
	v_add_u32_e32 v6, 1, v6
	v_cmp_lt_u32_e32 vcc, 60, v6
	v_add_u32_e32 v1, 16, v1
	v_add_u32_e32 v7, 16, v7
	s_or_b64 s[4:5], vcc, s[4:5]
	s_waitcnt vmcnt(0) lgkmcnt(0)
	v_mul_f64 v[16:17], v[14:15], v[10:11]
	v_mul_f64 v[10:11], v[12:13], v[10:11]
	v_fma_f64 v[12:13], v[12:13], v[8:9], -v[16:17]
	v_fmac_f64_e32 v[10:11], v[14:15], v[8:9]
	v_add_f64 v[4:5], v[4:5], v[12:13]
	v_add_f64 v[2:3], v[2:3], v[10:11]
	s_andn2_b64 exec, exec, s[4:5]
	s_cbranch_execnz .LBB62_273
; %bb.274:
	s_or_b64 exec, exec, s[4:5]
	v_mov_b32_e32 v0, 0
	ds_read_b128 v[6:9], v0 offset:992
	s_waitcnt lgkmcnt(0)
	v_mul_f64 v[12:13], v[2:3], v[8:9]
	v_mul_f64 v[10:11], v[4:5], v[8:9]
	v_fma_f64 v[8:9], v[4:5], v[6:7], -v[12:13]
	v_fmac_f64_e32 v[10:11], v[2:3], v[6:7]
	scratch_store_dwordx4 off, v[8:11], off offset:1008
.LBB62_275:
	s_or_b64 exec, exec, s[0:1]
	s_mov_b64 s[4:5], -1
	; wave barrier
.LBB62_276:
	s_and_b64 vcc, exec, s[4:5]
	s_cbranch_vccz .LBB62_278
; %bb.277:
	s_lshl_b64 s[0:1], s[2:3], 2
	s_add_u32 s0, s10, s0
	s_addc_u32 s1, s11, s1
	v_mov_b32_e32 v0, 0
	global_load_dword v0, v0, s[0:1]
	s_waitcnt vmcnt(0)
	v_cmp_ne_u32_e32 vcc, 0, v0
	s_cbranch_vccz .LBB62_279
.LBB62_278:
	s_endpgm
.LBB62_279:
	v_mov_b32_e32 v0, 0x3f0
	v_lshl_add_u32 v0, v252, 4, v0
	v_accvgpr_write_b32 a127, v0
	v_cmp_eq_u32_e32 vcc, 62, v252
	s_and_saveexec_b64 s[0:1], vcc
	s_cbranch_execz .LBB62_281
; %bb.280:
	scratch_load_dwordx4 v[2:5], off, s28
	v_mov_b32_e32 v6, 0
	v_mov_b32_e32 v7, v6
	;; [unrolled: 1-line block ×4, first 2 shown]
	v_accvgpr_read_b32 v0, a127
	scratch_store_dwordx4 off, v[6:9], off offset:992
	s_waitcnt vmcnt(1)
	ds_write_b128 v0, v[2:5]
.LBB62_281:
	s_or_b64 exec, exec, s[0:1]
	s_waitcnt lgkmcnt(0)
	; wave barrier
	scratch_load_dwordx4 v[4:7], off, off offset:1008
	scratch_load_dwordx4 v[8:11], off, off offset:992
	v_mov_b32_e32 v2, 0
	ds_read_b128 v[12:15], v2 offset:2000
	v_cmp_lt_u32_e32 vcc, 60, v252
	s_waitcnt vmcnt(1) lgkmcnt(0)
	v_mul_f64 v[16:17], v[12:13], v[6:7]
	v_mul_f64 v[6:7], v[14:15], v[6:7]
	v_fmac_f64_e32 v[16:17], v[14:15], v[4:5]
	v_fma_f64 v[4:5], v[12:13], v[4:5], -v[6:7]
	v_add_f64 v[6:7], v[16:17], 0
	v_add_f64 v[4:5], v[4:5], 0
	s_waitcnt vmcnt(0)
	v_add_f64 v[4:5], v[8:9], -v[4:5]
	v_add_f64 v[6:7], v[10:11], -v[6:7]
	scratch_store_dwordx4 off, v[4:7], off offset:992
	s_and_saveexec_b64 s[0:1], vcc
	s_cbranch_execz .LBB62_283
; %bb.282:
	scratch_load_dwordx4 v[6:9], off, s27
	v_mov_b32_e32 v3, v2
	v_mov_b32_e32 v4, v2
	;; [unrolled: 1-line block ×3, first 2 shown]
	v_accvgpr_read_b32 v0, a127
	scratch_store_dwordx4 off, v[2:5], off offset:976
	s_waitcnt vmcnt(1)
	ds_write_b128 v0, v[6:9]
.LBB62_283:
	s_or_b64 exec, exec, s[0:1]
	s_waitcnt lgkmcnt(0)
	; wave barrier
	scratch_load_dwordx4 v[4:7], off, off offset:992
	scratch_load_dwordx4 v[8:11], off, off offset:1008
	;; [unrolled: 1-line block ×3, first 2 shown]
	ds_read_b128 v[16:19], v2 offset:1984
	ds_read_b128 v[20:23], v2 offset:2000
	v_cmp_lt_u32_e32 vcc, 59, v252
	s_waitcnt vmcnt(2) lgkmcnt(1)
	v_mul_f64 v[2:3], v[16:17], v[6:7]
	v_mul_f64 v[6:7], v[18:19], v[6:7]
	s_waitcnt vmcnt(1) lgkmcnt(0)
	v_mul_f64 v[24:25], v[20:21], v[10:11]
	v_mul_f64 v[10:11], v[22:23], v[10:11]
	v_fmac_f64_e32 v[2:3], v[18:19], v[4:5]
	v_fma_f64 v[4:5], v[16:17], v[4:5], -v[6:7]
	v_fmac_f64_e32 v[24:25], v[22:23], v[8:9]
	v_fma_f64 v[6:7], v[20:21], v[8:9], -v[10:11]
	v_add_f64 v[2:3], v[2:3], 0
	v_add_f64 v[4:5], v[4:5], 0
	;; [unrolled: 1-line block ×4, first 2 shown]
	s_waitcnt vmcnt(0)
	v_add_f64 v[2:3], v[12:13], -v[2:3]
	v_add_f64 v[4:5], v[14:15], -v[8:9]
	scratch_store_dwordx4 off, v[2:5], off offset:976
	s_and_saveexec_b64 s[0:1], vcc
	s_cbranch_execz .LBB62_285
; %bb.284:
	scratch_load_dwordx4 v[2:5], off, s26
	v_mov_b32_e32 v6, 0
	v_mov_b32_e32 v7, v6
	;; [unrolled: 1-line block ×4, first 2 shown]
	v_accvgpr_read_b32 v0, a127
	scratch_store_dwordx4 off, v[6:9], off offset:960
	s_waitcnt vmcnt(1)
	ds_write_b128 v0, v[2:5]
.LBB62_285:
	s_or_b64 exec, exec, s[0:1]
	s_waitcnt lgkmcnt(0)
	; wave barrier
	scratch_load_dwordx4 v[4:7], off, off offset:976
	scratch_load_dwordx4 v[8:11], off, off offset:992
	;; [unrolled: 1-line block ×4, first 2 shown]
	v_mov_b32_e32 v2, 0
	ds_read_b128 v[20:23], v2 offset:1968
	ds_read_b128 v[24:27], v2 offset:1984
	ds_read_b128 v[28:31], v2 offset:2000
	v_cmp_lt_u32_e32 vcc, 58, v252
	s_waitcnt vmcnt(3) lgkmcnt(2)
	v_mul_f64 v[32:33], v[20:21], v[6:7]
	v_mul_f64 v[6:7], v[22:23], v[6:7]
	s_waitcnt vmcnt(2) lgkmcnt(1)
	v_mul_f64 v[34:35], v[24:25], v[10:11]
	v_mul_f64 v[10:11], v[26:27], v[10:11]
	v_fmac_f64_e32 v[32:33], v[22:23], v[4:5]
	v_fma_f64 v[4:5], v[20:21], v[4:5], -v[6:7]
	s_waitcnt vmcnt(1) lgkmcnt(0)
	v_mul_f64 v[36:37], v[28:29], v[14:15]
	v_mul_f64 v[14:15], v[30:31], v[14:15]
	v_fmac_f64_e32 v[34:35], v[26:27], v[8:9]
	v_fma_f64 v[6:7], v[24:25], v[8:9], -v[10:11]
	v_add_f64 v[10:11], v[32:33], 0
	v_add_f64 v[4:5], v[4:5], 0
	v_fmac_f64_e32 v[36:37], v[30:31], v[12:13]
	v_fma_f64 v[8:9], v[28:29], v[12:13], -v[14:15]
	v_add_f64 v[10:11], v[10:11], v[34:35]
	v_add_f64 v[4:5], v[4:5], v[6:7]
	;; [unrolled: 1-line block ×4, first 2 shown]
	s_waitcnt vmcnt(0)
	v_add_f64 v[4:5], v[16:17], -v[4:5]
	v_add_f64 v[6:7], v[18:19], -v[6:7]
	scratch_store_dwordx4 off, v[4:7], off offset:960
	s_and_saveexec_b64 s[0:1], vcc
	s_cbranch_execz .LBB62_287
; %bb.286:
	scratch_load_dwordx4 v[6:9], off, s31
	v_mov_b32_e32 v3, v2
	v_mov_b32_e32 v4, v2
	;; [unrolled: 1-line block ×3, first 2 shown]
	v_accvgpr_read_b32 v0, a127
	scratch_store_dwordx4 off, v[2:5], off offset:944
	s_waitcnt vmcnt(1)
	ds_write_b128 v0, v[6:9]
.LBB62_287:
	s_or_b64 exec, exec, s[0:1]
	s_waitcnt lgkmcnt(0)
	; wave barrier
	ds_read_b128 v[4:7], v2 offset:1952
	ds_read_b128 v[8:11], v2 offset:1968
	;; [unrolled: 1-line block ×4, first 2 shown]
	scratch_load_dwordx4 v[20:23], off, off offset:960
	scratch_load_dwordx4 v[24:27], off, off offset:976
	v_cmp_lt_u32_e32 vcc, 57, v252
	s_waitcnt vmcnt(1) lgkmcnt(3)
	v_mul_f64 v[2:3], v[4:5], v[22:23]
	v_fmac_f64_e32 v[2:3], v[6:7], v[20:21]
	s_waitcnt vmcnt(0) lgkmcnt(2)
	v_mul_f64 v[28:29], v[8:9], v[26:27]
	v_add_f64 v[2:3], v[2:3], 0
	v_fmac_f64_e32 v[28:29], v[10:11], v[24:25]
	v_add_f64 v[2:3], v[2:3], v[28:29]
	scratch_load_dwordx4 v[28:31], off, off offset:992
	s_waitcnt vmcnt(0) lgkmcnt(1)
	v_mul_f64 v[32:33], v[12:13], v[30:31]
	v_fmac_f64_e32 v[32:33], v[14:15], v[28:29]
	v_add_f64 v[2:3], v[2:3], v[32:33]
	scratch_load_dwordx4 v[32:35], off, off offset:1008
	s_waitcnt vmcnt(0) lgkmcnt(0)
	v_mul_f64 v[36:37], v[16:17], v[34:35]
	v_fmac_f64_e32 v[36:37], v[18:19], v[32:33]
	v_add_f64 v[36:37], v[2:3], v[36:37]
	v_mul_f64 v[2:3], v[6:7], v[22:23]
	v_fma_f64 v[2:3], v[4:5], v[20:21], -v[2:3]
	v_mul_f64 v[4:5], v[10:11], v[26:27]
	v_add_f64 v[2:3], v[2:3], 0
	v_fma_f64 v[4:5], v[8:9], v[24:25], -v[4:5]
	v_add_f64 v[2:3], v[2:3], v[4:5]
	v_mul_f64 v[4:5], v[14:15], v[30:31]
	v_fma_f64 v[4:5], v[12:13], v[28:29], -v[4:5]
	v_add_f64 v[2:3], v[2:3], v[4:5]
	v_mul_f64 v[4:5], v[18:19], v[34:35]
	v_fma_f64 v[4:5], v[16:17], v[32:33], -v[4:5]
	v_add_f64 v[6:7], v[2:3], v[4:5]
	scratch_load_dwordx4 v[2:5], off, off offset:944
	s_waitcnt vmcnt(0)
	v_add_f64 v[2:3], v[2:3], -v[6:7]
	v_add_f64 v[4:5], v[4:5], -v[36:37]
	scratch_store_dwordx4 off, v[2:5], off offset:944
	s_and_saveexec_b64 s[0:1], vcc
	s_cbranch_execz .LBB62_289
; %bb.288:
	scratch_load_dwordx4 v[2:5], off, s30
	v_mov_b32_e32 v6, 0
	v_mov_b32_e32 v7, v6
	;; [unrolled: 1-line block ×4, first 2 shown]
	v_accvgpr_read_b32 v0, a127
	scratch_store_dwordx4 off, v[6:9], off offset:928
	s_waitcnt vmcnt(1)
	ds_write_b128 v0, v[2:5]
.LBB62_289:
	s_or_b64 exec, exec, s[0:1]
	s_waitcnt lgkmcnt(0)
	; wave barrier
	scratch_load_dwordx4 v[4:7], off, off offset:944
	scratch_load_dwordx4 v[8:11], off, off offset:960
	;; [unrolled: 1-line block ×6, first 2 shown]
	v_mov_b32_e32 v2, 0
	ds_read_b128 v[28:31], v2 offset:1936
	ds_read_b128 v[32:35], v2 offset:1952
	;; [unrolled: 1-line block ×5, first 2 shown]
	v_cmp_lt_u32_e32 vcc, 56, v252
	s_waitcnt vmcnt(5) lgkmcnt(4)
	v_mul_f64 v[48:49], v[28:29], v[6:7]
	v_mul_f64 v[6:7], v[30:31], v[6:7]
	s_waitcnt vmcnt(4) lgkmcnt(3)
	v_mul_f64 v[50:51], v[32:33], v[10:11]
	s_waitcnt vmcnt(3) lgkmcnt(2)
	v_mul_f64 v[52:53], v[36:37], v[14:15]
	v_mul_f64 v[10:11], v[34:35], v[10:11]
	v_mul_f64 v[14:15], v[38:39], v[14:15]
	v_fmac_f64_e32 v[48:49], v[30:31], v[4:5]
	v_fma_f64 v[4:5], v[28:29], v[4:5], -v[6:7]
	v_fmac_f64_e32 v[50:51], v[34:35], v[8:9]
	v_fma_f64 v[6:7], v[32:33], v[8:9], -v[10:11]
	v_fma_f64 v[8:9], v[36:37], v[12:13], -v[14:15]
	v_add_f64 v[14:15], v[48:49], 0
	v_add_f64 v[4:5], v[4:5], 0
	s_waitcnt vmcnt(2) lgkmcnt(1)
	v_mul_f64 v[54:55], v[40:41], v[18:19]
	v_mul_f64 v[18:19], v[42:43], v[18:19]
	v_fmac_f64_e32 v[52:53], v[38:39], v[12:13]
	v_add_f64 v[14:15], v[14:15], v[50:51]
	v_add_f64 v[4:5], v[4:5], v[6:7]
	s_waitcnt vmcnt(1) lgkmcnt(0)
	v_mul_f64 v[56:57], v[44:45], v[22:23]
	v_mul_f64 v[22:23], v[46:47], v[22:23]
	v_fmac_f64_e32 v[54:55], v[42:43], v[16:17]
	v_fma_f64 v[10:11], v[40:41], v[16:17], -v[18:19]
	v_add_f64 v[6:7], v[14:15], v[52:53]
	v_add_f64 v[4:5], v[4:5], v[8:9]
	v_fmac_f64_e32 v[56:57], v[46:47], v[20:21]
	v_fma_f64 v[12:13], v[44:45], v[20:21], -v[22:23]
	v_add_f64 v[6:7], v[6:7], v[54:55]
	v_add_f64 v[4:5], v[4:5], v[10:11]
	;; [unrolled: 1-line block ×4, first 2 shown]
	s_waitcnt vmcnt(0)
	v_add_f64 v[4:5], v[24:25], -v[4:5]
	v_add_f64 v[6:7], v[26:27], -v[6:7]
	scratch_store_dwordx4 off, v[4:7], off offset:928
	s_and_saveexec_b64 s[0:1], vcc
	s_cbranch_execz .LBB62_291
; %bb.290:
	scratch_load_dwordx4 v[6:9], off, s34
	v_mov_b32_e32 v3, v2
	v_mov_b32_e32 v4, v2
	;; [unrolled: 1-line block ×3, first 2 shown]
	v_accvgpr_read_b32 v0, a127
	scratch_store_dwordx4 off, v[2:5], off offset:912
	s_waitcnt vmcnt(1)
	ds_write_b128 v0, v[6:9]
.LBB62_291:
	s_or_b64 exec, exec, s[0:1]
	s_waitcnt lgkmcnt(0)
	; wave barrier
	scratch_load_dwordx4 v[4:7], off, off offset:928
	scratch_load_dwordx4 v[8:11], off, off offset:944
	;; [unrolled: 1-line block ×7, first 2 shown]
	ds_read_b128 v[32:35], v2 offset:1920
	ds_read_b128 v[36:39], v2 offset:1936
	;; [unrolled: 1-line block ×6, first 2 shown]
	v_cmp_lt_u32_e32 vcc, 55, v252
	s_waitcnt vmcnt(6) lgkmcnt(5)
	v_mul_f64 v[2:3], v[32:33], v[6:7]
	v_mul_f64 v[6:7], v[34:35], v[6:7]
	s_waitcnt vmcnt(5) lgkmcnt(4)
	v_mul_f64 v[56:57], v[36:37], v[10:11]
	v_mul_f64 v[10:11], v[38:39], v[10:11]
	v_fmac_f64_e32 v[2:3], v[34:35], v[4:5]
	v_fma_f64 v[4:5], v[32:33], v[4:5], -v[6:7]
	s_waitcnt vmcnt(4) lgkmcnt(3)
	v_mul_f64 v[58:59], v[40:41], v[14:15]
	v_mul_f64 v[14:15], v[42:43], v[14:15]
	v_fmac_f64_e32 v[56:57], v[38:39], v[8:9]
	v_fma_f64 v[6:7], v[36:37], v[8:9], -v[10:11]
	v_add_f64 v[2:3], v[2:3], 0
	v_add_f64 v[4:5], v[4:5], 0
	s_waitcnt vmcnt(3) lgkmcnt(2)
	v_mul_f64 v[60:61], v[44:45], v[18:19]
	v_mul_f64 v[18:19], v[46:47], v[18:19]
	v_fmac_f64_e32 v[58:59], v[42:43], v[12:13]
	v_fma_f64 v[8:9], v[40:41], v[12:13], -v[14:15]
	v_add_f64 v[2:3], v[2:3], v[56:57]
	v_add_f64 v[4:5], v[4:5], v[6:7]
	;; [unrolled: 7-line block ×4, first 2 shown]
	v_fmac_f64_e32 v[64:65], v[54:55], v[24:25]
	v_fma_f64 v[14:15], v[52:53], v[24:25], -v[26:27]
	v_add_f64 v[2:3], v[2:3], v[62:63]
	v_add_f64 v[4:5], v[4:5], v[12:13]
	;; [unrolled: 1-line block ×4, first 2 shown]
	s_waitcnt vmcnt(0)
	v_add_f64 v[2:3], v[28:29], -v[2:3]
	v_add_f64 v[4:5], v[30:31], -v[6:7]
	scratch_store_dwordx4 off, v[2:5], off offset:912
	s_and_saveexec_b64 s[0:1], vcc
	s_cbranch_execz .LBB62_293
; %bb.292:
	scratch_load_dwordx4 v[2:5], off, s33
	v_mov_b32_e32 v6, 0
	v_mov_b32_e32 v7, v6
	v_mov_b32_e32 v8, v6
	v_mov_b32_e32 v9, v6
	v_accvgpr_read_b32 v0, a127
	scratch_store_dwordx4 off, v[6:9], off offset:896
	s_waitcnt vmcnt(1)
	ds_write_b128 v0, v[2:5]
.LBB62_293:
	s_or_b64 exec, exec, s[0:1]
	s_waitcnt lgkmcnt(0)
	; wave barrier
	scratch_load_dwordx4 v[4:7], off, off offset:912
	scratch_load_dwordx4 v[8:11], off, off offset:928
	scratch_load_dwordx4 v[12:15], off, off offset:944
	scratch_load_dwordx4 v[16:19], off, off offset:960
	scratch_load_dwordx4 v[20:23], off, off offset:976
	scratch_load_dwordx4 v[24:27], off, off offset:992
	scratch_load_dwordx4 v[28:31], off, off offset:1008
	scratch_load_dwordx4 v[32:35], off, off offset:896
	v_mov_b32_e32 v2, 0
	ds_read_b128 v[36:39], v2 offset:1904
	ds_read_b128 v[40:43], v2 offset:1920
	;; [unrolled: 1-line block ×7, first 2 shown]
	v_cmp_lt_u32_e32 vcc, 54, v252
	s_waitcnt vmcnt(7) lgkmcnt(6)
	v_mul_f64 v[64:65], v[36:37], v[6:7]
	v_mul_f64 v[6:7], v[38:39], v[6:7]
	s_waitcnt vmcnt(6) lgkmcnt(5)
	v_mul_f64 v[66:67], v[40:41], v[10:11]
	s_waitcnt vmcnt(4) lgkmcnt(3)
	v_mul_f64 v[70:71], v[48:49], v[18:19]
	v_mul_f64 v[10:11], v[42:43], v[10:11]
	;; [unrolled: 1-line block ×3, first 2 shown]
	v_fmac_f64_e32 v[64:65], v[38:39], v[4:5]
	v_fma_f64 v[4:5], v[36:37], v[4:5], -v[6:7]
	v_mul_f64 v[68:69], v[44:45], v[14:15]
	v_mul_f64 v[14:15], v[46:47], v[14:15]
	v_fmac_f64_e32 v[66:67], v[42:43], v[8:9]
	v_fma_f64 v[6:7], v[40:41], v[8:9], -v[10:11]
	v_fma_f64 v[10:11], v[48:49], v[16:17], -v[18:19]
	v_add_f64 v[18:19], v[64:65], 0
	v_add_f64 v[4:5], v[4:5], 0
	v_fmac_f64_e32 v[68:69], v[46:47], v[12:13]
	v_fma_f64 v[8:9], v[44:45], v[12:13], -v[14:15]
	v_add_f64 v[18:19], v[18:19], v[66:67]
	v_add_f64 v[4:5], v[4:5], v[6:7]
	s_waitcnt vmcnt(3) lgkmcnt(2)
	v_mul_f64 v[72:73], v[52:53], v[22:23]
	v_mul_f64 v[22:23], v[54:55], v[22:23]
	v_fmac_f64_e32 v[70:71], v[50:51], v[16:17]
	v_add_f64 v[6:7], v[18:19], v[68:69]
	v_add_f64 v[4:5], v[4:5], v[8:9]
	s_waitcnt vmcnt(2) lgkmcnt(1)
	v_mul_f64 v[74:75], v[56:57], v[26:27]
	v_mul_f64 v[26:27], v[58:59], v[26:27]
	v_fmac_f64_e32 v[72:73], v[54:55], v[20:21]
	v_fma_f64 v[12:13], v[52:53], v[20:21], -v[22:23]
	v_add_f64 v[6:7], v[6:7], v[70:71]
	v_add_f64 v[4:5], v[4:5], v[10:11]
	s_waitcnt vmcnt(1) lgkmcnt(0)
	v_mul_f64 v[76:77], v[60:61], v[30:31]
	v_mul_f64 v[30:31], v[62:63], v[30:31]
	v_fmac_f64_e32 v[74:75], v[58:59], v[24:25]
	v_fma_f64 v[14:15], v[56:57], v[24:25], -v[26:27]
	v_add_f64 v[6:7], v[6:7], v[72:73]
	v_add_f64 v[4:5], v[4:5], v[12:13]
	v_fmac_f64_e32 v[76:77], v[62:63], v[28:29]
	v_fma_f64 v[16:17], v[60:61], v[28:29], -v[30:31]
	v_add_f64 v[6:7], v[6:7], v[74:75]
	v_add_f64 v[4:5], v[4:5], v[14:15]
	;; [unrolled: 1-line block ×4, first 2 shown]
	s_waitcnt vmcnt(0)
	v_add_f64 v[4:5], v[32:33], -v[4:5]
	v_add_f64 v[6:7], v[34:35], -v[6:7]
	scratch_store_dwordx4 off, v[4:7], off offset:896
	s_and_saveexec_b64 s[0:1], vcc
	s_cbranch_execz .LBB62_295
; %bb.294:
	scratch_load_dwordx4 v[6:9], off, s36
	v_mov_b32_e32 v3, v2
	v_mov_b32_e32 v4, v2
	;; [unrolled: 1-line block ×3, first 2 shown]
	v_accvgpr_read_b32 v0, a127
	scratch_store_dwordx4 off, v[2:5], off offset:880
	s_waitcnt vmcnt(1)
	ds_write_b128 v0, v[6:9]
.LBB62_295:
	s_or_b64 exec, exec, s[0:1]
	s_waitcnt lgkmcnt(0)
	; wave barrier
	scratch_load_dwordx4 v[4:7], off, off offset:896
	scratch_load_dwordx4 v[8:11], off, off offset:912
	;; [unrolled: 1-line block ×9, first 2 shown]
	ds_read_b128 v[40:43], v2 offset:1888
	ds_read_b128 v[44:47], v2 offset:1904
	;; [unrolled: 1-line block ×8, first 2 shown]
	v_cmp_lt_u32_e32 vcc, 53, v252
	s_waitcnt vmcnt(8) lgkmcnt(7)
	v_mul_f64 v[2:3], v[40:41], v[6:7]
	v_mul_f64 v[6:7], v[42:43], v[6:7]
	s_waitcnt vmcnt(7) lgkmcnt(6)
	v_mul_f64 v[72:73], v[44:45], v[10:11]
	v_mul_f64 v[10:11], v[46:47], v[10:11]
	v_fmac_f64_e32 v[2:3], v[42:43], v[4:5]
	v_fma_f64 v[4:5], v[40:41], v[4:5], -v[6:7]
	s_waitcnt vmcnt(6) lgkmcnt(5)
	v_mul_f64 v[74:75], v[48:49], v[14:15]
	v_mul_f64 v[14:15], v[50:51], v[14:15]
	v_fmac_f64_e32 v[72:73], v[46:47], v[8:9]
	v_fma_f64 v[6:7], v[44:45], v[8:9], -v[10:11]
	v_add_f64 v[2:3], v[2:3], 0
	v_add_f64 v[4:5], v[4:5], 0
	s_waitcnt vmcnt(5) lgkmcnt(4)
	v_mul_f64 v[76:77], v[52:53], v[18:19]
	v_mul_f64 v[18:19], v[54:55], v[18:19]
	v_fmac_f64_e32 v[74:75], v[50:51], v[12:13]
	v_fma_f64 v[8:9], v[48:49], v[12:13], -v[14:15]
	v_add_f64 v[2:3], v[2:3], v[72:73]
	v_add_f64 v[4:5], v[4:5], v[6:7]
	;; [unrolled: 7-line block ×6, first 2 shown]
	v_fmac_f64_e32 v[84:85], v[70:71], v[32:33]
	v_fma_f64 v[18:19], v[68:69], v[32:33], -v[34:35]
	v_add_f64 v[2:3], v[2:3], v[82:83]
	v_add_f64 v[4:5], v[4:5], v[16:17]
	;; [unrolled: 1-line block ×4, first 2 shown]
	s_waitcnt vmcnt(0)
	v_add_f64 v[2:3], v[36:37], -v[2:3]
	v_add_f64 v[4:5], v[38:39], -v[6:7]
	scratch_store_dwordx4 off, v[2:5], off offset:880
	s_and_saveexec_b64 s[0:1], vcc
	s_cbranch_execz .LBB62_297
; %bb.296:
	scratch_load_dwordx4 v[2:5], off, s35
	v_mov_b32_e32 v6, 0
	v_mov_b32_e32 v7, v6
	;; [unrolled: 1-line block ×4, first 2 shown]
	v_accvgpr_read_b32 v0, a127
	scratch_store_dwordx4 off, v[6:9], off offset:864
	s_waitcnt vmcnt(1)
	ds_write_b128 v0, v[2:5]
.LBB62_297:
	s_or_b64 exec, exec, s[0:1]
	s_waitcnt lgkmcnt(0)
	; wave barrier
	scratch_load_dwordx4 v[4:7], off, off offset:880
	scratch_load_dwordx4 v[8:11], off, off offset:896
	;; [unrolled: 1-line block ×10, first 2 shown]
	v_mov_b32_e32 v2, 0
	ds_read_b128 v[44:47], v2 offset:1872
	ds_read_b128 v[48:51], v2 offset:1888
	;; [unrolled: 1-line block ×9, first 2 shown]
	v_cmp_lt_u32_e32 vcc, 52, v252
	s_waitcnt vmcnt(9) lgkmcnt(8)
	v_mul_f64 v[80:81], v[44:45], v[6:7]
	v_mul_f64 v[6:7], v[46:47], v[6:7]
	s_waitcnt vmcnt(8) lgkmcnt(7)
	v_mul_f64 v[82:83], v[48:49], v[10:11]
	s_waitcnt vmcnt(7) lgkmcnt(6)
	;; [unrolled: 2-line block ×3, first 2 shown]
	v_mul_f64 v[88:89], v[60:61], v[22:23]
	v_mul_f64 v[10:11], v[50:51], v[10:11]
	;; [unrolled: 1-line block ×4, first 2 shown]
	v_fmac_f64_e32 v[80:81], v[46:47], v[4:5]
	v_fma_f64 v[4:5], v[44:45], v[4:5], -v[6:7]
	v_fmac_f64_e32 v[82:83], v[50:51], v[8:9]
	v_fmac_f64_e32 v[84:85], v[54:55], v[12:13]
	v_fma_f64 v[6:7], v[48:49], v[8:9], -v[10:11]
	v_fma_f64 v[8:9], v[52:53], v[12:13], -v[14:15]
	;; [unrolled: 1-line block ×3, first 2 shown]
	v_add_f64 v[22:23], v[80:81], 0
	v_add_f64 v[4:5], v[4:5], 0
	v_mul_f64 v[86:87], v[56:57], v[18:19]
	v_mul_f64 v[18:19], v[58:59], v[18:19]
	v_add_f64 v[22:23], v[22:23], v[82:83]
	v_add_f64 v[4:5], v[4:5], v[6:7]
	v_fmac_f64_e32 v[86:87], v[58:59], v[16:17]
	v_fma_f64 v[10:11], v[56:57], v[16:17], -v[18:19]
	v_add_f64 v[6:7], v[22:23], v[84:85]
	v_add_f64 v[4:5], v[4:5], v[8:9]
	s_waitcnt vmcnt(4) lgkmcnt(3)
	v_mul_f64 v[90:91], v[64:65], v[26:27]
	v_mul_f64 v[26:27], v[66:67], v[26:27]
	v_fmac_f64_e32 v[88:89], v[62:63], v[20:21]
	v_add_f64 v[6:7], v[6:7], v[86:87]
	v_add_f64 v[4:5], v[4:5], v[10:11]
	s_waitcnt vmcnt(3) lgkmcnt(2)
	v_mul_f64 v[92:93], v[68:69], v[30:31]
	v_mul_f64 v[30:31], v[70:71], v[30:31]
	v_fmac_f64_e32 v[90:91], v[66:67], v[24:25]
	v_fma_f64 v[14:15], v[64:65], v[24:25], -v[26:27]
	v_add_f64 v[6:7], v[6:7], v[88:89]
	v_add_f64 v[4:5], v[4:5], v[12:13]
	s_waitcnt vmcnt(2) lgkmcnt(1)
	v_mul_f64 v[94:95], v[72:73], v[34:35]
	v_mul_f64 v[34:35], v[74:75], v[34:35]
	v_fmac_f64_e32 v[92:93], v[70:71], v[28:29]
	v_fma_f64 v[16:17], v[68:69], v[28:29], -v[30:31]
	v_add_f64 v[6:7], v[6:7], v[90:91]
	v_add_f64 v[4:5], v[4:5], v[14:15]
	s_waitcnt vmcnt(1) lgkmcnt(0)
	v_mul_f64 v[96:97], v[76:77], v[38:39]
	v_mul_f64 v[38:39], v[78:79], v[38:39]
	v_fmac_f64_e32 v[94:95], v[74:75], v[32:33]
	v_fma_f64 v[18:19], v[72:73], v[32:33], -v[34:35]
	v_add_f64 v[6:7], v[6:7], v[92:93]
	v_add_f64 v[4:5], v[4:5], v[16:17]
	v_fmac_f64_e32 v[96:97], v[78:79], v[36:37]
	v_fma_f64 v[20:21], v[76:77], v[36:37], -v[38:39]
	v_add_f64 v[6:7], v[6:7], v[94:95]
	v_add_f64 v[4:5], v[4:5], v[18:19]
	;; [unrolled: 1-line block ×4, first 2 shown]
	s_waitcnt vmcnt(0)
	v_add_f64 v[4:5], v[40:41], -v[4:5]
	v_add_f64 v[6:7], v[42:43], -v[6:7]
	scratch_store_dwordx4 off, v[4:7], off offset:864
	s_and_saveexec_b64 s[0:1], vcc
	s_cbranch_execz .LBB62_299
; %bb.298:
	scratch_load_dwordx4 v[6:9], off, s38
	v_mov_b32_e32 v3, v2
	v_mov_b32_e32 v4, v2
	;; [unrolled: 1-line block ×3, first 2 shown]
	v_accvgpr_read_b32 v0, a127
	scratch_store_dwordx4 off, v[2:5], off offset:848
	s_waitcnt vmcnt(1)
	ds_write_b128 v0, v[6:9]
.LBB62_299:
	s_or_b64 exec, exec, s[0:1]
	s_waitcnt lgkmcnt(0)
	; wave barrier
	scratch_load_dwordx4 v[4:7], off, off offset:864
	scratch_load_dwordx4 v[8:11], off, off offset:880
	;; [unrolled: 1-line block ×11, first 2 shown]
	ds_read_b128 v[48:51], v2 offset:1856
	ds_read_b128 v[52:55], v2 offset:1872
	;; [unrolled: 1-line block ×10, first 2 shown]
	v_cmp_lt_u32_e32 vcc, 51, v252
	s_waitcnt vmcnt(10) lgkmcnt(9)
	v_mul_f64 v[2:3], v[48:49], v[6:7]
	v_mul_f64 v[6:7], v[50:51], v[6:7]
	s_waitcnt vmcnt(9) lgkmcnt(8)
	v_mul_f64 v[88:89], v[52:53], v[10:11]
	v_mul_f64 v[10:11], v[54:55], v[10:11]
	v_fmac_f64_e32 v[2:3], v[50:51], v[4:5]
	v_fma_f64 v[4:5], v[48:49], v[4:5], -v[6:7]
	s_waitcnt vmcnt(8) lgkmcnt(7)
	v_mul_f64 v[90:91], v[56:57], v[14:15]
	v_mul_f64 v[14:15], v[58:59], v[14:15]
	v_fmac_f64_e32 v[88:89], v[54:55], v[8:9]
	v_fma_f64 v[6:7], v[52:53], v[8:9], -v[10:11]
	v_add_f64 v[2:3], v[2:3], 0
	v_add_f64 v[4:5], v[4:5], 0
	s_waitcnt vmcnt(7) lgkmcnt(6)
	v_mul_f64 v[92:93], v[60:61], v[18:19]
	v_mul_f64 v[18:19], v[62:63], v[18:19]
	v_fmac_f64_e32 v[90:91], v[58:59], v[12:13]
	v_fma_f64 v[8:9], v[56:57], v[12:13], -v[14:15]
	v_add_f64 v[2:3], v[2:3], v[88:89]
	v_add_f64 v[4:5], v[4:5], v[6:7]
	;; [unrolled: 7-line block ×8, first 2 shown]
	v_fmac_f64_e32 v[104:105], v[86:87], v[40:41]
	v_fma_f64 v[22:23], v[84:85], v[40:41], -v[42:43]
	v_add_f64 v[2:3], v[2:3], v[102:103]
	v_add_f64 v[4:5], v[4:5], v[20:21]
	;; [unrolled: 1-line block ×4, first 2 shown]
	s_waitcnt vmcnt(0)
	v_add_f64 v[2:3], v[44:45], -v[2:3]
	v_add_f64 v[4:5], v[46:47], -v[6:7]
	scratch_store_dwordx4 off, v[2:5], off offset:848
	s_and_saveexec_b64 s[0:1], vcc
	s_cbranch_execz .LBB62_301
; %bb.300:
	scratch_load_dwordx4 v[2:5], off, s37
	v_mov_b32_e32 v6, 0
	v_mov_b32_e32 v7, v6
	;; [unrolled: 1-line block ×4, first 2 shown]
	v_accvgpr_read_b32 v0, a127
	scratch_store_dwordx4 off, v[6:9], off offset:832
	s_waitcnt vmcnt(1)
	ds_write_b128 v0, v[2:5]
.LBB62_301:
	s_or_b64 exec, exec, s[0:1]
	s_waitcnt lgkmcnt(0)
	; wave barrier
	scratch_load_dwordx4 v[4:7], off, off offset:848
	scratch_load_dwordx4 v[8:11], off, off offset:864
	;; [unrolled: 1-line block ×12, first 2 shown]
	v_mov_b32_e32 v2, 0
	ds_read_b128 v[52:55], v2 offset:1840
	ds_read_b128 v[56:59], v2 offset:1856
	;; [unrolled: 1-line block ×11, first 2 shown]
	v_cmp_lt_u32_e32 vcc, 50, v252
	s_waitcnt vmcnt(11) lgkmcnt(10)
	v_mul_f64 v[96:97], v[52:53], v[6:7]
	v_mul_f64 v[6:7], v[54:55], v[6:7]
	s_waitcnt vmcnt(10) lgkmcnt(9)
	v_mul_f64 v[98:99], v[56:57], v[10:11]
	s_waitcnt vmcnt(9) lgkmcnt(8)
	v_mul_f64 v[100:101], v[60:61], v[14:15]
	v_mul_f64 v[10:11], v[58:59], v[10:11]
	s_waitcnt vmcnt(6) lgkmcnt(5)
	v_mul_f64 v[106:107], v[72:73], v[26:27]
	v_mul_f64 v[14:15], v[62:63], v[14:15]
	;; [unrolled: 1-line block ×3, first 2 shown]
	v_fmac_f64_e32 v[96:97], v[54:55], v[4:5]
	v_fma_f64 v[4:5], v[52:53], v[4:5], -v[6:7]
	v_fmac_f64_e32 v[98:99], v[58:59], v[8:9]
	v_fma_f64 v[6:7], v[56:57], v[8:9], -v[10:11]
	v_fma_f64 v[8:9], v[60:61], v[12:13], -v[14:15]
	;; [unrolled: 1-line block ×3, first 2 shown]
	v_add_f64 v[26:27], v[96:97], 0
	v_add_f64 v[4:5], v[4:5], 0
	v_mul_f64 v[102:103], v[64:65], v[18:19]
	v_mul_f64 v[18:19], v[66:67], v[18:19]
	v_fmac_f64_e32 v[100:101], v[62:63], v[12:13]
	v_add_f64 v[26:27], v[26:27], v[98:99]
	v_add_f64 v[4:5], v[4:5], v[6:7]
	v_mul_f64 v[104:105], v[68:69], v[22:23]
	v_mul_f64 v[22:23], v[70:71], v[22:23]
	v_fmac_f64_e32 v[102:103], v[66:67], v[16:17]
	v_fma_f64 v[10:11], v[64:65], v[16:17], -v[18:19]
	v_add_f64 v[6:7], v[26:27], v[100:101]
	v_add_f64 v[4:5], v[4:5], v[8:9]
	v_fmac_f64_e32 v[104:105], v[70:71], v[20:21]
	v_fma_f64 v[12:13], v[68:69], v[20:21], -v[22:23]
	v_add_f64 v[6:7], v[6:7], v[102:103]
	v_add_f64 v[4:5], v[4:5], v[10:11]
	s_waitcnt vmcnt(5) lgkmcnt(4)
	v_mul_f64 v[108:109], v[76:77], v[30:31]
	v_mul_f64 v[30:31], v[78:79], v[30:31]
	v_fmac_f64_e32 v[106:107], v[74:75], v[24:25]
	v_add_f64 v[6:7], v[6:7], v[104:105]
	v_add_f64 v[4:5], v[4:5], v[12:13]
	s_waitcnt vmcnt(4) lgkmcnt(3)
	v_mul_f64 v[110:111], v[80:81], v[34:35]
	v_mul_f64 v[34:35], v[82:83], v[34:35]
	v_fmac_f64_e32 v[108:109], v[78:79], v[28:29]
	v_fma_f64 v[16:17], v[76:77], v[28:29], -v[30:31]
	v_add_f64 v[6:7], v[6:7], v[106:107]
	v_add_f64 v[4:5], v[4:5], v[14:15]
	s_waitcnt vmcnt(3) lgkmcnt(2)
	v_mul_f64 v[112:113], v[84:85], v[38:39]
	v_mul_f64 v[38:39], v[86:87], v[38:39]
	v_fmac_f64_e32 v[110:111], v[82:83], v[32:33]
	v_fma_f64 v[18:19], v[80:81], v[32:33], -v[34:35]
	;; [unrolled: 7-line block ×4, first 2 shown]
	v_add_f64 v[6:7], v[6:7], v[112:113]
	v_add_f64 v[4:5], v[4:5], v[20:21]
	v_fmac_f64_e32 v[116:117], v[94:95], v[44:45]
	v_fma_f64 v[24:25], v[92:93], v[44:45], -v[46:47]
	v_add_f64 v[6:7], v[6:7], v[114:115]
	v_add_f64 v[4:5], v[4:5], v[22:23]
	;; [unrolled: 1-line block ×4, first 2 shown]
	s_waitcnt vmcnt(0)
	v_add_f64 v[4:5], v[48:49], -v[4:5]
	v_add_f64 v[6:7], v[50:51], -v[6:7]
	scratch_store_dwordx4 off, v[4:7], off offset:832
	s_and_saveexec_b64 s[0:1], vcc
	s_cbranch_execz .LBB62_303
; %bb.302:
	scratch_load_dwordx4 v[6:9], off, s40
	v_mov_b32_e32 v3, v2
	v_mov_b32_e32 v4, v2
	;; [unrolled: 1-line block ×3, first 2 shown]
	v_accvgpr_read_b32 v0, a127
	scratch_store_dwordx4 off, v[2:5], off offset:816
	s_waitcnt vmcnt(1)
	ds_write_b128 v0, v[6:9]
.LBB62_303:
	s_or_b64 exec, exec, s[0:1]
	s_waitcnt lgkmcnt(0)
	; wave barrier
	scratch_load_dwordx4 v[4:7], off, off offset:832
	scratch_load_dwordx4 v[8:11], off, off offset:848
	;; [unrolled: 1-line block ×12, first 2 shown]
	ds_read_b128 v[52:55], v2 offset:1824
	ds_read_b128 v[56:59], v2 offset:1840
	;; [unrolled: 1-line block ×4, first 2 shown]
	scratch_load_dwordx4 v[68:71], off, off offset:816
	ds_read_b128 v[72:75], v2 offset:1888
	ds_read_b128 v[76:79], v2 offset:1904
	;; [unrolled: 1-line block ×8, first 2 shown]
	v_cmp_lt_u32_e32 vcc, 49, v252
	s_waitcnt vmcnt(12) lgkmcnt(11)
	v_mul_f64 v[2:3], v[52:53], v[6:7]
	s_waitcnt vmcnt(11) lgkmcnt(10)
	v_mul_f64 v[104:105], v[56:57], v[10:11]
	v_fmac_f64_e32 v[2:3], v[54:55], v[4:5]
	s_waitcnt vmcnt(10) lgkmcnt(9)
	v_mul_f64 v[106:107], v[60:61], v[14:15]
	v_mul_f64 v[6:7], v[54:55], v[6:7]
	v_fmac_f64_e32 v[104:105], v[58:59], v[8:9]
	v_add_f64 v[2:3], v[2:3], 0
	s_waitcnt vmcnt(9) lgkmcnt(8)
	v_mul_f64 v[108:109], v[64:65], v[18:19]
	v_mul_f64 v[10:11], v[58:59], v[10:11]
	v_fmac_f64_e32 v[106:107], v[62:63], v[12:13]
	v_fma_f64 v[4:5], v[52:53], v[4:5], -v[6:7]
	v_add_f64 v[2:3], v[2:3], v[104:105]
	s_waitcnt vmcnt(8) lgkmcnt(7)
	v_mul_f64 v[110:111], v[72:73], v[22:23]
	v_mul_f64 v[14:15], v[62:63], v[14:15]
	v_fmac_f64_e32 v[108:109], v[66:67], v[16:17]
	v_fma_f64 v[6:7], v[56:57], v[8:9], -v[10:11]
	v_add_f64 v[4:5], v[4:5], 0
	v_add_f64 v[2:3], v[2:3], v[106:107]
	s_waitcnt vmcnt(7) lgkmcnt(6)
	v_mul_f64 v[112:113], v[76:77], v[26:27]
	v_mul_f64 v[18:19], v[66:67], v[18:19]
	v_fmac_f64_e32 v[110:111], v[74:75], v[20:21]
	v_fma_f64 v[8:9], v[60:61], v[12:13], -v[14:15]
	v_add_f64 v[4:5], v[4:5], v[6:7]
	v_add_f64 v[2:3], v[2:3], v[108:109]
	s_waitcnt vmcnt(6) lgkmcnt(5)
	v_mul_f64 v[114:115], v[80:81], v[30:31]
	v_mul_f64 v[22:23], v[74:75], v[22:23]
	v_fmac_f64_e32 v[112:113], v[78:79], v[24:25]
	v_fma_f64 v[10:11], v[64:65], v[16:17], -v[18:19]
	v_add_f64 v[4:5], v[4:5], v[8:9]
	v_add_f64 v[2:3], v[2:3], v[110:111]
	s_waitcnt vmcnt(5) lgkmcnt(4)
	v_mul_f64 v[116:117], v[84:85], v[34:35]
	v_mul_f64 v[26:27], v[78:79], v[26:27]
	v_fmac_f64_e32 v[114:115], v[82:83], v[28:29]
	v_fma_f64 v[12:13], v[72:73], v[20:21], -v[22:23]
	v_add_f64 v[4:5], v[4:5], v[10:11]
	v_add_f64 v[2:3], v[2:3], v[112:113]
	s_waitcnt vmcnt(4) lgkmcnt(3)
	v_mul_f64 v[118:119], v[88:89], v[38:39]
	v_mul_f64 v[30:31], v[82:83], v[30:31]
	v_fmac_f64_e32 v[116:117], v[86:87], v[32:33]
	v_fma_f64 v[14:15], v[76:77], v[24:25], -v[26:27]
	v_add_f64 v[4:5], v[4:5], v[12:13]
	v_add_f64 v[2:3], v[2:3], v[114:115]
	s_waitcnt vmcnt(3) lgkmcnt(2)
	v_mul_f64 v[120:121], v[92:93], v[42:43]
	v_mul_f64 v[34:35], v[86:87], v[34:35]
	v_fmac_f64_e32 v[118:119], v[90:91], v[36:37]
	v_fma_f64 v[16:17], v[80:81], v[28:29], -v[30:31]
	v_add_f64 v[4:5], v[4:5], v[14:15]
	v_add_f64 v[2:3], v[2:3], v[116:117]
	s_waitcnt vmcnt(2) lgkmcnt(1)
	v_mul_f64 v[122:123], v[96:97], v[46:47]
	v_mul_f64 v[38:39], v[90:91], v[38:39]
	v_fmac_f64_e32 v[120:121], v[94:95], v[40:41]
	v_fma_f64 v[18:19], v[84:85], v[32:33], -v[34:35]
	v_add_f64 v[4:5], v[4:5], v[16:17]
	v_add_f64 v[2:3], v[2:3], v[118:119]
	s_waitcnt vmcnt(1) lgkmcnt(0)
	v_mul_f64 v[124:125], v[100:101], v[50:51]
	v_mul_f64 v[42:43], v[94:95], v[42:43]
	v_fmac_f64_e32 v[122:123], v[98:99], v[44:45]
	v_fma_f64 v[20:21], v[88:89], v[36:37], -v[38:39]
	v_add_f64 v[4:5], v[4:5], v[18:19]
	v_add_f64 v[2:3], v[2:3], v[120:121]
	v_mul_f64 v[46:47], v[98:99], v[46:47]
	v_fmac_f64_e32 v[124:125], v[102:103], v[48:49]
	v_fma_f64 v[22:23], v[92:93], v[40:41], -v[42:43]
	v_add_f64 v[4:5], v[4:5], v[20:21]
	v_add_f64 v[2:3], v[2:3], v[122:123]
	;; [unrolled: 1-line block ×4, first 2 shown]
	v_fma_f64 v[2:3], v[96:97], v[44:45], -v[46:47]
	v_add_f64 v[2:3], v[4:5], v[2:3]
	v_mul_f64 v[4:5], v[102:103], v[50:51]
	v_fma_f64 v[4:5], v[100:101], v[48:49], -v[4:5]
	v_add_f64 v[2:3], v[2:3], v[4:5]
	s_waitcnt vmcnt(0)
	v_add_f64 v[2:3], v[68:69], -v[2:3]
	v_add_f64 v[4:5], v[70:71], -v[6:7]
	scratch_store_dwordx4 off, v[2:5], off offset:816
	s_and_saveexec_b64 s[0:1], vcc
	s_cbranch_execz .LBB62_305
; %bb.304:
	scratch_load_dwordx4 v[2:5], off, s39
	v_mov_b32_e32 v6, 0
	v_mov_b32_e32 v7, v6
	;; [unrolled: 1-line block ×4, first 2 shown]
	v_accvgpr_read_b32 v0, a127
	scratch_store_dwordx4 off, v[6:9], off offset:800
	s_waitcnt vmcnt(1)
	ds_write_b128 v0, v[2:5]
.LBB62_305:
	s_or_b64 exec, exec, s[0:1]
	v_mov_b32_e32 v2, 0
	s_waitcnt lgkmcnt(0)
	; wave barrier
	ds_read_b128 v[16:19], v2 offset:1808
	ds_read_b128 v[12:15], v2 offset:1824
	ds_read_b128 v[8:11], v2 offset:1840
	ds_read_b128 v[4:7], v2 offset:1856
	scratch_load_dwordx4 v[20:23], off, off offset:816
	scratch_load_dwordx4 v[42:45], off, off offset:880
	;; [unrolled: 1-line block ×7, first 2 shown]
	v_cmp_lt_u32_e32 vcc, 48, v252
	scratch_load_dwordx4 v[50:53], off, off offset:896
	scratch_load_dwordx4 v[58:61], off, off offset:912
	;; [unrolled: 1-line block ×3, first 2 shown]
	s_waitcnt vmcnt(9) lgkmcnt(3)
	v_mul_f64 v[24:25], v[16:17], v[22:23]
	v_fmac_f64_e32 v[24:25], v[18:19], v[20:21]
	v_add_f64 v[28:29], v[24:25], 0
	scratch_load_dwordx4 v[24:27], off, off offset:832
	v_mul_f64 v[18:19], v[18:19], v[22:23]
	v_fma_f64 v[16:17], v[16:17], v[20:21], -v[18:19]
	v_add_f64 v[16:17], v[16:17], 0
	s_waitcnt vmcnt(0) lgkmcnt(2)
	v_mul_f64 v[30:31], v[12:13], v[26:27]
	v_fmac_f64_e32 v[30:31], v[14:15], v[24:25]
	v_add_f64 v[32:33], v[28:29], v[30:31]
	scratch_load_dwordx4 v[28:31], off, off offset:848
	v_mul_f64 v[14:15], v[14:15], v[26:27]
	v_fma_f64 v[12:13], v[12:13], v[24:25], -v[14:15]
	v_add_f64 v[12:13], v[16:17], v[12:13]
	;; [unrolled: 8-line block ×3, first 2 shown]
	s_waitcnt vmcnt(0) lgkmcnt(0)
	v_mul_f64 v[38:39], v[4:5], v[36:37]
	v_fmac_f64_e32 v[38:39], v[6:7], v[34:35]
	v_add_f64 v[32:33], v[32:33], v[38:39]
	ds_read_b128 v[38:41], v2 offset:1872
	v_mul_f64 v[6:7], v[6:7], v[36:37]
	v_fma_f64 v[4:5], v[4:5], v[34:35], -v[6:7]
	v_add_f64 v[4:5], v[8:9], v[4:5]
	s_waitcnt lgkmcnt(0)
	v_mul_f64 v[46:47], v[38:39], v[44:45]
	v_fmac_f64_e32 v[46:47], v[40:41], v[42:43]
	v_add_f64 v[32:33], v[32:33], v[46:47]
	ds_read_b128 v[46:49], v2 offset:1888
	v_mul_f64 v[6:7], v[40:41], v[44:45]
	v_fma_f64 v[6:7], v[38:39], v[42:43], -v[6:7]
	v_add_f64 v[4:5], v[4:5], v[6:7]
	s_waitcnt lgkmcnt(0)
	;; [unrolled: 8-line block ×9, first 2 shown]
	v_mul_f64 v[6:7], v[104:105], v[108:109]
	v_fma_f64 v[6:7], v[102:103], v[106:107], -v[6:7]
	v_add_f64 v[8:9], v[4:5], v[6:7]
	scratch_load_dwordx4 v[4:7], off, off offset:800
	v_mul_f64 v[110:111], v[102:103], v[108:109]
	v_fmac_f64_e32 v[110:111], v[104:105], v[106:107]
	v_add_f64 v[32:33], v[32:33], v[110:111]
	s_waitcnt vmcnt(0)
	v_add_f64 v[4:5], v[4:5], -v[8:9]
	v_add_f64 v[6:7], v[6:7], -v[32:33]
	scratch_store_dwordx4 off, v[4:7], off offset:800
	s_and_saveexec_b64 s[0:1], vcc
	s_cbranch_execz .LBB62_307
; %bb.306:
	scratch_load_dwordx4 v[6:9], off, s42
	v_mov_b32_e32 v3, v2
	v_mov_b32_e32 v4, v2
	;; [unrolled: 1-line block ×3, first 2 shown]
	v_accvgpr_read_b32 v0, a127
	scratch_store_dwordx4 off, v[2:5], off offset:784
	s_waitcnt vmcnt(1)
	ds_write_b128 v0, v[6:9]
.LBB62_307:
	s_or_b64 exec, exec, s[0:1]
	s_waitcnt lgkmcnt(0)
	; wave barrier
	ds_read_b128 v[16:19], v2 offset:1792
	ds_read_b128 v[12:15], v2 offset:1808
	;; [unrolled: 1-line block ×4, first 2 shown]
	scratch_load_dwordx4 v[20:23], off, off offset:800
	scratch_load_dwordx4 v[42:45], off, off offset:864
	;; [unrolled: 1-line block ×8, first 2 shown]
	v_cmp_lt_u32_e32 vcc, 47, v252
	scratch_load_dwordx4 v[50:53], off, off offset:880
	scratch_load_dwordx4 v[58:61], off, off offset:896
	;; [unrolled: 1-line block ×3, first 2 shown]
	s_waitcnt vmcnt(10) lgkmcnt(3)
	v_mul_f64 v[24:25], v[16:17], v[22:23]
	v_fmac_f64_e32 v[24:25], v[18:19], v[20:21]
	v_add_f64 v[28:29], v[24:25], 0
	scratch_load_dwordx4 v[24:27], off, off offset:816
	s_waitcnt vmcnt(0) lgkmcnt(2)
	v_mul_f64 v[30:31], v[12:13], v[26:27]
	v_fmac_f64_e32 v[30:31], v[14:15], v[24:25]
	v_add_f64 v[32:33], v[28:29], v[30:31]
	scratch_load_dwordx4 v[28:31], off, off offset:832
	v_mul_f64 v[14:15], v[14:15], v[26:27]
	v_fma_f64 v[12:13], v[12:13], v[24:25], -v[14:15]
	s_waitcnt vmcnt(0) lgkmcnt(1)
	v_mul_f64 v[34:35], v[8:9], v[30:31]
	v_fmac_f64_e32 v[34:35], v[10:11], v[28:29]
	v_add_f64 v[36:37], v[32:33], v[34:35]
	scratch_load_dwordx4 v[32:35], off, off offset:848
	v_mul_f64 v[10:11], v[10:11], v[30:31]
	v_fma_f64 v[8:9], v[8:9], v[28:29], -v[10:11]
	s_waitcnt vmcnt(0) lgkmcnt(0)
	v_mul_f64 v[38:39], v[4:5], v[34:35]
	v_fmac_f64_e32 v[38:39], v[6:7], v[32:33]
	v_add_f64 v[40:41], v[36:37], v[38:39]
	ds_read_b128 v[36:39], v2 offset:1856
	v_mul_f64 v[6:7], v[6:7], v[34:35]
	v_fma_f64 v[4:5], v[4:5], v[32:33], -v[6:7]
	s_waitcnt lgkmcnt(0)
	v_mul_f64 v[46:47], v[36:37], v[44:45]
	v_fmac_f64_e32 v[46:47], v[38:39], v[42:43]
	v_add_f64 v[40:41], v[40:41], v[46:47]
	ds_read_b128 v[46:49], v2 offset:1872
	s_waitcnt lgkmcnt(0)
	v_mul_f64 v[54:55], v[46:47], v[52:53]
	v_fmac_f64_e32 v[54:55], v[48:49], v[50:51]
	v_add_f64 v[40:41], v[40:41], v[54:55]
	ds_read_b128 v[54:57], v2 offset:1888
	;; [unrolled: 5-line block ×9, first 2 shown]
	s_waitcnt lgkmcnt(0)
	v_mul_f64 v[2:3], v[110:111], v[116:117]
	v_fmac_f64_e32 v[2:3], v[112:113], v[114:115]
	v_add_f64 v[40:41], v[40:41], v[2:3]
	v_mul_f64 v[2:3], v[18:19], v[22:23]
	v_fma_f64 v[2:3], v[16:17], v[20:21], -v[2:3]
	v_add_f64 v[2:3], v[2:3], 0
	v_add_f64 v[2:3], v[2:3], v[12:13]
	;; [unrolled: 1-line block ×4, first 2 shown]
	v_mul_f64 v[4:5], v[38:39], v[44:45]
	v_fma_f64 v[4:5], v[36:37], v[42:43], -v[4:5]
	v_add_f64 v[2:3], v[2:3], v[4:5]
	v_mul_f64 v[4:5], v[48:49], v[52:53]
	v_fma_f64 v[4:5], v[46:47], v[50:51], -v[4:5]
	v_add_f64 v[2:3], v[2:3], v[4:5]
	;; [unrolled: 3-line block ×10, first 2 shown]
	scratch_load_dwordx4 v[2:5], off, off offset:784
	s_waitcnt vmcnt(0)
	v_add_f64 v[2:3], v[2:3], -v[6:7]
	v_add_f64 v[4:5], v[4:5], -v[40:41]
	scratch_store_dwordx4 off, v[2:5], off offset:784
	s_and_saveexec_b64 s[0:1], vcc
	s_cbranch_execz .LBB62_309
; %bb.308:
	scratch_load_dwordx4 v[2:5], off, s41
	v_mov_b32_e32 v6, 0
	v_mov_b32_e32 v7, v6
	;; [unrolled: 1-line block ×4, first 2 shown]
	v_accvgpr_read_b32 v0, a127
	scratch_store_dwordx4 off, v[6:9], off offset:768
	s_waitcnt vmcnt(1)
	ds_write_b128 v0, v[2:5]
.LBB62_309:
	s_or_b64 exec, exec, s[0:1]
	v_mov_b32_e32 v2, 0
	s_waitcnt lgkmcnt(0)
	; wave barrier
	ds_read_b128 v[16:19], v2 offset:1776
	ds_read_b128 v[12:15], v2 offset:1792
	;; [unrolled: 1-line block ×4, first 2 shown]
	scratch_load_dwordx4 v[20:23], off, off offset:784
	scratch_load_dwordx4 v[40:43], off, off offset:848
	;; [unrolled: 1-line block ×9, first 2 shown]
	v_cmp_lt_u32_e32 vcc, 46, v252
	scratch_load_dwordx4 v[50:53], off, off offset:864
	scratch_load_dwordx4 v[58:61], off, off offset:880
	;; [unrolled: 1-line block ×3, first 2 shown]
	s_waitcnt vmcnt(11) lgkmcnt(3)
	v_mul_f64 v[24:25], v[16:17], v[22:23]
	v_fmac_f64_e32 v[24:25], v[18:19], v[20:21]
	v_add_f64 v[28:29], v[24:25], 0
	scratch_load_dwordx4 v[24:27], off, off offset:800
	v_mul_f64 v[18:19], v[18:19], v[22:23]
	v_fma_f64 v[16:17], v[16:17], v[20:21], -v[18:19]
	v_add_f64 v[16:17], v[16:17], 0
	s_waitcnt vmcnt(0) lgkmcnt(2)
	v_mul_f64 v[30:31], v[12:13], v[26:27]
	v_fmac_f64_e32 v[30:31], v[14:15], v[24:25]
	v_add_f64 v[32:33], v[28:29], v[30:31]
	scratch_load_dwordx4 v[28:31], off, off offset:816
	v_mul_f64 v[14:15], v[14:15], v[26:27]
	v_fma_f64 v[12:13], v[12:13], v[24:25], -v[14:15]
	v_add_f64 v[12:13], v[16:17], v[12:13]
	;; [unrolled: 8-line block ×3, first 2 shown]
	s_waitcnt vmcnt(0) lgkmcnt(0)
	v_mul_f64 v[38:39], v[4:5], v[34:35]
	v_fmac_f64_e32 v[38:39], v[6:7], v[32:33]
	v_add_f64 v[44:45], v[36:37], v[38:39]
	ds_read_b128 v[36:39], v2 offset:1840
	v_mul_f64 v[6:7], v[6:7], v[34:35]
	v_fma_f64 v[4:5], v[4:5], v[32:33], -v[6:7]
	v_add_f64 v[4:5], v[8:9], v[4:5]
	s_waitcnt lgkmcnt(0)
	v_mul_f64 v[46:47], v[36:37], v[42:43]
	v_fmac_f64_e32 v[46:47], v[38:39], v[40:41]
	v_add_f64 v[48:49], v[44:45], v[46:47]
	ds_read_b128 v[44:47], v2 offset:1856
	v_mul_f64 v[6:7], v[38:39], v[42:43]
	v_fma_f64 v[6:7], v[36:37], v[40:41], -v[6:7]
	v_add_f64 v[4:5], v[4:5], v[6:7]
	s_waitcnt lgkmcnt(0)
	;; [unrolled: 8-line block ×11, first 2 shown]
	v_mul_f64 v[6:7], v[120:121], v[124:125]
	v_fma_f64 v[6:7], v[118:119], v[122:123], -v[6:7]
	v_add_f64 v[8:9], v[4:5], v[6:7]
	scratch_load_dwordx4 v[4:7], off, off offset:768
	v_mul_f64 v[126:127], v[118:119], v[124:125]
	v_fmac_f64_e32 v[126:127], v[120:121], v[122:123]
	v_add_f64 v[48:49], v[48:49], v[126:127]
	s_waitcnt vmcnt(0)
	v_add_f64 v[4:5], v[4:5], -v[8:9]
	v_add_f64 v[6:7], v[6:7], -v[48:49]
	scratch_store_dwordx4 off, v[4:7], off offset:768
	s_and_saveexec_b64 s[0:1], vcc
	s_cbranch_execz .LBB62_311
; %bb.310:
	scratch_load_dwordx4 v[6:9], off, s44
	v_mov_b32_e32 v3, v2
	v_mov_b32_e32 v4, v2
	;; [unrolled: 1-line block ×3, first 2 shown]
	v_accvgpr_read_b32 v0, a127
	scratch_store_dwordx4 off, v[2:5], off offset:752
	s_waitcnt vmcnt(1)
	ds_write_b128 v0, v[6:9]
.LBB62_311:
	s_or_b64 exec, exec, s[0:1]
	s_waitcnt lgkmcnt(0)
	; wave barrier
	ds_read_b128 v[16:19], v2 offset:1760
	ds_read_b128 v[12:15], v2 offset:1776
	;; [unrolled: 1-line block ×4, first 2 shown]
	scratch_load_dwordx4 v[20:23], off, off offset:768
	scratch_load_dwordx4 v[40:43], off, off offset:832
	scratch_load_dwordx4 v[74:77], off, off offset:896
	scratch_load_dwordx4 v[82:85], off, off offset:912
	scratch_load_dwordx4 v[90:93], off, off offset:928
	scratch_load_dwordx4 v[98:101], off, off offset:944
	scratch_load_dwordx4 v[106:109], off, off offset:960
	scratch_load_dwordx4 v[114:117], off, off offset:976
	scratch_load_dwordx4 v[122:125], off, off offset:992
	scratch_load_dwordx4 v[130:133], off, off offset:1008
	v_cmp_lt_u32_e32 vcc, 45, v252
	scratch_load_dwordx4 v[48:51], off, off offset:848
	scratch_load_dwordx4 v[56:59], off, off offset:864
	;; [unrolled: 1-line block ×3, first 2 shown]
	s_waitcnt vmcnt(12) lgkmcnt(3)
	v_mul_f64 v[24:25], v[16:17], v[22:23]
	v_fmac_f64_e32 v[24:25], v[18:19], v[20:21]
	v_add_f64 v[28:29], v[24:25], 0
	scratch_load_dwordx4 v[24:27], off, off offset:784
	s_waitcnt vmcnt(0) lgkmcnt(2)
	v_mul_f64 v[30:31], v[12:13], v[26:27]
	v_fmac_f64_e32 v[30:31], v[14:15], v[24:25]
	v_add_f64 v[32:33], v[28:29], v[30:31]
	scratch_load_dwordx4 v[28:31], off, off offset:800
	v_mul_f64 v[14:15], v[14:15], v[26:27]
	v_fma_f64 v[12:13], v[12:13], v[24:25], -v[14:15]
	s_waitcnt vmcnt(0) lgkmcnt(1)
	v_mul_f64 v[34:35], v[8:9], v[30:31]
	v_fmac_f64_e32 v[34:35], v[10:11], v[28:29]
	v_add_f64 v[36:37], v[32:33], v[34:35]
	scratch_load_dwordx4 v[32:35], off, off offset:816
	v_mul_f64 v[10:11], v[10:11], v[30:31]
	v_fma_f64 v[8:9], v[8:9], v[28:29], -v[10:11]
	s_waitcnt vmcnt(0) lgkmcnt(0)
	v_mul_f64 v[38:39], v[4:5], v[34:35]
	v_fmac_f64_e32 v[38:39], v[6:7], v[32:33]
	v_add_f64 v[44:45], v[36:37], v[38:39]
	ds_read_b128 v[36:39], v2 offset:1824
	v_mul_f64 v[6:7], v[6:7], v[34:35]
	v_fma_f64 v[4:5], v[4:5], v[32:33], -v[6:7]
	s_waitcnt lgkmcnt(0)
	v_mul_f64 v[46:47], v[36:37], v[42:43]
	v_fmac_f64_e32 v[46:47], v[38:39], v[40:41]
	v_add_f64 v[52:53], v[44:45], v[46:47]
	ds_read_b128 v[44:47], v2 offset:1840
	s_waitcnt lgkmcnt(0)
	v_mul_f64 v[54:55], v[44:45], v[50:51]
	v_fmac_f64_e32 v[54:55], v[46:47], v[48:49]
	v_add_f64 v[60:61], v[52:53], v[54:55]
	ds_read_b128 v[52:55], v2 offset:1856
	;; [unrolled: 5-line block ×11, first 2 shown]
	s_waitcnt lgkmcnt(0)
	v_mul_f64 v[2:3], v[126:127], v[132:133]
	v_fmac_f64_e32 v[2:3], v[128:129], v[130:131]
	v_add_f64 v[64:65], v[64:65], v[2:3]
	v_mul_f64 v[2:3], v[18:19], v[22:23]
	v_fma_f64 v[2:3], v[16:17], v[20:21], -v[2:3]
	v_add_f64 v[2:3], v[2:3], 0
	v_add_f64 v[2:3], v[2:3], v[12:13]
	v_add_f64 v[2:3], v[2:3], v[8:9]
	v_add_f64 v[2:3], v[2:3], v[4:5]
	v_mul_f64 v[4:5], v[38:39], v[42:43]
	v_fma_f64 v[4:5], v[36:37], v[40:41], -v[4:5]
	v_add_f64 v[2:3], v[2:3], v[4:5]
	v_mul_f64 v[4:5], v[46:47], v[50:51]
	v_fma_f64 v[4:5], v[44:45], v[48:49], -v[4:5]
	v_add_f64 v[2:3], v[2:3], v[4:5]
	;; [unrolled: 3-line block ×12, first 2 shown]
	scratch_load_dwordx4 v[2:5], off, off offset:752
	s_waitcnt vmcnt(0)
	v_add_f64 v[2:3], v[2:3], -v[6:7]
	v_add_f64 v[4:5], v[4:5], -v[64:65]
	scratch_store_dwordx4 off, v[2:5], off offset:752
	s_and_saveexec_b64 s[0:1], vcc
	s_cbranch_execz .LBB62_313
; %bb.312:
	scratch_load_dwordx4 v[2:5], off, s43
	v_mov_b32_e32 v6, 0
	v_mov_b32_e32 v7, v6
	;; [unrolled: 1-line block ×4, first 2 shown]
	v_accvgpr_read_b32 v0, a127
	scratch_store_dwordx4 off, v[6:9], off offset:736
	s_waitcnt vmcnt(1)
	ds_write_b128 v0, v[2:5]
.LBB62_313:
	s_or_b64 exec, exec, s[0:1]
	v_mov_b32_e32 v2, 0
	s_waitcnt lgkmcnt(0)
	; wave barrier
	ds_read_b128 v[16:19], v2 offset:1744
	ds_read_b128 v[12:15], v2 offset:1760
	;; [unrolled: 1-line block ×4, first 2 shown]
	scratch_load_dwordx4 v[20:23], off, off offset:752
	scratch_load_dwordx4 v[40:43], off, off offset:816
	;; [unrolled: 1-line block ×11, first 2 shown]
	v_cmp_lt_u32_e32 vcc, 44, v252
	scratch_load_dwordx4 v[48:51], off, off offset:832
	scratch_load_dwordx4 v[56:59], off, off offset:848
	;; [unrolled: 1-line block ×3, first 2 shown]
	s_waitcnt vmcnt(13) lgkmcnt(3)
	v_mul_f64 v[24:25], v[16:17], v[22:23]
	v_fmac_f64_e32 v[24:25], v[18:19], v[20:21]
	v_add_f64 v[28:29], v[24:25], 0
	scratch_load_dwordx4 v[24:27], off, off offset:768
	v_mul_f64 v[18:19], v[18:19], v[22:23]
	v_fma_f64 v[16:17], v[16:17], v[20:21], -v[18:19]
	v_add_f64 v[16:17], v[16:17], 0
	s_waitcnt vmcnt(0) lgkmcnt(2)
	v_mul_f64 v[30:31], v[12:13], v[26:27]
	v_fmac_f64_e32 v[30:31], v[14:15], v[24:25]
	v_add_f64 v[32:33], v[28:29], v[30:31]
	scratch_load_dwordx4 v[28:31], off, off offset:784
	v_mul_f64 v[14:15], v[14:15], v[26:27]
	v_fma_f64 v[12:13], v[12:13], v[24:25], -v[14:15]
	v_add_f64 v[12:13], v[16:17], v[12:13]
	;; [unrolled: 8-line block ×3, first 2 shown]
	s_waitcnt vmcnt(0) lgkmcnt(0)
	v_mul_f64 v[38:39], v[4:5], v[34:35]
	v_fmac_f64_e32 v[38:39], v[6:7], v[32:33]
	v_add_f64 v[44:45], v[36:37], v[38:39]
	ds_read_b128 v[36:39], v2 offset:1808
	v_mul_f64 v[6:7], v[6:7], v[34:35]
	v_fma_f64 v[4:5], v[4:5], v[32:33], -v[6:7]
	v_add_f64 v[4:5], v[8:9], v[4:5]
	s_waitcnt lgkmcnt(0)
	v_mul_f64 v[46:47], v[36:37], v[42:43]
	v_fmac_f64_e32 v[46:47], v[38:39], v[40:41]
	v_add_f64 v[52:53], v[44:45], v[46:47]
	ds_read_b128 v[44:47], v2 offset:1824
	v_mul_f64 v[6:7], v[38:39], v[42:43]
	v_fma_f64 v[6:7], v[36:37], v[40:41], -v[6:7]
	v_add_f64 v[4:5], v[4:5], v[6:7]
	s_waitcnt lgkmcnt(0)
	;; [unrolled: 8-line block ×13, first 2 shown]
	v_mul_f64 v[6:7], v[136:137], v[140:141]
	v_fma_f64 v[6:7], v[134:135], v[138:139], -v[6:7]
	v_add_f64 v[8:9], v[4:5], v[6:7]
	scratch_load_dwordx4 v[4:7], off, off offset:736
	v_mul_f64 v[142:143], v[134:135], v[140:141]
	v_fmac_f64_e32 v[142:143], v[136:137], v[138:139]
	v_add_f64 v[72:73], v[72:73], v[142:143]
	s_waitcnt vmcnt(0)
	v_add_f64 v[4:5], v[4:5], -v[8:9]
	v_add_f64 v[6:7], v[6:7], -v[72:73]
	scratch_store_dwordx4 off, v[4:7], off offset:736
	s_and_saveexec_b64 s[0:1], vcc
	s_cbranch_execz .LBB62_315
; %bb.314:
	scratch_load_dwordx4 v[6:9], off, s46
	v_mov_b32_e32 v3, v2
	v_mov_b32_e32 v4, v2
	;; [unrolled: 1-line block ×3, first 2 shown]
	v_accvgpr_read_b32 v0, a127
	scratch_store_dwordx4 off, v[2:5], off offset:720
	s_waitcnt vmcnt(1)
	ds_write_b128 v0, v[6:9]
.LBB62_315:
	s_or_b64 exec, exec, s[0:1]
	s_waitcnt lgkmcnt(0)
	; wave barrier
	ds_read_b128 v[16:19], v2 offset:1728
	ds_read_b128 v[12:15], v2 offset:1744
	;; [unrolled: 1-line block ×4, first 2 shown]
	scratch_load_dwordx4 v[20:23], off, off offset:736
	scratch_load_dwordx4 v[40:43], off, off offset:800
	;; [unrolled: 1-line block ×12, first 2 shown]
	v_cmp_lt_u32_e32 vcc, 43, v252
	scratch_load_dwordx4 v[48:51], off, off offset:816
	scratch_load_dwordx4 v[56:59], off, off offset:832
	;; [unrolled: 1-line block ×3, first 2 shown]
	s_waitcnt vmcnt(14) lgkmcnt(3)
	v_mul_f64 v[24:25], v[16:17], v[22:23]
	v_fmac_f64_e32 v[24:25], v[18:19], v[20:21]
	v_add_f64 v[28:29], v[24:25], 0
	scratch_load_dwordx4 v[24:27], off, off offset:752
	s_waitcnt vmcnt(0) lgkmcnt(2)
	v_mul_f64 v[30:31], v[12:13], v[26:27]
	v_fmac_f64_e32 v[30:31], v[14:15], v[24:25]
	v_add_f64 v[32:33], v[28:29], v[30:31]
	scratch_load_dwordx4 v[28:31], off, off offset:768
	v_mul_f64 v[14:15], v[14:15], v[26:27]
	v_fma_f64 v[12:13], v[12:13], v[24:25], -v[14:15]
	s_waitcnt vmcnt(0) lgkmcnt(1)
	v_mul_f64 v[34:35], v[8:9], v[30:31]
	v_fmac_f64_e32 v[34:35], v[10:11], v[28:29]
	v_add_f64 v[36:37], v[32:33], v[34:35]
	scratch_load_dwordx4 v[32:35], off, off offset:784
	v_mul_f64 v[10:11], v[10:11], v[30:31]
	v_fma_f64 v[8:9], v[8:9], v[28:29], -v[10:11]
	s_waitcnt vmcnt(0) lgkmcnt(0)
	v_mul_f64 v[38:39], v[4:5], v[34:35]
	v_fmac_f64_e32 v[38:39], v[6:7], v[32:33]
	v_add_f64 v[44:45], v[36:37], v[38:39]
	ds_read_b128 v[36:39], v2 offset:1792
	v_mul_f64 v[6:7], v[6:7], v[34:35]
	v_fma_f64 v[4:5], v[4:5], v[32:33], -v[6:7]
	s_waitcnt lgkmcnt(0)
	v_mul_f64 v[46:47], v[36:37], v[42:43]
	v_fmac_f64_e32 v[46:47], v[38:39], v[40:41]
	v_add_f64 v[52:53], v[44:45], v[46:47]
	ds_read_b128 v[44:47], v2 offset:1808
	s_waitcnt lgkmcnt(0)
	v_mul_f64 v[54:55], v[44:45], v[50:51]
	v_fmac_f64_e32 v[54:55], v[46:47], v[48:49]
	v_add_f64 v[60:61], v[52:53], v[54:55]
	ds_read_b128 v[52:55], v2 offset:1824
	;; [unrolled: 5-line block ×13, first 2 shown]
	s_waitcnt lgkmcnt(0)
	v_mul_f64 v[2:3], v[142:143], v[148:149]
	v_fmac_f64_e32 v[2:3], v[144:145], v[146:147]
	v_add_f64 v[80:81], v[80:81], v[2:3]
	v_mul_f64 v[2:3], v[18:19], v[22:23]
	v_fma_f64 v[2:3], v[16:17], v[20:21], -v[2:3]
	v_add_f64 v[2:3], v[2:3], 0
	v_add_f64 v[2:3], v[2:3], v[12:13]
	;; [unrolled: 1-line block ×4, first 2 shown]
	v_mul_f64 v[4:5], v[38:39], v[42:43]
	v_fma_f64 v[4:5], v[36:37], v[40:41], -v[4:5]
	v_add_f64 v[2:3], v[2:3], v[4:5]
	v_mul_f64 v[4:5], v[46:47], v[50:51]
	v_fma_f64 v[4:5], v[44:45], v[48:49], -v[4:5]
	v_add_f64 v[2:3], v[2:3], v[4:5]
	;; [unrolled: 3-line block ×14, first 2 shown]
	scratch_load_dwordx4 v[2:5], off, off offset:720
	s_waitcnt vmcnt(0)
	v_add_f64 v[2:3], v[2:3], -v[6:7]
	v_add_f64 v[4:5], v[4:5], -v[80:81]
	scratch_store_dwordx4 off, v[2:5], off offset:720
	s_and_saveexec_b64 s[0:1], vcc
	s_cbranch_execz .LBB62_317
; %bb.316:
	scratch_load_dwordx4 v[2:5], off, s45
	v_mov_b32_e32 v6, 0
	v_mov_b32_e32 v7, v6
	;; [unrolled: 1-line block ×4, first 2 shown]
	v_accvgpr_read_b32 v0, a127
	scratch_store_dwordx4 off, v[6:9], off offset:704
	s_waitcnt vmcnt(1)
	ds_write_b128 v0, v[2:5]
.LBB62_317:
	s_or_b64 exec, exec, s[0:1]
	v_mov_b32_e32 v2, 0
	s_waitcnt lgkmcnt(0)
	; wave barrier
	ds_read_b128 v[16:19], v2 offset:1712
	ds_read_b128 v[12:15], v2 offset:1728
	ds_read_b128 v[8:11], v2 offset:1744
	ds_read_b128 v[4:7], v2 offset:1760
	scratch_load_dwordx4 v[20:23], off, off offset:720
	scratch_load_dwordx4 v[40:43], off, off offset:784
	;; [unrolled: 1-line block ×13, first 2 shown]
	v_cmp_lt_u32_e32 vcc, 42, v252
	scratch_load_dwordx4 v[48:51], off, off offset:800
	scratch_load_dwordx4 v[56:59], off, off offset:816
	;; [unrolled: 1-line block ×3, first 2 shown]
	s_waitcnt vmcnt(15) lgkmcnt(3)
	v_mul_f64 v[24:25], v[16:17], v[22:23]
	v_fmac_f64_e32 v[24:25], v[18:19], v[20:21]
	v_add_f64 v[28:29], v[24:25], 0
	scratch_load_dwordx4 v[24:27], off, off offset:736
	v_mul_f64 v[18:19], v[18:19], v[22:23]
	v_fma_f64 v[16:17], v[16:17], v[20:21], -v[18:19]
	v_add_f64 v[16:17], v[16:17], 0
	s_waitcnt vmcnt(0) lgkmcnt(2)
	v_mul_f64 v[30:31], v[12:13], v[26:27]
	v_fmac_f64_e32 v[30:31], v[14:15], v[24:25]
	v_add_f64 v[32:33], v[28:29], v[30:31]
	scratch_load_dwordx4 v[28:31], off, off offset:752
	v_mul_f64 v[14:15], v[14:15], v[26:27]
	v_fma_f64 v[12:13], v[12:13], v[24:25], -v[14:15]
	v_add_f64 v[12:13], v[16:17], v[12:13]
	;; [unrolled: 8-line block ×3, first 2 shown]
	s_waitcnt vmcnt(0) lgkmcnt(0)
	v_mul_f64 v[38:39], v[4:5], v[34:35]
	v_fmac_f64_e32 v[38:39], v[6:7], v[32:33]
	v_add_f64 v[44:45], v[36:37], v[38:39]
	ds_read_b128 v[36:39], v2 offset:1776
	v_mul_f64 v[6:7], v[6:7], v[34:35]
	v_fma_f64 v[4:5], v[4:5], v[32:33], -v[6:7]
	v_add_f64 v[4:5], v[8:9], v[4:5]
	s_waitcnt lgkmcnt(0)
	v_mul_f64 v[46:47], v[36:37], v[42:43]
	v_fmac_f64_e32 v[46:47], v[38:39], v[40:41]
	v_add_f64 v[52:53], v[44:45], v[46:47]
	ds_read_b128 v[44:47], v2 offset:1792
	v_mul_f64 v[6:7], v[38:39], v[42:43]
	v_fma_f64 v[6:7], v[36:37], v[40:41], -v[6:7]
	v_add_f64 v[4:5], v[4:5], v[6:7]
	s_waitcnt lgkmcnt(0)
	v_mul_f64 v[54:55], v[44:45], v[50:51]
	v_fmac_f64_e32 v[54:55], v[46:47], v[48:49]
	v_add_f64 v[60:61], v[52:53], v[54:55]
	ds_read_b128 v[52:55], v2 offset:1808
	v_mul_f64 v[6:7], v[46:47], v[50:51]
	v_fma_f64 v[6:7], v[44:45], v[48:49], -v[6:7]
	v_add_f64 v[4:5], v[4:5], v[6:7]
	s_waitcnt lgkmcnt(0)
	v_mul_f64 v[62:63], v[52:53], v[58:59]
	v_fmac_f64_e32 v[62:63], v[54:55], v[56:57]
	v_add_f64 v[68:69], v[60:61], v[62:63]
	ds_read_b128 v[60:63], v2 offset:1824
	v_mul_f64 v[6:7], v[54:55], v[58:59]
	v_fma_f64 v[6:7], v[52:53], v[56:57], -v[6:7]
	v_add_f64 v[4:5], v[4:5], v[6:7]
	s_waitcnt lgkmcnt(0)
	v_mul_f64 v[70:71], v[60:61], v[66:67]
	v_fmac_f64_e32 v[70:71], v[62:63], v[64:65]
	v_add_f64 v[76:77], v[68:69], v[70:71]
	ds_read_b128 v[68:71], v2 offset:1840
	v_mul_f64 v[6:7], v[62:63], v[66:67]
	v_fma_f64 v[6:7], v[60:61], v[64:65], -v[6:7]
	v_add_f64 v[4:5], v[4:5], v[6:7]
	s_waitcnt lgkmcnt(0)
	v_mul_f64 v[78:79], v[68:69], v[74:75]
	v_fmac_f64_e32 v[78:79], v[70:71], v[72:73]
	v_add_f64 v[84:85], v[76:77], v[78:79]
	ds_read_b128 v[76:79], v2 offset:1856
	v_mul_f64 v[6:7], v[70:71], v[74:75]
	v_fma_f64 v[6:7], v[68:69], v[72:73], -v[6:7]
	v_add_f64 v[4:5], v[4:5], v[6:7]
	s_waitcnt lgkmcnt(0)
	v_mul_f64 v[86:87], v[76:77], v[82:83]
	v_fmac_f64_e32 v[86:87], v[78:79], v[80:81]
	v_add_f64 v[88:89], v[84:85], v[86:87]
	ds_read_b128 v[84:87], v2 offset:1872
	v_mul_f64 v[6:7], v[78:79], v[82:83]
	v_fma_f64 v[6:7], v[76:77], v[80:81], -v[6:7]
	v_add_f64 v[4:5], v[4:5], v[6:7]
	s_waitcnt lgkmcnt(0)
	v_mul_f64 v[94:95], v[84:85], v[92:93]
	v_fmac_f64_e32 v[94:95], v[86:87], v[90:91]
	v_add_f64 v[88:89], v[88:89], v[94:95]
	ds_read_b128 v[94:97], v2 offset:1888
	v_mul_f64 v[6:7], v[86:87], v[92:93]
	v_fma_f64 v[6:7], v[84:85], v[90:91], -v[6:7]
	v_add_f64 v[4:5], v[4:5], v[6:7]
	s_waitcnt lgkmcnt(0)
	v_mul_f64 v[102:103], v[94:95], v[100:101]
	v_fmac_f64_e32 v[102:103], v[96:97], v[98:99]
	v_add_f64 v[88:89], v[88:89], v[102:103]
	ds_read_b128 v[102:105], v2 offset:1904
	v_mul_f64 v[6:7], v[96:97], v[100:101]
	v_fma_f64 v[6:7], v[94:95], v[98:99], -v[6:7]
	v_add_f64 v[4:5], v[4:5], v[6:7]
	s_waitcnt lgkmcnt(0)
	v_mul_f64 v[110:111], v[102:103], v[108:109]
	v_fmac_f64_e32 v[110:111], v[104:105], v[106:107]
	v_add_f64 v[88:89], v[88:89], v[110:111]
	ds_read_b128 v[110:113], v2 offset:1920
	v_mul_f64 v[6:7], v[104:105], v[108:109]
	v_fma_f64 v[6:7], v[102:103], v[106:107], -v[6:7]
	v_add_f64 v[4:5], v[4:5], v[6:7]
	s_waitcnt lgkmcnt(0)
	v_mul_f64 v[118:119], v[110:111], v[116:117]
	v_fmac_f64_e32 v[118:119], v[112:113], v[114:115]
	v_add_f64 v[88:89], v[88:89], v[118:119]
	ds_read_b128 v[118:121], v2 offset:1936
	v_mul_f64 v[6:7], v[112:113], v[116:117]
	v_fma_f64 v[6:7], v[110:111], v[114:115], -v[6:7]
	v_add_f64 v[4:5], v[4:5], v[6:7]
	s_waitcnt lgkmcnt(0)
	v_mul_f64 v[126:127], v[118:119], v[124:125]
	v_fmac_f64_e32 v[126:127], v[120:121], v[122:123]
	v_add_f64 v[88:89], v[88:89], v[126:127]
	ds_read_b128 v[126:129], v2 offset:1952
	v_mul_f64 v[6:7], v[120:121], v[124:125]
	v_fma_f64 v[6:7], v[118:119], v[122:123], -v[6:7]
	v_add_f64 v[4:5], v[4:5], v[6:7]
	s_waitcnt lgkmcnt(0)
	v_mul_f64 v[134:135], v[126:127], v[132:133]
	v_fmac_f64_e32 v[134:135], v[128:129], v[130:131]
	v_add_f64 v[88:89], v[88:89], v[134:135]
	ds_read_b128 v[134:137], v2 offset:1968
	v_mul_f64 v[6:7], v[128:129], v[132:133]
	v_fma_f64 v[6:7], v[126:127], v[130:131], -v[6:7]
	v_add_f64 v[4:5], v[4:5], v[6:7]
	s_waitcnt lgkmcnt(0)
	v_mul_f64 v[142:143], v[134:135], v[140:141]
	v_fmac_f64_e32 v[142:143], v[136:137], v[138:139]
	v_add_f64 v[88:89], v[88:89], v[142:143]
	ds_read_b128 v[142:145], v2 offset:1984
	v_mul_f64 v[6:7], v[136:137], v[140:141]
	v_fma_f64 v[6:7], v[134:135], v[138:139], -v[6:7]
	v_add_f64 v[4:5], v[4:5], v[6:7]
	s_waitcnt lgkmcnt(0)
	v_mul_f64 v[150:151], v[142:143], v[148:149]
	v_fmac_f64_e32 v[150:151], v[144:145], v[146:147]
	v_add_f64 v[88:89], v[88:89], v[150:151]
	ds_read_b128 v[150:153], v2 offset:2000
	v_mul_f64 v[6:7], v[144:145], v[148:149]
	v_fma_f64 v[6:7], v[142:143], v[146:147], -v[6:7]
	v_add_f64 v[4:5], v[4:5], v[6:7]
	s_waitcnt lgkmcnt(0)
	v_mul_f64 v[6:7], v[152:153], v[156:157]
	v_fma_f64 v[6:7], v[150:151], v[154:155], -v[6:7]
	v_add_f64 v[8:9], v[4:5], v[6:7]
	scratch_load_dwordx4 v[4:7], off, off offset:704
	v_mul_f64 v[158:159], v[150:151], v[156:157]
	v_fmac_f64_e32 v[158:159], v[152:153], v[154:155]
	v_add_f64 v[88:89], v[88:89], v[158:159]
	s_waitcnt vmcnt(0)
	v_add_f64 v[4:5], v[4:5], -v[8:9]
	v_add_f64 v[6:7], v[6:7], -v[88:89]
	scratch_store_dwordx4 off, v[4:7], off offset:704
	s_and_saveexec_b64 s[0:1], vcc
	s_cbranch_execz .LBB62_319
; %bb.318:
	scratch_load_dwordx4 v[6:9], off, s48
	v_mov_b32_e32 v3, v2
	v_mov_b32_e32 v4, v2
	;; [unrolled: 1-line block ×3, first 2 shown]
	v_accvgpr_read_b32 v0, a127
	scratch_store_dwordx4 off, v[2:5], off offset:688
	s_waitcnt vmcnt(1)
	ds_write_b128 v0, v[6:9]
.LBB62_319:
	s_or_b64 exec, exec, s[0:1]
	s_waitcnt lgkmcnt(0)
	; wave barrier
	ds_read_b128 v[16:19], v2 offset:1696
	ds_read_b128 v[12:15], v2 offset:1712
	;; [unrolled: 1-line block ×4, first 2 shown]
	scratch_load_dwordx4 v[20:23], off, off offset:704
	scratch_load_dwordx4 v[40:43], off, off offset:768
	;; [unrolled: 1-line block ×14, first 2 shown]
	v_cmp_lt_u32_e32 vcc, 41, v252
	scratch_load_dwordx4 v[48:51], off, off offset:784
	scratch_load_dwordx4 v[56:59], off, off offset:800
	;; [unrolled: 1-line block ×3, first 2 shown]
	s_waitcnt vmcnt(16) lgkmcnt(3)
	v_mul_f64 v[24:25], v[16:17], v[22:23]
	v_fmac_f64_e32 v[24:25], v[18:19], v[20:21]
	v_add_f64 v[28:29], v[24:25], 0
	scratch_load_dwordx4 v[24:27], off, off offset:720
	s_waitcnt vmcnt(0) lgkmcnt(2)
	v_mul_f64 v[30:31], v[12:13], v[26:27]
	v_fmac_f64_e32 v[30:31], v[14:15], v[24:25]
	v_add_f64 v[32:33], v[28:29], v[30:31]
	scratch_load_dwordx4 v[28:31], off, off offset:736
	v_mul_f64 v[14:15], v[14:15], v[26:27]
	v_fma_f64 v[12:13], v[12:13], v[24:25], -v[14:15]
	s_waitcnt vmcnt(0) lgkmcnt(1)
	v_mul_f64 v[34:35], v[8:9], v[30:31]
	v_fmac_f64_e32 v[34:35], v[10:11], v[28:29]
	v_add_f64 v[36:37], v[32:33], v[34:35]
	scratch_load_dwordx4 v[32:35], off, off offset:752
	v_mul_f64 v[10:11], v[10:11], v[30:31]
	v_fma_f64 v[8:9], v[8:9], v[28:29], -v[10:11]
	s_waitcnt vmcnt(0) lgkmcnt(0)
	v_mul_f64 v[38:39], v[4:5], v[34:35]
	v_fmac_f64_e32 v[38:39], v[6:7], v[32:33]
	v_add_f64 v[44:45], v[36:37], v[38:39]
	ds_read_b128 v[36:39], v2 offset:1760
	v_mul_f64 v[6:7], v[6:7], v[34:35]
	v_fma_f64 v[4:5], v[4:5], v[32:33], -v[6:7]
	s_waitcnt lgkmcnt(0)
	v_mul_f64 v[46:47], v[36:37], v[42:43]
	v_fmac_f64_e32 v[46:47], v[38:39], v[40:41]
	v_add_f64 v[52:53], v[44:45], v[46:47]
	ds_read_b128 v[44:47], v2 offset:1776
	s_waitcnt lgkmcnt(0)
	v_mul_f64 v[54:55], v[44:45], v[50:51]
	v_fmac_f64_e32 v[54:55], v[46:47], v[48:49]
	v_add_f64 v[60:61], v[52:53], v[54:55]
	ds_read_b128 v[52:55], v2 offset:1792
	;; [unrolled: 5-line block ×15, first 2 shown]
	s_waitcnt lgkmcnt(0)
	v_mul_f64 v[2:3], v[158:159], v[164:165]
	v_fmac_f64_e32 v[2:3], v[160:161], v[162:163]
	v_add_f64 v[96:97], v[96:97], v[2:3]
	v_mul_f64 v[2:3], v[18:19], v[22:23]
	v_fma_f64 v[2:3], v[16:17], v[20:21], -v[2:3]
	v_add_f64 v[2:3], v[2:3], 0
	v_add_f64 v[2:3], v[2:3], v[12:13]
	;; [unrolled: 1-line block ×4, first 2 shown]
	v_mul_f64 v[4:5], v[38:39], v[42:43]
	v_fma_f64 v[4:5], v[36:37], v[40:41], -v[4:5]
	v_add_f64 v[2:3], v[2:3], v[4:5]
	v_mul_f64 v[4:5], v[46:47], v[50:51]
	v_fma_f64 v[4:5], v[44:45], v[48:49], -v[4:5]
	v_add_f64 v[2:3], v[2:3], v[4:5]
	;; [unrolled: 3-line block ×16, first 2 shown]
	scratch_load_dwordx4 v[2:5], off, off offset:688
	s_waitcnt vmcnt(0)
	v_add_f64 v[2:3], v[2:3], -v[6:7]
	v_add_f64 v[4:5], v[4:5], -v[96:97]
	scratch_store_dwordx4 off, v[2:5], off offset:688
	s_and_saveexec_b64 s[0:1], vcc
	s_cbranch_execz .LBB62_321
; %bb.320:
	scratch_load_dwordx4 v[2:5], off, s47
	v_mov_b32_e32 v6, 0
	v_mov_b32_e32 v7, v6
	;; [unrolled: 1-line block ×4, first 2 shown]
	v_accvgpr_read_b32 v0, a127
	scratch_store_dwordx4 off, v[6:9], off offset:672
	s_waitcnt vmcnt(1)
	ds_write_b128 v0, v[2:5]
.LBB62_321:
	s_or_b64 exec, exec, s[0:1]
	v_mov_b32_e32 v2, 0
	s_waitcnt lgkmcnt(0)
	; wave barrier
	ds_read_b128 v[16:19], v2 offset:1680
	ds_read_b128 v[12:15], v2 offset:1696
	ds_read_b128 v[8:11], v2 offset:1712
	ds_read_b128 v[4:7], v2 offset:1728
	scratch_load_dwordx4 v[20:23], off, off offset:688
	scratch_load_dwordx4 v[40:43], off, off offset:752
	;; [unrolled: 1-line block ×15, first 2 shown]
	v_cmp_lt_u32_e32 vcc, 40, v252
	scratch_load_dwordx4 v[48:51], off, off offset:768
	scratch_load_dwordx4 v[56:59], off, off offset:784
	;; [unrolled: 1-line block ×3, first 2 shown]
	s_waitcnt vmcnt(17) lgkmcnt(3)
	v_mul_f64 v[24:25], v[16:17], v[22:23]
	v_fmac_f64_e32 v[24:25], v[18:19], v[20:21]
	v_add_f64 v[28:29], v[24:25], 0
	scratch_load_dwordx4 v[24:27], off, off offset:704
	v_mul_f64 v[18:19], v[18:19], v[22:23]
	v_fma_f64 v[16:17], v[16:17], v[20:21], -v[18:19]
	v_add_f64 v[16:17], v[16:17], 0
	s_waitcnt vmcnt(0) lgkmcnt(2)
	v_mul_f64 v[30:31], v[12:13], v[26:27]
	v_fmac_f64_e32 v[30:31], v[14:15], v[24:25]
	v_add_f64 v[32:33], v[28:29], v[30:31]
	scratch_load_dwordx4 v[28:31], off, off offset:720
	v_mul_f64 v[14:15], v[14:15], v[26:27]
	v_fma_f64 v[12:13], v[12:13], v[24:25], -v[14:15]
	v_add_f64 v[12:13], v[16:17], v[12:13]
	;; [unrolled: 8-line block ×3, first 2 shown]
	s_waitcnt vmcnt(0) lgkmcnt(0)
	v_mul_f64 v[38:39], v[4:5], v[34:35]
	v_fmac_f64_e32 v[38:39], v[6:7], v[32:33]
	v_add_f64 v[44:45], v[36:37], v[38:39]
	ds_read_b128 v[36:39], v2 offset:1744
	v_mul_f64 v[6:7], v[6:7], v[34:35]
	v_fma_f64 v[4:5], v[4:5], v[32:33], -v[6:7]
	v_add_f64 v[4:5], v[8:9], v[4:5]
	s_waitcnt lgkmcnt(0)
	v_mul_f64 v[46:47], v[36:37], v[42:43]
	v_fmac_f64_e32 v[46:47], v[38:39], v[40:41]
	v_add_f64 v[52:53], v[44:45], v[46:47]
	ds_read_b128 v[44:47], v2 offset:1760
	v_mul_f64 v[6:7], v[38:39], v[42:43]
	v_fma_f64 v[6:7], v[36:37], v[40:41], -v[6:7]
	v_add_f64 v[4:5], v[4:5], v[6:7]
	s_waitcnt lgkmcnt(0)
	;; [unrolled: 8-line block ×17, first 2 shown]
	v_mul_f64 v[6:7], v[168:169], v[172:173]
	v_fma_f64 v[6:7], v[166:167], v[170:171], -v[6:7]
	v_add_f64 v[8:9], v[4:5], v[6:7]
	scratch_load_dwordx4 v[4:7], off, off offset:672
	v_mul_f64 v[174:175], v[166:167], v[172:173]
	v_fmac_f64_e32 v[174:175], v[168:169], v[170:171]
	v_add_f64 v[104:105], v[104:105], v[174:175]
	s_waitcnt vmcnt(0)
	v_add_f64 v[4:5], v[4:5], -v[8:9]
	v_add_f64 v[6:7], v[6:7], -v[104:105]
	scratch_store_dwordx4 off, v[4:7], off offset:672
	s_and_saveexec_b64 s[0:1], vcc
	s_cbranch_execz .LBB62_323
; %bb.322:
	scratch_load_dwordx4 v[6:9], off, s50
	v_mov_b32_e32 v3, v2
	v_mov_b32_e32 v4, v2
	v_mov_b32_e32 v5, v2
	v_accvgpr_read_b32 v0, a127
	scratch_store_dwordx4 off, v[2:5], off offset:656
	s_waitcnt vmcnt(1)
	ds_write_b128 v0, v[6:9]
.LBB62_323:
	s_or_b64 exec, exec, s[0:1]
	s_waitcnt lgkmcnt(0)
	; wave barrier
	ds_read_b128 v[16:19], v2 offset:1664
	ds_read_b128 v[12:15], v2 offset:1680
	;; [unrolled: 1-line block ×4, first 2 shown]
	scratch_load_dwordx4 v[20:23], off, off offset:672
	scratch_load_dwordx4 v[40:43], off, off offset:736
	;; [unrolled: 1-line block ×16, first 2 shown]
	v_cmp_lt_u32_e32 vcc, 39, v252
	scratch_load_dwordx4 v[48:51], off, off offset:752
	scratch_load_dwordx4 v[56:59], off, off offset:768
	scratch_load_dwordx4 v[64:67], off, off offset:784
	s_waitcnt vmcnt(18) lgkmcnt(3)
	v_mul_f64 v[24:25], v[16:17], v[22:23]
	v_fmac_f64_e32 v[24:25], v[18:19], v[20:21]
	v_add_f64 v[28:29], v[24:25], 0
	scratch_load_dwordx4 v[24:27], off, off offset:688
	s_waitcnt vmcnt(0) lgkmcnt(2)
	v_mul_f64 v[30:31], v[12:13], v[26:27]
	v_fmac_f64_e32 v[30:31], v[14:15], v[24:25]
	v_add_f64 v[32:33], v[28:29], v[30:31]
	scratch_load_dwordx4 v[28:31], off, off offset:704
	v_mul_f64 v[14:15], v[14:15], v[26:27]
	v_fma_f64 v[12:13], v[12:13], v[24:25], -v[14:15]
	s_waitcnt vmcnt(0) lgkmcnt(1)
	v_mul_f64 v[34:35], v[8:9], v[30:31]
	v_fmac_f64_e32 v[34:35], v[10:11], v[28:29]
	v_add_f64 v[36:37], v[32:33], v[34:35]
	scratch_load_dwordx4 v[32:35], off, off offset:720
	v_mul_f64 v[10:11], v[10:11], v[30:31]
	v_fma_f64 v[8:9], v[8:9], v[28:29], -v[10:11]
	s_waitcnt vmcnt(0) lgkmcnt(0)
	v_mul_f64 v[38:39], v[4:5], v[34:35]
	v_fmac_f64_e32 v[38:39], v[6:7], v[32:33]
	v_add_f64 v[44:45], v[36:37], v[38:39]
	ds_read_b128 v[36:39], v2 offset:1728
	v_mul_f64 v[6:7], v[6:7], v[34:35]
	v_fma_f64 v[4:5], v[4:5], v[32:33], -v[6:7]
	s_waitcnt lgkmcnt(0)
	v_mul_f64 v[46:47], v[36:37], v[42:43]
	v_fmac_f64_e32 v[46:47], v[38:39], v[40:41]
	v_add_f64 v[52:53], v[44:45], v[46:47]
	ds_read_b128 v[44:47], v2 offset:1744
	s_waitcnt lgkmcnt(0)
	v_mul_f64 v[54:55], v[44:45], v[50:51]
	v_fmac_f64_e32 v[54:55], v[46:47], v[48:49]
	v_add_f64 v[60:61], v[52:53], v[54:55]
	ds_read_b128 v[52:55], v2 offset:1760
	;; [unrolled: 5-line block ×17, first 2 shown]
	s_waitcnt lgkmcnt(0)
	v_mul_f64 v[2:3], v[174:175], v[180:181]
	v_fmac_f64_e32 v[2:3], v[176:177], v[178:179]
	v_add_f64 v[120:121], v[120:121], v[2:3]
	v_mul_f64 v[2:3], v[18:19], v[22:23]
	v_fma_f64 v[2:3], v[16:17], v[20:21], -v[2:3]
	v_add_f64 v[2:3], v[2:3], 0
	v_add_f64 v[2:3], v[2:3], v[12:13]
	;; [unrolled: 1-line block ×4, first 2 shown]
	v_mul_f64 v[4:5], v[38:39], v[42:43]
	v_fma_f64 v[4:5], v[36:37], v[40:41], -v[4:5]
	v_add_f64 v[2:3], v[2:3], v[4:5]
	v_mul_f64 v[4:5], v[46:47], v[50:51]
	v_fma_f64 v[4:5], v[44:45], v[48:49], -v[4:5]
	v_add_f64 v[2:3], v[2:3], v[4:5]
	;; [unrolled: 3-line block ×18, first 2 shown]
	scratch_load_dwordx4 v[2:5], off, off offset:656
	s_waitcnt vmcnt(0)
	v_add_f64 v[2:3], v[2:3], -v[6:7]
	v_add_f64 v[4:5], v[4:5], -v[120:121]
	scratch_store_dwordx4 off, v[2:5], off offset:656
	s_and_saveexec_b64 s[0:1], vcc
	s_cbranch_execz .LBB62_325
; %bb.324:
	scratch_load_dwordx4 v[2:5], off, s49
	v_mov_b32_e32 v6, 0
	v_mov_b32_e32 v7, v6
	;; [unrolled: 1-line block ×4, first 2 shown]
	v_accvgpr_read_b32 v0, a127
	scratch_store_dwordx4 off, v[6:9], off offset:640
	s_waitcnt vmcnt(1)
	ds_write_b128 v0, v[2:5]
.LBB62_325:
	s_or_b64 exec, exec, s[0:1]
	v_mov_b32_e32 v2, 0
	s_waitcnt lgkmcnt(0)
	; wave barrier
	ds_read_b128 v[16:19], v2 offset:1648
	ds_read_b128 v[12:15], v2 offset:1664
	;; [unrolled: 1-line block ×4, first 2 shown]
	scratch_load_dwordx4 v[20:23], off, off offset:656
	scratch_load_dwordx4 v[40:43], off, off offset:720
	;; [unrolled: 1-line block ×17, first 2 shown]
	v_cmp_lt_u32_e32 vcc, 38, v252
	scratch_load_dwordx4 v[48:51], off, off offset:736
	scratch_load_dwordx4 v[56:59], off, off offset:752
	;; [unrolled: 1-line block ×3, first 2 shown]
	s_waitcnt vmcnt(19) lgkmcnt(3)
	v_mul_f64 v[24:25], v[16:17], v[22:23]
	v_fmac_f64_e32 v[24:25], v[18:19], v[20:21]
	v_add_f64 v[28:29], v[24:25], 0
	scratch_load_dwordx4 v[24:27], off, off offset:672
	v_mul_f64 v[18:19], v[18:19], v[22:23]
	v_fma_f64 v[16:17], v[16:17], v[20:21], -v[18:19]
	v_add_f64 v[16:17], v[16:17], 0
	s_waitcnt vmcnt(0) lgkmcnt(2)
	v_mul_f64 v[30:31], v[12:13], v[26:27]
	v_fmac_f64_e32 v[30:31], v[14:15], v[24:25]
	v_add_f64 v[32:33], v[28:29], v[30:31]
	scratch_load_dwordx4 v[28:31], off, off offset:688
	v_mul_f64 v[14:15], v[14:15], v[26:27]
	v_fma_f64 v[12:13], v[12:13], v[24:25], -v[14:15]
	v_add_f64 v[12:13], v[16:17], v[12:13]
	;; [unrolled: 8-line block ×3, first 2 shown]
	s_waitcnt vmcnt(0) lgkmcnt(0)
	v_mul_f64 v[38:39], v[4:5], v[34:35]
	v_fmac_f64_e32 v[38:39], v[6:7], v[32:33]
	v_add_f64 v[44:45], v[36:37], v[38:39]
	ds_read_b128 v[36:39], v2 offset:1712
	v_mul_f64 v[6:7], v[6:7], v[34:35]
	v_fma_f64 v[4:5], v[4:5], v[32:33], -v[6:7]
	v_add_f64 v[4:5], v[8:9], v[4:5]
	s_waitcnt lgkmcnt(0)
	v_mul_f64 v[46:47], v[36:37], v[42:43]
	v_fmac_f64_e32 v[46:47], v[38:39], v[40:41]
	v_add_f64 v[52:53], v[44:45], v[46:47]
	ds_read_b128 v[44:47], v2 offset:1728
	v_mul_f64 v[6:7], v[38:39], v[42:43]
	v_fma_f64 v[6:7], v[36:37], v[40:41], -v[6:7]
	v_add_f64 v[4:5], v[4:5], v[6:7]
	s_waitcnt lgkmcnt(0)
	;; [unrolled: 8-line block ×19, first 2 shown]
	v_mul_f64 v[6:7], v[184:185], v[188:189]
	v_fma_f64 v[6:7], v[182:183], v[186:187], -v[6:7]
	v_add_f64 v[8:9], v[4:5], v[6:7]
	scratch_load_dwordx4 v[4:7], off, off offset:640
	v_mul_f64 v[190:191], v[182:183], v[188:189]
	v_fmac_f64_e32 v[190:191], v[184:185], v[186:187]
	v_add_f64 v[128:129], v[128:129], v[190:191]
	s_waitcnt vmcnt(0)
	v_add_f64 v[4:5], v[4:5], -v[8:9]
	v_add_f64 v[6:7], v[6:7], -v[128:129]
	scratch_store_dwordx4 off, v[4:7], off offset:640
	s_and_saveexec_b64 s[0:1], vcc
	s_cbranch_execz .LBB62_327
; %bb.326:
	scratch_load_dwordx4 v[6:9], off, s52
	v_mov_b32_e32 v3, v2
	v_mov_b32_e32 v4, v2
	;; [unrolled: 1-line block ×3, first 2 shown]
	v_accvgpr_read_b32 v0, a127
	scratch_store_dwordx4 off, v[2:5], off offset:624
	s_waitcnt vmcnt(1)
	ds_write_b128 v0, v[6:9]
.LBB62_327:
	s_or_b64 exec, exec, s[0:1]
	s_waitcnt lgkmcnt(0)
	; wave barrier
	ds_read_b128 v[16:19], v2 offset:1632
	ds_read_b128 v[12:15], v2 offset:1648
	;; [unrolled: 1-line block ×4, first 2 shown]
	scratch_load_dwordx4 v[20:23], off, off offset:640
	scratch_load_dwordx4 v[40:43], off, off offset:704
	;; [unrolled: 1-line block ×18, first 2 shown]
	v_cmp_lt_u32_e32 vcc, 37, v252
	scratch_load_dwordx4 v[48:51], off, off offset:720
	scratch_load_dwordx4 v[56:59], off, off offset:736
	;; [unrolled: 1-line block ×3, first 2 shown]
	s_waitcnt vmcnt(20) lgkmcnt(3)
	v_mul_f64 v[24:25], v[16:17], v[22:23]
	v_fmac_f64_e32 v[24:25], v[18:19], v[20:21]
	v_add_f64 v[28:29], v[24:25], 0
	scratch_load_dwordx4 v[24:27], off, off offset:656
	s_waitcnt vmcnt(0) lgkmcnt(2)
	v_mul_f64 v[30:31], v[12:13], v[26:27]
	v_fmac_f64_e32 v[30:31], v[14:15], v[24:25]
	v_add_f64 v[32:33], v[28:29], v[30:31]
	scratch_load_dwordx4 v[28:31], off, off offset:672
	v_mul_f64 v[14:15], v[14:15], v[26:27]
	v_fma_f64 v[12:13], v[12:13], v[24:25], -v[14:15]
	s_waitcnt vmcnt(0) lgkmcnt(1)
	v_mul_f64 v[34:35], v[8:9], v[30:31]
	v_fmac_f64_e32 v[34:35], v[10:11], v[28:29]
	v_add_f64 v[36:37], v[32:33], v[34:35]
	scratch_load_dwordx4 v[32:35], off, off offset:688
	v_mul_f64 v[10:11], v[10:11], v[30:31]
	v_fma_f64 v[8:9], v[8:9], v[28:29], -v[10:11]
	s_waitcnt vmcnt(0) lgkmcnt(0)
	v_mul_f64 v[38:39], v[4:5], v[34:35]
	v_fmac_f64_e32 v[38:39], v[6:7], v[32:33]
	v_add_f64 v[44:45], v[36:37], v[38:39]
	ds_read_b128 v[36:39], v2 offset:1696
	v_mul_f64 v[6:7], v[6:7], v[34:35]
	v_fma_f64 v[4:5], v[4:5], v[32:33], -v[6:7]
	s_waitcnt lgkmcnt(0)
	v_mul_f64 v[46:47], v[36:37], v[42:43]
	v_fmac_f64_e32 v[46:47], v[38:39], v[40:41]
	v_add_f64 v[52:53], v[44:45], v[46:47]
	ds_read_b128 v[44:47], v2 offset:1712
	s_waitcnt lgkmcnt(0)
	v_mul_f64 v[54:55], v[44:45], v[50:51]
	v_fmac_f64_e32 v[54:55], v[46:47], v[48:49]
	v_add_f64 v[60:61], v[52:53], v[54:55]
	ds_read_b128 v[52:55], v2 offset:1728
	;; [unrolled: 5-line block ×19, first 2 shown]
	s_waitcnt lgkmcnt(0)
	v_mul_f64 v[2:3], v[190:191], v[196:197]
	v_fmac_f64_e32 v[2:3], v[192:193], v[194:195]
	v_add_f64 v[148:149], v[148:149], v[2:3]
	v_mul_f64 v[2:3], v[18:19], v[22:23]
	v_fma_f64 v[2:3], v[16:17], v[20:21], -v[2:3]
	v_add_f64 v[2:3], v[2:3], 0
	v_add_f64 v[2:3], v[2:3], v[12:13]
	;; [unrolled: 1-line block ×4, first 2 shown]
	v_mul_f64 v[4:5], v[38:39], v[42:43]
	v_fma_f64 v[4:5], v[36:37], v[40:41], -v[4:5]
	v_add_f64 v[2:3], v[2:3], v[4:5]
	v_mul_f64 v[4:5], v[46:47], v[50:51]
	v_fma_f64 v[4:5], v[44:45], v[48:49], -v[4:5]
	v_add_f64 v[2:3], v[2:3], v[4:5]
	;; [unrolled: 3-line block ×20, first 2 shown]
	scratch_load_dwordx4 v[2:5], off, off offset:624
	s_waitcnt vmcnt(0)
	v_add_f64 v[2:3], v[2:3], -v[6:7]
	v_add_f64 v[4:5], v[4:5], -v[148:149]
	scratch_store_dwordx4 off, v[2:5], off offset:624
	s_and_saveexec_b64 s[0:1], vcc
	s_cbranch_execz .LBB62_329
; %bb.328:
	scratch_load_dwordx4 v[2:5], off, s51
	v_mov_b32_e32 v6, 0
	v_mov_b32_e32 v7, v6
	;; [unrolled: 1-line block ×4, first 2 shown]
	v_accvgpr_read_b32 v0, a127
	scratch_store_dwordx4 off, v[6:9], off offset:608
	s_waitcnt vmcnt(1)
	ds_write_b128 v0, v[2:5]
.LBB62_329:
	s_or_b64 exec, exec, s[0:1]
	v_mov_b32_e32 v2, 0
	s_waitcnt lgkmcnt(0)
	; wave barrier
	ds_read_b128 v[16:19], v2 offset:1616
	ds_read_b128 v[12:15], v2 offset:1632
	;; [unrolled: 1-line block ×4, first 2 shown]
	scratch_load_dwordx4 v[20:23], off, off offset:624
	scratch_load_dwordx4 v[40:43], off, off offset:688
	;; [unrolled: 1-line block ×19, first 2 shown]
	v_cmp_lt_u32_e32 vcc, 36, v252
	scratch_load_dwordx4 v[48:51], off, off offset:704
	scratch_load_dwordx4 v[56:59], off, off offset:720
	;; [unrolled: 1-line block ×3, first 2 shown]
	s_waitcnt vmcnt(21) lgkmcnt(3)
	v_mul_f64 v[24:25], v[16:17], v[22:23]
	v_fmac_f64_e32 v[24:25], v[18:19], v[20:21]
	v_add_f64 v[28:29], v[24:25], 0
	scratch_load_dwordx4 v[24:27], off, off offset:640
	v_mul_f64 v[18:19], v[18:19], v[22:23]
	v_fma_f64 v[16:17], v[16:17], v[20:21], -v[18:19]
	v_add_f64 v[16:17], v[16:17], 0
	s_waitcnt vmcnt(0) lgkmcnt(2)
	v_mul_f64 v[30:31], v[12:13], v[26:27]
	v_fmac_f64_e32 v[30:31], v[14:15], v[24:25]
	v_add_f64 v[32:33], v[28:29], v[30:31]
	scratch_load_dwordx4 v[28:31], off, off offset:656
	v_mul_f64 v[14:15], v[14:15], v[26:27]
	v_fma_f64 v[12:13], v[12:13], v[24:25], -v[14:15]
	v_add_f64 v[12:13], v[16:17], v[12:13]
	;; [unrolled: 8-line block ×3, first 2 shown]
	s_waitcnt vmcnt(0) lgkmcnt(0)
	v_mul_f64 v[38:39], v[4:5], v[34:35]
	v_fmac_f64_e32 v[38:39], v[6:7], v[32:33]
	v_add_f64 v[44:45], v[36:37], v[38:39]
	ds_read_b128 v[36:39], v2 offset:1680
	v_mul_f64 v[6:7], v[6:7], v[34:35]
	v_fma_f64 v[4:5], v[4:5], v[32:33], -v[6:7]
	v_add_f64 v[4:5], v[8:9], v[4:5]
	s_waitcnt lgkmcnt(0)
	v_mul_f64 v[46:47], v[36:37], v[42:43]
	v_fmac_f64_e32 v[46:47], v[38:39], v[40:41]
	v_add_f64 v[52:53], v[44:45], v[46:47]
	ds_read_b128 v[44:47], v2 offset:1696
	v_mul_f64 v[6:7], v[38:39], v[42:43]
	v_fma_f64 v[6:7], v[36:37], v[40:41], -v[6:7]
	v_add_f64 v[4:5], v[4:5], v[6:7]
	s_waitcnt lgkmcnt(0)
	;; [unrolled: 8-line block ×21, first 2 shown]
	v_mul_f64 v[6:7], v[200:201], v[204:205]
	v_fma_f64 v[6:7], v[198:199], v[202:203], -v[6:7]
	v_add_f64 v[8:9], v[4:5], v[6:7]
	scratch_load_dwordx4 v[4:7], off, off offset:608
	v_mul_f64 v[206:207], v[198:199], v[204:205]
	v_fmac_f64_e32 v[206:207], v[200:201], v[202:203]
	v_add_f64 v[144:145], v[144:145], v[206:207]
	s_waitcnt vmcnt(0)
	v_add_f64 v[4:5], v[4:5], -v[8:9]
	v_add_f64 v[6:7], v[6:7], -v[144:145]
	scratch_store_dwordx4 off, v[4:7], off offset:608
	s_and_saveexec_b64 s[0:1], vcc
	s_cbranch_execz .LBB62_331
; %bb.330:
	scratch_load_dwordx4 v[6:9], off, s54
	v_mov_b32_e32 v3, v2
	v_mov_b32_e32 v4, v2
	;; [unrolled: 1-line block ×3, first 2 shown]
	v_accvgpr_read_b32 v0, a127
	scratch_store_dwordx4 off, v[2:5], off offset:592
	s_waitcnt vmcnt(1)
	ds_write_b128 v0, v[6:9]
.LBB62_331:
	s_or_b64 exec, exec, s[0:1]
	s_waitcnt lgkmcnt(0)
	; wave barrier
	ds_read_b128 v[16:19], v2 offset:1600
	ds_read_b128 v[12:15], v2 offset:1616
	;; [unrolled: 1-line block ×4, first 2 shown]
	scratch_load_dwordx4 v[20:23], off, off offset:608
	scratch_load_dwordx4 v[40:43], off, off offset:672
	;; [unrolled: 1-line block ×20, first 2 shown]
	v_cmp_lt_u32_e32 vcc, 35, v252
	scratch_load_dwordx4 v[48:51], off, off offset:688
	scratch_load_dwordx4 v[56:59], off, off offset:704
	;; [unrolled: 1-line block ×3, first 2 shown]
	s_waitcnt vmcnt(22) lgkmcnt(3)
	v_mul_f64 v[24:25], v[16:17], v[22:23]
	v_fmac_f64_e32 v[24:25], v[18:19], v[20:21]
	v_add_f64 v[28:29], v[24:25], 0
	scratch_load_dwordx4 v[24:27], off, off offset:624
	s_waitcnt vmcnt(0) lgkmcnt(2)
	v_mul_f64 v[30:31], v[12:13], v[26:27]
	v_fmac_f64_e32 v[30:31], v[14:15], v[24:25]
	v_add_f64 v[32:33], v[28:29], v[30:31]
	scratch_load_dwordx4 v[28:31], off, off offset:640
	v_mul_f64 v[14:15], v[14:15], v[26:27]
	v_fma_f64 v[12:13], v[12:13], v[24:25], -v[14:15]
	s_waitcnt vmcnt(0) lgkmcnt(1)
	v_mul_f64 v[34:35], v[8:9], v[30:31]
	v_fmac_f64_e32 v[34:35], v[10:11], v[28:29]
	v_add_f64 v[36:37], v[32:33], v[34:35]
	scratch_load_dwordx4 v[32:35], off, off offset:656
	v_mul_f64 v[10:11], v[10:11], v[30:31]
	v_fma_f64 v[8:9], v[8:9], v[28:29], -v[10:11]
	s_waitcnt vmcnt(0) lgkmcnt(0)
	v_mul_f64 v[38:39], v[4:5], v[34:35]
	v_fmac_f64_e32 v[38:39], v[6:7], v[32:33]
	v_add_f64 v[44:45], v[36:37], v[38:39]
	ds_read_b128 v[36:39], v2 offset:1664
	v_mul_f64 v[6:7], v[6:7], v[34:35]
	v_fma_f64 v[4:5], v[4:5], v[32:33], -v[6:7]
	s_waitcnt lgkmcnt(0)
	v_mul_f64 v[46:47], v[36:37], v[42:43]
	v_fmac_f64_e32 v[46:47], v[38:39], v[40:41]
	v_add_f64 v[52:53], v[44:45], v[46:47]
	ds_read_b128 v[44:47], v2 offset:1680
	s_waitcnt lgkmcnt(0)
	v_mul_f64 v[54:55], v[44:45], v[50:51]
	v_fmac_f64_e32 v[54:55], v[46:47], v[48:49]
	v_add_f64 v[60:61], v[52:53], v[54:55]
	ds_read_b128 v[52:55], v2 offset:1696
	;; [unrolled: 5-line block ×21, first 2 shown]
	s_waitcnt lgkmcnt(0)
	v_mul_f64 v[2:3], v[206:207], v[212:213]
	v_fmac_f64_e32 v[2:3], v[208:209], v[210:211]
	v_add_f64 v[168:169], v[168:169], v[2:3]
	v_mul_f64 v[2:3], v[18:19], v[22:23]
	v_fma_f64 v[2:3], v[16:17], v[20:21], -v[2:3]
	v_add_f64 v[2:3], v[2:3], 0
	v_add_f64 v[2:3], v[2:3], v[12:13]
	;; [unrolled: 1-line block ×4, first 2 shown]
	v_mul_f64 v[4:5], v[38:39], v[42:43]
	v_fma_f64 v[4:5], v[36:37], v[40:41], -v[4:5]
	v_add_f64 v[2:3], v[2:3], v[4:5]
	v_mul_f64 v[4:5], v[46:47], v[50:51]
	v_fma_f64 v[4:5], v[44:45], v[48:49], -v[4:5]
	v_add_f64 v[2:3], v[2:3], v[4:5]
	;; [unrolled: 3-line block ×22, first 2 shown]
	scratch_load_dwordx4 v[2:5], off, off offset:592
	s_waitcnt vmcnt(0)
	v_add_f64 v[2:3], v[2:3], -v[6:7]
	v_add_f64 v[4:5], v[4:5], -v[168:169]
	scratch_store_dwordx4 off, v[2:5], off offset:592
	s_and_saveexec_b64 s[0:1], vcc
	s_cbranch_execz .LBB62_333
; %bb.332:
	scratch_load_dwordx4 v[2:5], off, s53
	v_mov_b32_e32 v6, 0
	v_mov_b32_e32 v7, v6
	;; [unrolled: 1-line block ×4, first 2 shown]
	v_accvgpr_read_b32 v0, a127
	scratch_store_dwordx4 off, v[6:9], off offset:576
	s_waitcnt vmcnt(1)
	ds_write_b128 v0, v[2:5]
.LBB62_333:
	s_or_b64 exec, exec, s[0:1]
	v_mov_b32_e32 v2, 0
	s_waitcnt lgkmcnt(0)
	; wave barrier
	ds_read_b128 v[16:19], v2 offset:1584
	ds_read_b128 v[12:15], v2 offset:1600
	;; [unrolled: 1-line block ×4, first 2 shown]
	scratch_load_dwordx4 v[20:23], off, off offset:592
	scratch_load_dwordx4 v[40:43], off, off offset:656
	;; [unrolled: 1-line block ×21, first 2 shown]
	v_cmp_lt_u32_e32 vcc, 34, v252
	scratch_load_dwordx4 v[48:51], off, off offset:672
	scratch_load_dwordx4 v[56:59], off, off offset:688
	;; [unrolled: 1-line block ×3, first 2 shown]
	s_waitcnt vmcnt(23) lgkmcnt(3)
	v_mul_f64 v[24:25], v[16:17], v[22:23]
	v_fmac_f64_e32 v[24:25], v[18:19], v[20:21]
	v_add_f64 v[28:29], v[24:25], 0
	scratch_load_dwordx4 v[24:27], off, off offset:608
	v_mul_f64 v[18:19], v[18:19], v[22:23]
	v_fma_f64 v[16:17], v[16:17], v[20:21], -v[18:19]
	v_add_f64 v[16:17], v[16:17], 0
	s_waitcnt vmcnt(0) lgkmcnt(2)
	v_mul_f64 v[30:31], v[12:13], v[26:27]
	v_fmac_f64_e32 v[30:31], v[14:15], v[24:25]
	v_add_f64 v[32:33], v[28:29], v[30:31]
	scratch_load_dwordx4 v[28:31], off, off offset:624
	v_mul_f64 v[14:15], v[14:15], v[26:27]
	v_fma_f64 v[12:13], v[12:13], v[24:25], -v[14:15]
	v_add_f64 v[12:13], v[16:17], v[12:13]
	;; [unrolled: 8-line block ×3, first 2 shown]
	s_waitcnt vmcnt(0) lgkmcnt(0)
	v_mul_f64 v[38:39], v[4:5], v[34:35]
	v_fmac_f64_e32 v[38:39], v[6:7], v[32:33]
	v_add_f64 v[44:45], v[36:37], v[38:39]
	ds_read_b128 v[36:39], v2 offset:1648
	v_mul_f64 v[6:7], v[6:7], v[34:35]
	v_fma_f64 v[4:5], v[4:5], v[32:33], -v[6:7]
	v_add_f64 v[4:5], v[8:9], v[4:5]
	s_waitcnt lgkmcnt(0)
	v_mul_f64 v[46:47], v[36:37], v[42:43]
	v_fmac_f64_e32 v[46:47], v[38:39], v[40:41]
	v_add_f64 v[52:53], v[44:45], v[46:47]
	ds_read_b128 v[44:47], v2 offset:1664
	v_mul_f64 v[6:7], v[38:39], v[42:43]
	v_fma_f64 v[6:7], v[36:37], v[40:41], -v[6:7]
	v_add_f64 v[4:5], v[4:5], v[6:7]
	s_waitcnt lgkmcnt(0)
	;; [unrolled: 8-line block ×23, first 2 shown]
	v_mul_f64 v[6:7], v[216:217], v[220:221]
	v_fma_f64 v[6:7], v[214:215], v[218:219], -v[6:7]
	v_add_f64 v[8:9], v[4:5], v[6:7]
	scratch_load_dwordx4 v[4:7], off, off offset:576
	v_mul_f64 v[222:223], v[214:215], v[220:221]
	v_fmac_f64_e32 v[222:223], v[216:217], v[218:219]
	v_add_f64 v[160:161], v[160:161], v[222:223]
	s_waitcnt vmcnt(0)
	v_add_f64 v[4:5], v[4:5], -v[8:9]
	v_add_f64 v[6:7], v[6:7], -v[160:161]
	scratch_store_dwordx4 off, v[4:7], off offset:576
	s_and_saveexec_b64 s[0:1], vcc
	s_cbranch_execz .LBB62_335
; %bb.334:
	scratch_load_dwordx4 v[6:9], off, s56
	v_mov_b32_e32 v3, v2
	v_mov_b32_e32 v4, v2
	;; [unrolled: 1-line block ×3, first 2 shown]
	v_accvgpr_read_b32 v0, a127
	scratch_store_dwordx4 off, v[2:5], off offset:560
	s_waitcnt vmcnt(1)
	ds_write_b128 v0, v[6:9]
.LBB62_335:
	s_or_b64 exec, exec, s[0:1]
	s_waitcnt lgkmcnt(0)
	; wave barrier
	ds_read_b128 v[16:19], v2 offset:1568
	ds_read_b128 v[12:15], v2 offset:1584
	;; [unrolled: 1-line block ×4, first 2 shown]
	scratch_load_dwordx4 v[20:23], off, off offset:576
	scratch_load_dwordx4 v[40:43], off, off offset:640
	;; [unrolled: 1-line block ×22, first 2 shown]
	v_cmp_lt_u32_e32 vcc, 33, v252
	scratch_load_dwordx4 v[48:51], off, off offset:656
	scratch_load_dwordx4 v[56:59], off, off offset:672
	;; [unrolled: 1-line block ×3, first 2 shown]
	s_waitcnt vmcnt(24) lgkmcnt(3)
	v_mul_f64 v[24:25], v[16:17], v[22:23]
	v_fmac_f64_e32 v[24:25], v[18:19], v[20:21]
	v_add_f64 v[28:29], v[24:25], 0
	scratch_load_dwordx4 v[24:27], off, off offset:592
	s_waitcnt vmcnt(0) lgkmcnt(2)
	v_mul_f64 v[30:31], v[12:13], v[26:27]
	v_fmac_f64_e32 v[30:31], v[14:15], v[24:25]
	v_add_f64 v[32:33], v[28:29], v[30:31]
	scratch_load_dwordx4 v[28:31], off, off offset:608
	v_mul_f64 v[14:15], v[14:15], v[26:27]
	v_fma_f64 v[12:13], v[12:13], v[24:25], -v[14:15]
	s_waitcnt vmcnt(0) lgkmcnt(1)
	v_mul_f64 v[34:35], v[8:9], v[30:31]
	v_fmac_f64_e32 v[34:35], v[10:11], v[28:29]
	v_add_f64 v[36:37], v[32:33], v[34:35]
	scratch_load_dwordx4 v[32:35], off, off offset:624
	v_mul_f64 v[10:11], v[10:11], v[30:31]
	v_fma_f64 v[8:9], v[8:9], v[28:29], -v[10:11]
	s_waitcnt vmcnt(0) lgkmcnt(0)
	v_mul_f64 v[38:39], v[4:5], v[34:35]
	v_fmac_f64_e32 v[38:39], v[6:7], v[32:33]
	v_add_f64 v[44:45], v[36:37], v[38:39]
	ds_read_b128 v[36:39], v2 offset:1632
	v_mul_f64 v[6:7], v[6:7], v[34:35]
	v_fma_f64 v[4:5], v[4:5], v[32:33], -v[6:7]
	s_waitcnt lgkmcnt(0)
	v_mul_f64 v[46:47], v[36:37], v[42:43]
	v_fmac_f64_e32 v[46:47], v[38:39], v[40:41]
	v_add_f64 v[52:53], v[44:45], v[46:47]
	ds_read_b128 v[44:47], v2 offset:1648
	s_waitcnt lgkmcnt(0)
	v_mul_f64 v[54:55], v[44:45], v[50:51]
	v_fmac_f64_e32 v[54:55], v[46:47], v[48:49]
	v_add_f64 v[60:61], v[52:53], v[54:55]
	ds_read_b128 v[52:55], v2 offset:1664
	s_waitcnt lgkmcnt(0)
	v_mul_f64 v[62:63], v[52:53], v[58:59]
	v_fmac_f64_e32 v[62:63], v[54:55], v[56:57]
	v_add_f64 v[68:69], v[60:61], v[62:63]
	ds_read_b128 v[60:63], v2 offset:1680
	s_waitcnt lgkmcnt(0)
	v_mul_f64 v[70:71], v[60:61], v[66:67]
	v_fmac_f64_e32 v[70:71], v[62:63], v[64:65]
	v_add_f64 v[76:77], v[68:69], v[70:71]
	ds_read_b128 v[68:71], v2 offset:1696
	s_waitcnt lgkmcnt(0)
	v_mul_f64 v[78:79], v[68:69], v[74:75]
	v_fmac_f64_e32 v[78:79], v[70:71], v[72:73]
	v_add_f64 v[84:85], v[76:77], v[78:79]
	ds_read_b128 v[76:79], v2 offset:1712
	s_waitcnt lgkmcnt(0)
	v_mul_f64 v[86:87], v[76:77], v[82:83]
	v_fmac_f64_e32 v[86:87], v[78:79], v[80:81]
	v_add_f64 v[92:93], v[84:85], v[86:87]
	ds_read_b128 v[84:87], v2 offset:1728
	s_waitcnt lgkmcnt(0)
	v_mul_f64 v[94:95], v[84:85], v[90:91]
	v_fmac_f64_e32 v[94:95], v[86:87], v[88:89]
	v_add_f64 v[100:101], v[92:93], v[94:95]
	ds_read_b128 v[92:95], v2 offset:1744
	s_waitcnt lgkmcnt(0)
	v_mul_f64 v[102:103], v[92:93], v[98:99]
	v_fmac_f64_e32 v[102:103], v[94:95], v[96:97]
	v_add_f64 v[108:109], v[100:101], v[102:103]
	ds_read_b128 v[100:103], v2 offset:1760
	s_waitcnt lgkmcnt(0)
	v_mul_f64 v[110:111], v[100:101], v[106:107]
	v_fmac_f64_e32 v[110:111], v[102:103], v[104:105]
	v_add_f64 v[116:117], v[108:109], v[110:111]
	ds_read_b128 v[108:111], v2 offset:1776
	s_waitcnt lgkmcnt(0)
	v_mul_f64 v[118:119], v[108:109], v[114:115]
	v_fmac_f64_e32 v[118:119], v[110:111], v[112:113]
	v_add_f64 v[124:125], v[116:117], v[118:119]
	ds_read_b128 v[116:119], v2 offset:1792
	s_waitcnt lgkmcnt(0)
	v_mul_f64 v[126:127], v[116:117], v[122:123]
	v_fmac_f64_e32 v[126:127], v[118:119], v[120:121]
	v_add_f64 v[132:133], v[124:125], v[126:127]
	ds_read_b128 v[124:127], v2 offset:1808
	s_waitcnt lgkmcnt(0)
	v_mul_f64 v[134:135], v[124:125], v[130:131]
	v_fmac_f64_e32 v[134:135], v[126:127], v[128:129]
	v_add_f64 v[140:141], v[132:133], v[134:135]
	ds_read_b128 v[132:135], v2 offset:1824
	s_waitcnt lgkmcnt(0)
	v_mul_f64 v[142:143], v[132:133], v[138:139]
	v_fmac_f64_e32 v[142:143], v[134:135], v[136:137]
	v_add_f64 v[148:149], v[140:141], v[142:143]
	ds_read_b128 v[140:143], v2 offset:1840
	s_waitcnt lgkmcnt(0)
	v_mul_f64 v[150:151], v[140:141], v[146:147]
	v_fmac_f64_e32 v[150:151], v[142:143], v[144:145]
	v_add_f64 v[156:157], v[148:149], v[150:151]
	ds_read_b128 v[148:151], v2 offset:1856
	s_waitcnt lgkmcnt(0)
	v_mul_f64 v[158:159], v[148:149], v[154:155]
	v_fmac_f64_e32 v[158:159], v[150:151], v[152:153]
	v_add_f64 v[164:165], v[156:157], v[158:159]
	ds_read_b128 v[156:159], v2 offset:1872
	s_waitcnt lgkmcnt(0)
	v_mul_f64 v[166:167], v[156:157], v[162:163]
	v_fmac_f64_e32 v[166:167], v[158:159], v[160:161]
	v_add_f64 v[172:173], v[164:165], v[166:167]
	ds_read_b128 v[164:167], v2 offset:1888
	s_waitcnt lgkmcnt(0)
	v_mul_f64 v[174:175], v[164:165], v[170:171]
	v_fmac_f64_e32 v[174:175], v[166:167], v[168:169]
	v_add_f64 v[176:177], v[172:173], v[174:175]
	ds_read_b128 v[172:175], v2 offset:1904
	s_waitcnt lgkmcnt(0)
	v_mul_f64 v[182:183], v[172:173], v[180:181]
	v_fmac_f64_e32 v[182:183], v[174:175], v[178:179]
	v_add_f64 v[176:177], v[176:177], v[182:183]
	ds_read_b128 v[182:185], v2 offset:1920
	s_waitcnt lgkmcnt(0)
	v_mul_f64 v[190:191], v[182:183], v[188:189]
	v_fmac_f64_e32 v[190:191], v[184:185], v[186:187]
	v_add_f64 v[176:177], v[176:177], v[190:191]
	ds_read_b128 v[190:193], v2 offset:1936
	s_waitcnt lgkmcnt(0)
	v_mul_f64 v[198:199], v[190:191], v[196:197]
	v_fmac_f64_e32 v[198:199], v[192:193], v[194:195]
	v_add_f64 v[176:177], v[176:177], v[198:199]
	ds_read_b128 v[198:201], v2 offset:1952
	s_waitcnt lgkmcnt(0)
	v_mul_f64 v[206:207], v[198:199], v[204:205]
	v_fmac_f64_e32 v[206:207], v[200:201], v[202:203]
	v_add_f64 v[176:177], v[176:177], v[206:207]
	ds_read_b128 v[206:209], v2 offset:1968
	s_waitcnt lgkmcnt(0)
	v_mul_f64 v[214:215], v[206:207], v[212:213]
	v_fmac_f64_e32 v[214:215], v[208:209], v[210:211]
	v_add_f64 v[176:177], v[176:177], v[214:215]
	ds_read_b128 v[214:217], v2 offset:1984
	s_waitcnt lgkmcnt(0)
	v_mul_f64 v[222:223], v[214:215], v[220:221]
	v_fmac_f64_e32 v[222:223], v[216:217], v[218:219]
	v_add_f64 v[176:177], v[176:177], v[222:223]
	ds_read_b128 v[222:225], v2 offset:2000
	s_waitcnt lgkmcnt(0)
	v_mul_f64 v[2:3], v[222:223], v[228:229]
	v_fmac_f64_e32 v[2:3], v[224:225], v[226:227]
	v_add_f64 v[176:177], v[176:177], v[2:3]
	v_mul_f64 v[2:3], v[18:19], v[22:23]
	v_fma_f64 v[2:3], v[16:17], v[20:21], -v[2:3]
	v_add_f64 v[2:3], v[2:3], 0
	v_add_f64 v[2:3], v[2:3], v[12:13]
	;; [unrolled: 1-line block ×4, first 2 shown]
	v_mul_f64 v[4:5], v[38:39], v[42:43]
	v_fma_f64 v[4:5], v[36:37], v[40:41], -v[4:5]
	v_add_f64 v[2:3], v[2:3], v[4:5]
	v_mul_f64 v[4:5], v[46:47], v[50:51]
	v_fma_f64 v[4:5], v[44:45], v[48:49], -v[4:5]
	v_add_f64 v[2:3], v[2:3], v[4:5]
	;; [unrolled: 3-line block ×24, first 2 shown]
	scratch_load_dwordx4 v[2:5], off, off offset:560
	s_waitcnt vmcnt(0)
	v_add_f64 v[2:3], v[2:3], -v[6:7]
	v_add_f64 v[4:5], v[4:5], -v[176:177]
	scratch_store_dwordx4 off, v[2:5], off offset:560
	s_and_saveexec_b64 s[0:1], vcc
	s_cbranch_execz .LBB62_337
; %bb.336:
	scratch_load_dwordx4 v[2:5], off, s55
	v_mov_b32_e32 v6, 0
	v_mov_b32_e32 v7, v6
	;; [unrolled: 1-line block ×4, first 2 shown]
	v_accvgpr_read_b32 v0, a127
	scratch_store_dwordx4 off, v[6:9], off offset:544
	s_waitcnt vmcnt(1)
	ds_write_b128 v0, v[2:5]
.LBB62_337:
	s_or_b64 exec, exec, s[0:1]
	v_mov_b32_e32 v2, 0
	s_waitcnt lgkmcnt(0)
	; wave barrier
	ds_read_b128 v[16:19], v2 offset:1552
	ds_read_b128 v[12:15], v2 offset:1568
	;; [unrolled: 1-line block ×4, first 2 shown]
	scratch_load_dwordx4 v[20:23], off, off offset:560
	scratch_load_dwordx4 v[40:43], off, off offset:624
	;; [unrolled: 1-line block ×23, first 2 shown]
	v_cmp_lt_u32_e32 vcc, 32, v252
	scratch_load_dwordx4 v[48:51], off, off offset:640
	scratch_load_dwordx4 v[56:59], off, off offset:656
	;; [unrolled: 1-line block ×3, first 2 shown]
	s_waitcnt vmcnt(25) lgkmcnt(3)
	v_mul_f64 v[24:25], v[16:17], v[22:23]
	v_fmac_f64_e32 v[24:25], v[18:19], v[20:21]
	v_add_f64 v[28:29], v[24:25], 0
	scratch_load_dwordx4 v[24:27], off, off offset:576
	v_mul_f64 v[18:19], v[18:19], v[22:23]
	v_fma_f64 v[16:17], v[16:17], v[20:21], -v[18:19]
	v_add_f64 v[16:17], v[16:17], 0
	s_waitcnt vmcnt(0) lgkmcnt(2)
	v_mul_f64 v[30:31], v[12:13], v[26:27]
	v_fmac_f64_e32 v[30:31], v[14:15], v[24:25]
	v_add_f64 v[32:33], v[28:29], v[30:31]
	scratch_load_dwordx4 v[28:31], off, off offset:592
	v_mul_f64 v[14:15], v[14:15], v[26:27]
	v_fma_f64 v[12:13], v[12:13], v[24:25], -v[14:15]
	v_add_f64 v[12:13], v[16:17], v[12:13]
	;; [unrolled: 8-line block ×3, first 2 shown]
	s_waitcnt vmcnt(0) lgkmcnt(0)
	v_mul_f64 v[38:39], v[4:5], v[34:35]
	v_fmac_f64_e32 v[38:39], v[6:7], v[32:33]
	v_add_f64 v[44:45], v[36:37], v[38:39]
	ds_read_b128 v[36:39], v2 offset:1616
	v_mul_f64 v[6:7], v[6:7], v[34:35]
	v_fma_f64 v[4:5], v[4:5], v[32:33], -v[6:7]
	v_add_f64 v[4:5], v[8:9], v[4:5]
	s_waitcnt lgkmcnt(0)
	v_mul_f64 v[46:47], v[36:37], v[42:43]
	v_fmac_f64_e32 v[46:47], v[38:39], v[40:41]
	v_add_f64 v[52:53], v[44:45], v[46:47]
	ds_read_b128 v[44:47], v2 offset:1632
	v_mul_f64 v[6:7], v[38:39], v[42:43]
	v_fma_f64 v[6:7], v[36:37], v[40:41], -v[6:7]
	v_add_f64 v[4:5], v[4:5], v[6:7]
	s_waitcnt lgkmcnt(0)
	;; [unrolled: 8-line block ×25, first 2 shown]
	v_mul_f64 v[6:7], v[232:233], v[236:237]
	v_fma_f64 v[6:7], v[230:231], v[234:235], -v[6:7]
	v_add_f64 v[8:9], v[4:5], v[6:7]
	scratch_load_dwordx4 v[4:7], off, off offset:544
	v_mul_f64 v[238:239], v[230:231], v[236:237]
	v_fmac_f64_e32 v[238:239], v[232:233], v[234:235]
	v_add_f64 v[176:177], v[176:177], v[238:239]
	s_waitcnt vmcnt(0)
	v_add_f64 v[4:5], v[4:5], -v[8:9]
	v_add_f64 v[6:7], v[6:7], -v[176:177]
	scratch_store_dwordx4 off, v[4:7], off offset:544
	s_and_saveexec_b64 s[0:1], vcc
	s_cbranch_execz .LBB62_339
; %bb.338:
	scratch_load_dwordx4 v[6:9], off, s58
	v_mov_b32_e32 v3, v2
	v_mov_b32_e32 v4, v2
	;; [unrolled: 1-line block ×3, first 2 shown]
	v_accvgpr_read_b32 v0, a127
	scratch_store_dwordx4 off, v[2:5], off offset:528
	s_waitcnt vmcnt(1)
	ds_write_b128 v0, v[6:9]
.LBB62_339:
	s_or_b64 exec, exec, s[0:1]
	s_waitcnt lgkmcnt(0)
	; wave barrier
	ds_read_b128 v[16:19], v2 offset:1536
	ds_read_b128 v[12:15], v2 offset:1552
	ds_read_b128 v[8:11], v2 offset:1568
	ds_read_b128 v[4:7], v2 offset:1584
	scratch_load_dwordx4 v[20:23], off, off offset:544
	scratch_load_dwordx4 v[40:43], off, off offset:608
	;; [unrolled: 1-line block ×24, first 2 shown]
	v_cmp_lt_u32_e32 vcc, 31, v252
	scratch_load_dwordx4 v[48:51], off, off offset:624
	scratch_load_dwordx4 v[56:59], off, off offset:640
	;; [unrolled: 1-line block ×3, first 2 shown]
	s_waitcnt vmcnt(26) lgkmcnt(3)
	v_mul_f64 v[24:25], v[16:17], v[22:23]
	v_fmac_f64_e32 v[24:25], v[18:19], v[20:21]
	v_add_f64 v[28:29], v[24:25], 0
	scratch_load_dwordx4 v[24:27], off, off offset:560
	s_waitcnt vmcnt(0) lgkmcnt(2)
	v_mul_f64 v[30:31], v[12:13], v[26:27]
	v_fmac_f64_e32 v[30:31], v[14:15], v[24:25]
	v_add_f64 v[32:33], v[28:29], v[30:31]
	scratch_load_dwordx4 v[28:31], off, off offset:576
	v_mul_f64 v[14:15], v[14:15], v[26:27]
	v_fma_f64 v[12:13], v[12:13], v[24:25], -v[14:15]
	s_waitcnt vmcnt(0) lgkmcnt(1)
	v_mul_f64 v[34:35], v[8:9], v[30:31]
	v_fmac_f64_e32 v[34:35], v[10:11], v[28:29]
	v_add_f64 v[36:37], v[32:33], v[34:35]
	scratch_load_dwordx4 v[32:35], off, off offset:592
	v_mul_f64 v[10:11], v[10:11], v[30:31]
	v_fma_f64 v[8:9], v[8:9], v[28:29], -v[10:11]
	s_waitcnt vmcnt(0) lgkmcnt(0)
	v_mul_f64 v[38:39], v[4:5], v[34:35]
	v_fmac_f64_e32 v[38:39], v[6:7], v[32:33]
	v_add_f64 v[44:45], v[36:37], v[38:39]
	ds_read_b128 v[36:39], v2 offset:1600
	v_mul_f64 v[6:7], v[6:7], v[34:35]
	v_fma_f64 v[4:5], v[4:5], v[32:33], -v[6:7]
	s_waitcnt lgkmcnt(0)
	v_mul_f64 v[46:47], v[36:37], v[42:43]
	v_fmac_f64_e32 v[46:47], v[38:39], v[40:41]
	v_add_f64 v[52:53], v[44:45], v[46:47]
	ds_read_b128 v[44:47], v2 offset:1616
	s_waitcnt lgkmcnt(0)
	v_mul_f64 v[54:55], v[44:45], v[50:51]
	v_fmac_f64_e32 v[54:55], v[46:47], v[48:49]
	v_add_f64 v[60:61], v[52:53], v[54:55]
	ds_read_b128 v[52:55], v2 offset:1632
	;; [unrolled: 5-line block ×25, first 2 shown]
	s_waitcnt lgkmcnt(0)
	v_mul_f64 v[2:3], v[238:239], v[244:245]
	v_fmac_f64_e32 v[2:3], v[240:241], v[242:243]
	v_add_f64 v[184:185], v[184:185], v[2:3]
	v_mul_f64 v[2:3], v[18:19], v[22:23]
	v_fma_f64 v[2:3], v[16:17], v[20:21], -v[2:3]
	v_add_f64 v[2:3], v[2:3], 0
	v_add_f64 v[2:3], v[2:3], v[12:13]
	;; [unrolled: 1-line block ×4, first 2 shown]
	v_mul_f64 v[4:5], v[38:39], v[42:43]
	v_fma_f64 v[4:5], v[36:37], v[40:41], -v[4:5]
	v_add_f64 v[2:3], v[2:3], v[4:5]
	v_mul_f64 v[4:5], v[46:47], v[50:51]
	v_fma_f64 v[4:5], v[44:45], v[48:49], -v[4:5]
	v_add_f64 v[2:3], v[2:3], v[4:5]
	;; [unrolled: 3-line block ×26, first 2 shown]
	scratch_load_dwordx4 v[2:5], off, off offset:528
	s_waitcnt vmcnt(0)
	v_add_f64 v[2:3], v[2:3], -v[6:7]
	v_add_f64 v[4:5], v[4:5], -v[184:185]
	scratch_store_dwordx4 off, v[2:5], off offset:528
	s_and_saveexec_b64 s[0:1], vcc
	s_cbranch_execz .LBB62_341
; %bb.340:
	scratch_load_dwordx4 v[2:5], off, s57
	v_mov_b32_e32 v6, 0
	v_mov_b32_e32 v7, v6
	;; [unrolled: 1-line block ×4, first 2 shown]
	v_accvgpr_read_b32 v0, a127
	scratch_store_dwordx4 off, v[6:9], off offset:512
	s_waitcnt vmcnt(1)
	ds_write_b128 v0, v[2:5]
.LBB62_341:
	s_or_b64 exec, exec, s[0:1]
	s_waitcnt lgkmcnt(0)
	; wave barrier
	scratch_load_dwordx4 v[16:19], off, off offset:528
	scratch_load_dwordx4 v[12:15], off, off offset:544
	;; [unrolled: 1-line block ×32, first 2 shown]
	v_mov_b32_e32 v2, 0
	ds_read_b128 v[132:135], v2 offset:1520
	ds_read_b128 v[136:139], v2 offset:1536
	;; [unrolled: 1-line block ×17, first 2 shown]
	v_cmp_lt_u32_e32 vcc, 30, v252
	s_waitcnt vmcnt(31) lgkmcnt(14)
	v_mul_f64 v[200:201], v[132:133], v[18:19]
	s_waitcnt vmcnt(30)
	v_mul_f64 v[202:203], v[136:137], v[14:15]
	v_fmac_f64_e32 v[200:201], v[134:135], v[16:17]
	s_waitcnt vmcnt(29)
	v_mul_f64 v[204:205], v[140:141], v[10:11]
	v_fmac_f64_e32 v[202:203], v[138:139], v[12:13]
	v_add_f64 v[200:201], v[200:201], 0
	s_waitcnt vmcnt(28) lgkmcnt(13)
	v_mul_f64 v[206:207], v[144:145], v[6:7]
	v_fmac_f64_e32 v[204:205], v[142:143], v[8:9]
	v_add_f64 v[200:201], v[200:201], v[202:203]
	s_waitcnt vmcnt(27) lgkmcnt(12)
	;; [unrolled: 4-line block ×12, first 2 shown]
	v_mul_f64 v[228:229], v[188:189], v[62:63]
	v_fmac_f64_e32 v[226:227], v[186:187], v[56:57]
	v_add_f64 v[200:201], v[200:201], v[224:225]
	v_fmac_f64_e32 v[228:229], v[190:191], v[60:61]
	v_add_f64 v[200:201], v[200:201], v[226:227]
	s_waitcnt vmcnt(16) lgkmcnt(1)
	v_mul_f64 v[202:203], v[192:193], v[66:67]
	v_add_f64 v[200:201], v[200:201], v[228:229]
	v_fmac_f64_e32 v[202:203], v[194:195], v[64:65]
	s_waitcnt vmcnt(15) lgkmcnt(0)
	v_mul_f64 v[206:207], v[196:197], v[70:71]
	v_add_f64 v[204:205], v[200:201], v[202:203]
	ds_read_b128 v[200:203], v2 offset:1792
	v_fmac_f64_e32 v[206:207], v[198:199], v[68:69]
	v_add_f64 v[208:209], v[204:205], v[206:207]
	ds_read_b128 v[204:207], v2 offset:1808
	v_mul_f64 v[18:19], v[134:135], v[18:19]
	s_waitcnt vmcnt(14) lgkmcnt(1)
	v_mul_f64 v[210:211], v[200:201], v[74:75]
	v_fmac_f64_e32 v[210:211], v[202:203], v[72:73]
	v_add_f64 v[212:213], v[208:209], v[210:211]
	s_waitcnt vmcnt(13) lgkmcnt(0)
	v_mul_f64 v[214:215], v[204:205], v[78:79]
	ds_read_b128 v[208:211], v2 offset:1824
	v_fmac_f64_e32 v[214:215], v[206:207], v[76:77]
	v_add_f64 v[216:217], v[212:213], v[214:215]
	ds_read_b128 v[212:215], v2 offset:1840
	v_fma_f64 v[242:243], v[132:133], v[16:17], -v[18:19]
	s_waitcnt vmcnt(12) lgkmcnt(1)
	v_mul_f64 v[218:219], v[208:209], v[82:83]
	v_fmac_f64_e32 v[218:219], v[210:211], v[80:81]
	v_add_f64 v[220:221], v[216:217], v[218:219]
	s_waitcnt vmcnt(11) lgkmcnt(0)
	v_mul_f64 v[222:223], v[212:213], v[86:87]
	ds_read_b128 v[216:219], v2 offset:1856
	v_fmac_f64_e32 v[222:223], v[214:215], v[84:85]
	v_add_f64 v[224:225], v[220:221], v[222:223]
	ds_read_b128 v[220:223], v2 offset:1872
	ds_read_b128 v[16:19], v2 offset:1952
	s_waitcnt vmcnt(10) lgkmcnt(2)
	v_mul_f64 v[226:227], v[216:217], v[90:91]
	v_fmac_f64_e32 v[226:227], v[218:219], v[88:89]
	v_add_f64 v[228:229], v[224:225], v[226:227]
	s_waitcnt vmcnt(9) lgkmcnt(1)
	v_mul_f64 v[230:231], v[220:221], v[94:95]
	ds_read_b128 v[224:227], v2 offset:1888
	v_fmac_f64_e32 v[230:231], v[222:223], v[92:93]
	v_add_f64 v[232:233], v[228:229], v[230:231]
	ds_read_b128 v[228:231], v2 offset:1904
	v_mul_f64 v[14:15], v[138:139], v[14:15]
	s_waitcnt vmcnt(8) lgkmcnt(1)
	v_mul_f64 v[234:235], v[224:225], v[98:99]
	v_fmac_f64_e32 v[234:235], v[226:227], v[96:97]
	v_add_f64 v[236:237], v[232:233], v[234:235]
	s_waitcnt vmcnt(7) lgkmcnt(0)
	v_mul_f64 v[238:239], v[228:229], v[102:103]
	ds_read_b128 v[232:235], v2 offset:1920
	v_fmac_f64_e32 v[238:239], v[230:231], v[100:101]
	v_add_f64 v[240:241], v[236:237], v[238:239]
	ds_read_b128 v[236:239], v2 offset:1936
	v_fma_f64 v[136:137], v[136:137], v[12:13], -v[14:15]
	s_waitcnt vmcnt(6) lgkmcnt(1)
	v_mul_f64 v[132:133], v[232:233], v[106:107]
	v_fmac_f64_e32 v[132:133], v[234:235], v[104:105]
	v_add_f64 v[132:133], v[240:241], v[132:133]
	s_waitcnt vmcnt(5) lgkmcnt(0)
	v_mul_f64 v[134:135], v[236:237], v[110:111]
	v_fmac_f64_e32 v[134:135], v[238:239], v[108:109]
	v_add_f64 v[132:133], v[132:133], v[134:135]
	ds_read_b128 v[12:15], v2 offset:1968
	s_waitcnt vmcnt(4)
	v_mul_f64 v[134:135], v[16:17], v[114:115]
	v_fmac_f64_e32 v[134:135], v[18:19], v[112:113]
	v_add_f64 v[138:139], v[132:133], v[134:135]
	ds_read_b128 v[132:135], v2 offset:1984
	v_mul_f64 v[10:11], v[142:143], v[10:11]
	v_fma_f64 v[140:141], v[140:141], v[8:9], -v[10:11]
	ds_read_b128 v[8:11], v2 offset:2000
	s_waitcnt vmcnt(3) lgkmcnt(2)
	v_mul_f64 v[142:143], v[12:13], v[118:119]
	v_fmac_f64_e32 v[142:143], v[14:15], v[116:117]
	v_add_f64 v[138:139], v[138:139], v[142:143]
	s_waitcnt vmcnt(2) lgkmcnt(1)
	v_mul_f64 v[142:143], v[132:133], v[122:123]
	v_fmac_f64_e32 v[142:143], v[134:135], v[120:121]
	v_add_f64 v[138:139], v[138:139], v[142:143]
	s_waitcnt vmcnt(1) lgkmcnt(0)
	v_mul_f64 v[142:143], v[8:9], v[126:127]
	v_fmac_f64_e32 v[142:143], v[10:11], v[124:125]
	v_add_f64 v[138:139], v[138:139], v[142:143]
	v_add_f64 v[142:143], v[242:243], 0
	v_add_f64 v[136:137], v[142:143], v[136:137]
	v_mul_f64 v[6:7], v[146:147], v[6:7]
	v_add_f64 v[136:137], v[136:137], v[140:141]
	v_fma_f64 v[4:5], v[144:145], v[4:5], -v[6:7]
	v_mul_f64 v[6:7], v[150:151], v[22:23]
	v_add_f64 v[4:5], v[136:137], v[4:5]
	v_fma_f64 v[6:7], v[148:149], v[20:21], -v[6:7]
	v_add_f64 v[4:5], v[4:5], v[6:7]
	v_mul_f64 v[6:7], v[154:155], v[26:27]
	v_fma_f64 v[6:7], v[152:153], v[24:25], -v[6:7]
	v_add_f64 v[4:5], v[4:5], v[6:7]
	v_mul_f64 v[6:7], v[158:159], v[30:31]
	;; [unrolled: 3-line block ×26, first 2 shown]
	v_fma_f64 v[6:7], v[8:9], v[124:125], -v[6:7]
	v_add_f64 v[4:5], v[4:5], v[6:7]
	s_waitcnt vmcnt(0)
	v_add_f64 v[4:5], v[128:129], -v[4:5]
	v_add_f64 v[6:7], v[130:131], -v[138:139]
	scratch_store_dwordx4 off, v[4:7], off offset:512
	s_and_saveexec_b64 s[0:1], vcc
	s_cbranch_execz .LBB62_343
; %bb.342:
	scratch_load_dwordx4 v[6:9], off, s85
	v_mov_b32_e32 v3, v2
	v_mov_b32_e32 v4, v2
	;; [unrolled: 1-line block ×3, first 2 shown]
	v_accvgpr_read_b32 v0, a127
	scratch_store_dwordx4 off, v[2:5], off offset:496
	s_waitcnt vmcnt(1)
	ds_write_b128 v0, v[6:9]
.LBB62_343:
	s_or_b64 exec, exec, s[0:1]
	s_waitcnt lgkmcnt(0)
	; wave barrier
	scratch_load_dwordx4 v[140:143], off, off offset:512
	scratch_load_dwordx4 v[148:151], off, off offset:528
	;; [unrolled: 1-line block ×16, first 2 shown]
	ds_read_b128 v[188:191], v2 offset:1504
	ds_read_b128 v[184:187], v2 offset:1520
	scratch_load_dwordx4 v[56:59], off, off offset:768
	ds_read_b128 v[192:195], v2 offset:1536
	ds_read_b128 v[68:71], v2 offset:1552
	scratch_load_dwordx4 v[60:63], off, off offset:784
	ds_read_b128 v[88:91], v2 offset:1568
	ds_read_b128 v[84:87], v2 offset:1584
	;; [unrolled: 1-line block ×4, first 2 shown]
	scratch_load_dwordx4 v[64:67], off, off offset:800
	ds_read_b128 v[100:103], v2 offset:1632
	ds_read_b128 v[96:99], v2 offset:1648
	scratch_load_dwordx4 v[72:75], off, off offset:816
	ds_read_b128 v[116:119], v2 offset:1664
	ds_read_b128 v[112:115], v2 offset:1680
	;; [unrolled: 1-line block ×4, first 2 shown]
	scratch_load_dwordx4 v[92:95], off, off offset:832
	ds_read_b128 v[132:135], v2 offset:1728
	ds_read_b128 v[128:131], v2 offset:1744
	;; [unrolled: 1-line block ×3, first 2 shown]
	scratch_load_dwordx4 v[120:123], off, off offset:848
	scratch_load_dwordx4 v[136:139], off, off offset:864
	scratch_load_dwordx4 v[144:147], off, off offset:880
	scratch_load_dwordx4 v[156:159], off, off offset:896
	scratch_load_dwordx4 v[160:163], off, off offset:912
	scratch_load_dwordx4 v[164:167], off, off offset:928
	scratch_load_dwordx4 v[168:171], off, off offset:944
	scratch_load_dwordx4 v[172:175], off, off offset:960
	scratch_load_dwordx4 v[176:179], off, off offset:976
	scratch_load_dwordx4 v[180:183], off, off offset:992
	scratch_load_dwordx4 v[196:199], off, off offset:1008
	v_cmp_lt_u32_e32 vcc, 29, v252
	s_waitcnt vmcnt(31) lgkmcnt(14)
	v_mul_f64 v[200:201], v[188:189], v[142:143]
	s_waitcnt vmcnt(30)
	v_mul_f64 v[202:203], v[184:185], v[150:151]
	v_fmac_f64_e32 v[200:201], v[190:191], v[140:141]
	s_waitcnt vmcnt(29)
	v_mul_f64 v[204:205], v[192:193], v[154:155]
	v_fmac_f64_e32 v[202:203], v[186:187], v[148:149]
	v_add_f64 v[200:201], v[200:201], 0
	s_waitcnt vmcnt(28) lgkmcnt(13)
	v_mul_f64 v[206:207], v[68:69], v[6:7]
	v_fmac_f64_e32 v[204:205], v[194:195], v[152:153]
	v_add_f64 v[200:201], v[200:201], v[202:203]
	s_waitcnt vmcnt(27) lgkmcnt(12)
	;; [unrolled: 4-line block ×13, first 2 shown]
	v_mul_f64 v[230:231], v[128:129], v[54:55]
	v_fmac_f64_e32 v[228:229], v[134:135], v[48:49]
	v_add_f64 v[200:201], v[200:201], v[226:227]
	v_add_f64 v[200:201], v[200:201], v[228:229]
	v_fmac_f64_e32 v[230:231], v[130:131], v[52:53]
	v_add_f64 v[204:205], v[200:201], v[230:231]
	ds_read_b128 v[200:203], v2 offset:1776
	s_waitcnt vmcnt(15) lgkmcnt(1)
	v_mul_f64 v[206:207], v[124:125], v[58:59]
	v_fmac_f64_e32 v[206:207], v[126:127], v[56:57]
	v_add_f64 v[208:209], v[204:205], v[206:207]
	ds_read_b128 v[204:207], v2 offset:1792
	s_waitcnt vmcnt(14) lgkmcnt(1)
	v_mul_f64 v[210:211], v[200:201], v[62:63]
	;; [unrolled: 5-line block ×10, first 2 shown]
	v_fmac_f64_e32 v[242:243], v[234:235], v[160:161]
	v_mul_f64 v[142:143], v[190:191], v[142:143]
	v_add_f64 v[242:243], v[240:241], v[242:243]
	v_fma_f64 v[240:241], v[188:189], v[140:141], -v[142:143]
	ds_read_b128 v[140:143], v2 offset:1936
	s_waitcnt vmcnt(5) lgkmcnt(1)
	v_mul_f64 v[188:189], v[236:237], v[166:167]
	v_fmac_f64_e32 v[188:189], v[238:239], v[164:165]
	v_mul_f64 v[150:151], v[186:187], v[150:151]
	v_add_f64 v[188:189], v[242:243], v[188:189]
	v_fma_f64 v[242:243], v[184:185], v[148:149], -v[150:151]
	ds_read_b128 v[148:151], v2 offset:1952
	s_waitcnt vmcnt(4) lgkmcnt(1)
	v_mul_f64 v[184:185], v[140:141], v[170:171]
	v_fmac_f64_e32 v[184:185], v[142:143], v[168:169]
	v_add_f64 v[188:189], v[188:189], v[184:185]
	ds_read_b128 v[184:187], v2 offset:1968
	v_mul_f64 v[154:155], v[194:195], v[154:155]
	s_waitcnt vmcnt(3) lgkmcnt(1)
	v_mul_f64 v[190:191], v[148:149], v[174:175]
	v_fma_f64 v[246:247], v[192:193], v[152:153], -v[154:155]
	ds_read_b128 v[152:155], v2 offset:1984
	v_fmac_f64_e32 v[190:191], v[150:151], v[172:173]
	v_add_f64 v[244:245], v[188:189], v[190:191]
	ds_read_b128 v[188:191], v2 offset:2000
	s_waitcnt vmcnt(2) lgkmcnt(2)
	v_mul_f64 v[192:193], v[184:185], v[178:179]
	v_fmac_f64_e32 v[192:193], v[186:187], v[176:177]
	v_add_f64 v[2:3], v[244:245], v[192:193]
	s_waitcnt vmcnt(1) lgkmcnt(1)
	v_mul_f64 v[192:193], v[152:153], v[182:183]
	v_fmac_f64_e32 v[192:193], v[154:155], v[180:181]
	v_add_f64 v[2:3], v[2:3], v[192:193]
	;; [unrolled: 4-line block ×3, first 2 shown]
	scratch_load_dwordx4 v[192:195], off, off offset:496
	v_add_f64 v[240:241], v[240:241], 0
	v_add_f64 v[240:241], v[240:241], v[242:243]
	v_mul_f64 v[6:7], v[70:71], v[6:7]
	v_add_f64 v[240:241], v[240:241], v[246:247]
	v_fma_f64 v[4:5], v[68:69], v[4:5], -v[6:7]
	v_mul_f64 v[6:7], v[90:91], v[10:11]
	v_add_f64 v[4:5], v[240:241], v[4:5]
	v_fma_f64 v[6:7], v[88:89], v[8:9], -v[6:7]
	v_add_f64 v[4:5], v[4:5], v[6:7]
	v_mul_f64 v[6:7], v[86:87], v[14:15]
	v_fma_f64 v[6:7], v[84:85], v[12:13], -v[6:7]
	v_add_f64 v[4:5], v[4:5], v[6:7]
	v_mul_f64 v[6:7], v[82:83], v[18:19]
	;; [unrolled: 3-line block ×27, first 2 shown]
	v_fma_f64 v[6:7], v[188:189], v[196:197], -v[6:7]
	v_add_f64 v[4:5], v[4:5], v[6:7]
	s_waitcnt vmcnt(0)
	v_add_f64 v[4:5], v[192:193], -v[4:5]
	v_add_f64 v[6:7], v[194:195], -v[2:3]
	scratch_store_dwordx4 off, v[4:7], off offset:496
	s_and_saveexec_b64 s[0:1], vcc
	s_cbranch_execz .LBB62_345
; %bb.344:
	scratch_load_dwordx4 v[2:5], off, s84
	v_mov_b32_e32 v6, 0
	v_mov_b32_e32 v7, v6
	;; [unrolled: 1-line block ×4, first 2 shown]
	v_accvgpr_read_b32 v0, a127
	scratch_store_dwordx4 off, v[6:9], off offset:480
	s_waitcnt vmcnt(1)
	ds_write_b128 v0, v[2:5]
.LBB62_345:
	s_or_b64 exec, exec, s[0:1]
	s_waitcnt lgkmcnt(0)
	; wave barrier
	scratch_load_dwordx4 v[108:111], off, off offset:496
	scratch_load_dwordx4 v[116:119], off, off offset:512
	;; [unrolled: 1-line block ×33, first 2 shown]
	v_mov_b32_e32 v2, 0
	ds_read_b128 v[220:223], v2 offset:1488
	ds_read_b128 v[224:227], v2 offset:1504
	;; [unrolled: 1-line block ×16, first 2 shown]
	v_cmp_lt_u32_e32 vcc, 28, v252
	s_waitcnt vmcnt(32) lgkmcnt(14)
	v_mul_f64 v[180:181], v[220:221], v[110:111]
	s_waitcnt vmcnt(31)
	v_mul_f64 v[182:183], v[224:225], v[118:119]
	v_fmac_f64_e32 v[180:181], v[222:223], v[108:109]
	s_waitcnt vmcnt(30) lgkmcnt(13)
	v_mul_f64 v[184:185], v[234:235], v[122:123]
	v_fmac_f64_e32 v[182:183], v[226:227], v[116:117]
	v_add_f64 v[180:181], v[180:181], 0
	s_waitcnt vmcnt(29) lgkmcnt(12)
	v_mul_f64 v[186:187], v[238:239], v[126:127]
	v_fmac_f64_e32 v[184:185], v[236:237], v[120:121]
	v_add_f64 v[180:181], v[180:181], v[182:183]
	;; [unrolled: 4-line block ×13, first 2 shown]
	v_fmac_f64_e32 v[208:209], v[142:143], v[40:41]
	v_add_f64 v[180:181], v[180:181], v[206:207]
	v_add_f64 v[184:185], v[180:181], v[208:209]
	ds_read_b128 v[180:183], v2 offset:1744
	s_waitcnt vmcnt(17) lgkmcnt(1)
	v_mul_f64 v[186:187], v[136:137], v[46:47]
	v_fmac_f64_e32 v[186:187], v[138:139], v[44:45]
	v_add_f64 v[188:189], v[184:185], v[186:187]
	ds_read_b128 v[184:187], v2 offset:1760
	s_waitcnt vmcnt(16) lgkmcnt(1)
	v_mul_f64 v[190:191], v[180:181], v[50:51]
	v_fmac_f64_e32 v[190:191], v[182:183], v[48:49]
	;; [unrolled: 5-line block ×10, first 2 shown]
	v_mul_f64 v[110:111], v[222:223], v[110:111]
	v_add_f64 v[228:229], v[228:229], v[230:231]
	v_fma_f64 v[230:231], v[220:221], v[108:109], -v[110:111]
	ds_read_b128 v[108:111], v2 offset:1904
	s_waitcnt vmcnt(7) lgkmcnt(1)
	v_mul_f64 v[220:221], v[216:217], v[86:87]
	v_mul_f64 v[118:119], v[226:227], v[118:119]
	v_fmac_f64_e32 v[220:221], v[218:219], v[84:85]
	v_fma_f64 v[232:233], v[224:225], v[116:117], -v[118:119]
	ds_read_b128 v[116:119], v2 offset:1920
	s_waitcnt vmcnt(6) lgkmcnt(1)
	v_mul_f64 v[222:223], v[108:109], v[90:91]
	v_add_f64 v[220:221], v[228:229], v[220:221]
	v_fmac_f64_e32 v[222:223], v[110:111], v[88:89]
	v_add_f64 v[224:225], v[220:221], v[222:223]
	ds_read_b128 v[220:223], v2 offset:1936
	v_mul_f64 v[122:123], v[236:237], v[122:123]
	v_fma_f64 v[234:235], v[234:235], v[120:121], -v[122:123]
	ds_read_b128 v[120:123], v2 offset:1952
	s_waitcnt vmcnt(5) lgkmcnt(2)
	v_mul_f64 v[226:227], v[116:117], v[94:95]
	v_fmac_f64_e32 v[226:227], v[118:119], v[92:93]
	v_mul_f64 v[126:127], v[240:241], v[126:127]
	v_add_f64 v[224:225], v[224:225], v[226:227]
	s_waitcnt vmcnt(4) lgkmcnt(1)
	v_mul_f64 v[226:227], v[220:221], v[98:99]
	v_fma_f64 v[236:237], v[238:239], v[124:125], -v[126:127]
	ds_read_b128 v[124:127], v2 offset:1968
	v_fmac_f64_e32 v[226:227], v[222:223], v[96:97]
	v_add_f64 v[228:229], v[224:225], v[226:227]
	s_waitcnt vmcnt(3) lgkmcnt(1)
	v_mul_f64 v[238:239], v[120:121], v[102:103]
	ds_read_b128 v[224:227], v2 offset:1984
	v_fmac_f64_e32 v[238:239], v[122:123], v[100:101]
	v_mul_f64 v[130:131], v[244:245], v[130:131]
	v_add_f64 v[228:229], v[228:229], v[238:239]
	v_fma_f64 v[238:239], v[242:243], v[128:129], -v[130:131]
	ds_read_b128 v[128:131], v2 offset:2000
	s_waitcnt vmcnt(2) lgkmcnt(2)
	v_mul_f64 v[240:241], v[124:125], v[106:107]
	v_fmac_f64_e32 v[240:241], v[126:127], v[104:105]
	v_add_f64 v[228:229], v[228:229], v[240:241]
	s_waitcnt vmcnt(1) lgkmcnt(1)
	v_mul_f64 v[240:241], v[224:225], v[114:115]
	v_fmac_f64_e32 v[240:241], v[226:227], v[112:113]
	v_add_f64 v[228:229], v[228:229], v[240:241]
	;; [unrolled: 4-line block ×3, first 2 shown]
	scratch_load_dwordx4 v[240:243], off, off offset:480
	v_add_f64 v[230:231], v[230:231], 0
	v_add_f64 v[230:231], v[230:231], v[232:233]
	;; [unrolled: 1-line block ×4, first 2 shown]
	v_mul_f64 v[6:7], v[178:179], v[6:7]
	v_add_f64 v[230:231], v[230:231], v[238:239]
	v_fma_f64 v[4:5], v[176:177], v[4:5], -v[6:7]
	v_mul_f64 v[6:7], v[174:175], v[10:11]
	v_add_f64 v[4:5], v[230:231], v[4:5]
	v_fma_f64 v[6:7], v[172:173], v[8:9], -v[6:7]
	v_add_f64 v[4:5], v[4:5], v[6:7]
	v_mul_f64 v[6:7], v[170:171], v[14:15]
	v_fma_f64 v[6:7], v[168:169], v[12:13], -v[6:7]
	v_add_f64 v[4:5], v[4:5], v[6:7]
	v_mul_f64 v[6:7], v[166:167], v[18:19]
	;; [unrolled: 3-line block ×26, first 2 shown]
	v_fma_f64 v[6:7], v[128:129], v[132:133], -v[6:7]
	v_add_f64 v[4:5], v[4:5], v[6:7]
	s_waitcnt vmcnt(0)
	v_add_f64 v[4:5], v[240:241], -v[4:5]
	v_add_f64 v[6:7], v[242:243], -v[228:229]
	scratch_store_dwordx4 off, v[4:7], off offset:480
	s_and_saveexec_b64 s[0:1], vcc
	s_cbranch_execz .LBB62_347
; %bb.346:
	scratch_load_dwordx4 v[6:9], off, s83
	v_mov_b32_e32 v3, v2
	v_mov_b32_e32 v4, v2
	;; [unrolled: 1-line block ×3, first 2 shown]
	v_accvgpr_read_b32 v0, a127
	scratch_store_dwordx4 off, v[2:5], off offset:464
	s_waitcnt vmcnt(1)
	ds_write_b128 v0, v[6:9]
.LBB62_347:
	s_or_b64 exec, exec, s[0:1]
	s_waitcnt lgkmcnt(0)
	; wave barrier
	scratch_load_dwordx4 v[144:147], off, off offset:480
	scratch_load_dwordx4 v[152:155], off, off offset:496
	;; [unrolled: 1-line block ×16, first 2 shown]
	ds_read_b128 v[196:199], v2 offset:1472
	ds_read_b128 v[188:191], v2 offset:1488
	ds_read_b128 v[180:183], v2 offset:1504
	scratch_load_dwordx4 v[48:51], off, off offset:736
	ds_read_b128 v[192:195], v2 offset:1520
	ds_read_b128 v[184:187], v2 offset:1536
	ds_read_b128 v[64:67], v2 offset:1552
	scratch_load_dwordx4 v[52:55], off, off offset:752
	;; [unrolled: 4-line block ×5, first 2 shown]
	ds_read_b128 v[116:119], v2 offset:1712
	ds_read_b128 v[112:115], v2 offset:1728
	scratch_load_dwordx4 v[108:111], off, off offset:816
	scratch_load_dwordx4 v[120:123], off, off offset:832
	;; [unrolled: 1-line block ×12, first 2 shown]
	v_cmp_lt_u32_e32 vcc, 27, v252
	s_waitcnt vmcnt(32) lgkmcnt(14)
	v_mul_f64 v[204:205], v[196:197], v[146:147]
	s_waitcnt vmcnt(31)
	v_mul_f64 v[206:207], v[188:189], v[154:155]
	v_fmac_f64_e32 v[204:205], v[198:199], v[144:145]
	s_waitcnt vmcnt(30)
	v_mul_f64 v[208:209], v[180:181], v[158:159]
	v_fmac_f64_e32 v[206:207], v[190:191], v[152:153]
	v_add_f64 v[204:205], v[204:205], 0
	s_waitcnt vmcnt(29) lgkmcnt(13)
	v_mul_f64 v[210:211], v[192:193], v[162:163]
	v_fmac_f64_e32 v[208:209], v[182:183], v[156:157]
	v_add_f64 v[204:205], v[204:205], v[206:207]
	s_waitcnt vmcnt(28) lgkmcnt(12)
	;; [unrolled: 4-line block ×12, first 2 shown]
	v_mul_f64 v[232:233], v[96:97], v[42:43]
	v_fmac_f64_e32 v[230:231], v[102:103], v[36:37]
	v_add_f64 v[204:205], v[204:205], v[228:229]
	v_fmac_f64_e32 v[232:233], v[98:99], v[40:41]
	v_add_f64 v[204:205], v[204:205], v[230:231]
	s_waitcnt vmcnt(17) lgkmcnt(1)
	v_mul_f64 v[206:207], v[116:117], v[46:47]
	v_add_f64 v[204:205], v[204:205], v[232:233]
	v_fmac_f64_e32 v[206:207], v[118:119], v[44:45]
	s_waitcnt vmcnt(16) lgkmcnt(0)
	v_mul_f64 v[210:211], v[112:113], v[50:51]
	v_add_f64 v[208:209], v[204:205], v[206:207]
	ds_read_b128 v[204:207], v2 offset:1744
	v_fmac_f64_e32 v[210:211], v[114:115], v[48:49]
	v_add_f64 v[212:213], v[208:209], v[210:211]
	ds_read_b128 v[208:211], v2 offset:1760
	v_mul_f64 v[146:147], v[198:199], v[146:147]
	s_waitcnt vmcnt(15) lgkmcnt(1)
	v_mul_f64 v[214:215], v[204:205], v[54:55]
	v_fmac_f64_e32 v[214:215], v[206:207], v[52:53]
	v_add_f64 v[216:217], v[212:213], v[214:215]
	s_waitcnt vmcnt(14) lgkmcnt(0)
	v_mul_f64 v[218:219], v[208:209], v[58:59]
	ds_read_b128 v[212:215], v2 offset:1776
	v_fmac_f64_e32 v[218:219], v[210:211], v[56:57]
	v_add_f64 v[220:221], v[216:217], v[218:219]
	ds_read_b128 v[216:219], v2 offset:1792
	v_mul_f64 v[154:155], v[190:191], v[154:155]
	s_waitcnt vmcnt(13) lgkmcnt(1)
	v_mul_f64 v[222:223], v[212:213], v[62:63]
	v_fmac_f64_e32 v[222:223], v[214:215], v[60:61]
	v_add_f64 v[224:225], v[220:221], v[222:223]
	s_waitcnt vmcnt(12) lgkmcnt(0)
	v_mul_f64 v[226:227], v[216:217], v[94:95]
	ds_read_b128 v[220:223], v2 offset:1808
	v_fmac_f64_e32 v[226:227], v[218:219], v[92:93]
	v_add_f64 v[228:229], v[224:225], v[226:227]
	ds_read_b128 v[224:227], v2 offset:1824
	v_fma_f64 v[244:245], v[188:189], v[152:153], -v[154:155]
	s_waitcnt vmcnt(11) lgkmcnt(1)
	v_mul_f64 v[230:231], v[220:221], v[110:111]
	v_fmac_f64_e32 v[230:231], v[222:223], v[108:109]
	v_add_f64 v[232:233], v[228:229], v[230:231]
	s_waitcnt vmcnt(10) lgkmcnt(0)
	v_mul_f64 v[234:235], v[224:225], v[122:123]
	ds_read_b128 v[228:231], v2 offset:1840
	v_fmac_f64_e32 v[234:235], v[226:227], v[120:121]
	v_add_f64 v[236:237], v[232:233], v[234:235]
	ds_read_b128 v[232:235], v2 offset:1856
	ds_read_b128 v[152:155], v2 offset:1904
	s_waitcnt vmcnt(9) lgkmcnt(2)
	v_mul_f64 v[238:239], v[228:229], v[126:127]
	v_fmac_f64_e32 v[238:239], v[230:231], v[124:125]
	v_add_f64 v[240:241], v[236:237], v[238:239]
	s_waitcnt vmcnt(8) lgkmcnt(1)
	v_mul_f64 v[242:243], v[232:233], v[130:131]
	ds_read_b128 v[236:239], v2 offset:1872
	v_fmac_f64_e32 v[242:243], v[234:235], v[128:129]
	v_add_f64 v[240:241], v[240:241], v[242:243]
	v_fma_f64 v[242:243], v[196:197], v[144:145], -v[146:147]
	ds_read_b128 v[144:147], v2 offset:1888
	s_waitcnt vmcnt(7) lgkmcnt(1)
	v_mul_f64 v[196:197], v[236:237], v[134:135]
	v_fmac_f64_e32 v[196:197], v[238:239], v[132:133]
	v_add_f64 v[188:189], v[240:241], v[196:197]
	v_mul_f64 v[158:159], v[182:183], v[158:159]
	s_waitcnt vmcnt(6) lgkmcnt(0)
	v_mul_f64 v[190:191], v[144:145], v[138:139]
	v_fmac_f64_e32 v[190:191], v[146:147], v[136:137]
	v_add_f64 v[196:197], v[188:189], v[190:191]
	ds_read_b128 v[188:191], v2 offset:1920
	v_fma_f64 v[240:241], v[180:181], v[156:157], -v[158:159]
	ds_read_b128 v[156:159], v2 offset:1936
	s_waitcnt vmcnt(5)
	v_mul_f64 v[198:199], v[152:153], v[142:143]
	v_fmac_f64_e32 v[198:199], v[154:155], v[140:141]
	s_waitcnt vmcnt(4) lgkmcnt(1)
	v_mul_f64 v[180:181], v[188:189], v[150:151]
	v_add_f64 v[196:197], v[196:197], v[198:199]
	v_fmac_f64_e32 v[180:181], v[190:191], v[148:149]
	v_mul_f64 v[162:163], v[194:195], v[162:163]
	v_add_f64 v[198:199], v[196:197], v[180:181]
	v_fma_f64 v[196:197], v[192:193], v[160:161], -v[162:163]
	ds_read_b128 v[160:163], v2 offset:1952
	s_waitcnt vmcnt(3) lgkmcnt(1)
	v_mul_f64 v[192:193], v[156:157], v[166:167]
	ds_read_b128 v[180:183], v2 offset:1968
	v_fmac_f64_e32 v[192:193], v[158:159], v[164:165]
	v_mul_f64 v[170:171], v[186:187], v[170:171]
	v_add_f64 v[192:193], v[198:199], v[192:193]
	v_fma_f64 v[198:199], v[184:185], v[168:169], -v[170:171]
	ds_read_b128 v[168:171], v2 offset:1984
	s_waitcnt vmcnt(2) lgkmcnt(2)
	v_mul_f64 v[184:185], v[160:161], v[174:175]
	v_fmac_f64_e32 v[184:185], v[162:163], v[172:173]
	s_waitcnt vmcnt(1) lgkmcnt(1)
	v_mul_f64 v[186:187], v[180:181], v[178:179]
	v_add_f64 v[184:185], v[192:193], v[184:185]
	v_fmac_f64_e32 v[186:187], v[182:183], v[176:177]
	v_add_f64 v[184:185], v[184:185], v[186:187]
	s_waitcnt vmcnt(0) lgkmcnt(0)
	v_mul_f64 v[186:187], v[168:169], v[202:203]
	v_fmac_f64_e32 v[186:187], v[170:171], v[200:201]
	v_add_f64 v[246:247], v[184:185], v[186:187]
	scratch_load_dwordx4 v[184:187], off, off offset:1008
	v_add_f64 v[242:243], v[242:243], 0
	v_add_f64 v[242:243], v[242:243], v[244:245]
	;; [unrolled: 1-line block ×3, first 2 shown]
	scratch_load_dwordx4 v[242:245], off, off offset:464
	v_add_f64 v[196:197], v[240:241], v[196:197]
	v_mul_f64 v[6:7], v[66:67], v[6:7]
	v_add_f64 v[196:197], v[196:197], v[198:199]
	v_fma_f64 v[4:5], v[64:65], v[4:5], -v[6:7]
	v_mul_f64 v[6:7], v[78:79], v[10:11]
	v_add_f64 v[4:5], v[196:197], v[4:5]
	v_fma_f64 v[6:7], v[76:77], v[8:9], -v[6:7]
	v_add_f64 v[4:5], v[4:5], v[6:7]
	v_mul_f64 v[6:7], v[74:75], v[14:15]
	v_fma_f64 v[6:7], v[72:73], v[12:13], -v[6:7]
	v_add_f64 v[4:5], v[4:5], v[6:7]
	v_mul_f64 v[6:7], v[70:71], v[18:19]
	;; [unrolled: 3-line block ×24, first 2 shown]
	ds_read_b128 v[192:195], v2 offset:2000
	v_fma_f64 v[6:7], v[160:161], v[172:173], -v[6:7]
	v_add_f64 v[4:5], v[4:5], v[6:7]
	v_mul_f64 v[6:7], v[182:183], v[178:179]
	v_fma_f64 v[6:7], v[180:181], v[176:177], -v[6:7]
	v_add_f64 v[4:5], v[4:5], v[6:7]
	v_mul_f64 v[6:7], v[170:171], v[202:203]
	v_fma_f64 v[6:7], v[168:169], v[200:201], -v[6:7]
	s_waitcnt vmcnt(1) lgkmcnt(0)
	v_mul_f64 v[2:3], v[192:193], v[186:187]
	v_add_f64 v[4:5], v[4:5], v[6:7]
	v_mul_f64 v[6:7], v[194:195], v[186:187]
	v_fmac_f64_e32 v[2:3], v[194:195], v[184:185]
	v_fma_f64 v[6:7], v[192:193], v[184:185], -v[6:7]
	v_add_f64 v[2:3], v[246:247], v[2:3]
	v_add_f64 v[4:5], v[4:5], v[6:7]
	s_waitcnt vmcnt(0)
	v_add_f64 v[4:5], v[242:243], -v[4:5]
	v_add_f64 v[6:7], v[244:245], -v[2:3]
	scratch_store_dwordx4 off, v[4:7], off offset:464
	s_and_saveexec_b64 s[0:1], vcc
	s_cbranch_execz .LBB62_349
; %bb.348:
	scratch_load_dwordx4 v[2:5], off, s82
	v_mov_b32_e32 v6, 0
	v_mov_b32_e32 v7, v6
	;; [unrolled: 1-line block ×4, first 2 shown]
	v_accvgpr_read_b32 v0, a127
	scratch_store_dwordx4 off, v[6:9], off offset:448
	s_waitcnt vmcnt(1)
	ds_write_b128 v0, v[2:5]
.LBB62_349:
	s_or_b64 exec, exec, s[0:1]
	s_waitcnt lgkmcnt(0)
	; wave barrier
	scratch_load_dwordx4 v[184:187], off, off offset:464
	scratch_load_dwordx4 v[188:191], off, off offset:480
	;; [unrolled: 1-line block ×32, first 2 shown]
	v_mov_b32_e32 v2, 0
	ds_read_b128 v[192:195], v2 offset:1456
	ds_read_b128 v[204:207], v2 offset:1472
	;; [unrolled: 1-line block ×16, first 2 shown]
	v_cmp_lt_u32_e32 vcc, 26, v252
	s_waitcnt vmcnt(31) lgkmcnt(14)
	v_mul_f64 v[104:105], v[192:193], v[186:187]
	s_waitcnt vmcnt(30)
	v_mul_f64 v[106:107], v[204:205], v[190:191]
	v_fmac_f64_e32 v[104:105], v[194:195], v[184:185]
	s_waitcnt vmcnt(29) lgkmcnt(13)
	v_mul_f64 v[112:113], v[216:217], v[198:199]
	v_fmac_f64_e32 v[106:107], v[206:207], v[188:189]
	v_add_f64 v[104:105], v[104:105], 0
	s_waitcnt vmcnt(28) lgkmcnt(12)
	v_mul_f64 v[114:115], v[224:225], v[202:203]
	v_fmac_f64_e32 v[112:113], v[218:219], v[196:197]
	v_add_f64 v[104:105], v[104:105], v[106:107]
	;; [unrolled: 4-line block ×10, first 2 shown]
	ds_read_b128 v[152:155], v2 offset:1712
	ds_read_b128 v[156:159], v2 offset:1728
	s_waitcnt vmcnt(19) lgkmcnt(5)
	v_mul_f64 v[164:165], v[124:125], v[26:27]
	v_fmac_f64_e32 v[162:163], v[134:135], v[20:21]
	v_add_f64 v[104:105], v[104:105], v[160:161]
	s_waitcnt vmcnt(18) lgkmcnt(4)
	v_mul_f64 v[166:167], v[120:121], v[30:31]
	v_fmac_f64_e32 v[164:165], v[126:127], v[24:25]
	v_add_f64 v[104:105], v[104:105], v[162:163]
	;; [unrolled: 4-line block ×4, first 2 shown]
	v_add_f64 v[112:113], v[104:105], v[168:169]
	v_fmac_f64_e32 v[170:171], v[110:111], v[36:37]
	scratch_load_dwordx4 v[104:107], off, off offset:976
	s_waitcnt vmcnt(16) lgkmcnt(1)
	v_mul_f64 v[114:115], v[152:153], v[42:43]
	v_add_f64 v[112:113], v[112:113], v[170:171]
	v_fmac_f64_e32 v[114:115], v[154:155], v[40:41]
	v_add_f64 v[128:129], v[112:113], v[114:115]
	scratch_load_dwordx4 v[112:115], off, off offset:992
	s_waitcnt vmcnt(16) lgkmcnt(0)
	v_mul_f64 v[130:131], v[156:157], v[46:47]
	v_fmac_f64_e32 v[130:131], v[158:159], v[44:45]
	v_add_f64 v[168:169], v[128:129], v[130:131]
	scratch_load_dwordx4 v[128:131], off, off offset:1008
	ds_read_b128 v[160:163], v2 offset:1744
	ds_read_b128 v[164:167], v2 offset:1760
	v_mul_f64 v[186:187], v[194:195], v[186:187]
	v_fma_f64 v[246:247], v[192:193], v[184:185], -v[186:187]
	ds_read_b128 v[184:187], v2 offset:1840
	s_waitcnt vmcnt(16) lgkmcnt(2)
	v_mul_f64 v[170:171], v[160:161], v[50:51]
	v_fmac_f64_e32 v[170:171], v[162:163], v[48:49]
	s_waitcnt vmcnt(15) lgkmcnt(1)
	v_mul_f64 v[174:175], v[164:165], v[54:55]
	v_add_f64 v[172:173], v[168:169], v[170:171]
	ds_read_b128 v[168:171], v2 offset:1776
	v_fmac_f64_e32 v[174:175], v[166:167], v[52:53]
	v_add_f64 v[176:177], v[172:173], v[174:175]
	ds_read_b128 v[172:175], v2 offset:1792
	v_mul_f64 v[190:191], v[206:207], v[190:191]
	s_waitcnt vmcnt(14) lgkmcnt(1)
	v_mul_f64 v[178:179], v[168:169], v[58:59]
	v_fmac_f64_e32 v[178:179], v[170:171], v[56:57]
	v_add_f64 v[180:181], v[176:177], v[178:179]
	s_waitcnt vmcnt(13) lgkmcnt(0)
	v_mul_f64 v[182:183], v[172:173], v[62:63]
	ds_read_b128 v[176:179], v2 offset:1808
	v_fmac_f64_e32 v[182:183], v[174:175], v[60:61]
	v_add_f64 v[232:233], v[180:181], v[182:183]
	ds_read_b128 v[180:183], v2 offset:1824
	v_fma_f64 v[248:249], v[204:205], v[188:189], -v[190:191]
	s_waitcnt vmcnt(12) lgkmcnt(1)
	v_mul_f64 v[234:235], v[176:177], v[66:67]
	v_fmac_f64_e32 v[234:235], v[178:179], v[64:65]
	v_add_f64 v[232:233], v[232:233], v[234:235]
	s_waitcnt vmcnt(11) lgkmcnt(0)
	v_mul_f64 v[192:193], v[180:181], v[70:71]
	v_fmac_f64_e32 v[192:193], v[182:183], v[68:69]
	ds_read_b128 v[188:191], v2 offset:1856
	s_waitcnt vmcnt(10)
	v_mul_f64 v[194:195], v[184:185], v[74:75]
	v_add_f64 v[192:193], v[232:233], v[192:193]
	v_fmac_f64_e32 v[194:195], v[186:187], v[72:73]
	v_add_f64 v[204:205], v[192:193], v[194:195]
	ds_read_b128 v[192:195], v2 offset:1872
	v_mul_f64 v[198:199], v[218:219], v[198:199]
	v_fma_f64 v[250:251], v[216:217], v[196:197], -v[198:199]
	ds_read_b128 v[196:199], v2 offset:1888
	s_waitcnt vmcnt(9) lgkmcnt(2)
	v_mul_f64 v[206:207], v[188:189], v[78:79]
	v_fmac_f64_e32 v[206:207], v[190:191], v[76:77]
	v_add_f64 v[204:205], v[204:205], v[206:207]
	s_waitcnt vmcnt(8) lgkmcnt(1)
	v_mul_f64 v[206:207], v[192:193], v[82:83]
	v_fmac_f64_e32 v[206:207], v[194:195], v[80:81]
	v_mul_f64 v[202:203], v[226:227], v[202:203]
	v_add_f64 v[204:205], v[204:205], v[206:207]
	v_fma_f64 v[234:235], v[224:225], v[200:201], -v[202:203]
	ds_read_b128 v[200:203], v2 offset:1904
	s_waitcnt vmcnt(7) lgkmcnt(1)
	v_mul_f64 v[206:207], v[196:197], v[86:87]
	v_fmac_f64_e32 v[206:207], v[198:199], v[84:85]
	v_add_f64 v[216:217], v[204:205], v[206:207]
	ds_read_b128 v[204:207], v2 offset:1920
	v_mul_f64 v[210:211], v[230:231], v[210:211]
	v_fma_f64 v[236:237], v[228:229], v[208:209], -v[210:211]
	ds_read_b128 v[208:211], v2 offset:1936
	s_waitcnt vmcnt(6) lgkmcnt(2)
	v_mul_f64 v[218:219], v[200:201], v[90:91]
	v_fmac_f64_e32 v[218:219], v[202:203], v[88:89]
	v_add_f64 v[216:217], v[216:217], v[218:219]
	s_waitcnt vmcnt(5) lgkmcnt(1)
	v_mul_f64 v[218:219], v[204:205], v[94:95]
	v_fmac_f64_e32 v[218:219], v[206:207], v[92:93]
	v_mul_f64 v[214:215], v[240:241], v[214:215]
	v_fma_f64 v[238:239], v[238:239], v[212:213], -v[214:215]
	ds_read_b128 v[212:215], v2 offset:1952
	v_add_f64 v[216:217], v[216:217], v[218:219]
	s_waitcnt vmcnt(4) lgkmcnt(1)
	v_mul_f64 v[218:219], v[208:209], v[102:103]
	v_fmac_f64_e32 v[218:219], v[210:211], v[100:101]
	v_add_f64 v[224:225], v[216:217], v[218:219]
	ds_read_b128 v[216:219], v2 offset:1968
	v_mul_f64 v[222:223], v[244:245], v[222:223]
	v_fma_f64 v[240:241], v[242:243], v[220:221], -v[222:223]
	ds_read_b128 v[220:223], v2 offset:1984
	s_waitcnt vmcnt(3) lgkmcnt(2)
	v_mul_f64 v[226:227], v[212:213], v[98:99]
	v_fmac_f64_e32 v[226:227], v[214:215], v[96:97]
	v_add_f64 v[224:225], v[224:225], v[226:227]
	s_waitcnt vmcnt(2) lgkmcnt(1)
	v_mul_f64 v[226:227], v[216:217], v[106:107]
	v_fmac_f64_e32 v[226:227], v[218:219], v[104:105]
	v_add_f64 v[224:225], v[224:225], v[226:227]
	;; [unrolled: 4-line block ×3, first 2 shown]
	ds_read_b128 v[224:227], v2 offset:2000
	v_mul_f64 v[6:7], v[150:151], v[6:7]
	v_fma_f64 v[4:5], v[148:149], v[4:5], -v[6:7]
	v_mul_f64 v[6:7], v[146:147], v[10:11]
	v_fma_f64 v[6:7], v[144:145], v[8:9], -v[6:7]
	s_waitcnt vmcnt(0) lgkmcnt(0)
	v_mul_f64 v[230:231], v[224:225], v[130:131]
	v_fmac_f64_e32 v[230:231], v[226:227], v[128:129]
	v_add_f64 v[232:233], v[228:229], v[230:231]
	v_add_f64 v[228:229], v[246:247], 0
	;; [unrolled: 1-line block ×4, first 2 shown]
	scratch_load_dwordx4 v[228:231], off, off offset:448
	v_add_f64 v[234:235], v[242:243], v[234:235]
	v_add_f64 v[234:235], v[234:235], v[236:237]
	;; [unrolled: 1-line block ×6, first 2 shown]
	v_mul_f64 v[6:7], v[142:143], v[14:15]
	v_fma_f64 v[6:7], v[140:141], v[12:13], -v[6:7]
	v_add_f64 v[4:5], v[4:5], v[6:7]
	v_mul_f64 v[6:7], v[138:139], v[18:19]
	v_fma_f64 v[6:7], v[136:137], v[16:17], -v[6:7]
	v_add_f64 v[4:5], v[4:5], v[6:7]
	;; [unrolled: 3-line block ×26, first 2 shown]
	s_waitcnt vmcnt(0)
	v_add_f64 v[4:5], v[228:229], -v[4:5]
	v_add_f64 v[6:7], v[230:231], -v[232:233]
	scratch_store_dwordx4 off, v[4:7], off offset:448
	s_and_saveexec_b64 s[0:1], vcc
	s_cbranch_execz .LBB62_351
; %bb.350:
	scratch_load_dwordx4 v[6:9], off, s81
	v_mov_b32_e32 v3, v2
	v_mov_b32_e32 v4, v2
	;; [unrolled: 1-line block ×3, first 2 shown]
	v_accvgpr_read_b32 v0, a127
	scratch_store_dwordx4 off, v[2:5], off offset:432
	s_waitcnt vmcnt(1)
	ds_write_b128 v0, v[6:9]
.LBB62_351:
	s_or_b64 exec, exec, s[0:1]
	s_waitcnt lgkmcnt(0)
	; wave barrier
	scratch_load_dwordx4 v[140:143], off, off offset:448
	scratch_load_dwordx4 v[144:147], off, off offset:464
	;; [unrolled: 1-line block ×16, first 2 shown]
	ds_read_b128 v[208:211], v2 offset:1440
	ds_read_b128 v[200:203], v2 offset:1456
	;; [unrolled: 1-line block ×3, first 2 shown]
	scratch_load_dwordx4 v[40:43], off, off offset:704
	ds_read_b128 v[204:207], v2 offset:1488
	ds_read_b128 v[192:195], v2 offset:1504
	;; [unrolled: 1-line block ×3, first 2 shown]
	scratch_load_dwordx4 v[44:47], off, off offset:720
	ds_read_b128 v[196:199], v2 offset:1536
	ds_read_b128 v[64:67], v2 offset:1552
	;; [unrolled: 1-line block ×4, first 2 shown]
	scratch_load_dwordx4 v[48:51], off, off offset:736
	ds_read_b128 v[72:75], v2 offset:1600
	ds_read_b128 v[68:71], v2 offset:1616
	scratch_load_dwordx4 v[56:59], off, off offset:752
	ds_read_b128 v[92:95], v2 offset:1632
	ds_read_b128 v[88:91], v2 offset:1648
	;; [unrolled: 1-line block ×4, first 2 shown]
	scratch_load_dwordx4 v[76:79], off, off offset:768
	scratch_load_dwordx4 v[96:99], off, off offset:784
	;; [unrolled: 1-line block ×12, first 2 shown]
	ds_read_b128 v[168:171], v2 offset:1696
	v_accvgpr_write_b32 a126, v252
	v_cmp_lt_u32_e32 vcc, 25, v252
	s_waitcnt vmcnt(31) lgkmcnt(14)
	v_mul_f64 v[172:173], v[208:209], v[142:143]
	s_waitcnt vmcnt(30)
	v_mul_f64 v[174:175], v[200:201], v[146:147]
	v_fmac_f64_e32 v[172:173], v[210:211], v[140:141]
	s_waitcnt vmcnt(29)
	v_mul_f64 v[176:177], v[188:189], v[150:151]
	v_fmac_f64_e32 v[174:175], v[202:203], v[144:145]
	v_add_f64 v[172:173], v[172:173], 0
	s_waitcnt vmcnt(28) lgkmcnt(13)
	v_mul_f64 v[178:179], v[204:205], v[154:155]
	v_fmac_f64_e32 v[176:177], v[190:191], v[148:149]
	v_add_f64 v[172:173], v[172:173], v[174:175]
	s_waitcnt vmcnt(27) lgkmcnt(12)
	;; [unrolled: 4-line block ×10, first 2 shown]
	v_mul_f64 v[224:225], v[92:93], v[26:27]
	v_fmac_f64_e32 v[222:223], v[70:71], v[20:21]
	v_add_f64 v[172:173], v[172:173], v[220:221]
	ds_read_b128 v[212:215], v2 offset:1712
	s_waitcnt vmcnt(18) lgkmcnt(4)
	v_mul_f64 v[226:227], v[88:89], v[30:31]
	v_fmac_f64_e32 v[224:225], v[94:95], v[24:25]
	v_add_f64 v[172:173], v[172:173], v[222:223]
	ds_read_b128 v[216:219], v2 offset:1728
	ds_read_b128 v[220:223], v2 offset:1744
	s_waitcnt vmcnt(17) lgkmcnt(5)
	v_mul_f64 v[228:229], v[84:85], v[34:35]
	v_fmac_f64_e32 v[226:227], v[90:91], v[28:29]
	v_add_f64 v[172:173], v[172:173], v[224:225]
	s_waitcnt vmcnt(16) lgkmcnt(4)
	v_mul_f64 v[230:231], v[80:81], v[38:39]
	v_fmac_f64_e32 v[228:229], v[86:87], v[32:33]
	v_add_f64 v[172:173], v[172:173], v[226:227]
	v_add_f64 v[176:177], v[172:173], v[228:229]
	v_fmac_f64_e32 v[230:231], v[82:83], v[36:37]
	s_waitcnt vmcnt(15) lgkmcnt(3)
	v_mul_f64 v[178:179], v[168:169], v[42:43]
	v_add_f64 v[176:177], v[176:177], v[230:231]
	v_fmac_f64_e32 v[178:179], v[170:171], v[40:41]
	s_waitcnt vmcnt(14) lgkmcnt(2)
	v_mul_f64 v[182:183], v[212:213], v[46:47]
	;; [unrolled: 4-line block ×3, first 2 shown]
	v_add_f64 v[224:225], v[180:181], v[182:183]
	v_fmac_f64_e32 v[226:227], v[218:219], v[48:49]
	v_add_f64 v[228:229], v[224:225], v[226:227]
	ds_read_b128 v[224:227], v2 offset:1760
	s_waitcnt vmcnt(12) lgkmcnt(1)
	v_mul_f64 v[230:231], v[220:221], v[58:59]
	v_fmac_f64_e32 v[230:231], v[222:223], v[56:57]
	v_add_f64 v[232:233], v[228:229], v[230:231]
	ds_read_b128 v[228:231], v2 offset:1776
	s_waitcnt vmcnt(11) lgkmcnt(1)
	v_mul_f64 v[234:235], v[224:225], v[78:79]
	;; [unrolled: 5-line block ×4, first 2 shown]
	v_fmac_f64_e32 v[242:243], v[234:235], v[100:101]
	v_mul_f64 v[142:143], v[210:211], v[142:143]
	v_add_f64 v[240:241], v[240:241], v[242:243]
	v_fma_f64 v[242:243], v[208:209], v[140:141], -v[142:143]
	ds_read_b128 v[140:143], v2 offset:1824
	s_waitcnt vmcnt(8) lgkmcnt(1)
	v_mul_f64 v[208:209], v[236:237], v[106:107]
	v_fmac_f64_e32 v[208:209], v[238:239], v[104:105]
	v_mul_f64 v[146:147], v[202:203], v[146:147]
	v_add_f64 v[208:209], v[240:241], v[208:209]
	v_fma_f64 v[240:241], v[200:201], v[144:145], -v[146:147]
	ds_read_b128 v[144:147], v2 offset:1840
	s_waitcnt vmcnt(7) lgkmcnt(1)
	v_mul_f64 v[200:201], v[140:141], v[110:111]
	scratch_load_dwordx4 v[172:175], off, off offset:960
	v_fmac_f64_e32 v[200:201], v[142:143], v[108:109]
	v_add_f64 v[208:209], v[208:209], v[200:201]
	ds_read_b128 v[200:203], v2 offset:1856
	v_mul_f64 v[150:151], v[190:191], v[150:151]
	scratch_load_dwordx4 v[176:179], off, off offset:976
	scratch_load_dwordx4 v[180:183], off, off offset:992
	v_fma_f64 v[244:245], v[188:189], v[148:149], -v[150:151]
	ds_read_b128 v[148:151], v2 offset:1872
	s_waitcnt vmcnt(9) lgkmcnt(2)
	v_mul_f64 v[210:211], v[144:145], v[114:115]
	v_fmac_f64_e32 v[210:211], v[146:147], v[112:113]
	s_waitcnt vmcnt(8) lgkmcnt(1)
	v_mul_f64 v[188:189], v[200:201], v[118:119]
	v_add_f64 v[208:209], v[208:209], v[210:211]
	v_fmac_f64_e32 v[188:189], v[202:203], v[116:117]
	v_mul_f64 v[154:155], v[206:207], v[154:155]
	s_waitcnt vmcnt(7) lgkmcnt(0)
	v_mul_f64 v[190:191], v[148:149], v[122:123]
	v_add_f64 v[188:189], v[208:209], v[188:189]
	v_fma_f64 v[246:247], v[204:205], v[152:153], -v[154:155]
	ds_read_b128 v[152:155], v2 offset:1888
	v_fmac_f64_e32 v[190:191], v[150:151], v[120:121]
	v_add_f64 v[204:205], v[188:189], v[190:191]
	ds_read_b128 v[188:191], v2 offset:1904
	v_mul_f64 v[158:159], v[194:195], v[158:159]
	s_waitcnt vmcnt(6) lgkmcnt(1)
	v_mul_f64 v[206:207], v[152:153], v[126:127]
	v_fmac_f64_e32 v[206:207], v[154:155], v[124:125]
	v_fma_f64 v[248:249], v[192:193], v[156:157], -v[158:159]
	s_waitcnt vmcnt(5) lgkmcnt(0)
	v_mul_f64 v[192:193], v[188:189], v[130:131]
	v_add_f64 v[204:205], v[204:205], v[206:207]
	v_fmac_f64_e32 v[192:193], v[190:191], v[128:129]
	v_mul_f64 v[162:163], v[186:187], v[162:163]
	v_fma_f64 v[208:209], v[184:185], v[160:161], -v[162:163]
	v_add_f64 v[184:185], v[204:205], v[192:193]
	scratch_load_dwordx4 v[204:207], off, off offset:1008
	v_add_f64 v[242:243], v[242:243], 0
	v_add_f64 v[240:241], v[242:243], v[240:241]
	;; [unrolled: 1-line block ×3, first 2 shown]
	scratch_load_dwordx4 v[242:245], off, off offset:432
	v_add_f64 v[240:241], v[240:241], v[246:247]
	v_mul_f64 v[166:167], v[198:199], v[166:167]
	v_add_f64 v[240:241], v[240:241], v[248:249]
	v_fma_f64 v[210:211], v[196:197], v[164:165], -v[166:167]
	v_add_f64 v[208:209], v[240:241], v[208:209]
	v_mul_f64 v[6:7], v[66:67], v[6:7]
	v_add_f64 v[208:209], v[208:209], v[210:211]
	v_fma_f64 v[4:5], v[64:65], v[4:5], -v[6:7]
	v_mul_f64 v[6:7], v[62:63], v[10:11]
	v_add_f64 v[4:5], v[208:209], v[4:5]
	v_fma_f64 v[6:7], v[60:61], v[8:9], -v[6:7]
	v_add_f64 v[4:5], v[4:5], v[6:7]
	v_mul_f64 v[6:7], v[54:55], v[14:15]
	v_fma_f64 v[6:7], v[52:53], v[12:13], -v[6:7]
	v_add_f64 v[4:5], v[4:5], v[6:7]
	v_mul_f64 v[6:7], v[74:75], v[18:19]
	;; [unrolled: 3-line block ×12, first 2 shown]
	v_fma_f64 v[6:7], v[224:225], v[76:77], -v[6:7]
	ds_read_b128 v[156:159], v2 offset:1920
	ds_read_b128 v[160:163], v2 offset:1936
	v_add_f64 v[4:5], v[4:5], v[6:7]
	v_mul_f64 v[6:7], v[230:231], v[98:99]
	v_fma_f64 v[6:7], v[228:229], v[96:97], -v[6:7]
	v_add_f64 v[4:5], v[4:5], v[6:7]
	v_mul_f64 v[6:7], v[234:235], v[102:103]
	v_fma_f64 v[6:7], v[232:233], v[100:101], -v[6:7]
	v_add_f64 v[4:5], v[4:5], v[6:7]
	v_mul_f64 v[6:7], v[238:239], v[106:107]
	s_waitcnt vmcnt(6) lgkmcnt(1)
	v_mul_f64 v[186:187], v[156:157], v[138:139]
	v_fma_f64 v[6:7], v[236:237], v[104:105], -v[6:7]
	v_fmac_f64_e32 v[186:187], v[158:159], v[136:137]
	v_add_f64 v[4:5], v[4:5], v[6:7]
	v_mul_f64 v[6:7], v[142:143], v[110:111]
	v_add_f64 v[192:193], v[184:185], v[186:187]
	ds_read_b128 v[184:187], v2 offset:1952
	ds_read_b128 v[164:167], v2 offset:1968
	v_fma_f64 v[6:7], v[140:141], v[108:109], -v[6:7]
	v_add_f64 v[4:5], v[4:5], v[6:7]
	v_mul_f64 v[6:7], v[146:147], v[114:115]
	v_fma_f64 v[6:7], v[144:145], v[112:113], -v[6:7]
	s_waitcnt vmcnt(5) lgkmcnt(2)
	v_mul_f64 v[194:195], v[160:161], v[134:135]
	v_add_f64 v[4:5], v[4:5], v[6:7]
	v_mul_f64 v[6:7], v[202:203], v[118:119]
	v_fmac_f64_e32 v[194:195], v[162:163], v[132:133]
	v_fma_f64 v[6:7], v[200:201], v[116:117], -v[6:7]
	v_add_f64 v[192:193], v[192:193], v[194:195]
	s_waitcnt vmcnt(4) lgkmcnt(1)
	v_mul_f64 v[194:195], v[184:185], v[174:175]
	v_add_f64 v[4:5], v[4:5], v[6:7]
	v_mul_f64 v[6:7], v[150:151], v[122:123]
	v_fmac_f64_e32 v[194:195], v[186:187], v[172:173]
	v_fma_f64 v[6:7], v[148:149], v[120:121], -v[6:7]
	v_add_f64 v[192:193], v[192:193], v[194:195]
	;; [unrolled: 7-line block ×3, first 2 shown]
	ds_read_b128 v[192:195], v2 offset:1984
	v_add_f64 v[4:5], v[4:5], v[6:7]
	v_mul_f64 v[6:7], v[190:191], v[130:131]
	v_fma_f64 v[6:7], v[188:189], v[128:129], -v[6:7]
	v_add_f64 v[4:5], v[4:5], v[6:7]
	v_mul_f64 v[6:7], v[158:159], v[138:139]
	v_fma_f64 v[6:7], v[156:157], v[136:137], -v[6:7]
	v_add_f64 v[4:5], v[4:5], v[6:7]
	v_mul_f64 v[6:7], v[162:163], v[134:135]
	s_waitcnt vmcnt(2) lgkmcnt(0)
	v_mul_f64 v[198:199], v[192:193], v[182:183]
	v_fma_f64 v[6:7], v[160:161], v[132:133], -v[6:7]
	v_fmac_f64_e32 v[198:199], v[194:195], v[180:181]
	v_add_f64 v[4:5], v[4:5], v[6:7]
	v_mul_f64 v[6:7], v[186:187], v[174:175]
	v_add_f64 v[250:251], v[196:197], v[198:199]
	ds_read_b128 v[196:199], v2 offset:2000
	v_fma_f64 v[6:7], v[184:185], v[172:173], -v[6:7]
	v_add_f64 v[4:5], v[4:5], v[6:7]
	v_mul_f64 v[6:7], v[166:167], v[178:179]
	v_fma_f64 v[6:7], v[164:165], v[176:177], -v[6:7]
	v_add_f64 v[4:5], v[4:5], v[6:7]
	v_mul_f64 v[6:7], v[194:195], v[182:183]
	v_fma_f64 v[6:7], v[192:193], v[180:181], -v[6:7]
	s_waitcnt vmcnt(1) lgkmcnt(0)
	v_mul_f64 v[2:3], v[196:197], v[206:207]
	v_add_f64 v[4:5], v[4:5], v[6:7]
	v_mul_f64 v[6:7], v[198:199], v[206:207]
	v_fmac_f64_e32 v[2:3], v[198:199], v[204:205]
	v_fma_f64 v[6:7], v[196:197], v[204:205], -v[6:7]
	v_add_f64 v[2:3], v[250:251], v[2:3]
	v_add_f64 v[4:5], v[4:5], v[6:7]
	s_waitcnt vmcnt(0)
	v_add_f64 v[4:5], v[242:243], -v[4:5]
	v_add_f64 v[6:7], v[244:245], -v[2:3]
	scratch_store_dwordx4 off, v[4:7], off offset:432
	s_and_saveexec_b64 s[0:1], vcc
	s_cbranch_execz .LBB62_353
; %bb.352:
	scratch_load_dwordx4 v[2:5], off, s80
	v_mov_b32_e32 v6, 0
	v_mov_b32_e32 v7, v6
	;; [unrolled: 1-line block ×4, first 2 shown]
	v_accvgpr_read_b32 v0, a127
	scratch_store_dwordx4 off, v[6:9], off offset:416
	s_waitcnt vmcnt(1)
	ds_write_b128 v0, v[2:5]
.LBB62_353:
	s_or_b64 exec, exec, s[0:1]
	s_waitcnt lgkmcnt(0)
	; wave barrier
	scratch_load_dwordx4 v[168:171], off, off offset:432
	scratch_load_dwordx4 v[172:175], off, off offset:448
	;; [unrolled: 1-line block ×32, first 2 shown]
	v_mov_b32_e32 v2, 0
	ds_read_b128 v[176:179], v2 offset:1424
	ds_read_b128 v[188:191], v2 offset:1440
	;; [unrolled: 1-line block ×17, first 2 shown]
	v_accvgpr_read_b32 v0, a126
	v_cmp_lt_u32_e32 vcc, 24, v0
	s_waitcnt vmcnt(31) lgkmcnt(14)
	v_mul_f64 v[104:105], v[176:177], v[170:171]
	s_waitcnt vmcnt(30)
	v_mul_f64 v[106:107], v[188:189], v[174:175]
	v_fmac_f64_e32 v[104:105], v[178:179], v[168:169]
	s_waitcnt vmcnt(29)
	v_mul_f64 v[108:109], v[200:201], v[182:183]
	v_fmac_f64_e32 v[106:107], v[190:191], v[172:173]
	v_add_f64 v[104:105], v[104:105], 0
	s_waitcnt vmcnt(28) lgkmcnt(13)
	v_mul_f64 v[110:111], v[212:213], v[186:187]
	v_fmac_f64_e32 v[108:109], v[202:203], v[180:181]
	v_add_f64 v[104:105], v[104:105], v[106:107]
	s_waitcnt vmcnt(27) lgkmcnt(12)
	;; [unrolled: 4-line block ×12, first 2 shown]
	v_mul_f64 v[156:157], v[112:113], v[26:27]
	v_fmac_f64_e32 v[154:155], v[118:119], v[20:21]
	v_add_f64 v[104:105], v[104:105], v[152:153]
	v_fmac_f64_e32 v[156:157], v[114:115], v[24:25]
	v_add_f64 v[104:105], v[104:105], v[154:155]
	s_waitcnt vmcnt(16) lgkmcnt(1)
	v_mul_f64 v[106:107], v[100:101], v[30:31]
	v_add_f64 v[104:105], v[104:105], v[156:157]
	v_fmac_f64_e32 v[106:107], v[102:103], v[28:29]
	v_add_f64 v[108:109], v[104:105], v[106:107]
	ds_read_b128 v[144:147], v2 offset:1696
	ds_read_b128 v[148:151], v2 offset:1712
	scratch_load_dwordx4 v[104:107], off, off offset:944
	s_waitcnt vmcnt(16) lgkmcnt(2)
	v_mul_f64 v[110:111], v[96:97], v[34:35]
	v_fmac_f64_e32 v[110:111], v[98:99], v[32:33]
	v_add_f64 v[120:121], v[108:109], v[110:111]
	scratch_load_dwordx4 v[108:111], off, off offset:960
	s_waitcnt vmcnt(16) lgkmcnt(1)
	v_mul_f64 v[122:123], v[144:145], v[38:39]
	v_fmac_f64_e32 v[122:123], v[146:147], v[36:37]
	v_add_f64 v[132:133], v[120:121], v[122:123]
	s_waitcnt vmcnt(15) lgkmcnt(0)
	v_mul_f64 v[134:135], v[148:149], v[42:43]
	scratch_load_dwordx4 v[120:123], off, off offset:976
	v_fmac_f64_e32 v[134:135], v[150:151], v[40:41]
	v_add_f64 v[160:161], v[132:133], v[134:135]
	scratch_load_dwordx4 v[132:135], off, off offset:992
	ds_read_b128 v[152:155], v2 offset:1728
	ds_read_b128 v[156:159], v2 offset:1744
	v_mul_f64 v[170:171], v[178:179], v[170:171]
	v_fma_f64 v[246:247], v[176:177], v[168:169], -v[170:171]
	ds_read_b128 v[168:171], v2 offset:1792
	s_waitcnt vmcnt(16) lgkmcnt(2)
	v_mul_f64 v[162:163], v[152:153], v[46:47]
	v_fmac_f64_e32 v[162:163], v[154:155], v[44:45]
	s_waitcnt vmcnt(15) lgkmcnt(1)
	v_mul_f64 v[166:167], v[156:157], v[50:51]
	v_add_f64 v[164:165], v[160:161], v[162:163]
	ds_read_b128 v[160:163], v2 offset:1760
	v_fmac_f64_e32 v[166:167], v[158:159], v[48:49]
	v_add_f64 v[232:233], v[164:165], v[166:167]
	ds_read_b128 v[164:167], v2 offset:1776
	v_mul_f64 v[174:175], v[190:191], v[174:175]
	s_waitcnt vmcnt(14) lgkmcnt(1)
	v_mul_f64 v[234:235], v[160:161], v[54:55]
	v_fmac_f64_e32 v[234:235], v[162:163], v[52:53]
	v_add_f64 v[232:233], v[232:233], v[234:235]
	s_waitcnt vmcnt(13) lgkmcnt(0)
	v_mul_f64 v[176:177], v[164:165], v[58:59]
	v_fmac_f64_e32 v[176:177], v[166:167], v[56:57]
	v_fma_f64 v[248:249], v[188:189], v[172:173], -v[174:175]
	ds_read_b128 v[172:175], v2 offset:1808
	s_waitcnt vmcnt(12)
	v_mul_f64 v[178:179], v[168:169], v[62:63]
	v_add_f64 v[176:177], v[232:233], v[176:177]
	v_fmac_f64_e32 v[178:179], v[170:171], v[60:61]
	v_add_f64 v[188:189], v[176:177], v[178:179]
	ds_read_b128 v[176:179], v2 offset:1824
	v_mul_f64 v[182:183], v[202:203], v[182:183]
	v_fma_f64 v[250:251], v[200:201], v[180:181], -v[182:183]
	ds_read_b128 v[180:183], v2 offset:1840
	s_waitcnt vmcnt(11) lgkmcnt(2)
	v_mul_f64 v[190:191], v[172:173], v[66:67]
	v_fmac_f64_e32 v[190:191], v[174:175], v[64:65]
	v_add_f64 v[188:189], v[188:189], v[190:191]
	s_waitcnt vmcnt(10) lgkmcnt(1)
	v_mul_f64 v[190:191], v[176:177], v[70:71]
	v_fmac_f64_e32 v[190:191], v[178:179], v[68:69]
	v_mul_f64 v[186:187], v[214:215], v[186:187]
	v_fma_f64 v[252:253], v[212:213], v[184:185], -v[186:187]
	ds_read_b128 v[184:187], v2 offset:1856
	v_add_f64 v[188:189], v[188:189], v[190:191]
	s_waitcnt vmcnt(9) lgkmcnt(1)
	v_mul_f64 v[190:191], v[180:181], v[74:75]
	v_fmac_f64_e32 v[190:191], v[182:183], v[72:73]
	v_add_f64 v[200:201], v[188:189], v[190:191]
	ds_read_b128 v[188:191], v2 offset:1872
	v_mul_f64 v[194:195], v[222:223], v[194:195]
	v_fma_f64 v[254:255], v[220:221], v[192:193], -v[194:195]
	ds_read_b128 v[192:195], v2 offset:1888
	s_waitcnt vmcnt(8) lgkmcnt(2)
	v_mul_f64 v[202:203], v[184:185], v[78:79]
	v_fmac_f64_e32 v[202:203], v[186:187], v[76:77]
	v_add_f64 v[200:201], v[200:201], v[202:203]
	s_waitcnt vmcnt(7) lgkmcnt(1)
	v_mul_f64 v[202:203], v[188:189], v[82:83]
	v_fmac_f64_e32 v[202:203], v[190:191], v[80:81]
	v_mul_f64 v[198:199], v[226:227], v[198:199]
	v_add_f64 v[200:201], v[200:201], v[202:203]
	v_fma_f64 v[234:235], v[224:225], v[196:197], -v[198:199]
	ds_read_b128 v[196:199], v2 offset:1904
	s_waitcnt vmcnt(6) lgkmcnt(1)
	v_mul_f64 v[202:203], v[192:193], v[86:87]
	v_fmac_f64_e32 v[202:203], v[194:195], v[84:85]
	v_add_f64 v[212:213], v[200:201], v[202:203]
	ds_read_b128 v[200:203], v2 offset:1920
	v_mul_f64 v[206:207], v[230:231], v[206:207]
	v_fma_f64 v[236:237], v[228:229], v[204:205], -v[206:207]
	ds_read_b128 v[204:207], v2 offset:1936
	s_waitcnt vmcnt(5) lgkmcnt(2)
	v_mul_f64 v[214:215], v[196:197], v[94:95]
	v_fmac_f64_e32 v[214:215], v[198:199], v[92:93]
	v_add_f64 v[212:213], v[212:213], v[214:215]
	s_waitcnt vmcnt(4) lgkmcnt(1)
	v_mul_f64 v[214:215], v[200:201], v[90:91]
	v_fmac_f64_e32 v[214:215], v[202:203], v[88:89]
	v_mul_f64 v[210:211], v[240:241], v[210:211]
	v_fma_f64 v[238:239], v[238:239], v[208:209], -v[210:211]
	ds_read_b128 v[208:211], v2 offset:1952
	v_add_f64 v[212:213], v[212:213], v[214:215]
	s_waitcnt vmcnt(3) lgkmcnt(1)
	v_mul_f64 v[214:215], v[204:205], v[106:107]
	v_fmac_f64_e32 v[214:215], v[206:207], v[104:105]
	v_add_f64 v[220:221], v[212:213], v[214:215]
	ds_read_b128 v[212:215], v2 offset:1968
	v_mul_f64 v[218:219], v[244:245], v[218:219]
	v_fma_f64 v[240:241], v[242:243], v[216:217], -v[218:219]
	ds_read_b128 v[216:219], v2 offset:1984
	ds_read_b128 v[224:227], v2 offset:2000
	s_waitcnt vmcnt(2) lgkmcnt(3)
	v_mul_f64 v[222:223], v[208:209], v[110:111]
	v_fmac_f64_e32 v[222:223], v[210:211], v[108:109]
	v_add_f64 v[220:221], v[220:221], v[222:223]
	s_waitcnt vmcnt(1) lgkmcnt(2)
	v_mul_f64 v[222:223], v[212:213], v[122:123]
	v_fmac_f64_e32 v[222:223], v[214:215], v[120:121]
	v_add_f64 v[220:221], v[220:221], v[222:223]
	;; [unrolled: 4-line block ×3, first 2 shown]
	scratch_load_dwordx4 v[220:223], off, off offset:1008
	v_mul_f64 v[6:7], v[142:143], v[6:7]
	v_fma_f64 v[4:5], v[140:141], v[4:5], -v[6:7]
	v_mul_f64 v[6:7], v[138:139], v[10:11]
	v_fma_f64 v[6:7], v[136:137], v[8:9], -v[6:7]
	s_waitcnt vmcnt(0) lgkmcnt(0)
	v_mul_f64 v[230:231], v[224:225], v[222:223]
	v_fmac_f64_e32 v[230:231], v[226:227], v[220:221]
	v_add_f64 v[232:233], v[228:229], v[230:231]
	v_add_f64 v[228:229], v[246:247], 0
	;; [unrolled: 1-line block ×6, first 2 shown]
	scratch_load_dwordx4 v[228:231], off, off offset:416
	v_add_f64 v[234:235], v[242:243], v[234:235]
	v_add_f64 v[234:235], v[234:235], v[236:237]
	;; [unrolled: 1-line block ×6, first 2 shown]
	v_mul_f64 v[6:7], v[130:131], v[14:15]
	v_fma_f64 v[6:7], v[128:129], v[12:13], -v[6:7]
	v_add_f64 v[4:5], v[4:5], v[6:7]
	v_mul_f64 v[6:7], v[126:127], v[18:19]
	v_fma_f64 v[6:7], v[124:125], v[16:17], -v[6:7]
	v_add_f64 v[4:5], v[4:5], v[6:7]
	v_mul_f64 v[6:7], v[118:119], v[22:23]
	v_fma_f64 v[6:7], v[116:117], v[20:21], -v[6:7]
	v_add_f64 v[4:5], v[4:5], v[6:7]
	v_mul_f64 v[6:7], v[114:115], v[26:27]
	v_fma_f64 v[6:7], v[112:113], v[24:25], -v[6:7]
	v_add_f64 v[4:5], v[4:5], v[6:7]
	v_mul_f64 v[6:7], v[102:103], v[30:31]
	v_fma_f64 v[6:7], v[100:101], v[28:29], -v[6:7]
	v_add_f64 v[4:5], v[4:5], v[6:7]
	v_mul_f64 v[6:7], v[98:99], v[34:35]
	v_fma_f64 v[6:7], v[96:97], v[32:33], -v[6:7]
	v_add_f64 v[4:5], v[4:5], v[6:7]
	v_mul_f64 v[6:7], v[146:147], v[38:39]
	v_fma_f64 v[6:7], v[144:145], v[36:37], -v[6:7]
	v_add_f64 v[4:5], v[4:5], v[6:7]
	v_mul_f64 v[6:7], v[150:151], v[42:43]
	v_fma_f64 v[6:7], v[148:149], v[40:41], -v[6:7]
	v_add_f64 v[4:5], v[4:5], v[6:7]
	v_mul_f64 v[6:7], v[154:155], v[46:47]
	v_fma_f64 v[6:7], v[152:153], v[44:45], -v[6:7]
	v_add_f64 v[4:5], v[4:5], v[6:7]
	v_mul_f64 v[6:7], v[158:159], v[50:51]
	v_fma_f64 v[6:7], v[156:157], v[48:49], -v[6:7]
	v_add_f64 v[4:5], v[4:5], v[6:7]
	v_mul_f64 v[6:7], v[162:163], v[54:55]
	v_fma_f64 v[6:7], v[160:161], v[52:53], -v[6:7]
	v_add_f64 v[4:5], v[4:5], v[6:7]
	v_mul_f64 v[6:7], v[166:167], v[58:59]
	v_fma_f64 v[6:7], v[164:165], v[56:57], -v[6:7]
	v_add_f64 v[4:5], v[4:5], v[6:7]
	v_mul_f64 v[6:7], v[170:171], v[62:63]
	v_fma_f64 v[6:7], v[168:169], v[60:61], -v[6:7]
	v_add_f64 v[4:5], v[4:5], v[6:7]
	v_mul_f64 v[6:7], v[174:175], v[66:67]
	v_fma_f64 v[6:7], v[172:173], v[64:65], -v[6:7]
	v_add_f64 v[4:5], v[4:5], v[6:7]
	v_mul_f64 v[6:7], v[178:179], v[70:71]
	v_fma_f64 v[6:7], v[176:177], v[68:69], -v[6:7]
	v_add_f64 v[4:5], v[4:5], v[6:7]
	v_mul_f64 v[6:7], v[182:183], v[74:75]
	v_fma_f64 v[6:7], v[180:181], v[72:73], -v[6:7]
	v_add_f64 v[4:5], v[4:5], v[6:7]
	v_mul_f64 v[6:7], v[186:187], v[78:79]
	v_fma_f64 v[6:7], v[184:185], v[76:77], -v[6:7]
	v_add_f64 v[4:5], v[4:5], v[6:7]
	v_mul_f64 v[6:7], v[190:191], v[82:83]
	v_fma_f64 v[6:7], v[188:189], v[80:81], -v[6:7]
	v_add_f64 v[4:5], v[4:5], v[6:7]
	v_mul_f64 v[6:7], v[194:195], v[86:87]
	v_fma_f64 v[6:7], v[192:193], v[84:85], -v[6:7]
	v_add_f64 v[4:5], v[4:5], v[6:7]
	v_mul_f64 v[6:7], v[198:199], v[94:95]
	v_fma_f64 v[6:7], v[196:197], v[92:93], -v[6:7]
	v_add_f64 v[4:5], v[4:5], v[6:7]
	v_mul_f64 v[6:7], v[202:203], v[90:91]
	v_fma_f64 v[6:7], v[200:201], v[88:89], -v[6:7]
	v_add_f64 v[4:5], v[4:5], v[6:7]
	v_mul_f64 v[6:7], v[206:207], v[106:107]
	v_fma_f64 v[6:7], v[204:205], v[104:105], -v[6:7]
	v_add_f64 v[4:5], v[4:5], v[6:7]
	v_mul_f64 v[6:7], v[210:211], v[110:111]
	v_fma_f64 v[6:7], v[208:209], v[108:109], -v[6:7]
	v_add_f64 v[4:5], v[4:5], v[6:7]
	v_mul_f64 v[6:7], v[214:215], v[122:123]
	v_fma_f64 v[6:7], v[212:213], v[120:121], -v[6:7]
	v_add_f64 v[4:5], v[4:5], v[6:7]
	v_mul_f64 v[6:7], v[218:219], v[134:135]
	v_fma_f64 v[6:7], v[216:217], v[132:133], -v[6:7]
	v_add_f64 v[4:5], v[4:5], v[6:7]
	v_mul_f64 v[6:7], v[226:227], v[222:223]
	v_fma_f64 v[6:7], v[224:225], v[220:221], -v[6:7]
	v_add_f64 v[4:5], v[4:5], v[6:7]
	s_waitcnt vmcnt(0)
	v_add_f64 v[4:5], v[228:229], -v[4:5]
	v_add_f64 v[6:7], v[230:231], -v[232:233]
	scratch_store_dwordx4 off, v[4:7], off offset:416
	s_and_saveexec_b64 s[0:1], vcc
	s_cbranch_execz .LBB62_355
; %bb.354:
	scratch_load_dwordx4 v[6:9], off, s79
	v_mov_b32_e32 v3, v2
	v_mov_b32_e32 v4, v2
	;; [unrolled: 1-line block ×3, first 2 shown]
	v_accvgpr_read_b32 v0, a127
	scratch_store_dwordx4 off, v[2:5], off offset:400
	s_waitcnt vmcnt(1)
	ds_write_b128 v0, v[6:9]
.LBB62_355:
	s_or_b64 exec, exec, s[0:1]
	s_waitcnt lgkmcnt(0)
	; wave barrier
	scratch_load_dwordx4 v[168:171], off, off offset:416
	scratch_load_dwordx4 v[172:175], off, off offset:432
	;; [unrolled: 1-line block ×16, first 2 shown]
	ds_read_b128 v[232:235], v2 offset:1408
	ds_read_b128 v[176:179], v2 offset:1424
	scratch_load_dwordx4 v[32:35], off, off offset:672
	ds_read_b128 v[236:239], v2 offset:1440
	ds_read_b128 v[188:191], v2 offset:1456
	;; [unrolled: 1-line block ×5, first 2 shown]
	scratch_load_dwordx4 v[36:39], off, off offset:688
	ds_read_b128 v[224:227], v2 offset:1520
	ds_read_b128 v[220:223], v2 offset:1536
	;; [unrolled: 1-line block ×3, first 2 shown]
	scratch_load_dwordx4 v[40:43], off, off offset:704
	ds_read_b128 v[64:67], v2 offset:1568
	ds_read_b128 v[60:63], v2 offset:1584
	;; [unrolled: 1-line block ×4, first 2 shown]
	scratch_load_dwordx4 v[48:51], off, off offset:720
	ds_read_b128 v[80:83], v2 offset:1632
	ds_read_b128 v[72:75], v2 offset:1648
	;; [unrolled: 1-line block ×3, first 2 shown]
	scratch_load_dwordx4 v[76:79], off, off offset:736
	scratch_load_dwordx4 v[84:87], off, off offset:752
	;; [unrolled: 1-line block ×12, first 2 shown]
	v_accvgpr_read_b32 v0, a126
	v_cmp_lt_u32_e32 vcc, 23, v0
	s_waitcnt vmcnt(31) lgkmcnt(14)
	v_mul_f64 v[128:129], v[232:233], v[170:171]
	s_waitcnt vmcnt(30)
	v_mul_f64 v[130:131], v[176:177], v[174:175]
	v_fmac_f64_e32 v[128:129], v[234:235], v[168:169]
	s_waitcnt vmcnt(29)
	v_mul_f64 v[132:133], v[236:237], v[182:183]
	v_fmac_f64_e32 v[130:131], v[178:179], v[172:173]
	v_add_f64 v[128:129], v[128:129], 0
	s_waitcnt vmcnt(28) lgkmcnt(13)
	v_mul_f64 v[134:135], v[188:189], v[186:187]
	v_fmac_f64_e32 v[132:133], v[238:239], v[180:181]
	v_add_f64 v[128:129], v[128:129], v[130:131]
	s_waitcnt vmcnt(27) lgkmcnt(12)
	;; [unrolled: 4-line block ×13, first 2 shown]
	v_mul_f64 v[158:159], v[72:73], v[30:31]
	v_fmac_f64_e32 v[156:157], v[82:83], v[24:25]
	v_add_f64 v[128:129], v[128:129], v[154:155]
	v_add_f64 v[128:129], v[128:129], v[156:157]
	v_fmac_f64_e32 v[158:159], v[74:75], v[28:29]
	v_add_f64 v[132:133], v[128:129], v[158:159]
	ds_read_b128 v[144:147], v2 offset:1680
	ds_read_b128 v[148:151], v2 offset:1696
	scratch_load_dwordx4 v[128:131], off, off offset:928
	s_waitcnt vmcnt(16) lgkmcnt(2)
	v_mul_f64 v[134:135], v[68:69], v[34:35]
	v_fmac_f64_e32 v[134:135], v[70:71], v[32:33]
	s_waitcnt vmcnt(15) lgkmcnt(1)
	v_mul_f64 v[138:139], v[144:145], v[38:39]
	v_add_f64 v[136:137], v[132:133], v[134:135]
	scratch_load_dwordx4 v[132:135], off, off offset:944
	v_fmac_f64_e32 v[138:139], v[146:147], v[36:37]
	v_add_f64 v[140:141], v[136:137], v[138:139]
	s_waitcnt vmcnt(15) lgkmcnt(0)
	v_mul_f64 v[142:143], v[148:149], v[42:43]
	scratch_load_dwordx4 v[136:139], off, off offset:960
	v_fmac_f64_e32 v[142:143], v[150:151], v[40:41]
	v_add_f64 v[160:161], v[140:141], v[142:143]
	scratch_load_dwordx4 v[140:143], off, off offset:976
	ds_read_b128 v[152:155], v2 offset:1712
	ds_read_b128 v[156:159], v2 offset:1728
	v_mul_f64 v[170:171], v[234:235], v[170:171]
	v_fma_f64 v[244:245], v[232:233], v[168:169], -v[170:171]
	ds_read_b128 v[168:171], v2 offset:1776
	s_waitcnt vmcnt(16) lgkmcnt(2)
	v_mul_f64 v[162:163], v[152:153], v[50:51]
	v_fmac_f64_e32 v[162:163], v[154:155], v[48:49]
	s_waitcnt vmcnt(15) lgkmcnt(1)
	v_mul_f64 v[166:167], v[156:157], v[78:79]
	v_add_f64 v[164:165], v[160:161], v[162:163]
	ds_read_b128 v[160:163], v2 offset:1744
	v_fmac_f64_e32 v[166:167], v[158:159], v[76:77]
	v_add_f64 v[240:241], v[164:165], v[166:167]
	ds_read_b128 v[164:167], v2 offset:1760
	v_mul_f64 v[174:175], v[178:179], v[174:175]
	s_waitcnt vmcnt(14) lgkmcnt(1)
	v_mul_f64 v[242:243], v[160:161], v[86:87]
	v_fmac_f64_e32 v[242:243], v[162:163], v[84:85]
	v_add_f64 v[240:241], v[240:241], v[242:243]
	s_waitcnt vmcnt(13) lgkmcnt(0)
	v_mul_f64 v[232:233], v[164:165], v[90:91]
	v_fmac_f64_e32 v[232:233], v[166:167], v[88:89]
	v_fma_f64 v[246:247], v[176:177], v[172:173], -v[174:175]
	ds_read_b128 v[172:175], v2 offset:1792
	s_waitcnt vmcnt(12)
	v_mul_f64 v[176:177], v[168:169], v[94:95]
	v_add_f64 v[232:233], v[240:241], v[232:233]
	v_fmac_f64_e32 v[176:177], v[170:171], v[92:93]
	v_add_f64 v[232:233], v[232:233], v[176:177]
	ds_read_b128 v[176:179], v2 offset:1808
	v_mul_f64 v[182:183], v[238:239], v[182:183]
	v_fma_f64 v[236:237], v[236:237], v[180:181], -v[182:183]
	ds_read_b128 v[180:183], v2 offset:1824
	s_waitcnt vmcnt(11) lgkmcnt(2)
	v_mul_f64 v[234:235], v[172:173], v[98:99]
	v_fmac_f64_e32 v[234:235], v[174:175], v[96:97]
	v_add_f64 v[232:233], v[232:233], v[234:235]
	s_waitcnt vmcnt(10) lgkmcnt(1)
	v_mul_f64 v[234:235], v[176:177], v[102:103]
	v_fmac_f64_e32 v[234:235], v[178:179], v[100:101]
	v_mul_f64 v[186:187], v[190:191], v[186:187]
	s_waitcnt vmcnt(9) lgkmcnt(0)
	v_mul_f64 v[190:191], v[180:181], v[106:107]
	v_fma_f64 v[238:239], v[188:189], v[184:185], -v[186:187]
	ds_read_b128 v[184:187], v2 offset:1840
	v_add_f64 v[188:189], v[232:233], v[234:235]
	v_fmac_f64_e32 v[190:191], v[182:183], v[104:105]
	v_add_f64 v[232:233], v[188:189], v[190:191]
	ds_read_b128 v[188:191], v2 offset:1856
	v_mul_f64 v[194:195], v[230:231], v[194:195]
	v_fma_f64 v[248:249], v[228:229], v[192:193], -v[194:195]
	ds_read_b128 v[192:195], v2 offset:1872
	s_waitcnt vmcnt(8) lgkmcnt(2)
	v_mul_f64 v[234:235], v[184:185], v[110:111]
	v_fmac_f64_e32 v[234:235], v[186:187], v[108:109]
	s_waitcnt vmcnt(7) lgkmcnt(1)
	v_mul_f64 v[228:229], v[188:189], v[114:115]
	v_mul_f64 v[198:199], v[202:203], v[198:199]
	v_add_f64 v[232:233], v[232:233], v[234:235]
	v_fmac_f64_e32 v[228:229], v[190:191], v[112:113]
	v_fma_f64 v[250:251], v[200:201], v[196:197], -v[198:199]
	ds_read_b128 v[196:199], v2 offset:1888
	s_waitcnt vmcnt(6) lgkmcnt(1)
	v_mul_f64 v[200:201], v[192:193], v[118:119]
	v_add_f64 v[228:229], v[232:233], v[228:229]
	v_fmac_f64_e32 v[200:201], v[194:195], v[116:117]
	v_add_f64 v[228:229], v[228:229], v[200:201]
	ds_read_b128 v[200:203], v2 offset:1904
	v_mul_f64 v[206:207], v[214:215], v[206:207]
	v_fma_f64 v[252:253], v[212:213], v[204:205], -v[206:207]
	ds_read_b128 v[204:207], v2 offset:1920
	s_waitcnt vmcnt(5) lgkmcnt(2)
	v_mul_f64 v[230:231], v[196:197], v[126:127]
	v_fmac_f64_e32 v[230:231], v[198:199], v[124:125]
	s_waitcnt vmcnt(4) lgkmcnt(1)
	v_mul_f64 v[212:213], v[200:201], v[122:123]
	v_add_f64 v[228:229], v[228:229], v[230:231]
	v_fmac_f64_e32 v[212:213], v[202:203], v[120:121]
	v_mul_f64 v[210:211], v[226:227], v[210:211]
	s_waitcnt vmcnt(3) lgkmcnt(0)
	v_mul_f64 v[214:215], v[204:205], v[130:131]
	v_fma_f64 v[240:241], v[224:225], v[208:209], -v[210:211]
	ds_read_b128 v[208:211], v2 offset:1936
	v_add_f64 v[212:213], v[228:229], v[212:213]
	v_fmac_f64_e32 v[214:215], v[206:207], v[128:129]
	v_add_f64 v[224:225], v[212:213], v[214:215]
	ds_read_b128 v[212:215], v2 offset:1952
	v_mul_f64 v[218:219], v[222:223], v[218:219]
	v_fma_f64 v[242:243], v[220:221], v[216:217], -v[218:219]
	ds_read_b128 v[216:219], v2 offset:1968
	s_waitcnt vmcnt(2) lgkmcnt(2)
	v_mul_f64 v[220:221], v[208:209], v[134:135]
	v_fmac_f64_e32 v[220:221], v[210:211], v[132:133]
	s_waitcnt vmcnt(1) lgkmcnt(1)
	v_mul_f64 v[222:223], v[212:213], v[138:139]
	v_add_f64 v[220:221], v[224:225], v[220:221]
	v_fmac_f64_e32 v[222:223], v[214:215], v[136:137]
	v_add_f64 v[220:221], v[220:221], v[222:223]
	ds_read_b128 v[224:227], v2 offset:1984
	s_waitcnt vmcnt(0) lgkmcnt(1)
	v_mul_f64 v[222:223], v[216:217], v[142:143]
	v_fmac_f64_e32 v[222:223], v[218:219], v[140:141]
	v_add_f64 v[228:229], v[220:221], v[222:223]
	scratch_load_dwordx4 v[220:223], off, off offset:992
	scratch_load_dwordx4 v[232:235], off, off offset:1008
	v_add_f64 v[244:245], v[244:245], 0
	v_add_f64 v[244:245], v[244:245], v[246:247]
	;; [unrolled: 1-line block ×6, first 2 shown]
	v_mul_f64 v[6:7], v[46:47], v[6:7]
	v_fma_f64 v[4:5], v[44:45], v[4:5], -v[6:7]
	v_mul_f64 v[6:7], v[66:67], v[10:11]
	v_fma_f64 v[6:7], v[64:65], v[8:9], -v[6:7]
	s_waitcnt vmcnt(1) lgkmcnt(0)
	v_mul_f64 v[230:231], v[224:225], v[222:223]
	v_fmac_f64_e32 v[230:231], v[226:227], v[220:221]
	v_add_f64 v[254:255], v[228:229], v[230:231]
	ds_read_b128 v[228:231], v2 offset:2000
	s_waitcnt vmcnt(0) lgkmcnt(0)
	v_mul_f64 v[2:3], v[228:229], v[234:235]
	v_fmac_f64_e32 v[2:3], v[230:231], v[232:233]
	v_add_f64 v[2:3], v[254:255], v[2:3]
	v_add_f64 v[254:255], v[236:237], v[252:253]
	scratch_load_dwordx4 v[236:239], off, off offset:400
	v_add_f64 v[240:241], v[254:255], v[240:241]
	v_add_f64 v[240:241], v[240:241], v[242:243]
	v_add_f64 v[4:5], v[240:241], v[4:5]
	v_add_f64 v[4:5], v[4:5], v[6:7]
	v_mul_f64 v[6:7], v[62:63], v[14:15]
	v_fma_f64 v[6:7], v[60:61], v[12:13], -v[6:7]
	v_add_f64 v[4:5], v[4:5], v[6:7]
	v_mul_f64 v[6:7], v[58:59], v[18:19]
	v_fma_f64 v[6:7], v[56:57], v[16:17], -v[6:7]
	v_add_f64 v[4:5], v[4:5], v[6:7]
	;; [unrolled: 3-line block ×27, first 2 shown]
	s_waitcnt vmcnt(0)
	v_add_f64 v[4:5], v[236:237], -v[4:5]
	v_add_f64 v[6:7], v[238:239], -v[2:3]
	scratch_store_dwordx4 off, v[4:7], off offset:400
	s_and_saveexec_b64 s[0:1], vcc
	s_cbranch_execz .LBB62_357
; %bb.356:
	scratch_load_dwordx4 v[2:5], off, s78
	v_mov_b32_e32 v6, 0
	v_mov_b32_e32 v7, v6
	;; [unrolled: 1-line block ×4, first 2 shown]
	v_accvgpr_read_b32 v0, a127
	scratch_store_dwordx4 off, v[6:9], off offset:384
	s_waitcnt vmcnt(1)
	ds_write_b128 v0, v[2:5]
.LBB62_357:
	s_or_b64 exec, exec, s[0:1]
	s_waitcnt lgkmcnt(0)
	; wave barrier
	scratch_load_dwordx4 v[80:83], off, off offset:400
	scratch_load_dwordx4 v[84:87], off, off offset:416
	;; [unrolled: 1-line block ×31, first 2 shown]
	v_mov_b32_e32 v2, 0
	ds_read_b128 v[196:199], v2 offset:1392
	ds_read_b128 v[200:203], v2 offset:1408
	;; [unrolled: 1-line block ×20, first 2 shown]
	s_waitcnt vmcnt(30) lgkmcnt(14)
	v_mul_f64 v[140:141], v[196:197], v[82:83]
	s_waitcnt vmcnt(29)
	v_mul_f64 v[142:143], v[200:201], v[86:87]
	v_fmac_f64_e32 v[140:141], v[198:199], v[80:81]
	s_waitcnt vmcnt(28)
	v_mul_f64 v[152:153], v[204:205], v[90:91]
	v_fmac_f64_e32 v[142:143], v[202:203], v[84:85]
	v_add_f64 v[140:141], v[140:141], 0
	s_waitcnt vmcnt(27)
	v_mul_f64 v[154:155], v[208:209], v[94:95]
	v_fmac_f64_e32 v[152:153], v[206:207], v[88:89]
	v_add_f64 v[140:141], v[140:141], v[142:143]
	;; [unrolled: 4-line block ×4, first 2 shown]
	s_waitcnt vmcnt(24) lgkmcnt(13)
	v_mul_f64 v[164:165], v[220:221], v[106:107]
	v_fmac_f64_e32 v[162:163], v[218:219], v[100:101]
	v_add_f64 v[140:141], v[140:141], v[160:161]
	s_waitcnt vmcnt(23) lgkmcnt(12)
	v_mul_f64 v[166:167], v[224:225], v[110:111]
	v_fmac_f64_e32 v[164:165], v[222:223], v[104:105]
	v_add_f64 v[140:141], v[140:141], v[162:163]
	;; [unrolled: 4-line block ×8, first 2 shown]
	v_fmac_f64_e32 v[178:179], v[146:147], v[12:13]
	v_add_f64 v[140:141], v[140:141], v[176:177]
	v_add_f64 v[140:141], v[140:141], v[178:179]
	ds_read_b128 v[176:179], v2 offset:1664
	s_waitcnt vmcnt(16) lgkmcnt(6)
	v_mul_f64 v[180:181], v[136:137], v[18:19]
	s_waitcnt vmcnt(15) lgkmcnt(5)
	v_mul_f64 v[182:183], v[132:133], v[22:23]
	v_fmac_f64_e32 v[180:181], v[138:139], v[16:17]
	v_add_f64 v[152:153], v[140:141], v[180:181]
	v_fmac_f64_e32 v[182:183], v[134:135], v[20:21]
	scratch_load_dwordx4 v[140:143], off, off offset:896
	s_waitcnt vmcnt(15) lgkmcnt(4)
	v_mul_f64 v[154:155], v[128:129], v[26:27]
	v_add_f64 v[152:153], v[152:153], v[182:183]
	v_fmac_f64_e32 v[154:155], v[130:131], v[24:25]
	v_add_f64 v[160:161], v[152:153], v[154:155]
	ds_read_b128 v[180:183], v2 offset:1680
	s_waitcnt vmcnt(14) lgkmcnt(1)
	v_mul_f64 v[162:163], v[176:177], v[30:31]
	scratch_load_dwordx4 v[152:155], off, off offset:912
	v_fmac_f64_e32 v[162:163], v[178:179], v[28:29]
	v_add_f64 v[164:165], v[160:161], v[162:163]
	scratch_load_dwordx4 v[160:163], off, off offset:928
	s_waitcnt vmcnt(15) lgkmcnt(0)
	v_mul_f64 v[166:167], v[180:181], v[34:35]
	v_fmac_f64_e32 v[166:167], v[182:183], v[32:33]
	v_add_f64 v[168:169], v[164:165], v[166:167]
	s_waitcnt vmcnt(14)
	v_mul_f64 v[170:171], v[184:185], v[38:39]
	scratch_load_dwordx4 v[164:167], off, off offset:944
	v_fmac_f64_e32 v[170:171], v[186:187], v[36:37]
	v_add_f64 v[168:169], v[168:169], v[170:171]
	s_waitcnt vmcnt(14)
	v_mul_f64 v[170:171], v[188:189], v[42:43]
	scratch_load_dwordx4 v[172:175], off, off offset:960
	v_fmac_f64_e32 v[170:171], v[190:191], v[40:41]
	v_add_f64 v[232:233], v[168:169], v[170:171]
	scratch_load_dwordx4 v[168:171], off, off offset:976
	v_mul_f64 v[82:83], v[198:199], v[82:83]
	v_fma_f64 v[246:247], v[196:197], v[80:81], -v[82:83]
	ds_read_b128 v[196:199], v2 offset:1744
	s_waitcnt vmcnt(15)
	v_mul_f64 v[80:81], v[192:193], v[46:47]
	v_fmac_f64_e32 v[80:81], v[194:195], v[44:45]
	v_add_f64 v[232:233], v[232:233], v[80:81]
	v_mul_f64 v[80:81], v[202:203], v[86:87]
	v_fma_f64 v[248:249], v[200:201], v[84:85], -v[80:81]
	scratch_load_dwordx4 v[80:83], off, off offset:992
	ds_read_b128 v[84:87], v2 offset:1760
	v_mul_f64 v[90:91], v[206:207], v[90:91]
	v_fma_f64 v[250:251], v[204:205], v[88:89], -v[90:91]
	ds_read_b128 v[88:91], v2 offset:1776
	s_waitcnt vmcnt(15) lgkmcnt(2)
	v_mul_f64 v[200:201], v[196:197], v[50:51]
	v_fmac_f64_e32 v[200:201], v[198:199], v[48:49]
	s_waitcnt vmcnt(14) lgkmcnt(1)
	v_mul_f64 v[202:203], v[84:85], v[54:55]
	v_add_f64 v[200:201], v[232:233], v[200:201]
	v_fmac_f64_e32 v[202:203], v[86:87], v[52:53]
	v_mul_f64 v[94:95], v[210:211], v[94:95]
	v_fma_f64 v[252:253], v[208:209], v[92:93], -v[94:95]
	ds_read_b128 v[92:95], v2 offset:1792
	v_add_f64 v[200:201], v[200:201], v[202:203]
	s_waitcnt vmcnt(13) lgkmcnt(1)
	v_mul_f64 v[202:203], v[88:89], v[58:59]
	v_fmac_f64_e32 v[202:203], v[90:91], v[56:57]
	v_add_f64 v[204:205], v[200:201], v[202:203]
	ds_read_b128 v[200:203], v2 offset:1808
	v_mul_f64 v[98:99], v[214:215], v[98:99]
	v_fma_f64 v[254:255], v[212:213], v[96:97], -v[98:99]
	ds_read_b128 v[96:99], v2 offset:1824
	s_waitcnt vmcnt(12) lgkmcnt(2)
	v_mul_f64 v[206:207], v[92:93], v[62:63]
	v_fmac_f64_e32 v[206:207], v[94:95], v[60:61]
	v_add_f64 v[204:205], v[204:205], v[206:207]
	s_waitcnt vmcnt(11) lgkmcnt(1)
	v_mul_f64 v[206:207], v[200:201], v[66:67]
	v_fmac_f64_e32 v[206:207], v[202:203], v[64:65]
	v_mul_f64 v[102:103], v[218:219], v[102:103]
	v_add_f64 v[204:205], v[204:205], v[206:207]
	v_fma_f64 v[232:233], v[216:217], v[100:101], -v[102:103]
	ds_read_b128 v[100:103], v2 offset:1840
	s_waitcnt vmcnt(10) lgkmcnt(1)
	v_mul_f64 v[206:207], v[96:97], v[70:71]
	v_fmac_f64_e32 v[206:207], v[98:99], v[68:69]
	v_add_f64 v[208:209], v[204:205], v[206:207]
	ds_read_b128 v[204:207], v2 offset:1856
	v_mul_f64 v[106:107], v[222:223], v[106:107]
	v_fma_f64 v[0:1], v[220:221], v[104:105], -v[106:107]
	ds_read_b128 v[104:107], v2 offset:1872
	s_waitcnt vmcnt(9) lgkmcnt(2)
	v_mul_f64 v[210:211], v[100:101], v[74:75]
	v_fmac_f64_e32 v[210:211], v[102:103], v[72:73]
	v_add_f64 v[208:209], v[208:209], v[210:211]
	s_waitcnt vmcnt(8) lgkmcnt(1)
	v_mul_f64 v[210:211], v[204:205], v[78:79]
	v_fmac_f64_e32 v[210:211], v[206:207], v[76:77]
	v_mul_f64 v[110:111], v[226:227], v[110:111]
	v_fma_f64 v[234:235], v[224:225], v[108:109], -v[110:111]
	ds_read_b128 v[108:111], v2 offset:1888
	v_add_f64 v[208:209], v[208:209], v[210:211]
	s_waitcnt vmcnt(7) lgkmcnt(1)
	v_mul_f64 v[210:211], v[104:105], v[126:127]
	v_fmac_f64_e32 v[210:211], v[106:107], v[124:125]
	v_add_f64 v[212:213], v[208:209], v[210:211]
	ds_read_b128 v[208:211], v2 offset:1904
	v_mul_f64 v[114:115], v[230:231], v[114:115]
	v_fma_f64 v[236:237], v[228:229], v[112:113], -v[114:115]
	ds_read_b128 v[112:115], v2 offset:1920
	s_waitcnt vmcnt(6) lgkmcnt(2)
	v_mul_f64 v[214:215], v[108:109], v[142:143]
	v_fmac_f64_e32 v[214:215], v[110:111], v[140:141]
	v_add_f64 v[212:213], v[212:213], v[214:215]
	s_waitcnt vmcnt(5) lgkmcnt(1)
	v_mul_f64 v[214:215], v[208:209], v[154:155]
	v_fmac_f64_e32 v[214:215], v[210:211], v[152:153]
	v_mul_f64 v[118:119], v[240:241], v[118:119]
	v_add_f64 v[212:213], v[212:213], v[214:215]
	v_fma_f64 v[238:239], v[238:239], v[116:117], -v[118:119]
	ds_read_b128 v[116:119], v2 offset:1936
	s_waitcnt vmcnt(4) lgkmcnt(1)
	v_mul_f64 v[214:215], v[112:113], v[162:163]
	v_fmac_f64_e32 v[214:215], v[114:115], v[160:161]
	v_add_f64 v[216:217], v[212:213], v[214:215]
	ds_read_b128 v[212:215], v2 offset:1952
	v_mul_f64 v[122:123], v[244:245], v[122:123]
	v_fma_f64 v[240:241], v[242:243], v[120:121], -v[122:123]
	ds_read_b128 v[120:123], v2 offset:1968
	s_waitcnt vmcnt(3) lgkmcnt(2)
	v_mul_f64 v[218:219], v[116:117], v[166:167]
	v_fmac_f64_e32 v[218:219], v[118:119], v[164:165]
	v_add_f64 v[216:217], v[216:217], v[218:219]
	s_waitcnt vmcnt(2) lgkmcnt(1)
	v_mul_f64 v[218:219], v[212:213], v[174:175]
	v_fmac_f64_e32 v[218:219], v[214:215], v[172:173]
	v_add_f64 v[216:217], v[216:217], v[218:219]
	s_waitcnt vmcnt(1) lgkmcnt(0)
	v_mul_f64 v[218:219], v[120:121], v[170:171]
	v_fmac_f64_e32 v[218:219], v[122:123], v[168:169]
	v_add_f64 v[220:221], v[216:217], v[218:219]
	ds_read_b128 v[216:219], v2 offset:1984
	ds_read_b128 v[224:227], v2 offset:2000
	v_mul_f64 v[6:7], v[158:159], v[6:7]
	v_fma_f64 v[4:5], v[156:157], v[4:5], -v[6:7]
	s_waitcnt vmcnt(0) lgkmcnt(1)
	v_mul_f64 v[222:223], v[216:217], v[82:83]
	v_fmac_f64_e32 v[222:223], v[218:219], v[80:81]
	v_add_f64 v[228:229], v[220:221], v[222:223]
	scratch_load_dwordx4 v[220:223], off, off offset:1008
	s_waitcnt vmcnt(0) lgkmcnt(0)
	v_mul_f64 v[230:231], v[224:225], v[222:223]
	v_fmac_f64_e32 v[230:231], v[226:227], v[220:221]
	v_add_f64 v[244:245], v[228:229], v[230:231]
	v_add_f64 v[228:229], v[246:247], 0
	;; [unrolled: 1-line block ×8, first 2 shown]
	scratch_load_dwordx4 v[228:231], off, off offset:384
	v_add_f64 v[0:1], v[242:243], v[234:235]
	v_add_f64 v[0:1], v[0:1], v[236:237]
	;; [unrolled: 1-line block ×5, first 2 shown]
	v_mul_f64 v[4:5], v[150:151], v[10:11]
	v_fma_f64 v[4:5], v[148:149], v[8:9], -v[4:5]
	v_add_f64 v[0:1], v[0:1], v[4:5]
	v_mul_f64 v[4:5], v[146:147], v[14:15]
	v_fma_f64 v[4:5], v[144:145], v[12:13], -v[4:5]
	v_add_f64 v[0:1], v[0:1], v[4:5]
	;; [unrolled: 3-line block ×27, first 2 shown]
	s_waitcnt vmcnt(0)
	v_add_f64 v[4:5], v[228:229], -v[0:1]
	v_accvgpr_read_b32 v0, a126
	v_add_f64 v[6:7], v[230:231], -v[244:245]
	v_cmp_lt_u32_e32 vcc, 22, v0
	scratch_store_dwordx4 off, v[4:7], off offset:384
	s_and_saveexec_b64 s[0:1], vcc
	s_cbranch_execz .LBB62_359
; %bb.358:
	scratch_load_dwordx4 v[6:9], off, s77
	v_mov_b32_e32 v3, v2
	v_mov_b32_e32 v4, v2
	;; [unrolled: 1-line block ×3, first 2 shown]
	v_accvgpr_read_b32 v0, a127
	scratch_store_dwordx4 off, v[2:5], off offset:368
	s_waitcnt vmcnt(1)
	ds_write_b128 v0, v[6:9]
.LBB62_359:
	s_or_b64 exec, exec, s[0:1]
	s_waitcnt lgkmcnt(0)
	; wave barrier
	scratch_load_dwordx4 v[132:135], off, off offset:384
	scratch_load_dwordx4 v[160:163], off, off offset:400
	;; [unrolled: 1-line block ×16, first 2 shown]
	ds_read_b128 v[156:159], v2 offset:1376
	ds_read_b128 v[172:175], v2 offset:1392
	scratch_load_dwordx4 v[24:27], off, off offset:640
	ds_read_b128 v[232:235], v2 offset:1408
	ds_read_b128 v[228:231], v2 offset:1424
	scratch_load_dwordx4 v[28:31], off, off offset:656
	ds_read_b128 v[236:239], v2 offset:1440
	ds_read_b128 v[184:187], v2 offset:1456
	;; [unrolled: 1-line block ×5, first 2 shown]
	scratch_load_dwordx4 v[32:35], off, off offset:672
	ds_read_b128 v[220:223], v2 offset:1520
	ds_read_b128 v[216:219], v2 offset:1536
	;; [unrolled: 1-line block ×3, first 2 shown]
	scratch_load_dwordx4 v[36:39], off, off offset:688
	ds_read_b128 v[64:67], v2 offset:1568
	ds_read_b128 v[60:63], v2 offset:1584
	;; [unrolled: 1-line block ×5, first 2 shown]
	scratch_load_dwordx4 v[52:55], off, off offset:704
	scratch_load_dwordx4 v[68:71], off, off offset:720
	;; [unrolled: 1-line block ×11, first 2 shown]
	ds_read_b128 v[144:147], v2 offset:1680
	ds_read_b128 v[148:151], v2 offset:1696
	;; [unrolled: 1-line block ×3, first 2 shown]
	s_waitcnt vmcnt(30) lgkmcnt(14)
	v_mul_f64 v[0:1], v[156:157], v[134:135]
	s_waitcnt vmcnt(29)
	v_mul_f64 v[108:109], v[172:173], v[162:163]
	v_fmac_f64_e32 v[0:1], v[158:159], v[132:133]
	s_waitcnt vmcnt(28)
	v_mul_f64 v[110:111], v[232:233], v[166:167]
	v_fmac_f64_e32 v[108:109], v[174:175], v[160:161]
	v_add_f64 v[0:1], v[0:1], 0
	s_waitcnt vmcnt(27)
	v_mul_f64 v[112:113], v[228:229], v[170:171]
	v_fmac_f64_e32 v[110:111], v[234:235], v[164:165]
	v_add_f64 v[0:1], v[0:1], v[108:109]
	;; [unrolled: 4-line block ×4, first 2 shown]
	s_waitcnt vmcnt(24) lgkmcnt(13)
	v_mul_f64 v[118:119], v[224:225], v[190:191]
	v_fmac_f64_e32 v[116:117], v[186:187], v[180:181]
	v_add_f64 v[0:1], v[0:1], v[114:115]
	s_waitcnt vmcnt(23) lgkmcnt(12)
	v_mul_f64 v[120:121], v[196:197], v[194:195]
	v_fmac_f64_e32 v[118:119], v[226:227], v[188:189]
	v_add_f64 v[0:1], v[0:1], v[116:117]
	;; [unrolled: 4-line block ×9, first 2 shown]
	v_fmac_f64_e32 v[138:139], v[58:59], v[16:17]
	v_add_f64 v[0:1], v[0:1], v[136:137]
	v_add_f64 v[0:1], v[0:1], v[138:139]
	ds_read_b128 v[136:139], v2 offset:1648
	s_waitcnt vmcnt(15) lgkmcnt(5)
	v_mul_f64 v[140:141], v[48:49], v[22:23]
	v_fmac_f64_e32 v[140:141], v[50:51], v[20:21]
	s_waitcnt vmcnt(14) lgkmcnt(4)
	v_mul_f64 v[112:113], v[44:45], v[26:27]
	scratch_load_dwordx4 v[108:111], off, off offset:880
	v_add_f64 v[0:1], v[0:1], v[140:141]
	v_fmac_f64_e32 v[112:113], v[46:47], v[24:25]
	v_add_f64 v[0:1], v[0:1], v[112:113]
	scratch_load_dwordx4 v[112:115], off, off offset:896
	ds_read_b128 v[140:143], v2 offset:1664
	s_waitcnt vmcnt(15) lgkmcnt(1)
	v_mul_f64 v[116:117], v[136:137], v[30:31]
	v_fmac_f64_e32 v[116:117], v[138:139], v[28:29]
	v_add_f64 v[0:1], v[0:1], v[116:117]
	scratch_load_dwordx4 v[116:119], off, off offset:912
	s_waitcnt vmcnt(15) lgkmcnt(0)
	v_mul_f64 v[120:121], v[140:141], v[34:35]
	v_fmac_f64_e32 v[120:121], v[142:143], v[32:33]
	s_waitcnt vmcnt(14)
	v_mul_f64 v[124:125], v[144:145], v[38:39]
	v_add_f64 v[0:1], v[0:1], v[120:121]
	scratch_load_dwordx4 v[120:123], off, off offset:928
	v_fmac_f64_e32 v[124:125], v[146:147], v[36:37]
	v_add_f64 v[0:1], v[0:1], v[124:125]
	s_waitcnt vmcnt(14)
	v_mul_f64 v[124:125], v[148:149], v[54:55]
	scratch_load_dwordx4 v[128:131], off, off offset:944
	v_fmac_f64_e32 v[124:125], v[150:151], v[52:53]
	v_add_f64 v[0:1], v[0:1], v[124:125]
	scratch_load_dwordx4 v[124:127], off, off offset:960
	v_mul_f64 v[134:135], v[158:159], v[134:135]
	v_fma_f64 v[244:245], v[156:157], v[132:133], -v[134:135]
	ds_read_b128 v[156:159], v2 offset:1728
	s_waitcnt vmcnt(15)
	v_mul_f64 v[132:133], v[152:153], v[70:71]
	v_fmac_f64_e32 v[132:133], v[154:155], v[68:69]
	v_add_f64 v[0:1], v[0:1], v[132:133]
	v_mul_f64 v[132:133], v[174:175], v[162:163]
	v_fma_f64 v[246:247], v[172:173], v[160:161], -v[132:133]
	scratch_load_dwordx4 v[132:135], off, off offset:976
	ds_read_b128 v[160:163], v2 offset:1744
	v_mul_f64 v[166:167], v[234:235], v[166:167]
	v_fma_f64 v[248:249], v[232:233], v[164:165], -v[166:167]
	ds_read_b128 v[164:167], v2 offset:1760
	s_waitcnt vmcnt(15) lgkmcnt(2)
	v_mul_f64 v[172:173], v[156:157], v[74:75]
	v_fmac_f64_e32 v[172:173], v[158:159], v[72:73]
	v_add_f64 v[0:1], v[0:1], v[172:173]
	s_waitcnt vmcnt(14) lgkmcnt(1)
	v_mul_f64 v[172:173], v[160:161], v[78:79]
	v_fmac_f64_e32 v[172:173], v[162:163], v[76:77]
	v_mul_f64 v[170:171], v[230:231], v[170:171]
	v_fma_f64 v[250:251], v[228:229], v[168:169], -v[170:171]
	ds_read_b128 v[168:171], v2 offset:1776
	v_add_f64 v[0:1], v[0:1], v[172:173]
	s_waitcnt vmcnt(13) lgkmcnt(1)
	v_mul_f64 v[172:173], v[164:165], v[82:83]
	v_fmac_f64_e32 v[172:173], v[166:167], v[80:81]
	v_add_f64 v[0:1], v[0:1], v[172:173]
	ds_read_b128 v[172:175], v2 offset:1792
	v_mul_f64 v[178:179], v[238:239], v[178:179]
	v_fma_f64 v[236:237], v[236:237], v[176:177], -v[178:179]
	ds_read_b128 v[176:179], v2 offset:1808
	s_waitcnt vmcnt(12) lgkmcnt(2)
	v_mul_f64 v[228:229], v[168:169], v[86:87]
	v_fmac_f64_e32 v[228:229], v[170:171], v[84:85]
	v_add_f64 v[0:1], v[0:1], v[228:229]
	s_waitcnt vmcnt(11) lgkmcnt(1)
	v_mul_f64 v[228:229], v[172:173], v[90:91]
	v_mul_f64 v[182:183], v[186:187], v[182:183]
	v_fmac_f64_e32 v[228:229], v[174:175], v[88:89]
	v_fma_f64 v[238:239], v[184:185], v[180:181], -v[182:183]
	ds_read_b128 v[180:183], v2 offset:1824
	s_waitcnt vmcnt(10) lgkmcnt(1)
	v_mul_f64 v[184:185], v[176:177], v[94:95]
	v_add_f64 v[0:1], v[0:1], v[228:229]
	v_fmac_f64_e32 v[184:185], v[178:179], v[92:93]
	v_add_f64 v[0:1], v[0:1], v[184:185]
	ds_read_b128 v[184:187], v2 offset:1840
	v_mul_f64 v[190:191], v[226:227], v[190:191]
	v_fma_f64 v[252:253], v[224:225], v[188:189], -v[190:191]
	ds_read_b128 v[188:191], v2 offset:1856
	s_waitcnt vmcnt(9) lgkmcnt(2)
	v_mul_f64 v[228:229], v[180:181], v[98:99]
	v_fmac_f64_e32 v[228:229], v[182:183], v[96:97]
	s_waitcnt vmcnt(8) lgkmcnt(1)
	v_mul_f64 v[224:225], v[184:185], v[102:103]
	v_mul_f64 v[194:195], v[198:199], v[194:195]
	v_add_f64 v[0:1], v[0:1], v[228:229]
	v_fmac_f64_e32 v[224:225], v[186:187], v[100:101]
	v_fma_f64 v[254:255], v[196:197], v[192:193], -v[194:195]
	s_waitcnt vmcnt(7) lgkmcnt(0)
	v_mul_f64 v[196:197], v[188:189], v[106:107]
	ds_read_b128 v[192:195], v2 offset:1872
	v_add_f64 v[0:1], v[0:1], v[224:225]
	v_fmac_f64_e32 v[196:197], v[190:191], v[104:105]
	v_add_f64 v[0:1], v[0:1], v[196:197]
	ds_read_b128 v[196:199], v2 offset:1888
	v_mul_f64 v[202:203], v[210:211], v[202:203]
	v_fma_f64 v[240:241], v[208:209], v[200:201], -v[202:203]
	ds_read_b128 v[200:203], v2 offset:1904
	s_waitcnt vmcnt(6) lgkmcnt(2)
	v_mul_f64 v[224:225], v[192:193], v[110:111]
	v_fmac_f64_e32 v[224:225], v[194:195], v[108:109]
	s_waitcnt vmcnt(5) lgkmcnt(1)
	v_mul_f64 v[208:209], v[196:197], v[114:115]
	v_add_f64 v[0:1], v[0:1], v[224:225]
	v_fmac_f64_e32 v[208:209], v[198:199], v[112:113]
	v_add_f64 v[208:209], v[0:1], v[208:209]
	v_mul_f64 v[0:1], v[222:223], v[206:207]
	v_fma_f64 v[0:1], v[220:221], v[204:205], -v[0:1]
	ds_read_b128 v[204:207], v2 offset:1920
	s_waitcnt vmcnt(4) lgkmcnt(1)
	v_mul_f64 v[210:211], v[200:201], v[118:119]
	v_fmac_f64_e32 v[210:211], v[202:203], v[116:117]
	v_add_f64 v[220:221], v[208:209], v[210:211]
	ds_read_b128 v[208:211], v2 offset:1936
	v_mul_f64 v[214:215], v[218:219], v[214:215]
	v_fma_f64 v[242:243], v[216:217], v[212:213], -v[214:215]
	ds_read_b128 v[212:215], v2 offset:1952
	s_waitcnt vmcnt(3) lgkmcnt(2)
	v_mul_f64 v[216:217], v[204:205], v[122:123]
	v_fmac_f64_e32 v[216:217], v[206:207], v[120:121]
	s_waitcnt vmcnt(2) lgkmcnt(1)
	v_mul_f64 v[218:219], v[208:209], v[130:131]
	v_add_f64 v[216:217], v[220:221], v[216:217]
	v_fmac_f64_e32 v[218:219], v[210:211], v[128:129]
	v_add_f64 v[216:217], v[216:217], v[218:219]
	s_waitcnt vmcnt(1) lgkmcnt(0)
	v_mul_f64 v[218:219], v[212:213], v[126:127]
	v_fmac_f64_e32 v[218:219], v[214:215], v[124:125]
	v_add_f64 v[220:221], v[216:217], v[218:219]
	ds_read_b128 v[216:219], v2 offset:1968
	ds_read_b128 v[224:227], v2 offset:1984
	scratch_load_dwordx4 v[232:235], off, off offset:1008
	v_accvgpr_write_b32 a129, v1
	v_accvgpr_write_b32 a128, v0
	s_waitcnt vmcnt(1) lgkmcnt(1)
	v_mul_f64 v[222:223], v[216:217], v[134:135]
	v_fmac_f64_e32 v[222:223], v[218:219], v[132:133]
	v_add_f64 v[228:229], v[220:221], v[222:223]
	scratch_load_dwordx4 v[220:223], off, off offset:992
	v_mul_f64 v[6:7], v[42:43], v[6:7]
	v_fma_f64 v[4:5], v[40:41], v[4:5], -v[6:7]
	s_waitcnt vmcnt(0) lgkmcnt(0)
	v_mul_f64 v[230:231], v[224:225], v[222:223]
	v_fmac_f64_e32 v[230:231], v[226:227], v[220:221]
	v_add_f64 v[0:1], v[228:229], v[230:231]
	ds_read_b128 v[228:231], v2 offset:2000
	s_waitcnt lgkmcnt(0)
	v_mul_f64 v[2:3], v[228:229], v[234:235]
	v_fmac_f64_e32 v[2:3], v[230:231], v[232:233]
	v_add_f64 v[2:3], v[0:1], v[2:3]
	v_add_f64 v[0:1], v[244:245], 0
	;; [unrolled: 1-line block ×7, first 2 shown]
	scratch_load_dwordx4 v[236:239], off, off offset:368
	v_add_f64 v[0:1], v[0:1], v[252:253]
	v_add_f64 v[0:1], v[0:1], v[254:255]
	;; [unrolled: 1-line block ×3, first 2 shown]
	v_accvgpr_read_b32 v0, a128
	v_accvgpr_read_b32 v1, a129
	v_add_f64 v[0:1], v[254:255], v[0:1]
	v_add_f64 v[0:1], v[0:1], v[242:243]
	v_add_f64 v[0:1], v[0:1], v[4:5]
	v_mul_f64 v[4:5], v[66:67], v[10:11]
	v_fma_f64 v[4:5], v[64:65], v[8:9], -v[4:5]
	v_add_f64 v[0:1], v[0:1], v[4:5]
	v_mul_f64 v[4:5], v[62:63], v[14:15]
	v_fma_f64 v[4:5], v[60:61], v[12:13], -v[4:5]
	v_add_f64 v[0:1], v[0:1], v[4:5]
	;; [unrolled: 3-line block ×28, first 2 shown]
	s_waitcnt vmcnt(0)
	v_add_f64 v[4:5], v[236:237], -v[0:1]
	v_accvgpr_read_b32 v0, a126
	v_add_f64 v[6:7], v[238:239], -v[2:3]
	v_cmp_lt_u32_e32 vcc, 21, v0
	scratch_store_dwordx4 off, v[4:7], off offset:368
	s_and_saveexec_b64 s[0:1], vcc
	s_cbranch_execz .LBB62_361
; %bb.360:
	scratch_load_dwordx4 v[2:5], off, s76
	v_mov_b32_e32 v6, 0
	v_mov_b32_e32 v7, v6
	;; [unrolled: 1-line block ×4, first 2 shown]
	v_accvgpr_read_b32 v0, a127
	scratch_store_dwordx4 off, v[6:9], off offset:352
	s_waitcnt vmcnt(1)
	ds_write_b128 v0, v[2:5]
.LBB62_361:
	s_or_b64 exec, exec, s[0:1]
	s_waitcnt lgkmcnt(0)
	; wave barrier
	scratch_load_dwordx4 v[112:115], off, off offset:368
	scratch_load_dwordx4 v[116:119], off, off offset:384
	scratch_load_dwordx4 v[120:123], off, off offset:400
	scratch_load_dwordx4 v[152:155], off, off offset:416
	scratch_load_dwordx4 v[160:163], off, off offset:432
	scratch_load_dwordx4 v[164:167], off, off offset:448
	scratch_load_dwordx4 v[172:175], off, off offset:464
	scratch_load_dwordx4 v[176:179], off, off offset:480
	scratch_load_dwordx4 v[184:187], off, off offset:496
	scratch_load_dwordx4 v[188:191], off, off offset:512
	scratch_load_dwordx4 v[196:199], off, off offset:528
	scratch_load_dwordx4 v[200:203], off, off offset:544
	scratch_load_dwordx4 v[208:211], off, off offset:560
	scratch_load_dwordx4 v[4:7], off, off offset:576
	scratch_load_dwordx4 v[234:237], off, off offset:592
	scratch_load_dwordx4 v[12:15], off, off offset:608
	scratch_load_dwordx4 v[16:19], off, off offset:624
	scratch_load_dwordx4 v[20:23], off, off offset:640
	scratch_load_dwordx4 v[24:27], off, off offset:656
	scratch_load_dwordx4 v[28:31], off, off offset:672
	scratch_load_dwordx4 v[32:35], off, off offset:688
	scratch_load_dwordx4 v[36:39], off, off offset:704
	scratch_load_dwordx4 v[40:43], off, off offset:720
	scratch_load_dwordx4 v[44:47], off, off offset:736
	scratch_load_dwordx4 v[48:51], off, off offset:752
	scratch_load_dwordx4 v[52:55], off, off offset:768
	scratch_load_dwordx4 v[56:59], off, off offset:784
	scratch_load_dwordx4 v[60:63], off, off offset:800
	scratch_load_dwordx4 v[64:67], off, off offset:816
	scratch_load_dwordx4 v[68:71], off, off offset:832
	v_mov_b32_e32 v2, 0
	ds_read_b128 v[144:147], v2 offset:1360
	ds_read_b128 v[156:159], v2 offset:1376
	ds_read_b128 v[168:171], v2 offset:1392
	ds_read_b128 v[180:183], v2 offset:1408
	ds_read_b128 v[192:195], v2 offset:1424
	ds_read_b128 v[204:207], v2 offset:1440
	ds_read_b128 v[212:215], v2 offset:1456
	ds_read_b128 v[216:219], v2 offset:1472
	ds_read_b128 v[220:223], v2 offset:1488
	ds_read_b128 v[224:227], v2 offset:1504
	ds_read_b128 v[228:231], v2 offset:1520
	ds_read_b128 v[238:241], v2 offset:1536
	ds_read_b128 v[242:245], v2 offset:1552
	ds_read_b128 v[84:87], v2 offset:1568
	ds_read_b128 v[80:83], v2 offset:1584
	ds_read_b128 v[76:79], v2 offset:1600
	ds_read_b128 v[72:75], v2 offset:1616
	ds_read_b128 v[132:135], v2 offset:1664
	ds_read_b128 v[136:139], v2 offset:1680
	ds_read_b128 v[140:143], v2 offset:1696
	s_waitcnt vmcnt(29) lgkmcnt(14)
	v_mul_f64 v[0:1], v[144:145], v[114:115]
	s_waitcnt vmcnt(28)
	v_mul_f64 v[88:89], v[156:157], v[118:119]
	v_fmac_f64_e32 v[0:1], v[146:147], v[112:113]
	s_waitcnt vmcnt(27)
	v_mul_f64 v[90:91], v[168:169], v[122:123]
	v_fmac_f64_e32 v[88:89], v[158:159], v[116:117]
	v_add_f64 v[0:1], v[0:1], 0
	s_waitcnt vmcnt(26)
	v_mul_f64 v[92:93], v[180:181], v[154:155]
	v_fmac_f64_e32 v[90:91], v[170:171], v[120:121]
	v_add_f64 v[0:1], v[0:1], v[88:89]
	s_waitcnt vmcnt(25)
	v_mul_f64 v[94:95], v[192:193], v[162:163]
	v_fmac_f64_e32 v[92:93], v[182:183], v[152:153]
	v_add_f64 v[0:1], v[0:1], v[90:91]
	s_waitcnt vmcnt(24)
	v_mul_f64 v[96:97], v[204:205], v[166:167]
	v_fmac_f64_e32 v[94:95], v[194:195], v[160:161]
	v_add_f64 v[0:1], v[0:1], v[92:93]
	s_waitcnt vmcnt(23) lgkmcnt(13)
	v_mul_f64 v[98:99], v[212:213], v[174:175]
	v_fmac_f64_e32 v[96:97], v[206:207], v[164:165]
	v_add_f64 v[0:1], v[0:1], v[94:95]
	s_waitcnt vmcnt(22) lgkmcnt(12)
	v_mul_f64 v[100:101], v[216:217], v[178:179]
	v_fmac_f64_e32 v[98:99], v[214:215], v[172:173]
	v_add_f64 v[0:1], v[0:1], v[96:97]
	s_waitcnt vmcnt(21) lgkmcnt(11)
	v_mul_f64 v[102:103], v[220:221], v[186:187]
	v_fmac_f64_e32 v[100:101], v[218:219], v[176:177]
	v_add_f64 v[0:1], v[0:1], v[98:99]
	s_waitcnt vmcnt(20) lgkmcnt(10)
	v_mul_f64 v[104:105], v[224:225], v[190:191]
	v_fmac_f64_e32 v[102:103], v[222:223], v[184:185]
	v_add_f64 v[0:1], v[0:1], v[100:101]
	s_waitcnt vmcnt(19) lgkmcnt(9)
	v_mul_f64 v[106:107], v[228:229], v[198:199]
	v_fmac_f64_e32 v[104:105], v[226:227], v[188:189]
	v_add_f64 v[0:1], v[0:1], v[102:103]
	s_waitcnt vmcnt(18) lgkmcnt(8)
	v_mul_f64 v[108:109], v[238:239], v[202:203]
	v_fmac_f64_e32 v[106:107], v[230:231], v[196:197]
	v_add_f64 v[0:1], v[0:1], v[104:105]
	s_waitcnt vmcnt(17) lgkmcnt(7)
	v_mul_f64 v[110:111], v[242:243], v[210:211]
	v_fmac_f64_e32 v[108:109], v[240:241], v[200:201]
	v_add_f64 v[0:1], v[0:1], v[106:107]
	s_waitcnt vmcnt(16) lgkmcnt(6)
	v_mul_f64 v[124:125], v[84:85], v[6:7]
	v_fmac_f64_e32 v[110:111], v[244:245], v[208:209]
	v_add_f64 v[0:1], v[0:1], v[108:109]
	s_waitcnt vmcnt(15) lgkmcnt(5)
	v_mul_f64 v[126:127], v[80:81], v[236:237]
	v_fmac_f64_e32 v[124:125], v[86:87], v[4:5]
	v_add_f64 v[0:1], v[0:1], v[110:111]
	v_fmac_f64_e32 v[126:127], v[82:83], v[234:235]
	v_add_f64 v[0:1], v[0:1], v[124:125]
	scratch_load_dwordx4 v[88:91], off, off offset:848
	s_waitcnt vmcnt(15) lgkmcnt(4)
	v_mul_f64 v[128:129], v[76:77], v[14:15]
	v_add_f64 v[0:1], v[0:1], v[126:127]
	ds_read_b128 v[124:127], v2 offset:1632
	v_fmac_f64_e32 v[128:129], v[78:79], v[12:13]
	v_add_f64 v[0:1], v[0:1], v[128:129]
	ds_read_b128 v[128:131], v2 offset:1648
	s_waitcnt vmcnt(14) lgkmcnt(5)
	v_mul_f64 v[92:93], v[72:73], v[18:19]
	v_fmac_f64_e32 v[92:93], v[74:75], v[16:17]
	v_add_f64 v[0:1], v[0:1], v[92:93]
	s_waitcnt vmcnt(13) lgkmcnt(1)
	v_mul_f64 v[96:97], v[124:125], v[22:23]
	scratch_load_dwordx4 v[92:95], off, off offset:864
	v_fmac_f64_e32 v[96:97], v[126:127], v[20:21]
	v_add_f64 v[0:1], v[0:1], v[96:97]
	s_waitcnt vmcnt(13) lgkmcnt(0)
	v_mul_f64 v[100:101], v[128:129], v[26:27]
	scratch_load_dwordx4 v[96:99], off, off offset:880
	v_fmac_f64_e32 v[100:101], v[130:131], v[24:25]
	v_add_f64 v[0:1], v[0:1], v[100:101]
	scratch_load_dwordx4 v[100:103], off, off offset:896
	s_waitcnt vmcnt(14)
	v_mul_f64 v[104:105], v[132:133], v[30:31]
	v_fmac_f64_e32 v[104:105], v[134:135], v[28:29]
	v_add_f64 v[0:1], v[0:1], v[104:105]
	s_waitcnt vmcnt(13)
	v_mul_f64 v[104:105], v[136:137], v[34:35]
	v_fmac_f64_e32 v[104:105], v[138:139], v[32:33]
	v_add_f64 v[0:1], v[0:1], v[104:105]
	scratch_load_dwordx4 v[104:107], off, off offset:912
	s_waitcnt vmcnt(13)
	v_mul_f64 v[108:109], v[140:141], v[38:39]
	v_fmac_f64_e32 v[108:109], v[142:143], v[36:37]
	v_add_f64 v[0:1], v[0:1], v[108:109]
	scratch_load_dwordx4 v[108:111], off, off offset:928
	v_mul_f64 v[114:115], v[146:147], v[114:115]
	v_fma_f64 v[246:247], v[144:145], v[112:113], -v[114:115]
	v_mul_f64 v[112:113], v[158:159], v[118:119]
	ds_read_b128 v[148:151], v2 offset:1712
	ds_read_b128 v[144:147], v2 offset:1728
	v_fma_f64 v[248:249], v[156:157], v[116:117], -v[112:113]
	scratch_load_dwordx4 v[116:119], off, off offset:944
	scratch_load_dwordx4 v[112:115], off, off offset:960
	v_mul_f64 v[122:123], v[170:171], v[122:123]
	v_fma_f64 v[250:251], v[168:169], v[120:121], -v[122:123]
	scratch_load_dwordx4 v[120:123], off, off offset:976
	s_waitcnt vmcnt(16) lgkmcnt(1)
	v_mul_f64 v[156:157], v[148:149], v[42:43]
	v_fmac_f64_e32 v[156:157], v[150:151], v[40:41]
	v_mul_f64 v[154:155], v[182:183], v[154:155]
	v_add_f64 v[0:1], v[0:1], v[156:157]
	v_fma_f64 v[252:253], v[180:181], v[152:153], -v[154:155]
	ds_read_b128 v[152:155], v2 offset:1744
	s_waitcnt vmcnt(15) lgkmcnt(1)
	v_mul_f64 v[156:157], v[144:145], v[46:47]
	v_fmac_f64_e32 v[156:157], v[146:147], v[44:45]
	v_add_f64 v[0:1], v[0:1], v[156:157]
	ds_read_b128 v[156:159], v2 offset:1760
	v_mul_f64 v[162:163], v[194:195], v[162:163]
	v_fma_f64 v[254:255], v[192:193], v[160:161], -v[162:163]
	ds_read_b128 v[160:163], v2 offset:1776
	s_waitcnt vmcnt(14) lgkmcnt(2)
	v_mul_f64 v[168:169], v[152:153], v[50:51]
	v_fmac_f64_e32 v[168:169], v[154:155], v[48:49]
	v_add_f64 v[0:1], v[0:1], v[168:169]
	s_waitcnt vmcnt(13) lgkmcnt(1)
	v_mul_f64 v[168:169], v[156:157], v[54:55]
	v_fmac_f64_e32 v[168:169], v[158:159], v[52:53]
	v_mul_f64 v[166:167], v[206:207], v[166:167]
	v_add_f64 v[0:1], v[0:1], v[168:169]
	v_fma_f64 v[232:233], v[204:205], v[164:165], -v[166:167]
	ds_read_b128 v[164:167], v2 offset:1792
	s_waitcnt vmcnt(12) lgkmcnt(1)
	v_mul_f64 v[168:169], v[160:161], v[58:59]
	v_fmac_f64_e32 v[168:169], v[162:163], v[56:57]
	v_add_f64 v[0:1], v[0:1], v[168:169]
	ds_read_b128 v[168:171], v2 offset:1808
	v_accvgpr_write_b32 a131, v7
	v_accvgpr_write_b32 a130, v6
	v_accvgpr_write_b32 a129, v5
	v_accvgpr_write_b32 a128, v4
	s_waitcnt vmcnt(11) lgkmcnt(1)
	v_mul_f64 v[6:7], v[164:165], v[62:63]
	v_mul_f64 v[174:175], v[214:215], v[174:175]
	v_fmac_f64_e32 v[6:7], v[166:167], v[60:61]
	v_fma_f64 v[8:9], v[212:213], v[172:173], -v[174:175]
	ds_read_b128 v[172:175], v2 offset:1824
	v_add_f64 v[0:1], v[0:1], v[6:7]
	s_waitcnt vmcnt(10) lgkmcnt(1)
	v_mul_f64 v[6:7], v[168:169], v[66:67]
	v_fmac_f64_e32 v[6:7], v[170:171], v[64:65]
	v_add_f64 v[0:1], v[0:1], v[6:7]
	v_mul_f64 v[6:7], v[218:219], v[178:179]
	v_fma_f64 v[4:5], v[216:217], v[176:177], -v[6:7]
	ds_read_b128 v[176:179], v2 offset:1840
	ds_read_b128 v[180:183], v2 offset:1856
	s_waitcnt vmcnt(9) lgkmcnt(2)
	v_mul_f64 v[6:7], v[172:173], v[70:71]
	v_fmac_f64_e32 v[6:7], v[174:175], v[68:69]
	v_add_f64 v[0:1], v[0:1], v[6:7]
	s_waitcnt vmcnt(8) lgkmcnt(1)
	v_mul_f64 v[6:7], v[176:177], v[90:91]
	v_fmac_f64_e32 v[6:7], v[178:179], v[88:89]
	v_add_f64 v[0:1], v[0:1], v[6:7]
	v_mul_f64 v[6:7], v[222:223], v[186:187]
	v_fma_f64 v[10:11], v[220:221], v[184:185], -v[6:7]
	ds_read_b128 v[184:187], v2 offset:1872
	v_mul_f64 v[6:7], v[226:227], v[190:191]
	v_fma_f64 v[6:7], v[224:225], v[188:189], -v[6:7]
	ds_read_b128 v[188:191], v2 offset:1888
	s_waitcnt vmcnt(7) lgkmcnt(2)
	v_mul_f64 v[192:193], v[180:181], v[94:95]
	v_fmac_f64_e32 v[192:193], v[182:183], v[92:93]
	v_add_f64 v[0:1], v[0:1], v[192:193]
	s_waitcnt vmcnt(6) lgkmcnt(1)
	v_mul_f64 v[192:193], v[184:185], v[98:99]
	v_fmac_f64_e32 v[192:193], v[186:187], v[96:97]
	v_add_f64 v[0:1], v[0:1], v[192:193]
	s_waitcnt vmcnt(5) lgkmcnt(0)
	v_mul_f64 v[204:205], v[188:189], v[102:103]
	ds_read_b128 v[192:195], v2 offset:1904
	v_fmac_f64_e32 v[204:205], v[190:191], v[100:101]
	v_add_f64 v[204:205], v[0:1], v[204:205]
	v_mul_f64 v[0:1], v[230:231], v[198:199]
	v_fma_f64 v[0:1], v[228:229], v[196:197], -v[0:1]
	ds_read_b128 v[196:199], v2 offset:1920
	v_mul_f64 v[202:203], v[240:241], v[202:203]
	s_waitcnt vmcnt(4) lgkmcnt(1)
	v_mul_f64 v[206:207], v[192:193], v[106:107]
	v_fma_f64 v[238:239], v[238:239], v[200:201], -v[202:203]
	ds_read_b128 v[200:203], v2 offset:1936
	v_fmac_f64_e32 v[206:207], v[194:195], v[104:105]
	v_add_f64 v[212:213], v[204:205], v[206:207]
	ds_read_b128 v[204:207], v2 offset:1952
	s_waitcnt vmcnt(3) lgkmcnt(2)
	v_mul_f64 v[214:215], v[196:197], v[110:111]
	v_mul_f64 v[210:211], v[244:245], v[210:211]
	v_fmac_f64_e32 v[214:215], v[198:199], v[108:109]
	v_fma_f64 v[240:241], v[242:243], v[208:209], -v[210:211]
	ds_read_b128 v[208:211], v2 offset:1968
	ds_read_b128 v[216:219], v2 offset:1984
	v_add_f64 v[212:213], v[212:213], v[214:215]
	s_waitcnt vmcnt(2) lgkmcnt(3)
	v_mul_f64 v[214:215], v[200:201], v[118:119]
	v_fmac_f64_e32 v[214:215], v[202:203], v[116:117]
	v_add_f64 v[212:213], v[212:213], v[214:215]
	s_waitcnt vmcnt(1) lgkmcnt(2)
	v_mul_f64 v[214:215], v[204:205], v[114:115]
	v_fmac_f64_e32 v[214:215], v[206:207], v[112:113]
	;; [unrolled: 4-line block ×3, first 2 shown]
	v_add_f64 v[220:221], v[212:213], v[214:215]
	scratch_load_dwordx4 v[212:215], off, off offset:992
	ds_read_b128 v[224:227], v2 offset:2000
	s_waitcnt vmcnt(0) lgkmcnt(1)
	v_mul_f64 v[222:223], v[216:217], v[214:215]
	v_fmac_f64_e32 v[222:223], v[218:219], v[212:213]
	v_add_f64 v[228:229], v[220:221], v[222:223]
	scratch_load_dwordx4 v[220:223], off, off offset:1008
	s_waitcnt vmcnt(0) lgkmcnt(0)
	v_mul_f64 v[230:231], v[224:225], v[222:223]
	v_fmac_f64_e32 v[230:231], v[226:227], v[220:221]
	v_add_f64 v[244:245], v[228:229], v[230:231]
	v_add_f64 v[228:229], v[246:247], 0
	;; [unrolled: 1-line block ×8, first 2 shown]
	scratch_load_dwordx4 v[228:231], off, off offset:352
	v_add_f64 v[4:5], v[8:9], v[4:5]
	v_add_f64 v[242:243], v[4:5], v[10:11]
	;; [unrolled: 1-line block ×3, first 2 shown]
	v_accvgpr_read_b32 v6, a128
	v_add_f64 v[0:1], v[4:5], v[0:1]
	v_accvgpr_read_b32 v8, a130
	v_accvgpr_read_b32 v9, a131
	v_add_f64 v[0:1], v[0:1], v[238:239]
	v_accvgpr_read_b32 v7, a129
	v_mul_f64 v[4:5], v[86:87], v[8:9]
	v_add_f64 v[0:1], v[0:1], v[240:241]
	v_fma_f64 v[4:5], v[84:85], v[6:7], -v[4:5]
	v_add_f64 v[0:1], v[0:1], v[4:5]
	v_mul_f64 v[4:5], v[82:83], v[236:237]
	v_fma_f64 v[4:5], v[80:81], v[234:235], -v[4:5]
	v_add_f64 v[0:1], v[0:1], v[4:5]
	v_mul_f64 v[4:5], v[78:79], v[14:15]
	;; [unrolled: 3-line block ×27, first 2 shown]
	v_fma_f64 v[4:5], v[224:225], v[220:221], -v[4:5]
	v_add_f64 v[0:1], v[0:1], v[4:5]
	s_waitcnt vmcnt(0)
	v_add_f64 v[4:5], v[228:229], -v[0:1]
	v_accvgpr_read_b32 v0, a126
	v_add_f64 v[6:7], v[230:231], -v[244:245]
	v_cmp_lt_u32_e32 vcc, 20, v0
	scratch_store_dwordx4 off, v[4:7], off offset:352
	s_and_saveexec_b64 s[0:1], vcc
	s_cbranch_execz .LBB62_363
; %bb.362:
	scratch_load_dwordx4 v[6:9], off, s75
	v_mov_b32_e32 v3, v2
	v_mov_b32_e32 v4, v2
	;; [unrolled: 1-line block ×3, first 2 shown]
	v_accvgpr_read_b32 v0, a127
	scratch_store_dwordx4 off, v[2:5], off offset:336
	s_waitcnt vmcnt(1)
	ds_write_b128 v0, v[6:9]
.LBB62_363:
	s_or_b64 exec, exec, s[0:1]
	s_waitcnt lgkmcnt(0)
	; wave barrier
	scratch_load_dwordx4 v[88:91], off, off offset:352
	scratch_load_dwordx4 v[92:95], off, off offset:368
	scratch_load_dwordx4 v[96:99], off, off offset:384
	scratch_load_dwordx4 v[100:103], off, off offset:400
	scratch_load_dwordx4 v[104:107], off, off offset:416
	scratch_load_dwordx4 v[108:111], off, off offset:432
	scratch_load_dwordx4 v[112:115], off, off offset:448
	scratch_load_dwordx4 v[116:119], off, off offset:464
	scratch_load_dwordx4 v[120:123], off, off offset:480
	scratch_load_dwordx4 v[124:127], off, off offset:496
	scratch_load_dwordx4 v[128:131], off, off offset:512
	scratch_load_dwordx4 v[132:135], off, off offset:528
	scratch_load_dwordx4 v[136:139], off, off offset:544
	scratch_load_dwordx4 v[4:7], off, off offset:560
	scratch_load_dwordx4 v[8:11], off, off offset:576
	scratch_load_dwordx4 v[12:15], off, off offset:592
	scratch_load_dwordx4 v[16:19], off, off offset:608
	ds_read_b128 v[212:215], v2 offset:1344
	ds_read_b128 v[204:207], v2 offset:1360
	;; [unrolled: 1-line block ×3, first 2 shown]
	scratch_load_dwordx4 v[20:23], off, off offset:624
	ds_read_b128 v[216:219], v2 offset:1392
	ds_read_b128 v[208:211], v2 offset:1408
	ds_read_b128 v[200:203], v2 offset:1424
	ds_read_b128 v[184:187], v2 offset:1440
	ds_read_b128 v[156:159], v2 offset:1456
	scratch_load_dwordx4 v[24:27], off, off offset:640
	ds_read_b128 v[180:183], v2 offset:1472
	ds_read_b128 v[160:163], v2 offset:1488
	;; [unrolled: 1-line block ×3, first 2 shown]
	scratch_load_dwordx4 v[28:31], off, off offset:656
	ds_read_b128 v[172:175], v2 offset:1520
	ds_read_b128 v[148:151], v2 offset:1536
	;; [unrolled: 1-line block ×5, first 2 shown]
	scratch_load_dwordx4 v[36:39], off, off offset:672
	ds_read_b128 v[48:51], v2 offset:1600
	scratch_load_dwordx4 v[52:55], off, off offset:688
	scratch_load_dwordx4 v[56:59], off, off offset:704
	;; [unrolled: 1-line block ×9, first 2 shown]
	ds_read_b128 v[140:143], v2 offset:1616
	ds_read_b128 v[232:235], v2 offset:1680
	;; [unrolled: 1-line block ×3, first 2 shown]
	s_waitcnt vmcnt(29) lgkmcnt(14)
	v_mul_f64 v[0:1], v[212:213], v[90:91]
	s_waitcnt vmcnt(28)
	v_mul_f64 v[152:153], v[204:205], v[94:95]
	v_fmac_f64_e32 v[0:1], v[214:215], v[88:89]
	s_waitcnt vmcnt(27)
	v_mul_f64 v[154:155], v[196:197], v[98:99]
	v_fmac_f64_e32 v[152:153], v[206:207], v[92:93]
	v_add_f64 v[0:1], v[0:1], 0
	s_waitcnt vmcnt(26)
	v_mul_f64 v[164:165], v[216:217], v[102:103]
	v_fmac_f64_e32 v[154:155], v[198:199], v[96:97]
	v_add_f64 v[0:1], v[0:1], v[152:153]
	;; [unrolled: 4-line block ×4, first 2 shown]
	s_waitcnt vmcnt(23) lgkmcnt(13)
	v_mul_f64 v[170:171], v[184:185], v[114:115]
	v_fmac_f64_e32 v[168:169], v[202:203], v[108:109]
	v_add_f64 v[0:1], v[0:1], v[166:167]
	s_waitcnt vmcnt(22) lgkmcnt(12)
	v_mul_f64 v[176:177], v[156:157], v[118:119]
	v_fmac_f64_e32 v[170:171], v[186:187], v[112:113]
	v_add_f64 v[0:1], v[0:1], v[168:169]
	;; [unrolled: 4-line block ×10, first 2 shown]
	v_fmac_f64_e32 v[224:225], v[34:35], v[12:13]
	v_add_f64 v[0:1], v[0:1], v[222:223]
	ds_read_b128 v[220:223], v2 offset:1632
	v_add_f64 v[0:1], v[0:1], v[224:225]
	ds_read_b128 v[224:227], v2 offset:1648
	s_waitcnt vmcnt(13) lgkmcnt(5)
	v_mul_f64 v[164:165], v[48:49], v[18:19]
	scratch_load_dwordx4 v[152:155], off, off offset:832
	v_fmac_f64_e32 v[164:165], v[50:51], v[16:17]
	s_waitcnt vmcnt(13) lgkmcnt(4)
	v_mul_f64 v[168:169], v[140:141], v[22:23]
	v_add_f64 v[0:1], v[0:1], v[164:165]
	v_fmac_f64_e32 v[168:169], v[142:143], v[20:21]
	scratch_load_dwordx4 v[164:167], off, off offset:848
	v_add_f64 v[0:1], v[0:1], v[168:169]
	s_waitcnt vmcnt(13) lgkmcnt(1)
	v_mul_f64 v[176:177], v[220:221], v[26:27]
	scratch_load_dwordx4 v[168:171], off, off offset:864
	v_fmac_f64_e32 v[176:177], v[222:223], v[24:25]
	s_waitcnt vmcnt(13) lgkmcnt(0)
	v_mul_f64 v[188:189], v[224:225], v[30:31]
	v_add_f64 v[0:1], v[0:1], v[176:177]
	scratch_load_dwordx4 v[176:179], off, off offset:880
	v_fmac_f64_e32 v[188:189], v[226:227], v[28:29]
	v_add_f64 v[0:1], v[0:1], v[188:189]
	s_waitcnt vmcnt(13)
	v_mul_f64 v[188:189], v[228:229], v[38:39]
	v_fmac_f64_e32 v[188:189], v[230:231], v[36:37]
	v_add_f64 v[0:1], v[0:1], v[188:189]
	scratch_load_dwordx4 v[188:191], off, off offset:896
	s_waitcnt vmcnt(13)
	v_mul_f64 v[192:193], v[232:233], v[54:55]
	v_fmac_f64_e32 v[192:193], v[234:235], v[52:53]
	v_mul_f64 v[90:91], v[214:215], v[90:91]
	v_add_f64 v[0:1], v[0:1], v[192:193]
	scratch_load_dwordx4 v[192:195], off, off offset:912
	v_fma_f64 v[244:245], v[212:213], v[88:89], -v[90:91]
	v_mul_f64 v[88:89], v[206:207], v[94:95]
	ds_read_b128 v[236:239], v2 offset:1696
	ds_read_b128 v[212:215], v2 offset:1712
	v_fma_f64 v[246:247], v[204:205], v[92:93], -v[88:89]
	scratch_load_dwordx4 v[92:95], off, off offset:928
	scratch_load_dwordx4 v[88:91], off, off offset:944
	v_mul_f64 v[98:99], v[198:199], v[98:99]
	v_fma_f64 v[248:249], v[196:197], v[96:97], -v[98:99]
	scratch_load_dwordx4 v[96:99], off, off offset:960
	s_waitcnt vmcnt(16) lgkmcnt(1)
	v_mul_f64 v[204:205], v[236:237], v[58:59]
	v_mul_f64 v[102:103], v[218:219], v[102:103]
	v_fmac_f64_e32 v[204:205], v[238:239], v[56:57]
	v_fma_f64 v[216:217], v[216:217], v[100:101], -v[102:103]
	ds_read_b128 v[100:103], v2 offset:1728
	s_waitcnt vmcnt(15) lgkmcnt(1)
	v_mul_f64 v[196:197], v[212:213], v[62:63]
	v_add_f64 v[0:1], v[0:1], v[204:205]
	v_fmac_f64_e32 v[196:197], v[214:215], v[60:61]
	v_add_f64 v[0:1], v[0:1], v[196:197]
	ds_read_b128 v[196:199], v2 offset:1744
	v_mul_f64 v[106:107], v[210:211], v[106:107]
	v_fma_f64 v[218:219], v[208:209], v[104:105], -v[106:107]
	ds_read_b128 v[104:107], v2 offset:1760
	s_waitcnt vmcnt(14) lgkmcnt(2)
	v_mul_f64 v[204:205], v[100:101], v[66:67]
	v_fmac_f64_e32 v[204:205], v[102:103], v[64:65]
	v_add_f64 v[0:1], v[0:1], v[204:205]
	s_waitcnt vmcnt(13) lgkmcnt(1)
	v_mul_f64 v[204:205], v[196:197], v[70:71]
	v_mul_f64 v[110:111], v[202:203], v[110:111]
	v_fmac_f64_e32 v[204:205], v[198:199], v[68:69]
	v_fma_f64 v[250:251], v[200:201], v[108:109], -v[110:111]
	ds_read_b128 v[108:111], v2 offset:1776
	s_waitcnt vmcnt(12) lgkmcnt(1)
	v_mul_f64 v[200:201], v[104:105], v[74:75]
	v_add_f64 v[0:1], v[0:1], v[204:205]
	v_fmac_f64_e32 v[200:201], v[106:107], v[72:73]
	v_add_f64 v[0:1], v[0:1], v[200:201]
	ds_read_b128 v[200:203], v2 offset:1792
	v_mul_f64 v[114:115], v[186:187], v[114:115]
	v_fma_f64 v[252:253], v[184:185], v[112:113], -v[114:115]
	ds_read_b128 v[112:115], v2 offset:1808
	s_waitcnt vmcnt(11) lgkmcnt(2)
	v_mul_f64 v[184:185], v[108:109], v[78:79]
	v_fmac_f64_e32 v[184:185], v[110:111], v[76:77]
	v_add_f64 v[0:1], v[0:1], v[184:185]
	s_waitcnt vmcnt(10) lgkmcnt(1)
	v_mul_f64 v[184:185], v[200:201], v[82:83]
	v_mul_f64 v[118:119], v[158:159], v[118:119]
	v_fmac_f64_e32 v[184:185], v[202:203], v[80:81]
	v_fma_f64 v[254:255], v[156:157], v[116:117], -v[118:119]
	s_waitcnt vmcnt(9) lgkmcnt(0)
	v_mul_f64 v[156:157], v[112:113], v[86:87]
	v_add_f64 v[0:1], v[0:1], v[184:185]
	ds_read_b128 v[116:119], v2 offset:1824
	v_fmac_f64_e32 v[156:157], v[114:115], v[84:85]
	v_add_f64 v[0:1], v[0:1], v[156:157]
	ds_read_b128 v[156:159], v2 offset:1840
	v_mul_f64 v[122:123], v[182:183], v[122:123]
	v_fma_f64 v[240:241], v[180:181], v[120:121], -v[122:123]
	ds_read_b128 v[120:123], v2 offset:1856
	v_accvgpr_write_b32 a131, v7
	v_mul_f64 v[126:127], v[162:163], v[126:127]
	v_accvgpr_write_b32 a130, v6
	v_accvgpr_write_b32 a129, v5
	;; [unrolled: 1-line block ×3, first 2 shown]
	v_fma_f64 v[4:5], v[160:161], v[124:125], -v[126:127]
	ds_read_b128 v[124:127], v2 offset:1872
	s_waitcnt vmcnt(8) lgkmcnt(3)
	v_mul_f64 v[184:185], v[116:117], v[154:155]
	v_fmac_f64_e32 v[184:185], v[118:119], v[152:153]
	s_waitcnt vmcnt(7) lgkmcnt(2)
	v_mul_f64 v[180:181], v[156:157], v[166:167]
	v_add_f64 v[0:1], v[0:1], v[184:185]
	v_fmac_f64_e32 v[180:181], v[158:159], v[164:165]
	s_waitcnt vmcnt(6) lgkmcnt(1)
	v_mul_f64 v[6:7], v[120:121], v[170:171]
	ds_read_b128 v[160:163], v2 offset:1888
	v_add_f64 v[0:1], v[0:1], v[180:181]
	v_fmac_f64_e32 v[6:7], v[122:123], v[168:169]
	v_add_f64 v[0:1], v[0:1], v[6:7]
	s_waitcnt vmcnt(5) lgkmcnt(1)
	v_mul_f64 v[6:7], v[124:125], v[178:179]
	v_fmac_f64_e32 v[6:7], v[126:127], v[176:177]
	v_add_f64 v[0:1], v[0:1], v[6:7]
	v_mul_f64 v[6:7], v[146:147], v[130:131]
	v_fma_f64 v[6:7], v[144:145], v[128:129], -v[6:7]
	ds_read_b128 v[128:131], v2 offset:1904
	s_waitcnt vmcnt(4) lgkmcnt(1)
	v_mul_f64 v[144:145], v[160:161], v[190:191]
	v_fmac_f64_e32 v[144:145], v[162:163], v[188:189]
	v_add_f64 v[180:181], v[0:1], v[144:145]
	v_mul_f64 v[0:1], v[174:175], v[134:135]
	v_fma_f64 v[0:1], v[172:173], v[132:133], -v[0:1]
	ds_read_b128 v[132:135], v2 offset:1920
	ds_read_b128 v[144:147], v2 offset:1936
	v_mul_f64 v[138:139], v[150:151], v[138:139]
	v_fma_f64 v[242:243], v[148:149], v[136:137], -v[138:139]
	ds_read_b128 v[136:139], v2 offset:1952
	s_waitcnt vmcnt(3) lgkmcnt(3)
	v_mul_f64 v[172:173], v[128:129], v[194:195]
	v_fmac_f64_e32 v[172:173], v[130:131], v[192:193]
	s_waitcnt vmcnt(2) lgkmcnt(2)
	v_mul_f64 v[148:149], v[132:133], v[94:95]
	v_add_f64 v[172:173], v[180:181], v[172:173]
	v_fmac_f64_e32 v[148:149], v[134:135], v[92:93]
	s_waitcnt vmcnt(1) lgkmcnt(1)
	v_mul_f64 v[150:151], v[144:145], v[90:91]
	v_add_f64 v[148:149], v[172:173], v[148:149]
	v_fmac_f64_e32 v[150:151], v[146:147], v[88:89]
	v_add_f64 v[148:149], v[148:149], v[150:151]
	ds_read_b128 v[172:175], v2 offset:1968
	scratch_load_dwordx4 v[208:211], off, off offset:1008
	s_waitcnt vmcnt(1) lgkmcnt(1)
	v_mul_f64 v[150:151], v[136:137], v[98:99]
	v_fmac_f64_e32 v[150:151], v[138:139], v[96:97]
	v_add_f64 v[180:181], v[148:149], v[150:151]
	scratch_load_dwordx4 v[148:151], off, off offset:976
	ds_read_b128 v[184:187], v2 offset:1984
	v_accvgpr_write_b32 a133, v1
	v_accvgpr_write_b32 a132, v0
	s_waitcnt vmcnt(0) lgkmcnt(1)
	v_mul_f64 v[182:183], v[172:173], v[150:151]
	v_fmac_f64_e32 v[182:183], v[174:175], v[148:149]
	v_add_f64 v[204:205], v[180:181], v[182:183]
	scratch_load_dwordx4 v[180:183], off, off offset:992
	s_waitcnt vmcnt(0) lgkmcnt(0)
	v_mul_f64 v[206:207], v[184:185], v[182:183]
	v_fmac_f64_e32 v[206:207], v[186:187], v[180:181]
	v_add_f64 v[0:1], v[204:205], v[206:207]
	ds_read_b128 v[204:207], v2 offset:2000
	s_waitcnt lgkmcnt(0)
	v_mul_f64 v[2:3], v[204:205], v[210:211]
	v_fmac_f64_e32 v[2:3], v[206:207], v[208:209]
	v_add_f64 v[2:3], v[0:1], v[2:3]
	v_add_f64 v[0:1], v[244:245], 0
	;; [unrolled: 1-line block ×6, first 2 shown]
	scratch_load_dwordx4 v[216:219], off, off offset:336
	v_add_f64 v[0:1], v[0:1], v[250:251]
	v_add_f64 v[0:1], v[0:1], v[252:253]
	;; [unrolled: 1-line block ×6, first 2 shown]
	v_accvgpr_read_b32 v0, a132
	v_accvgpr_read_b32 v1, a133
	v_add_f64 v[0:1], v[254:255], v[0:1]
	v_add_f64 v[0:1], v[0:1], v[242:243]
	v_accvgpr_read_b32 v243, a131
	v_accvgpr_read_b32 v242, a130
	;; [unrolled: 1-line block ×4, first 2 shown]
	v_mul_f64 v[4:5], v[46:47], v[242:243]
	v_fma_f64 v[4:5], v[44:45], v[240:241], -v[4:5]
	v_add_f64 v[0:1], v[0:1], v[4:5]
	v_mul_f64 v[4:5], v[42:43], v[10:11]
	v_fma_f64 v[4:5], v[40:41], v[8:9], -v[4:5]
	v_add_f64 v[0:1], v[0:1], v[4:5]
	;; [unrolled: 3-line block ×29, first 2 shown]
	s_waitcnt vmcnt(0)
	v_add_f64 v[4:5], v[216:217], -v[0:1]
	v_accvgpr_read_b32 v0, a126
	v_add_f64 v[6:7], v[218:219], -v[2:3]
	v_cmp_lt_u32_e32 vcc, 19, v0
	scratch_store_dwordx4 off, v[4:7], off offset:336
	s_and_saveexec_b64 s[0:1], vcc
	s_cbranch_execz .LBB62_365
; %bb.364:
	scratch_load_dwordx4 v[2:5], off, s74
	v_mov_b32_e32 v6, 0
	v_mov_b32_e32 v7, v6
	;; [unrolled: 1-line block ×4, first 2 shown]
	v_accvgpr_read_b32 v0, a127
	scratch_store_dwordx4 off, v[6:9], off offset:320
	s_waitcnt vmcnt(1)
	ds_write_b128 v0, v[2:5]
.LBB62_365:
	s_or_b64 exec, exec, s[0:1]
	s_waitcnt lgkmcnt(0)
	; wave barrier
	scratch_load_dwordx4 v[96:99], off, off offset:336
	scratch_load_dwordx4 v[100:103], off, off offset:352
	;; [unrolled: 1-line block ×30, first 2 shown]
	v_mov_b32_e32 v2, 0
	ds_read_b128 v[136:139], v2 offset:1328
	ds_read_b128 v[144:147], v2 offset:1344
	;; [unrolled: 1-line block ×20, first 2 shown]
	s_waitcnt vmcnt(29) lgkmcnt(14)
	v_mul_f64 v[0:1], v[136:137], v[98:99]
	s_waitcnt vmcnt(28)
	v_mul_f64 v[72:73], v[144:145], v[102:103]
	v_fmac_f64_e32 v[0:1], v[138:139], v[96:97]
	s_waitcnt vmcnt(27)
	v_mul_f64 v[74:75], v[148:149], v[106:107]
	v_fmac_f64_e32 v[72:73], v[146:147], v[100:101]
	v_add_f64 v[0:1], v[0:1], 0
	s_waitcnt vmcnt(26)
	v_mul_f64 v[76:77], v[164:165], v[110:111]
	v_fmac_f64_e32 v[74:75], v[150:151], v[104:105]
	v_add_f64 v[0:1], v[0:1], v[72:73]
	s_waitcnt vmcnt(25)
	v_mul_f64 v[78:79], v[176:177], v[114:115]
	v_fmac_f64_e32 v[76:77], v[166:167], v[108:109]
	v_add_f64 v[0:1], v[0:1], v[74:75]
	s_waitcnt vmcnt(24)
	v_mul_f64 v[80:81], v[188:189], v[154:155]
	v_fmac_f64_e32 v[78:79], v[178:179], v[112:113]
	v_add_f64 v[0:1], v[0:1], v[76:77]
	s_waitcnt vmcnt(23) lgkmcnt(13)
	v_mul_f64 v[82:83], v[200:201], v[158:159]
	v_fmac_f64_e32 v[80:81], v[190:191], v[152:153]
	v_add_f64 v[0:1], v[0:1], v[78:79]
	s_waitcnt vmcnt(22) lgkmcnt(12)
	v_mul_f64 v[84:85], v[208:209], v[162:163]
	v_fmac_f64_e32 v[82:83], v[202:203], v[156:157]
	v_add_f64 v[0:1], v[0:1], v[80:81]
	;; [unrolled: 4-line block ×9, first 2 shown]
	s_waitcnt vmcnt(14) lgkmcnt(4)
	v_mul_f64 v[120:121], v[68:69], v[6:7]
	v_fmac_f64_e32 v[118:119], v[244:245], v[204:205]
	v_accvgpr_write_b32 a131, v7
	v_add_f64 v[0:1], v[0:1], v[116:117]
	v_fmac_f64_e32 v[120:121], v[70:71], v[4:5]
	v_accvgpr_write_b32 a130, v6
	v_accvgpr_write_b32 a129, v5
	;; [unrolled: 1-line block ×3, first 2 shown]
	v_add_f64 v[0:1], v[0:1], v[118:119]
	ds_read_b128 v[116:119], v2 offset:1600
	s_waitcnt vmcnt(13)
	v_mov_b64_e32 v[4:5], v[8:9]
	v_mov_b64_e32 v[6:7], v[10:11]
	s_waitcnt lgkmcnt(4)
	v_mul_f64 v[76:77], v[64:65], v[6:7]
	scratch_load_dwordx4 v[72:75], off, off offset:816
	v_add_f64 v[0:1], v[0:1], v[120:121]
	v_fmac_f64_e32 v[76:77], v[66:67], v[4:5]
	v_add_f64 v[0:1], v[0:1], v[76:77]
	scratch_load_dwordx4 v[76:79], off, off offset:832
	ds_read_b128 v[120:123], v2 offset:1616
	s_waitcnt vmcnt(14) lgkmcnt(1)
	v_mul_f64 v[80:81], v[116:117], v[236:237]
	v_fmac_f64_e32 v[80:81], v[118:119], v[234:235]
	v_add_f64 v[0:1], v[0:1], v[80:81]
	scratch_load_dwordx4 v[80:83], off, off offset:848
	s_waitcnt vmcnt(14) lgkmcnt(0)
	v_mul_f64 v[84:85], v[120:121], v[18:19]
	v_fmac_f64_e32 v[84:85], v[122:123], v[16:17]
	s_waitcnt vmcnt(13)
	v_mul_f64 v[88:89], v[124:125], v[22:23]
	v_add_f64 v[0:1], v[0:1], v[84:85]
	v_fmac_f64_e32 v[88:89], v[126:127], v[20:21]
	scratch_load_dwordx4 v[84:87], off, off offset:864
	v_add_f64 v[0:1], v[0:1], v[88:89]
	s_waitcnt vmcnt(13)
	v_mul_f64 v[88:89], v[128:129], v[26:27]
	v_fmac_f64_e32 v[88:89], v[130:131], v[24:25]
	v_add_f64 v[0:1], v[0:1], v[88:89]
	scratch_load_dwordx4 v[88:91], off, off offset:880
	s_waitcnt vmcnt(13)
	v_mul_f64 v[92:93], v[132:133], v[30:31]
	v_fmac_f64_e32 v[92:93], v[134:135], v[28:29]
	v_add_f64 v[0:1], v[0:1], v[92:93]
	scratch_load_dwordx4 v[92:95], off, off offset:896
	v_mul_f64 v[98:99], v[138:139], v[98:99]
	v_fma_f64 v[246:247], v[136:137], v[96:97], -v[98:99]
	v_mul_f64 v[96:97], v[146:147], v[102:103]
	ds_read_b128 v[140:143], v2 offset:1680
	ds_read_b128 v[136:139], v2 offset:1696
	v_fma_f64 v[248:249], v[144:145], v[100:101], -v[96:97]
	scratch_load_dwordx4 v[100:103], off, off offset:912
	scratch_load_dwordx4 v[96:99], off, off offset:928
	s_waitcnt vmcnt(15) lgkmcnt(1)
	v_mul_f64 v[144:145], v[140:141], v[34:35]
	v_fmac_f64_e32 v[144:145], v[142:143], v[32:33]
	v_mul_f64 v[106:107], v[150:151], v[106:107]
	v_add_f64 v[0:1], v[0:1], v[144:145]
	s_waitcnt vmcnt(14) lgkmcnt(0)
	v_mul_f64 v[144:145], v[136:137], v[38:39]
	v_fma_f64 v[250:251], v[148:149], v[104:105], -v[106:107]
	v_mul_f64 v[104:105], v[166:167], v[110:111]
	v_fmac_f64_e32 v[144:145], v[138:139], v[36:37]
	v_fma_f64 v[252:253], v[164:165], v[108:109], -v[104:105]
	scratch_load_dwordx4 v[104:107], off, off offset:944
	v_add_f64 v[0:1], v[0:1], v[144:145]
	ds_read_b128 v[144:147], v2 offset:1712
	ds_read_b128 v[148:151], v2 offset:1728
	v_mul_f64 v[108:109], v[178:179], v[114:115]
	v_fma_f64 v[254:255], v[176:177], v[112:113], -v[108:109]
	scratch_load_dwordx4 v[108:111], off, off offset:960
	s_waitcnt vmcnt(15) lgkmcnt(1)
	v_mul_f64 v[112:113], v[144:145], v[42:43]
	v_fmac_f64_e32 v[112:113], v[146:147], v[40:41]
	v_add_f64 v[0:1], v[0:1], v[112:113]
	v_mul_f64 v[112:113], v[190:191], v[154:155]
	v_fma_f64 v[232:233], v[188:189], v[152:153], -v[112:113]
	scratch_load_dwordx4 v[112:115], off, off offset:976
	ds_read_b128 v[152:155], v2 offset:1744
	s_waitcnt vmcnt(15) lgkmcnt(1)
	v_mul_f64 v[164:165], v[148:149], v[46:47]
	v_mul_f64 v[158:159], v[202:203], v[158:159]
	v_fmac_f64_e32 v[164:165], v[150:151], v[44:45]
	v_fma_f64 v[12:13], v[200:201], v[156:157], -v[158:159]
	ds_read_b128 v[156:159], v2 offset:1760
	s_waitcnt vmcnt(14) lgkmcnt(1)
	v_mul_f64 v[6:7], v[152:153], v[50:51]
	v_add_f64 v[0:1], v[0:1], v[164:165]
	v_fmac_f64_e32 v[6:7], v[154:155], v[48:49]
	v_accvgpr_write_b32 a135, v11
	v_add_f64 v[0:1], v[0:1], v[6:7]
	v_mul_f64 v[6:7], v[210:211], v[162:163]
	v_accvgpr_write_b32 a134, v10
	v_accvgpr_write_b32 a133, v9
	;; [unrolled: 1-line block ×3, first 2 shown]
	v_fma_f64 v[8:9], v[208:209], v[160:161], -v[6:7]
	ds_read_b128 v[160:163], v2 offset:1776
	ds_read_b128 v[164:167], v2 offset:1792
	s_waitcnt vmcnt(13) lgkmcnt(2)
	v_mul_f64 v[6:7], v[156:157], v[54:55]
	v_fmac_f64_e32 v[6:7], v[158:159], v[52:53]
	v_add_f64 v[0:1], v[0:1], v[6:7]
	s_waitcnt vmcnt(12) lgkmcnt(1)
	v_mul_f64 v[6:7], v[160:161], v[62:63]
	v_fmac_f64_e32 v[6:7], v[162:163], v[60:61]
	v_add_f64 v[0:1], v[0:1], v[6:7]
	v_mul_f64 v[6:7], v[214:215], v[170:171]
	v_fma_f64 v[10:11], v[212:213], v[168:169], -v[6:7]
	s_waitcnt vmcnt(11) lgkmcnt(0)
	v_mul_f64 v[6:7], v[164:165], v[58:59]
	v_fmac_f64_e32 v[6:7], v[166:167], v[56:57]
	ds_read_b128 v[168:171], v2 offset:1808
	v_add_f64 v[0:1], v[0:1], v[6:7]
	v_mul_f64 v[6:7], v[218:219], v[174:175]
	v_fma_f64 v[4:5], v[216:217], v[172:173], -v[6:7]
	ds_read_b128 v[172:175], v2 offset:1824
	s_waitcnt vmcnt(10) lgkmcnt(1)
	v_mul_f64 v[6:7], v[168:169], v[74:75]
	ds_read_b128 v[176:179], v2 offset:1840
	v_fmac_f64_e32 v[6:7], v[170:171], v[72:73]
	v_add_f64 v[0:1], v[0:1], v[6:7]
	s_waitcnt vmcnt(9) lgkmcnt(1)
	v_mul_f64 v[6:7], v[172:173], v[78:79]
	v_fmac_f64_e32 v[6:7], v[174:175], v[76:77]
	v_add_f64 v[0:1], v[0:1], v[6:7]
	v_mul_f64 v[6:7], v[222:223], v[182:183]
	v_fma_f64 v[14:15], v[220:221], v[180:181], -v[6:7]
	ds_read_b128 v[180:183], v2 offset:1856
	s_waitcnt vmcnt(8) lgkmcnt(1)
	v_mul_f64 v[6:7], v[176:177], v[82:83]
	v_fmac_f64_e32 v[6:7], v[178:179], v[80:81]
	v_add_f64 v[0:1], v[0:1], v[6:7]
	v_mul_f64 v[6:7], v[226:227], v[186:187]
	v_fma_f64 v[6:7], v[224:225], v[184:185], -v[6:7]
	ds_read_b128 v[184:187], v2 offset:1872
	s_waitcnt vmcnt(7) lgkmcnt(1)
	v_mul_f64 v[188:189], v[180:181], v[86:87]
	v_fmac_f64_e32 v[188:189], v[182:183], v[84:85]
	v_add_f64 v[0:1], v[0:1], v[188:189]
	ds_read_b128 v[188:191], v2 offset:1888
	s_waitcnt vmcnt(6) lgkmcnt(1)
	v_mul_f64 v[200:201], v[184:185], v[90:91]
	v_fmac_f64_e32 v[200:201], v[186:187], v[88:89]
	v_add_f64 v[200:201], v[0:1], v[200:201]
	v_mul_f64 v[0:1], v[230:231], v[194:195]
	v_fma_f64 v[0:1], v[228:229], v[192:193], -v[0:1]
	ds_read_b128 v[192:195], v2 offset:1904
	s_waitcnt vmcnt(5) lgkmcnt(1)
	v_mul_f64 v[202:203], v[188:189], v[94:95]
	v_fmac_f64_e32 v[202:203], v[190:191], v[92:93]
	v_mul_f64 v[198:199], v[240:241], v[198:199]
	v_fma_f64 v[238:239], v[238:239], v[196:197], -v[198:199]
	ds_read_b128 v[196:199], v2 offset:1920
	v_add_f64 v[200:201], v[200:201], v[202:203]
	s_waitcnt vmcnt(4) lgkmcnt(1)
	v_mul_f64 v[202:203], v[192:193], v[102:103]
	v_fmac_f64_e32 v[202:203], v[194:195], v[100:101]
	v_add_f64 v[208:209], v[200:201], v[202:203]
	ds_read_b128 v[200:203], v2 offset:1936
	v_mul_f64 v[206:207], v[244:245], v[206:207]
	v_fma_f64 v[240:241], v[242:243], v[204:205], -v[206:207]
	ds_read_b128 v[204:207], v2 offset:1952
	s_waitcnt vmcnt(3) lgkmcnt(2)
	v_mul_f64 v[210:211], v[196:197], v[98:99]
	v_fmac_f64_e32 v[210:211], v[198:199], v[96:97]
	v_add_f64 v[208:209], v[208:209], v[210:211]
	s_waitcnt vmcnt(2) lgkmcnt(1)
	v_mul_f64 v[210:211], v[200:201], v[106:107]
	v_fmac_f64_e32 v[210:211], v[202:203], v[104:105]
	v_add_f64 v[208:209], v[208:209], v[210:211]
	;; [unrolled: 4-line block ×3, first 2 shown]
	ds_read_b128 v[208:211], v2 offset:1968
	ds_read_b128 v[216:219], v2 offset:1984
	;; [unrolled: 1-line block ×3, first 2 shown]
	s_waitcnt vmcnt(0) lgkmcnt(2)
	v_mul_f64 v[214:215], v[208:209], v[114:115]
	v_fmac_f64_e32 v[214:215], v[210:211], v[112:113]
	v_add_f64 v[220:221], v[212:213], v[214:215]
	scratch_load_dwordx4 v[212:215], off, off offset:992
	s_waitcnt vmcnt(0) lgkmcnt(1)
	v_mul_f64 v[222:223], v[216:217], v[214:215]
	v_fmac_f64_e32 v[222:223], v[218:219], v[212:213]
	v_add_f64 v[228:229], v[220:221], v[222:223]
	scratch_load_dwordx4 v[220:223], off, off offset:1008
	s_waitcnt vmcnt(0) lgkmcnt(0)
	v_mul_f64 v[230:231], v[224:225], v[222:223]
	v_fmac_f64_e32 v[230:231], v[226:227], v[220:221]
	v_add_f64 v[244:245], v[228:229], v[230:231]
	v_add_f64 v[228:229], v[246:247], 0
	;; [unrolled: 1-line block ×8, first 2 shown]
	scratch_load_dwordx4 v[228:231], off, off offset:320
	v_add_f64 v[8:9], v[12:13], v[8:9]
	v_add_f64 v[8:9], v[8:9], v[10:11]
	;; [unrolled: 1-line block ×5, first 2 shown]
	v_accvgpr_read_b32 v6, a128
	v_accvgpr_read_b32 v8, a130
	;; [unrolled: 1-line block ×3, first 2 shown]
	v_add_f64 v[0:1], v[4:5], v[0:1]
	v_accvgpr_read_b32 v7, a129
	v_mul_f64 v[4:5], v[70:71], v[8:9]
	v_add_f64 v[0:1], v[0:1], v[238:239]
	v_fma_f64 v[4:5], v[68:69], v[6:7], -v[4:5]
	v_accvgpr_read_b32 v6, a132
	v_add_f64 v[0:1], v[0:1], v[240:241]
	v_accvgpr_read_b32 v8, a134
	v_accvgpr_read_b32 v9, a135
	v_add_f64 v[0:1], v[0:1], v[4:5]
	v_accvgpr_read_b32 v7, a133
	v_mul_f64 v[4:5], v[66:67], v[8:9]
	v_fma_f64 v[4:5], v[64:65], v[6:7], -v[4:5]
	v_add_f64 v[0:1], v[0:1], v[4:5]
	v_mul_f64 v[4:5], v[118:119], v[236:237]
	v_fma_f64 v[4:5], v[116:117], v[234:235], -v[4:5]
	v_add_f64 v[0:1], v[0:1], v[4:5]
	;; [unrolled: 3-line block ×27, first 2 shown]
	s_waitcnt vmcnt(0)
	v_add_f64 v[4:5], v[228:229], -v[0:1]
	v_accvgpr_read_b32 v0, a126
	v_add_f64 v[6:7], v[230:231], -v[244:245]
	v_cmp_lt_u32_e32 vcc, 18, v0
	scratch_store_dwordx4 off, v[4:7], off offset:320
	s_and_saveexec_b64 s[0:1], vcc
	s_cbranch_execz .LBB62_367
; %bb.366:
	scratch_load_dwordx4 v[6:9], off, s73
	v_mov_b32_e32 v3, v2
	v_mov_b32_e32 v4, v2
	;; [unrolled: 1-line block ×3, first 2 shown]
	v_accvgpr_read_b32 v0, a127
	scratch_store_dwordx4 off, v[2:5], off offset:304
	s_waitcnt vmcnt(1)
	ds_write_b128 v0, v[6:9]
.LBB62_367:
	s_or_b64 exec, exec, s[0:1]
	s_waitcnt lgkmcnt(0)
	; wave barrier
	scratch_load_dwordx4 v[72:75], off, off offset:320
	scratch_load_dwordx4 v[76:79], off, off offset:336
	;; [unrolled: 1-line block ×17, first 2 shown]
	ds_read_b128 v[176:179], v2 offset:1312
	ds_read_b128 v[192:195], v2 offset:1328
	;; [unrolled: 1-line block ×3, first 2 shown]
	scratch_load_dwordx4 v[20:23], off, off offset:592
	ds_read_b128 v[236:239], v2 offset:1360
	ds_read_b128 v[232:235], v2 offset:1376
	;; [unrolled: 1-line block ×5, first 2 shown]
	scratch_load_dwordx4 v[168:171], off, off offset:608
	ds_read_b128 v[224:227], v2 offset:1440
	ds_read_b128 v[212:215], v2 offset:1456
	;; [unrolled: 1-line block ×3, first 2 shown]
	scratch_load_dwordx4 v[12:15], off, off offset:624
	ds_read_b128 v[216:219], v2 offset:1488
	ds_read_b128 v[204:207], v2 offset:1504
	;; [unrolled: 1-line block ×5, first 2 shown]
	scratch_load_dwordx4 v[28:31], off, off offset:640
	ds_read_b128 v[32:35], v2 offset:1568
	scratch_load_dwordx4 v[36:39], off, off offset:656
	scratch_load_dwordx4 v[40:43], off, off offset:672
	;; [unrolled: 1-line block ×9, first 2 shown]
	ds_read_b128 v[132:135], v2 offset:1584
	s_waitcnt lgkmcnt(2)
	v_accvgpr_write_b32 a135, v19
	v_accvgpr_write_b32 a134, v18
	;; [unrolled: 1-line block ×4, first 2 shown]
	ds_read_b128 v[172:175], v2 offset:1648
	s_waitcnt vmcnt(29)
	v_mul_f64 v[0:1], v[176:177], v[74:75]
	s_waitcnt vmcnt(28)
	v_mul_f64 v[136:137], v[192:193], v[78:79]
	v_fmac_f64_e32 v[0:1], v[178:179], v[72:73]
	s_waitcnt vmcnt(27)
	v_mul_f64 v[138:139], v[188:189], v[82:83]
	v_fmac_f64_e32 v[136:137], v[194:195], v[76:77]
	v_add_f64 v[0:1], v[0:1], 0
	s_waitcnt vmcnt(26)
	v_mul_f64 v[140:141], v[236:237], v[86:87]
	v_fmac_f64_e32 v[138:139], v[190:191], v[80:81]
	v_add_f64 v[0:1], v[0:1], v[136:137]
	;; [unrolled: 4-line block ×14, first 2 shown]
	v_fmac_f64_e32 v[164:165], v[18:19], v[4:5]
	v_add_f64 v[0:1], v[0:1], v[162:163]
	s_waitcnt vmcnt(13) lgkmcnt(2)
	v_mul_f64 v[140:141], v[32:33], v[26:27]
	scratch_load_dwordx4 v[136:139], off, off offset:800
	v_add_f64 v[0:1], v[0:1], v[164:165]
	v_fmac_f64_e32 v[140:141], v[34:35], v[24:25]
	v_add_f64 v[0:1], v[0:1], v[140:141]
	ds_read_b128 v[160:163], v2 offset:1600
	scratch_load_dwordx4 v[140:143], off, off offset:816
	ds_read_b128 v[164:167], v2 offset:1616
	s_waitcnt vmcnt(13)
	v_mov_b64_e32 v[16:17], v[168:169]
	v_mov_b64_e32 v[18:19], v[170:171]
	ds_read_b128 v[168:171], v2 offset:1632
	s_waitcnt lgkmcnt(4)
	v_mul_f64 v[144:145], v[132:133], v[22:23]
	v_fmac_f64_e32 v[144:145], v[134:135], v[20:21]
	s_waitcnt lgkmcnt(2)
	v_mul_f64 v[148:149], v[160:161], v[18:19]
	v_add_f64 v[0:1], v[0:1], v[144:145]
	v_fmac_f64_e32 v[148:149], v[162:163], v[16:17]
	s_waitcnt vmcnt(12) lgkmcnt(1)
	v_mul_f64 v[152:153], v[164:165], v[14:15]
	scratch_load_dwordx4 v[144:147], off, off offset:832
	v_add_f64 v[0:1], v[0:1], v[148:149]
	v_fmac_f64_e32 v[152:153], v[166:167], v[12:13]
	scratch_load_dwordx4 v[148:151], off, off offset:848
	v_add_f64 v[0:1], v[0:1], v[152:153]
	s_waitcnt vmcnt(13) lgkmcnt(0)
	v_mul_f64 v[152:153], v[168:169], v[30:31]
	v_fmac_f64_e32 v[152:153], v[170:171], v[28:29]
	v_add_f64 v[0:1], v[0:1], v[152:153]
	scratch_load_dwordx4 v[152:155], off, off offset:864
	s_waitcnt vmcnt(13)
	v_mul_f64 v[156:157], v[172:173], v[38:39]
	v_fmac_f64_e32 v[156:157], v[174:175], v[36:37]
	v_mul_f64 v[74:75], v[178:179], v[74:75]
	v_add_f64 v[0:1], v[0:1], v[156:157]
	scratch_load_dwordx4 v[156:159], off, off offset:880
	v_fma_f64 v[244:245], v[176:177], v[72:73], -v[74:75]
	v_mul_f64 v[72:73], v[194:195], v[78:79]
	ds_read_b128 v[180:183], v2 offset:1664
	ds_read_b128 v[176:179], v2 offset:1680
	v_fma_f64 v[246:247], v[192:193], v[76:77], -v[72:73]
	scratch_load_dwordx4 v[76:79], off, off offset:896
	scratch_load_dwordx4 v[72:75], off, off offset:912
	v_mul_f64 v[82:83], v[190:191], v[82:83]
	v_fma_f64 v[248:249], v[188:189], v[80:81], -v[82:83]
	v_mul_f64 v[80:81], v[238:239], v[86:87]
	v_fma_f64 v[236:237], v[236:237], v[84:85], -v[80:81]
	scratch_load_dwordx4 v[80:83], off, off offset:928
	ds_read_b128 v[188:191], v2 offset:1696
	v_mul_f64 v[84:85], v[234:235], v[90:91]
	s_waitcnt vmcnt(16) lgkmcnt(2)
	v_mul_f64 v[192:193], v[180:181], v[42:43]
	v_fma_f64 v[238:239], v[232:233], v[88:89], -v[84:85]
	scratch_load_dwordx4 v[84:87], off, off offset:944
	v_fmac_f64_e32 v[192:193], v[182:183], v[40:41]
	v_add_f64 v[0:1], v[0:1], v[192:193]
	s_waitcnt vmcnt(16) lgkmcnt(1)
	v_mul_f64 v[192:193], v[176:177], v[46:47]
	v_fmac_f64_e32 v[192:193], v[178:179], v[44:45]
	v_add_f64 v[0:1], v[0:1], v[192:193]
	ds_read_b128 v[192:195], v2 offset:1712
	s_waitcnt vmcnt(15) lgkmcnt(1)
	v_mul_f64 v[88:89], v[188:189], v[50:51]
	v_fmac_f64_e32 v[88:89], v[190:191], v[48:49]
	v_add_f64 v[0:1], v[0:1], v[88:89]
	v_mul_f64 v[88:89], v[230:231], v[94:95]
	v_fma_f64 v[250:251], v[228:229], v[92:93], -v[88:89]
	scratch_load_dwordx4 v[88:91], off, off offset:960
	scratch_load_dwordx4 v[232:235], off, off offset:1008
	ds_read_b128 v[92:95], v2 offset:1728
	v_mul_f64 v[98:99], v[222:223], v[98:99]
	v_fma_f64 v[252:253], v[220:221], v[96:97], -v[98:99]
	ds_read_b128 v[96:99], v2 offset:1744
	v_mul_f64 v[102:103], v[210:211], v[102:103]
	s_waitcnt vmcnt(16) lgkmcnt(2)
	v_mul_f64 v[228:229], v[192:193], v[54:55]
	v_fma_f64 v[254:255], v[208:209], v[100:101], -v[102:103]
	ds_read_b128 v[100:103], v2 offset:1760
	ds_read_b128 v[208:211], v2 offset:1776
	v_fmac_f64_e32 v[228:229], v[194:195], v[52:53]
	s_waitcnt vmcnt(15) lgkmcnt(3)
	v_mul_f64 v[220:221], v[92:93], v[58:59]
	v_add_f64 v[0:1], v[0:1], v[228:229]
	v_fmac_f64_e32 v[220:221], v[94:95], v[56:57]
	v_mul_f64 v[106:107], v[226:227], v[106:107]
	v_add_f64 v[0:1], v[0:1], v[220:221]
	s_waitcnt vmcnt(14) lgkmcnt(2)
	v_mul_f64 v[220:221], v[96:97], v[62:63]
	v_fma_f64 v[240:241], v[224:225], v[104:105], -v[106:107]
	ds_read_b128 v[104:107], v2 offset:1792
	v_fmac_f64_e32 v[220:221], v[98:99], v[60:61]
	v_mul_f64 v[110:111], v[214:215], v[110:111]
	v_add_f64 v[0:1], v[0:1], v[220:221]
	s_waitcnt vmcnt(13) lgkmcnt(2)
	v_mul_f64 v[220:221], v[100:101], v[70:71]
	v_fma_f64 v[8:9], v[212:213], v[108:109], -v[110:111]
	ds_read_b128 v[108:111], v2 offset:1808
	v_fmac_f64_e32 v[220:221], v[102:103], v[68:69]
	v_accvgpr_write_b32 a131, v7
	v_add_f64 v[0:1], v[0:1], v[220:221]
	s_waitcnt vmcnt(12) lgkmcnt(2)
	v_mul_f64 v[220:221], v[208:209], v[66:67]
	v_accvgpr_write_b32 a130, v6
	v_accvgpr_write_b32 a129, v5
	;; [unrolled: 1-line block ×3, first 2 shown]
	v_fmac_f64_e32 v[220:221], v[210:211], v[64:65]
	s_waitcnt vmcnt(11) lgkmcnt(1)
	v_mul_f64 v[6:7], v[104:105], v[138:139]
	v_add_f64 v[0:1], v[0:1], v[220:221]
	v_fmac_f64_e32 v[6:7], v[106:107], v[136:137]
	v_add_f64 v[0:1], v[0:1], v[6:7]
	s_waitcnt vmcnt(10) lgkmcnt(0)
	v_mul_f64 v[6:7], v[108:109], v[142:143]
	v_fmac_f64_e32 v[6:7], v[110:111], v[140:141]
	ds_read_b128 v[212:215], v2 offset:1824
	v_add_f64 v[0:1], v[0:1], v[6:7]
	v_mul_f64 v[6:7], v[202:203], v[114:115]
	v_fma_f64 v[6:7], v[200:201], v[112:113], -v[6:7]
	ds_read_b128 v[112:115], v2 offset:1840
	v_mul_f64 v[118:119], v[218:219], v[118:119]
	v_fma_f64 v[4:5], v[216:217], v[116:117], -v[118:119]
	ds_read_b128 v[116:119], v2 offset:1856
	s_waitcnt vmcnt(9) lgkmcnt(2)
	v_mul_f64 v[200:201], v[212:213], v[146:147]
	v_fmac_f64_e32 v[200:201], v[214:215], v[144:145]
	s_waitcnt vmcnt(8) lgkmcnt(1)
	v_mul_f64 v[10:11], v[112:113], v[150:151]
	v_add_f64 v[0:1], v[0:1], v[200:201]
	v_fmac_f64_e32 v[10:11], v[114:115], v[148:149]
	v_add_f64 v[0:1], v[0:1], v[10:11]
	ds_read_b128 v[200:203], v2 offset:1872
	s_waitcnt vmcnt(7) lgkmcnt(1)
	v_mul_f64 v[10:11], v[116:117], v[154:155]
	v_fmac_f64_e32 v[10:11], v[118:119], v[152:153]
	v_add_f64 v[10:11], v[0:1], v[10:11]
	v_mul_f64 v[0:1], v[206:207], v[122:123]
	v_fma_f64 v[0:1], v[204:205], v[120:121], -v[0:1]
	ds_read_b128 v[120:123], v2 offset:1888
	v_mul_f64 v[126:127], v[198:199], v[126:127]
	v_fma_f64 v[124:125], v[196:197], v[124:125], -v[126:127]
	s_waitcnt vmcnt(6) lgkmcnt(1)
	v_mul_f64 v[204:205], v[200:201], v[158:159]
	v_accvgpr_write_b32 a137, v125
	v_fmac_f64_e32 v[204:205], v[202:203], v[156:157]
	v_accvgpr_write_b32 a136, v124
	ds_read_b128 v[124:127], v2 offset:1904
	s_waitcnt vmcnt(5) lgkmcnt(1)
	v_mul_f64 v[196:197], v[120:121], v[78:79]
	v_add_f64 v[10:11], v[10:11], v[204:205]
	v_fmac_f64_e32 v[196:197], v[122:123], v[76:77]
	v_add_f64 v[10:11], v[10:11], v[196:197]
	ds_read_b128 v[196:199], v2 offset:1920
	v_mul_f64 v[130:131], v[186:187], v[130:131]
	v_fma_f64 v[242:243], v[184:185], v[128:129], -v[130:131]
	ds_read_b128 v[128:131], v2 offset:1936
	s_waitcnt vmcnt(4) lgkmcnt(2)
	v_mul_f64 v[184:185], v[124:125], v[74:75]
	v_fmac_f64_e32 v[184:185], v[126:127], v[72:73]
	v_add_f64 v[10:11], v[10:11], v[184:185]
	s_waitcnt vmcnt(3) lgkmcnt(1)
	v_mul_f64 v[184:185], v[196:197], v[82:83]
	v_fmac_f64_e32 v[184:185], v[198:199], v[80:81]
	v_add_f64 v[10:11], v[10:11], v[184:185]
	;; [unrolled: 4-line block ×3, first 2 shown]
	ds_read_b128 v[184:187], v2 offset:1952
	ds_read_b128 v[216:219], v2 offset:1968
	ds_read_b128 v[224:227], v2 offset:1984
	s_waitcnt vmcnt(1) lgkmcnt(2)
	v_mul_f64 v[204:205], v[184:185], v[90:91]
	v_fmac_f64_e32 v[204:205], v[186:187], v[88:89]
	v_add_f64 v[10:11], v[10:11], v[204:205]
	scratch_load_dwordx4 v[204:207], off, off offset:976
	s_waitcnt vmcnt(0) lgkmcnt(1)
	v_mul_f64 v[220:221], v[216:217], v[206:207]
	v_fmac_f64_e32 v[220:221], v[218:219], v[204:205]
	v_add_f64 v[10:11], v[10:11], v[220:221]
	scratch_load_dwordx4 v[220:223], off, off offset:992
	s_waitcnt vmcnt(0) lgkmcnt(0)
	v_mul_f64 v[228:229], v[224:225], v[222:223]
	v_fmac_f64_e32 v[228:229], v[226:227], v[220:221]
	v_add_f64 v[10:11], v[10:11], v[228:229]
	ds_read_b128 v[228:231], v2 offset:2000
	s_waitcnt lgkmcnt(0)
	v_mul_f64 v[2:3], v[228:229], v[234:235]
	v_fmac_f64_e32 v[2:3], v[230:231], v[232:233]
	v_add_f64 v[2:3], v[10:11], v[2:3]
	v_add_f64 v[10:11], v[244:245], 0
	;; [unrolled: 1-line block ×6, first 2 shown]
	scratch_load_dwordx4 v[236:239], off, off offset:304
	v_add_f64 v[10:11], v[10:11], v[250:251]
	v_add_f64 v[10:11], v[10:11], v[252:253]
	;; [unrolled: 1-line block ×8, first 2 shown]
	v_accvgpr_read_b32 v0, a136
	v_accvgpr_read_b32 v1, a137
	v_add_f64 v[0:1], v[254:255], v[0:1]
	v_add_f64 v[0:1], v[0:1], v[242:243]
	v_accvgpr_read_b32 v6, a128
	v_accvgpr_read_b32 v243, a135
	;; [unrolled: 1-line block ×8, first 2 shown]
	v_mul_f64 v[4:5], v[242:243], v[8:9]
	v_fma_f64 v[4:5], v[240:241], v[6:7], -v[4:5]
	v_add_f64 v[0:1], v[0:1], v[4:5]
	v_mul_f64 v[4:5], v[34:35], v[26:27]
	v_fma_f64 v[4:5], v[32:33], v[24:25], -v[4:5]
	v_add_f64 v[0:1], v[0:1], v[4:5]
	;; [unrolled: 3-line block ×29, first 2 shown]
	s_waitcnt vmcnt(0)
	v_add_f64 v[4:5], v[236:237], -v[0:1]
	v_accvgpr_read_b32 v0, a126
	v_add_f64 v[6:7], v[238:239], -v[2:3]
	v_cmp_lt_u32_e32 vcc, 17, v0
	scratch_store_dwordx4 off, v[4:7], off offset:304
	s_and_saveexec_b64 s[0:1], vcc
	s_cbranch_execz .LBB62_369
; %bb.368:
	scratch_load_dwordx4 v[2:5], off, s72
	v_mov_b32_e32 v6, 0
	v_mov_b32_e32 v7, v6
	;; [unrolled: 1-line block ×4, first 2 shown]
	v_accvgpr_read_b32 v0, a127
	scratch_store_dwordx4 off, v[6:9], off offset:288
	s_waitcnt vmcnt(1)
	ds_write_b128 v0, v[2:5]
.LBB62_369:
	s_or_b64 exec, exec, s[0:1]
	s_waitcnt lgkmcnt(0)
	; wave barrier
	scratch_load_dwordx4 v[80:83], off, off offset:304
	scratch_load_dwordx4 v[84:87], off, off offset:320
	scratch_load_dwordx4 v[88:91], off, off offset:336
	scratch_load_dwordx4 v[92:95], off, off offset:352
	scratch_load_dwordx4 v[96:99], off, off offset:368
	scratch_load_dwordx4 v[100:103], off, off offset:384
	scratch_load_dwordx4 v[104:107], off, off offset:400
	scratch_load_dwordx4 v[144:147], off, off offset:416
	scratch_load_dwordx4 v[152:155], off, off offset:432
	scratch_load_dwordx4 v[156:159], off, off offset:448
	scratch_load_dwordx4 v[164:167], off, off offset:464
	scratch_load_dwordx4 v[168:171], off, off offset:480
	scratch_load_dwordx4 v[176:179], off, off offset:496
	scratch_load_dwordx4 v[180:183], off, off offset:512
	scratch_load_dwordx4 v[188:191], off, off offset:528
	scratch_load_dwordx4 v[192:195], off, off offset:544
	scratch_load_dwordx4 v[200:203], off, off offset:560
	scratch_load_dwordx4 v[4:7], off, off offset:576
	scratch_load_dwordx4 v[8:11], off, off offset:592
	scratch_load_dwordx4 v[12:15], off, off offset:608
	scratch_load_dwordx4 v[234:237], off, off offset:624
	scratch_load_dwordx4 v[20:23], off, off offset:640
	scratch_load_dwordx4 v[24:27], off, off offset:656
	scratch_load_dwordx4 v[28:31], off, off offset:672
	scratch_load_dwordx4 v[32:35], off, off offset:688
	scratch_load_dwordx4 v[36:39], off, off offset:704
	scratch_load_dwordx4 v[40:43], off, off offset:720
	scratch_load_dwordx4 v[44:47], off, off offset:736
	scratch_load_dwordx4 v[48:51], off, off offset:752
	v_mov_b32_e32 v2, 0
	ds_read_b128 v[132:135], v2 offset:1296
	ds_read_b128 v[136:139], v2 offset:1312
	;; [unrolled: 1-line block ×22, first 2 shown]
	s_waitcnt vmcnt(28) lgkmcnt(14)
	v_mul_f64 v[0:1], v[132:133], v[82:83]
	s_waitcnt vmcnt(27)
	v_mul_f64 v[56:57], v[136:137], v[86:87]
	v_fmac_f64_e32 v[0:1], v[134:135], v[80:81]
	s_waitcnt vmcnt(26)
	v_mul_f64 v[58:59], v[140:141], v[90:91]
	v_fmac_f64_e32 v[56:57], v[138:139], v[84:85]
	v_add_f64 v[0:1], v[0:1], 0
	s_waitcnt vmcnt(25)
	v_mul_f64 v[60:61], v[148:149], v[94:95]
	v_fmac_f64_e32 v[58:59], v[142:143], v[88:89]
	v_add_f64 v[0:1], v[0:1], v[56:57]
	;; [unrolled: 4-line block ×6, first 2 shown]
	s_waitcnt vmcnt(20) lgkmcnt(13)
	v_mul_f64 v[70:71], v[204:205], v[154:155]
	v_fmac_f64_e32 v[68:69], v[198:199], v[144:145]
	v_add_f64 v[0:1], v[0:1], v[66:67]
	s_waitcnt vmcnt(19) lgkmcnt(12)
	v_mul_f64 v[72:73], v[208:209], v[158:159]
	v_fmac_f64_e32 v[70:71], v[206:207], v[152:153]
	v_add_f64 v[0:1], v[0:1], v[68:69]
	;; [unrolled: 4-line block ×8, first 2 shown]
	v_fmac_f64_e32 v[112:113], v[240:241], v[192:193]
	v_add_f64 v[0:1], v[0:1], v[110:111]
	s_waitcnt vmcnt(12) lgkmcnt(5)
	v_mul_f64 v[60:61], v[242:243], v[202:203]
	scratch_load_dwordx4 v[56:59], off, off offset:768
	ds_read_b128 v[108:111], v2 offset:1584
	v_add_f64 v[0:1], v[0:1], v[112:113]
	v_fmac_f64_e32 v[60:61], v[244:245], v[200:201]
	v_add_f64 v[0:1], v[0:1], v[60:61]
	s_waitcnt vmcnt(12) lgkmcnt(5)
	v_mul_f64 v[64:65], v[52:53], v[6:7]
	scratch_load_dwordx4 v[60:63], off, off offset:784
	v_accvgpr_write_b32 a131, v7
	v_fmac_f64_e32 v[64:65], v[54:55], v[4:5]
	v_accvgpr_write_b32 a130, v6
	v_accvgpr_write_b32 a129, v5
	;; [unrolled: 1-line block ×3, first 2 shown]
	ds_read_b128 v[112:115], v2 offset:1600
	s_waitcnt vmcnt(12)
	v_mov_b64_e32 v[4:5], v[8:9]
	v_mov_b64_e32 v[6:7], v[10:11]
	s_waitcnt lgkmcnt(1)
	v_mul_f64 v[68:69], v[108:109], v[6:7]
	v_fmac_f64_e32 v[68:69], v[110:111], v[4:5]
	s_waitcnt vmcnt(11)
	v_mov_b64_e32 v[4:5], v[12:13]
	v_add_f64 v[0:1], v[0:1], v[64:65]
	v_mov_b64_e32 v[6:7], v[14:15]
	scratch_load_dwordx4 v[64:67], off, off offset:800
	v_add_f64 v[0:1], v[0:1], v[68:69]
	s_waitcnt lgkmcnt(0)
	v_mul_f64 v[68:69], v[112:113], v[6:7]
	v_fmac_f64_e32 v[68:69], v[114:115], v[4:5]
	v_add_f64 v[0:1], v[0:1], v[68:69]
	scratch_load_dwordx4 v[68:71], off, off offset:816
	s_waitcnt vmcnt(12)
	v_mul_f64 v[76:77], v[116:117], v[236:237]
	scratch_load_dwordx4 v[72:75], off, off offset:832
	v_fmac_f64_e32 v[76:77], v[118:119], v[234:235]
	v_add_f64 v[0:1], v[0:1], v[76:77]
	s_waitcnt vmcnt(12)
	v_mul_f64 v[76:77], v[120:121], v[22:23]
	v_fmac_f64_e32 v[76:77], v[122:123], v[20:21]
	v_add_f64 v[0:1], v[0:1], v[76:77]
	scratch_load_dwordx4 v[76:79], off, off offset:848
	v_mul_f64 v[82:83], v[134:135], v[82:83]
	v_fma_f64 v[246:247], v[132:133], v[80:81], -v[82:83]
	scratch_load_dwordx4 v[80:83], off, off offset:864
	v_mul_f64 v[86:87], v[138:139], v[86:87]
	v_fma_f64 v[248:249], v[136:137], v[84:85], -v[86:87]
	scratch_load_dwordx4 v[84:87], off, off offset:880
	v_mul_f64 v[90:91], v[142:143], v[90:91]
	s_waitcnt vmcnt(14)
	v_mul_f64 v[132:133], v[124:125], v[26:27]
	v_fma_f64 v[250:251], v[140:141], v[88:89], -v[90:91]
	scratch_load_dwordx4 v[88:91], off, off offset:896
	v_fmac_f64_e32 v[132:133], v[126:127], v[24:25]
	s_waitcnt vmcnt(14)
	v_mul_f64 v[136:137], v[128:129], v[30:31]
	v_mul_f64 v[94:95], v[150:151], v[94:95]
	v_add_f64 v[0:1], v[0:1], v[132:133]
	v_fmac_f64_e32 v[136:137], v[130:131], v[28:29]
	v_fma_f64 v[252:253], v[148:149], v[92:93], -v[94:95]
	v_mul_f64 v[92:93], v[162:163], v[98:99]
	ds_read_b128 v[132:135], v2 offset:1680
	v_add_f64 v[0:1], v[0:1], v[136:137]
	ds_read_b128 v[136:139], v2 offset:1696
	v_fma_f64 v[254:255], v[160:161], v[96:97], -v[92:93]
	scratch_load_dwordx4 v[96:99], off, off offset:912
	scratch_load_dwordx4 v[92:95], off, off offset:928
	v_mul_f64 v[102:103], v[174:175], v[102:103]
	v_fma_f64 v[232:233], v[172:173], v[100:101], -v[102:103]
	scratch_load_dwordx4 v[100:103], off, off offset:944
	v_mul_f64 v[106:107], v[186:187], v[106:107]
	v_fma_f64 v[16:17], v[184:185], v[104:105], -v[106:107]
	scratch_load_dwordx4 v[104:107], off, off offset:960
	s_waitcnt vmcnt(17) lgkmcnt(1)
	v_mul_f64 v[140:141], v[132:133], v[34:35]
	v_fmac_f64_e32 v[140:141], v[134:135], v[32:33]
	v_add_f64 v[0:1], v[0:1], v[140:141]
	ds_read_b128 v[140:143], v2 offset:1712
	v_accvgpr_write_b32 a139, v15
	v_mul_f64 v[6:7], v[198:199], v[146:147]
	v_accvgpr_write_b32 a138, v14
	v_accvgpr_write_b32 a137, v13
	v_accvgpr_write_b32 a136, v12
	v_fma_f64 v[12:13], v[196:197], v[144:145], -v[6:7]
	ds_read_b128 v[144:147], v2 offset:1728
	s_waitcnt vmcnt(16) lgkmcnt(2)
	v_mul_f64 v[148:149], v[136:137], v[38:39]
	v_fmac_f64_e32 v[148:149], v[138:139], v[36:37]
	v_add_f64 v[0:1], v[0:1], v[148:149]
	s_waitcnt vmcnt(15) lgkmcnt(1)
	v_mul_f64 v[6:7], v[140:141], v[42:43]
	ds_read_b128 v[148:151], v2 offset:1744
	v_fmac_f64_e32 v[6:7], v[142:143], v[40:41]
	v_add_f64 v[0:1], v[0:1], v[6:7]
	s_waitcnt vmcnt(14) lgkmcnt(1)
	v_mul_f64 v[6:7], v[144:145], v[46:47]
	v_fmac_f64_e32 v[6:7], v[146:147], v[44:45]
	v_accvgpr_write_b32 a135, v11
	v_add_f64 v[0:1], v[0:1], v[6:7]
	v_mul_f64 v[6:7], v[206:207], v[154:155]
	v_accvgpr_write_b32 a134, v10
	v_accvgpr_write_b32 a133, v9
	;; [unrolled: 1-line block ×3, first 2 shown]
	v_fma_f64 v[10:11], v[204:205], v[152:153], -v[6:7]
	ds_read_b128 v[152:155], v2 offset:1760
	s_waitcnt vmcnt(13) lgkmcnt(1)
	v_mul_f64 v[6:7], v[148:149], v[50:51]
	v_fmac_f64_e32 v[6:7], v[150:151], v[48:49]
	v_add_f64 v[0:1], v[0:1], v[6:7]
	v_mul_f64 v[6:7], v[210:211], v[158:159]
	v_fma_f64 v[8:9], v[208:209], v[156:157], -v[6:7]
	ds_read_b128 v[156:159], v2 offset:1776
	ds_read_b128 v[160:163], v2 offset:1792
	s_waitcnt vmcnt(12) lgkmcnt(2)
	v_mul_f64 v[6:7], v[152:153], v[58:59]
	v_fmac_f64_e32 v[6:7], v[154:155], v[56:57]
	v_add_f64 v[0:1], v[0:1], v[6:7]
	s_waitcnt vmcnt(11) lgkmcnt(1)
	v_mul_f64 v[6:7], v[156:157], v[62:63]
	v_fmac_f64_e32 v[6:7], v[158:159], v[60:61]
	v_add_f64 v[0:1], v[0:1], v[6:7]
	v_mul_f64 v[6:7], v[214:215], v[166:167]
	v_fma_f64 v[14:15], v[212:213], v[164:165], -v[6:7]
	ds_read_b128 v[164:167], v2 offset:1808
	v_mul_f64 v[170:171], v[218:219], v[170:171]
	v_fma_f64 v[4:5], v[216:217], v[168:169], -v[170:171]
	ds_read_b128 v[168:171], v2 offset:1824
	s_waitcnt vmcnt(10) lgkmcnt(2)
	v_mul_f64 v[6:7], v[160:161], v[66:67]
	v_fmac_f64_e32 v[6:7], v[162:163], v[64:65]
	v_add_f64 v[0:1], v[0:1], v[6:7]
	s_waitcnt vmcnt(9) lgkmcnt(1)
	v_mul_f64 v[6:7], v[164:165], v[70:71]
	ds_read_b128 v[172:175], v2 offset:1840
	v_fmac_f64_e32 v[6:7], v[166:167], v[68:69]
	v_add_f64 v[0:1], v[0:1], v[6:7]
	s_waitcnt vmcnt(8) lgkmcnt(1)
	v_mul_f64 v[6:7], v[168:169], v[74:75]
	v_fmac_f64_e32 v[6:7], v[170:171], v[72:73]
	v_add_f64 v[0:1], v[0:1], v[6:7]
	v_mul_f64 v[6:7], v[222:223], v[178:179]
	v_fma_f64 v[18:19], v[220:221], v[176:177], -v[6:7]
	ds_read_b128 v[176:179], v2 offset:1856
	s_waitcnt vmcnt(7) lgkmcnt(1)
	v_mul_f64 v[6:7], v[172:173], v[78:79]
	v_fmac_f64_e32 v[6:7], v[174:175], v[76:77]
	v_add_f64 v[0:1], v[0:1], v[6:7]
	v_mul_f64 v[6:7], v[226:227], v[182:183]
	v_fma_f64 v[6:7], v[224:225], v[180:181], -v[6:7]
	ds_read_b128 v[180:183], v2 offset:1872
	s_waitcnt vmcnt(6) lgkmcnt(1)
	v_mul_f64 v[184:185], v[176:177], v[82:83]
	v_fmac_f64_e32 v[184:185], v[178:179], v[80:81]
	v_add_f64 v[0:1], v[0:1], v[184:185]
	ds_read_b128 v[184:187], v2 offset:1888
	s_waitcnt vmcnt(5) lgkmcnt(1)
	v_mul_f64 v[196:197], v[180:181], v[86:87]
	v_fmac_f64_e32 v[196:197], v[182:183], v[84:85]
	v_add_f64 v[196:197], v[0:1], v[196:197]
	v_mul_f64 v[0:1], v[230:231], v[190:191]
	v_fma_f64 v[0:1], v[228:229], v[188:189], -v[0:1]
	ds_read_b128 v[188:191], v2 offset:1904
	s_waitcnt vmcnt(4) lgkmcnt(1)
	v_mul_f64 v[198:199], v[184:185], v[90:91]
	v_fmac_f64_e32 v[198:199], v[186:187], v[88:89]
	v_mul_f64 v[194:195], v[240:241], v[194:195]
	v_fma_f64 v[238:239], v[238:239], v[192:193], -v[194:195]
	ds_read_b128 v[192:195], v2 offset:1920
	v_add_f64 v[196:197], v[196:197], v[198:199]
	s_waitcnt vmcnt(3) lgkmcnt(1)
	v_mul_f64 v[198:199], v[188:189], v[98:99]
	v_fmac_f64_e32 v[198:199], v[190:191], v[96:97]
	v_add_f64 v[204:205], v[196:197], v[198:199]
	ds_read_b128 v[196:199], v2 offset:1936
	v_mul_f64 v[202:203], v[244:245], v[202:203]
	v_fma_f64 v[240:241], v[242:243], v[200:201], -v[202:203]
	ds_read_b128 v[200:203], v2 offset:1952
	s_waitcnt vmcnt(2) lgkmcnt(2)
	v_mul_f64 v[206:207], v[192:193], v[94:95]
	v_fmac_f64_e32 v[206:207], v[194:195], v[92:93]
	v_add_f64 v[204:205], v[204:205], v[206:207]
	s_waitcnt vmcnt(1) lgkmcnt(1)
	v_mul_f64 v[206:207], v[196:197], v[102:103]
	v_fmac_f64_e32 v[206:207], v[198:199], v[100:101]
	v_add_f64 v[204:205], v[204:205], v[206:207]
	;; [unrolled: 4-line block ×3, first 2 shown]
	scratch_load_dwordx4 v[204:207], off, off offset:976
	ds_read_b128 v[208:211], v2 offset:1968
	ds_read_b128 v[216:219], v2 offset:1984
	;; [unrolled: 1-line block ×3, first 2 shown]
	s_waitcnt vmcnt(0) lgkmcnt(2)
	v_mul_f64 v[214:215], v[208:209], v[206:207]
	v_fmac_f64_e32 v[214:215], v[210:211], v[204:205]
	v_add_f64 v[220:221], v[212:213], v[214:215]
	scratch_load_dwordx4 v[212:215], off, off offset:992
	s_waitcnt vmcnt(0) lgkmcnt(1)
	v_mul_f64 v[222:223], v[216:217], v[214:215]
	v_fmac_f64_e32 v[222:223], v[218:219], v[212:213]
	v_add_f64 v[228:229], v[220:221], v[222:223]
	scratch_load_dwordx4 v[220:223], off, off offset:1008
	s_waitcnt vmcnt(0) lgkmcnt(0)
	v_mul_f64 v[230:231], v[224:225], v[222:223]
	v_fmac_f64_e32 v[230:231], v[226:227], v[220:221]
	v_add_f64 v[244:245], v[228:229], v[230:231]
	v_add_f64 v[228:229], v[246:247], 0
	;; [unrolled: 1-line block ×8, first 2 shown]
	scratch_load_dwordx4 v[228:231], off, off offset:288
	v_add_f64 v[12:13], v[16:17], v[12:13]
	v_add_f64 v[10:11], v[12:13], v[10:11]
	;; [unrolled: 1-line block ×7, first 2 shown]
	v_accvgpr_read_b32 v6, a128
	v_accvgpr_read_b32 v8, a130
	v_accvgpr_read_b32 v9, a131
	v_add_f64 v[0:1], v[4:5], v[0:1]
	v_accvgpr_read_b32 v7, a129
	v_mul_f64 v[4:5], v[54:55], v[8:9]
	v_add_f64 v[0:1], v[0:1], v[238:239]
	v_fma_f64 v[4:5], v[52:53], v[6:7], -v[4:5]
	v_accvgpr_read_b32 v6, a132
	v_add_f64 v[0:1], v[0:1], v[240:241]
	v_accvgpr_read_b32 v8, a134
	v_accvgpr_read_b32 v9, a135
	v_add_f64 v[0:1], v[0:1], v[4:5]
	v_accvgpr_read_b32 v7, a133
	v_mul_f64 v[4:5], v[110:111], v[8:9]
	v_fma_f64 v[4:5], v[108:109], v[6:7], -v[4:5]
	v_accvgpr_read_b32 v6, a136
	v_accvgpr_read_b32 v8, a138
	;; [unrolled: 1-line block ×3, first 2 shown]
	v_add_f64 v[0:1], v[0:1], v[4:5]
	v_accvgpr_read_b32 v7, a137
	v_mul_f64 v[4:5], v[114:115], v[8:9]
	v_fma_f64 v[4:5], v[112:113], v[6:7], -v[4:5]
	v_add_f64 v[0:1], v[0:1], v[4:5]
	v_mul_f64 v[4:5], v[118:119], v[236:237]
	v_fma_f64 v[4:5], v[116:117], v[234:235], -v[4:5]
	v_add_f64 v[0:1], v[0:1], v[4:5]
	;; [unrolled: 3-line block ×26, first 2 shown]
	s_waitcnt vmcnt(0)
	v_add_f64 v[4:5], v[228:229], -v[0:1]
	v_accvgpr_read_b32 v0, a126
	v_add_f64 v[6:7], v[230:231], -v[244:245]
	v_cmp_lt_u32_e32 vcc, 16, v0
	scratch_store_dwordx4 off, v[4:7], off offset:288
	s_and_saveexec_b64 s[0:1], vcc
	s_cbranch_execz .LBB62_371
; %bb.370:
	scratch_load_dwordx4 v[6:9], off, s71
	v_mov_b32_e32 v3, v2
	v_mov_b32_e32 v4, v2
	;; [unrolled: 1-line block ×3, first 2 shown]
	v_accvgpr_read_b32 v0, a127
	scratch_store_dwordx4 off, v[2:5], off offset:272
	s_waitcnt vmcnt(1)
	ds_write_b128 v0, v[6:9]
.LBB62_371:
	s_or_b64 exec, exec, s[0:1]
	s_waitcnt lgkmcnt(0)
	; wave barrier
	scratch_load_dwordx4 v[80:83], off, off offset:288
	scratch_load_dwordx4 v[84:87], off, off offset:304
	scratch_load_dwordx4 v[88:91], off, off offset:320
	scratch_load_dwordx4 v[92:95], off, off offset:336
	scratch_load_dwordx4 v[96:99], off, off offset:352
	scratch_load_dwordx4 v[100:103], off, off offset:368
	scratch_load_dwordx4 v[104:107], off, off offset:384
	scratch_load_dwordx4 v[144:147], off, off offset:400
	scratch_load_dwordx4 v[152:155], off, off offset:416
	scratch_load_dwordx4 v[156:159], off, off offset:432
	scratch_load_dwordx4 v[164:167], off, off offset:448
	scratch_load_dwordx4 v[168:171], off, off offset:464
	scratch_load_dwordx4 v[176:179], off, off offset:480
	scratch_load_dwordx4 v[180:183], off, off offset:496
	scratch_load_dwordx4 v[188:191], off, off offset:512
	scratch_load_dwordx4 v[192:195], off, off offset:528
	scratch_load_dwordx4 v[200:203], off, off offset:544
	ds_read_b128 v[136:139], v2 offset:1280
	ds_read_b128 v[132:135], v2 offset:1296
	scratch_load_dwordx4 v[4:7], off, off offset:560
	ds_read_b128 v[236:239], v2 offset:1312
	ds_read_b128 v[228:231], v2 offset:1328
	;; [unrolled: 1-line block ×5, first 2 shown]
	scratch_load_dwordx4 v[8:11], off, off offset:576
	ds_read_b128 v[232:235], v2 offset:1392
	ds_read_b128 v[216:219], v2 offset:1408
	;; [unrolled: 1-line block ×3, first 2 shown]
	scratch_load_dwordx4 v[12:15], off, off offset:592
	ds_read_b128 v[220:223], v2 offset:1440
	ds_read_b128 v[172:175], v2 offset:1456
	;; [unrolled: 1-line block ×5, first 2 shown]
	scratch_load_dwordx4 v[16:19], off, off offset:608
	ds_read_b128 v[208:211], v2 offset:1520
	ds_read_b128 v[204:207], v2 offset:1536
	;; [unrolled: 1-line block ×3, first 2 shown]
	scratch_load_dwordx4 v[24:27], off, off offset:624
	scratch_load_dwordx4 v[28:31], off, off offset:640
	;; [unrolled: 1-line block ×8, first 2 shown]
	ds_read_b128 v[116:119], v2 offset:1600
	ds_read_b128 v[120:123], v2 offset:1616
	;; [unrolled: 1-line block ×4, first 2 shown]
	s_waitcnt vmcnt(28) lgkmcnt(14)
	v_mul_f64 v[0:1], v[136:137], v[82:83]
	s_waitcnt vmcnt(27)
	v_mul_f64 v[56:57], v[132:133], v[86:87]
	v_fmac_f64_e32 v[0:1], v[138:139], v[80:81]
	s_waitcnt vmcnt(26)
	v_mul_f64 v[58:59], v[236:237], v[90:91]
	v_fmac_f64_e32 v[56:57], v[134:135], v[84:85]
	v_add_f64 v[0:1], v[0:1], 0
	s_waitcnt vmcnt(25)
	v_mul_f64 v[60:61], v[228:229], v[94:95]
	v_fmac_f64_e32 v[58:59], v[238:239], v[88:89]
	v_add_f64 v[0:1], v[0:1], v[56:57]
	;; [unrolled: 4-line block ×6, first 2 shown]
	s_waitcnt vmcnt(20) lgkmcnt(13)
	v_mul_f64 v[70:71], v[216:217], v[154:155]
	v_fmac_f64_e32 v[68:69], v[234:235], v[144:145]
	v_add_f64 v[0:1], v[0:1], v[66:67]
	s_waitcnt vmcnt(19) lgkmcnt(12)
	v_mul_f64 v[72:73], v[160:161], v[158:159]
	v_fmac_f64_e32 v[70:71], v[218:219], v[152:153]
	v_add_f64 v[0:1], v[0:1], v[68:69]
	;; [unrolled: 4-line block ×7, first 2 shown]
	v_fmac_f64_e32 v[110:111], v[198:199], v[188:189]
	v_add_f64 v[0:1], v[0:1], v[108:109]
	s_waitcnt vmcnt(13) lgkmcnt(6)
	v_mul_f64 v[112:113], v[208:209], v[194:195]
	v_add_f64 v[0:1], v[0:1], v[110:111]
	scratch_load_dwordx4 v[56:59], off, off offset:752
	scratch_load_dwordx4 v[60:63], off, off offset:768
	ds_read_b128 v[108:111], v2 offset:1568
	s_waitcnt vmcnt(14) lgkmcnt(6)
	v_mul_f64 v[114:115], v[204:205], v[202:203]
	v_fmac_f64_e32 v[112:113], v[210:211], v[192:193]
	v_add_f64 v[0:1], v[0:1], v[112:113]
	v_fmac_f64_e32 v[114:115], v[206:207], v[200:201]
	s_waitcnt vmcnt(13) lgkmcnt(5)
	v_mul_f64 v[64:65], v[20:21], v[6:7]
	v_accvgpr_write_b32 a131, v7
	v_add_f64 v[0:1], v[0:1], v[114:115]
	v_fmac_f64_e32 v[64:65], v[22:23], v[4:5]
	v_accvgpr_write_b32 a130, v6
	v_accvgpr_write_b32 a129, v5
	;; [unrolled: 1-line block ×3, first 2 shown]
	ds_read_b128 v[112:115], v2 offset:1584
	s_waitcnt vmcnt(12)
	v_mov_b64_e32 v[4:5], v[8:9]
	v_mov_b64_e32 v[6:7], v[10:11]
	s_waitcnt lgkmcnt(1)
	v_mul_f64 v[68:69], v[108:109], v[6:7]
	v_fmac_f64_e32 v[68:69], v[110:111], v[4:5]
	s_waitcnt vmcnt(11)
	v_mov_b64_e32 v[4:5], v[12:13]
	v_add_f64 v[0:1], v[0:1], v[64:65]
	v_mov_b64_e32 v[6:7], v[14:15]
	v_add_f64 v[0:1], v[0:1], v[68:69]
	s_waitcnt lgkmcnt(0)
	v_mul_f64 v[68:69], v[112:113], v[6:7]
	scratch_load_dwordx4 v[64:67], off, off offset:784
	v_fmac_f64_e32 v[68:69], v[114:115], v[4:5]
	v_add_f64 v[0:1], v[0:1], v[68:69]
	scratch_load_dwordx4 v[68:71], off, off offset:800
	scratch_load_dwordx4 v[72:75], off, off offset:816
	s_waitcnt vmcnt(13)
	v_mul_f64 v[76:77], v[116:117], v[18:19]
	v_fmac_f64_e32 v[76:77], v[118:119], v[16:17]
	v_add_f64 v[0:1], v[0:1], v[76:77]
	s_waitcnt vmcnt(12)
	v_mul_f64 v[76:77], v[120:121], v[26:27]
	v_fmac_f64_e32 v[76:77], v[122:123], v[24:25]
	v_add_f64 v[0:1], v[0:1], v[76:77]
	scratch_load_dwordx4 v[76:79], off, off offset:832
	v_mul_f64 v[82:83], v[138:139], v[82:83]
	v_fma_f64 v[244:245], v[136:137], v[80:81], -v[82:83]
	scratch_load_dwordx4 v[80:83], off, off offset:848
	v_mul_f64 v[86:87], v[134:135], v[86:87]
	v_fma_f64 v[246:247], v[132:133], v[84:85], -v[86:87]
	scratch_load_dwordx4 v[84:87], off, off offset:864
	s_waitcnt vmcnt(14)
	v_mul_f64 v[136:137], v[124:125], v[30:31]
	v_mul_f64 v[90:91], v[238:239], v[90:91]
	v_fmac_f64_e32 v[136:137], v[126:127], v[28:29]
	v_fma_f64 v[236:237], v[236:237], v[88:89], -v[90:91]
	scratch_load_dwordx4 v[88:91], off, off offset:880
	v_add_f64 v[0:1], v[0:1], v[136:137]
	s_waitcnt vmcnt(14)
	v_mul_f64 v[136:137], v[128:129], v[34:35]
	v_mul_f64 v[94:95], v[230:231], v[94:95]
	v_fmac_f64_e32 v[136:137], v[130:131], v[32:33]
	v_fma_f64 v[238:239], v[228:229], v[92:93], -v[94:95]
	v_mul_f64 v[92:93], v[226:227], v[98:99]
	ds_read_b128 v[132:135], v2 offset:1664
	v_add_f64 v[0:1], v[0:1], v[136:137]
	ds_read_b128 v[136:139], v2 offset:1680
	v_fma_f64 v[248:249], v[224:225], v[96:97], -v[92:93]
	scratch_load_dwordx4 v[96:99], off, off offset:896
	scratch_load_dwordx4 v[92:95], off, off offset:912
	v_mul_f64 v[102:103], v[150:151], v[102:103]
	v_fma_f64 v[250:251], v[148:149], v[100:101], -v[102:103]
	scratch_load_dwordx4 v[100:103], off, off offset:928
	v_mul_f64 v[106:107], v[142:143], v[106:107]
	v_fma_f64 v[252:253], v[140:141], v[104:105], -v[106:107]
	v_mul_f64 v[104:105], v[234:235], v[146:147]
	v_fma_f64 v[254:255], v[232:233], v[144:145], -v[104:105]
	scratch_load_dwordx4 v[104:107], off, off offset:944
	ds_read_b128 v[140:143], v2 offset:1696
	ds_read_b128 v[144:147], v2 offset:1712
	s_waitcnt vmcnt(17) lgkmcnt(3)
	v_mul_f64 v[228:229], v[132:133], v[38:39]
	v_fmac_f64_e32 v[228:229], v[134:135], v[36:37]
	s_waitcnt vmcnt(16) lgkmcnt(2)
	v_mul_f64 v[224:225], v[136:137], v[42:43]
	v_add_f64 v[0:1], v[0:1], v[228:229]
	v_fmac_f64_e32 v[224:225], v[138:139], v[40:41]
	s_waitcnt vmcnt(15) lgkmcnt(1)
	v_mul_f64 v[148:149], v[140:141], v[46:47]
	v_add_f64 v[0:1], v[0:1], v[224:225]
	v_fmac_f64_e32 v[148:149], v[142:143], v[44:45]
	v_add_f64 v[0:1], v[0:1], v[148:149]
	ds_read_b128 v[148:151], v2 offset:1728
	v_mul_f64 v[154:155], v[218:219], v[154:155]
	v_fma_f64 v[240:241], v[216:217], v[152:153], -v[154:155]
	ds_read_b128 v[152:155], v2 offset:1744
	v_accvgpr_write_b32 a139, v15
	v_mul_f64 v[158:159], v[162:163], v[158:159]
	v_accvgpr_write_b32 a138, v14
	v_accvgpr_write_b32 a137, v13
	;; [unrolled: 1-line block ×3, first 2 shown]
	v_fma_f64 v[12:13], v[160:161], v[156:157], -v[158:159]
	ds_read_b128 v[156:159], v2 offset:1760
	ds_read_b128 v[160:163], v2 offset:1776
	s_waitcnt vmcnt(14) lgkmcnt(4)
	v_mul_f64 v[224:225], v[144:145], v[50:51]
	v_fmac_f64_e32 v[224:225], v[146:147], v[48:49]
	s_waitcnt vmcnt(13) lgkmcnt(3)
	v_mul_f64 v[216:217], v[148:149], v[54:55]
	v_add_f64 v[0:1], v[0:1], v[224:225]
	v_fmac_f64_e32 v[216:217], v[150:151], v[52:53]
	s_waitcnt vmcnt(12) lgkmcnt(2)
	v_mul_f64 v[6:7], v[152:153], v[58:59]
	v_add_f64 v[0:1], v[0:1], v[216:217]
	v_fmac_f64_e32 v[6:7], v[154:155], v[56:57]
	v_add_f64 v[0:1], v[0:1], v[6:7]
	s_waitcnt vmcnt(11) lgkmcnt(1)
	v_mul_f64 v[6:7], v[156:157], v[62:63]
	v_fmac_f64_e32 v[6:7], v[158:159], v[60:61]
	v_accvgpr_write_b32 a135, v11
	v_add_f64 v[0:1], v[0:1], v[6:7]
	v_mul_f64 v[6:7], v[222:223], v[166:167]
	v_accvgpr_write_b32 a134, v10
	v_accvgpr_write_b32 a133, v9
	;; [unrolled: 1-line block ×3, first 2 shown]
	v_fma_f64 v[8:9], v[220:221], v[164:165], -v[6:7]
	ds_read_b128 v[164:167], v2 offset:1792
	v_mul_f64 v[170:171], v[174:175], v[170:171]
	v_fma_f64 v[6:7], v[172:173], v[168:169], -v[170:171]
	ds_read_b128 v[168:171], v2 offset:1808
	s_waitcnt vmcnt(10) lgkmcnt(2)
	v_mul_f64 v[216:217], v[160:161], v[66:67]
	v_fmac_f64_e32 v[216:217], v[162:163], v[64:65]
	s_waitcnt vmcnt(9) lgkmcnt(1)
	v_mul_f64 v[10:11], v[164:165], v[70:71]
	v_add_f64 v[0:1], v[0:1], v[216:217]
	v_fmac_f64_e32 v[10:11], v[166:167], v[68:69]
	v_add_f64 v[0:1], v[0:1], v[10:11]
	s_waitcnt vmcnt(8) lgkmcnt(0)
	v_mul_f64 v[10:11], v[168:169], v[74:75]
	v_fmac_f64_e32 v[10:11], v[170:171], v[72:73]
	ds_read_b128 v[172:175], v2 offset:1824
	v_add_f64 v[0:1], v[0:1], v[10:11]
	v_mul_f64 v[10:11], v[214:215], v[178:179]
	v_fma_f64 v[10:11], v[212:213], v[176:177], -v[10:11]
	ds_read_b128 v[176:179], v2 offset:1840
	v_mul_f64 v[182:183], v[186:187], v[182:183]
	v_fma_f64 v[4:5], v[184:185], v[180:181], -v[182:183]
	ds_read_b128 v[180:183], v2 offset:1856
	ds_read_b128 v[184:187], v2 offset:1872
	s_waitcnt vmcnt(7) lgkmcnt(3)
	v_mul_f64 v[212:213], v[172:173], v[78:79]
	v_fmac_f64_e32 v[212:213], v[174:175], v[76:77]
	s_waitcnt vmcnt(6) lgkmcnt(2)
	v_mul_f64 v[14:15], v[176:177], v[82:83]
	v_add_f64 v[0:1], v[0:1], v[212:213]
	v_fmac_f64_e32 v[14:15], v[178:179], v[80:81]
	v_add_f64 v[0:1], v[0:1], v[14:15]
	s_waitcnt vmcnt(5) lgkmcnt(1)
	v_mul_f64 v[14:15], v[180:181], v[86:87]
	v_fmac_f64_e32 v[14:15], v[182:183], v[84:85]
	v_add_f64 v[14:15], v[0:1], v[14:15]
	v_mul_f64 v[0:1], v[198:199], v[190:191]
	v_fma_f64 v[0:1], v[196:197], v[188:189], -v[0:1]
	ds_read_b128 v[188:191], v2 offset:1888
	v_mul_f64 v[194:195], v[210:211], v[194:195]
	s_waitcnt vmcnt(4) lgkmcnt(1)
	v_mul_f64 v[196:197], v[184:185], v[90:91]
	v_fma_f64 v[192:193], v[208:209], v[192:193], -v[194:195]
	v_fmac_f64_e32 v[196:197], v[186:187], v[88:89]
	v_accvgpr_write_b32 a140, v192
	v_accvgpr_write_b32 a141, v193
	ds_read_b128 v[192:195], v2 offset:1904
	v_add_f64 v[14:15], v[14:15], v[196:197]
	s_waitcnt vmcnt(3) lgkmcnt(1)
	v_mul_f64 v[196:197], v[188:189], v[98:99]
	v_fmac_f64_e32 v[196:197], v[190:191], v[96:97]
	v_add_f64 v[14:15], v[14:15], v[196:197]
	ds_read_b128 v[196:199], v2 offset:1920
	v_mul_f64 v[202:203], v[206:207], v[202:203]
	v_fma_f64 v[242:243], v[204:205], v[200:201], -v[202:203]
	ds_read_b128 v[200:203], v2 offset:1936
	s_waitcnt vmcnt(2) lgkmcnt(2)
	v_mul_f64 v[204:205], v[192:193], v[94:95]
	v_fmac_f64_e32 v[204:205], v[194:195], v[92:93]
	v_add_f64 v[14:15], v[14:15], v[204:205]
	s_waitcnt vmcnt(1) lgkmcnt(1)
	v_mul_f64 v[204:205], v[196:197], v[102:103]
	v_fmac_f64_e32 v[204:205], v[198:199], v[100:101]
	v_add_f64 v[14:15], v[14:15], v[204:205]
	;; [unrolled: 4-line block ×3, first 2 shown]
	scratch_load_dwordx4 v[204:207], off, off offset:960
	scratch_load_dwordx4 v[232:235], off, off offset:1008
	ds_read_b128 v[208:211], v2 offset:1952
	ds_read_b128 v[216:219], v2 offset:1968
	;; [unrolled: 1-line block ×3, first 2 shown]
	s_waitcnt vmcnt(1) lgkmcnt(2)
	v_mul_f64 v[212:213], v[208:209], v[206:207]
	v_fmac_f64_e32 v[212:213], v[210:211], v[204:205]
	v_add_f64 v[14:15], v[14:15], v[212:213]
	scratch_load_dwordx4 v[212:215], off, off offset:976
	s_waitcnt vmcnt(0) lgkmcnt(1)
	v_mul_f64 v[220:221], v[216:217], v[214:215]
	v_fmac_f64_e32 v[220:221], v[218:219], v[212:213]
	v_add_f64 v[14:15], v[14:15], v[220:221]
	scratch_load_dwordx4 v[220:223], off, off offset:992
	s_waitcnt vmcnt(0) lgkmcnt(0)
	v_mul_f64 v[228:229], v[224:225], v[222:223]
	v_fmac_f64_e32 v[228:229], v[226:227], v[220:221]
	v_add_f64 v[14:15], v[14:15], v[228:229]
	ds_read_b128 v[228:231], v2 offset:2000
	s_waitcnt lgkmcnt(0)
	v_mul_f64 v[2:3], v[228:229], v[234:235]
	v_fmac_f64_e32 v[2:3], v[230:231], v[232:233]
	v_add_f64 v[2:3], v[14:15], v[2:3]
	v_add_f64 v[14:15], v[244:245], 0
	;; [unrolled: 1-line block ×5, first 2 shown]
	scratch_load_dwordx4 v[236:239], off, off offset:272
	v_add_f64 v[14:15], v[14:15], v[248:249]
	v_add_f64 v[14:15], v[14:15], v[250:251]
	;; [unrolled: 1-line block ×10, first 2 shown]
	v_accvgpr_read_b32 v6, a128
	v_add_f64 v[254:255], v[4:5], v[0:1]
	v_accvgpr_read_b32 v0, a140
	v_accvgpr_read_b32 v8, a130
	;; [unrolled: 1-line block ×5, first 2 shown]
	v_mul_f64 v[4:5], v[22:23], v[8:9]
	v_add_f64 v[0:1], v[254:255], v[0:1]
	v_fma_f64 v[4:5], v[20:21], v[6:7], -v[4:5]
	v_accvgpr_read_b32 v6, a132
	v_add_f64 v[0:1], v[0:1], v[242:243]
	v_accvgpr_read_b32 v8, a134
	v_accvgpr_read_b32 v9, a135
	v_add_f64 v[0:1], v[0:1], v[4:5]
	v_accvgpr_read_b32 v7, a133
	v_mul_f64 v[4:5], v[110:111], v[8:9]
	v_fma_f64 v[4:5], v[108:109], v[6:7], -v[4:5]
	v_accvgpr_read_b32 v6, a136
	v_accvgpr_read_b32 v8, a138
	;; [unrolled: 1-line block ×3, first 2 shown]
	v_add_f64 v[0:1], v[0:1], v[4:5]
	v_accvgpr_read_b32 v7, a137
	v_mul_f64 v[4:5], v[114:115], v[8:9]
	v_fma_f64 v[4:5], v[112:113], v[6:7], -v[4:5]
	v_add_f64 v[0:1], v[0:1], v[4:5]
	v_mul_f64 v[4:5], v[118:119], v[18:19]
	v_fma_f64 v[4:5], v[116:117], v[16:17], -v[4:5]
	v_add_f64 v[0:1], v[0:1], v[4:5]
	;; [unrolled: 3-line block ×27, first 2 shown]
	s_waitcnt vmcnt(0)
	v_add_f64 v[4:5], v[236:237], -v[0:1]
	v_accvgpr_read_b32 v0, a126
	v_add_f64 v[6:7], v[238:239], -v[2:3]
	v_cmp_lt_u32_e32 vcc, 15, v0
	scratch_store_dwordx4 off, v[4:7], off offset:272
	s_and_saveexec_b64 s[0:1], vcc
	s_cbranch_execz .LBB62_373
; %bb.372:
	scratch_load_dwordx4 v[2:5], off, s70
	v_mov_b32_e32 v6, 0
	v_mov_b32_e32 v7, v6
	v_mov_b32_e32 v8, v6
	v_mov_b32_e32 v9, v6
	v_accvgpr_read_b32 v0, a127
	scratch_store_dwordx4 off, v[6:9], off offset:256
	s_waitcnt vmcnt(1)
	ds_write_b128 v0, v[2:5]
.LBB62_373:
	s_or_b64 exec, exec, s[0:1]
	s_waitcnt lgkmcnt(0)
	; wave barrier
	scratch_load_dwordx4 v[68:71], off, off offset:272
	scratch_load_dwordx4 v[72:75], off, off offset:288
	;; [unrolled: 1-line block ×28, first 2 shown]
	v_mov_b32_e32 v2, 0
	ds_read_b128 v[124:127], v2 offset:1264
	ds_read_b128 v[128:131], v2 offset:1280
	;; [unrolled: 1-line block ×23, first 2 shown]
	s_waitcnt vmcnt(27) lgkmcnt(14)
	v_mul_f64 v[0:1], v[124:125], v[70:71]
	s_waitcnt vmcnt(26)
	v_mul_f64 v[40:41], v[128:129], v[74:75]
	v_fmac_f64_e32 v[0:1], v[126:127], v[68:69]
	s_waitcnt vmcnt(25)
	v_mul_f64 v[42:43], v[132:133], v[78:79]
	v_fmac_f64_e32 v[40:41], v[130:131], v[72:73]
	v_add_f64 v[0:1], v[0:1], 0
	s_waitcnt vmcnt(24)
	v_mul_f64 v[44:45], v[136:137], v[82:83]
	v_fmac_f64_e32 v[42:43], v[134:135], v[76:77]
	v_add_f64 v[0:1], v[0:1], v[40:41]
	;; [unrolled: 4-line block ×7, first 2 shown]
	s_waitcnt vmcnt(18) lgkmcnt(13)
	v_mul_f64 v[56:57], v[200:201], v[146:147]
	v_fmac_f64_e32 v[54:55], v[194:195], v[112:113]
	v_add_f64 v[0:1], v[0:1], v[52:53]
	s_waitcnt vmcnt(17) lgkmcnt(12)
	v_mul_f64 v[58:59], v[204:205], v[150:151]
	v_fmac_f64_e32 v[56:57], v[202:203], v[144:145]
	v_add_f64 v[0:1], v[0:1], v[54:55]
	;; [unrolled: 4-line block ×7, first 2 shown]
	scratch_load_dwordx4 v[40:43], off, off offset:720
	scratch_load_dwordx4 v[44:47], off, off offset:736
	s_waitcnt vmcnt(13) lgkmcnt(6)
	v_mul_f64 v[102:103], v[228:229], v[186:187]
	v_fmac_f64_e32 v[100:101], v[226:227], v[176:177]
	v_add_f64 v[0:1], v[0:1], v[66:67]
	v_add_f64 v[0:1], v[0:1], v[100:101]
	v_fmac_f64_e32 v[102:103], v[230:231], v[184:185]
	v_add_f64 v[0:1], v[0:1], v[102:103]
	ds_read_b128 v[100:103], v2 offset:1568
	s_waitcnt vmcnt(12) lgkmcnt(6)
	v_mul_f64 v[48:49], v[238:239], v[190:191]
	v_fmac_f64_e32 v[48:49], v[240:241], v[188:189]
	v_add_f64 v[0:1], v[0:1], v[48:49]
	s_waitcnt vmcnt(11) lgkmcnt(5)
	v_mul_f64 v[48:49], v[242:243], v[198:199]
	v_fmac_f64_e32 v[48:49], v[244:245], v[196:197]
	v_add_f64 v[0:1], v[0:1], v[48:49]
	scratch_load_dwordx4 v[48:51], off, off offset:752
	scratch_load_dwordx4 v[52:55], off, off offset:768
	s_waitcnt vmcnt(12) lgkmcnt(0)
	v_mul_f64 v[56:57], v[100:101], v[6:7]
	v_accvgpr_write_b32 a131, v7
	v_fmac_f64_e32 v[56:57], v[102:103], v[4:5]
	v_accvgpr_write_b32 a130, v6
	v_accvgpr_write_b32 a129, v5
	;; [unrolled: 1-line block ×3, first 2 shown]
	s_waitcnt vmcnt(11)
	v_mov_b64_e32 v[4:5], v[8:9]
	v_mov_b64_e32 v[6:7], v[10:11]
	v_add_f64 v[0:1], v[0:1], v[56:57]
	v_mul_f64 v[56:57], v[104:105], v[6:7]
	v_fmac_f64_e32 v[56:57], v[106:107], v[4:5]
	v_add_f64 v[0:1], v[0:1], v[56:57]
	scratch_load_dwordx4 v[56:59], off, off offset:784
	s_waitcnt vmcnt(11)
	v_mov_b64_e32 v[4:5], v[12:13]
	v_mov_b64_e32 v[6:7], v[14:15]
	v_mul_f64 v[60:61], v[108:109], v[6:7]
	v_fmac_f64_e32 v[60:61], v[110:111], v[4:5]
	s_waitcnt vmcnt(10)
	v_mov_b64_e32 v[4:5], v[16:17]
	v_mov_b64_e32 v[6:7], v[18:19]
	v_add_f64 v[0:1], v[0:1], v[60:61]
	scratch_load_dwordx4 v[60:63], off, off offset:800
	v_mul_f64 v[64:65], v[116:117], v[6:7]
	v_fmac_f64_e32 v[64:65], v[118:119], v[4:5]
	v_add_f64 v[0:1], v[0:1], v[64:65]
	scratch_load_dwordx4 v[64:67], off, off offset:816
	v_mul_f64 v[70:71], v[126:127], v[70:71]
	v_fma_f64 v[246:247], v[124:125], v[68:69], -v[70:71]
	s_waitcnt vmcnt(11)
	v_mul_f64 v[124:125], v[120:121], v[236:237]
	scratch_load_dwordx4 v[68:71], off, off offset:832
	v_fmac_f64_e32 v[124:125], v[122:123], v[234:235]
	v_mul_f64 v[74:75], v[130:131], v[74:75]
	v_mul_f64 v[78:79], v[134:135], v[78:79]
	v_add_f64 v[0:1], v[0:1], v[124:125]
	v_fma_f64 v[248:249], v[128:129], v[72:73], -v[74:75]
	ds_read_b128 v[124:127], v2 offset:1648
	ds_read_b128 v[128:131], v2 offset:1664
	scratch_load_dwordx4 v[72:75], off, off offset:848
	v_fma_f64 v[250:251], v[132:133], v[76:77], -v[78:79]
	v_mul_f64 v[76:77], v[138:139], v[82:83]
	v_fma_f64 v[252:253], v[136:137], v[80:81], -v[76:77]
	scratch_load_dwordx4 v[76:79], off, off offset:864
	s_waitcnt vmcnt(13) lgkmcnt(1)
	v_mul_f64 v[132:133], v[124:125], v[26:27]
	v_fmac_f64_e32 v[132:133], v[126:127], v[24:25]
	v_add_f64 v[0:1], v[0:1], v[132:133]
	s_waitcnt vmcnt(12) lgkmcnt(0)
	v_mul_f64 v[132:133], v[128:129], v[30:31]
	scratch_load_dwordx4 v[80:83], off, off offset:880
	v_fmac_f64_e32 v[132:133], v[130:131], v[28:29]
	v_mul_f64 v[86:87], v[142:143], v[86:87]
	v_add_f64 v[0:1], v[0:1], v[132:133]
	v_fma_f64 v[254:255], v[140:141], v[84:85], -v[86:87]
	ds_read_b128 v[132:135], v2 offset:1680
	v_mul_f64 v[84:85], v[158:159], v[90:91]
	v_fma_f64 v[232:233], v[156:157], v[88:89], -v[84:85]
	scratch_load_dwordx4 v[88:91], off, off offset:896
	scratch_load_dwordx4 v[84:87], off, off offset:912
	v_accvgpr_write_b32 a143, v19
	s_waitcnt vmcnt(14) lgkmcnt(0)
	v_mul_f64 v[6:7], v[132:133], v[34:35]
	v_fmac_f64_e32 v[6:7], v[134:135], v[32:33]
	v_mul_f64 v[94:95], v[170:171], v[94:95]
	v_add_f64 v[0:1], v[0:1], v[6:7]
	v_mul_f64 v[6:7], v[182:183], v[98:99]
	v_accvgpr_write_b32 a142, v18
	v_accvgpr_write_b32 a141, v17
	;; [unrolled: 1-line block ×3, first 2 shown]
	v_fma_f64 v[20:21], v[168:169], v[92:93], -v[94:95]
	ds_read_b128 v[136:139], v2 offset:1696
	v_fma_f64 v[16:17], v[180:181], v[96:97], -v[6:7]
	scratch_load_dwordx4 v[96:99], off, off offset:928
	scratch_load_dwordx4 v[92:95], off, off offset:944
	v_accvgpr_write_b32 a139, v15
	v_mul_f64 v[6:7], v[194:195], v[114:115]
	v_accvgpr_write_b32 a138, v14
	v_accvgpr_write_b32 a137, v13
	;; [unrolled: 1-line block ×3, first 2 shown]
	v_fma_f64 v[12:13], v[192:193], v[112:113], -v[6:7]
	scratch_load_dwordx4 v[112:115], off, off offset:960
	ds_read_b128 v[140:143], v2 offset:1712
	s_waitcnt vmcnt(16) lgkmcnt(1)
	v_mul_f64 v[6:7], v[136:137], v[38:39]
	v_fmac_f64_e32 v[6:7], v[138:139], v[36:37]
	v_accvgpr_write_b32 a135, v11
	v_add_f64 v[0:1], v[0:1], v[6:7]
	v_mul_f64 v[6:7], v[202:203], v[146:147]
	v_accvgpr_write_b32 a134, v10
	v_accvgpr_write_b32 a133, v9
	;; [unrolled: 1-line block ×3, first 2 shown]
	v_fma_f64 v[10:11], v[200:201], v[144:145], -v[6:7]
	ds_read_b128 v[144:147], v2 offset:1728
	s_waitcnt vmcnt(15) lgkmcnt(1)
	v_mul_f64 v[6:7], v[140:141], v[42:43]
	v_fmac_f64_e32 v[6:7], v[142:143], v[40:41]
	v_add_f64 v[0:1], v[0:1], v[6:7]
	v_mul_f64 v[6:7], v[206:207], v[150:151]
	v_fma_f64 v[14:15], v[204:205], v[148:149], -v[6:7]
	ds_read_b128 v[148:151], v2 offset:1744
	v_mul_f64 v[154:155], v[210:211], v[154:155]
	v_fma_f64 v[8:9], v[208:209], v[152:153], -v[154:155]
	ds_read_b128 v[152:155], v2 offset:1760
	s_waitcnt vmcnt(14) lgkmcnt(2)
	v_mul_f64 v[6:7], v[144:145], v[46:47]
	v_fmac_f64_e32 v[6:7], v[146:147], v[44:45]
	v_add_f64 v[0:1], v[0:1], v[6:7]
	s_waitcnt vmcnt(13) lgkmcnt(1)
	v_mul_f64 v[6:7], v[148:149], v[50:51]
	ds_read_b128 v[156:159], v2 offset:1776
	v_fmac_f64_e32 v[6:7], v[150:151], v[48:49]
	v_add_f64 v[0:1], v[0:1], v[6:7]
	s_waitcnt vmcnt(12) lgkmcnt(1)
	v_mul_f64 v[6:7], v[152:153], v[54:55]
	v_fmac_f64_e32 v[6:7], v[154:155], v[52:53]
	v_add_f64 v[0:1], v[0:1], v[6:7]
	v_mul_f64 v[6:7], v[214:215], v[162:163]
	v_fma_f64 v[18:19], v[212:213], v[160:161], -v[6:7]
	ds_read_b128 v[160:163], v2 offset:1792
	s_waitcnt vmcnt(11) lgkmcnt(1)
	v_mul_f64 v[6:7], v[156:157], v[58:59]
	v_fmac_f64_e32 v[6:7], v[158:159], v[56:57]
	v_add_f64 v[0:1], v[0:1], v[6:7]
	v_mul_f64 v[6:7], v[218:219], v[166:167]
	v_fma_f64 v[4:5], v[216:217], v[164:165], -v[6:7]
	ds_read_b128 v[164:167], v2 offset:1808
	ds_read_b128 v[168:171], v2 offset:1824
	s_waitcnt vmcnt(10) lgkmcnt(2)
	v_mul_f64 v[6:7], v[160:161], v[62:63]
	v_fmac_f64_e32 v[6:7], v[162:163], v[60:61]
	v_add_f64 v[0:1], v[0:1], v[6:7]
	s_waitcnt vmcnt(9) lgkmcnt(1)
	v_mul_f64 v[6:7], v[164:165], v[66:67]
	v_fmac_f64_e32 v[6:7], v[166:167], v[64:65]
	v_add_f64 v[0:1], v[0:1], v[6:7]
	v_mul_f64 v[6:7], v[222:223], v[174:175]
	v_fma_f64 v[22:23], v[220:221], v[172:173], -v[6:7]
	ds_read_b128 v[172:175], v2 offset:1840
	v_mul_f64 v[6:7], v[226:227], v[178:179]
	v_fma_f64 v[6:7], v[224:225], v[176:177], -v[6:7]
	ds_read_b128 v[176:179], v2 offset:1856
	s_waitcnt vmcnt(8) lgkmcnt(2)
	v_mul_f64 v[180:181], v[168:169], v[70:71]
	v_fmac_f64_e32 v[180:181], v[170:171], v[68:69]
	v_add_f64 v[0:1], v[0:1], v[180:181]
	s_waitcnt vmcnt(7) lgkmcnt(1)
	v_mul_f64 v[180:181], v[172:173], v[74:75]
	v_fmac_f64_e32 v[180:181], v[174:175], v[72:73]
	s_waitcnt vmcnt(6) lgkmcnt(0)
	v_mul_f64 v[192:193], v[176:177], v[78:79]
	v_add_f64 v[0:1], v[0:1], v[180:181]
	v_fmac_f64_e32 v[192:193], v[178:179], v[76:77]
	ds_read_b128 v[180:183], v2 offset:1872
	v_add_f64 v[192:193], v[0:1], v[192:193]
	v_mul_f64 v[0:1], v[230:231], v[186:187]
	v_fma_f64 v[0:1], v[228:229], v[184:185], -v[0:1]
	ds_read_b128 v[184:187], v2 offset:1888
	s_waitcnt vmcnt(5) lgkmcnt(1)
	v_mul_f64 v[194:195], v[180:181], v[82:83]
	v_fmac_f64_e32 v[194:195], v[182:183], v[80:81]
	v_mul_f64 v[190:191], v[240:241], v[190:191]
	v_add_f64 v[192:193], v[192:193], v[194:195]
	v_fma_f64 v[238:239], v[238:239], v[188:189], -v[190:191]
	ds_read_b128 v[188:191], v2 offset:1904
	s_waitcnt vmcnt(4) lgkmcnt(1)
	v_mul_f64 v[194:195], v[184:185], v[90:91]
	v_fmac_f64_e32 v[194:195], v[186:187], v[88:89]
	v_add_f64 v[200:201], v[192:193], v[194:195]
	ds_read_b128 v[192:195], v2 offset:1920
	v_mul_f64 v[198:199], v[244:245], v[198:199]
	v_fma_f64 v[240:241], v[242:243], v[196:197], -v[198:199]
	ds_read_b128 v[196:199], v2 offset:1936
	ds_read_b128 v[208:211], v2 offset:1968
	s_waitcnt vmcnt(3) lgkmcnt(3)
	v_mul_f64 v[202:203], v[188:189], v[86:87]
	v_fmac_f64_e32 v[202:203], v[190:191], v[84:85]
	v_add_f64 v[200:201], v[200:201], v[202:203]
	s_waitcnt vmcnt(2) lgkmcnt(2)
	v_mul_f64 v[202:203], v[192:193], v[98:99]
	v_fmac_f64_e32 v[202:203], v[194:195], v[96:97]
	v_add_f64 v[200:201], v[200:201], v[202:203]
	;; [unrolled: 4-line block ×3, first 2 shown]
	ds_read_b128 v[200:203], v2 offset:1952
	ds_read_b128 v[216:219], v2 offset:1984
	;; [unrolled: 1-line block ×3, first 2 shown]
	s_waitcnt vmcnt(0) lgkmcnt(2)
	v_mul_f64 v[206:207], v[200:201], v[114:115]
	v_fmac_f64_e32 v[206:207], v[202:203], v[112:113]
	v_add_f64 v[212:213], v[204:205], v[206:207]
	scratch_load_dwordx4 v[204:207], off, off offset:976
	s_waitcnt vmcnt(0)
	v_mul_f64 v[214:215], v[208:209], v[206:207]
	v_fmac_f64_e32 v[214:215], v[210:211], v[204:205]
	v_add_f64 v[220:221], v[212:213], v[214:215]
	scratch_load_dwordx4 v[212:215], off, off offset:992
	s_waitcnt vmcnt(0) lgkmcnt(1)
	v_mul_f64 v[222:223], v[216:217], v[214:215]
	v_fmac_f64_e32 v[222:223], v[218:219], v[212:213]
	v_add_f64 v[228:229], v[220:221], v[222:223]
	scratch_load_dwordx4 v[220:223], off, off offset:1008
	s_waitcnt vmcnt(0) lgkmcnt(0)
	v_mul_f64 v[230:231], v[224:225], v[222:223]
	v_fmac_f64_e32 v[230:231], v[226:227], v[220:221]
	v_add_f64 v[244:245], v[228:229], v[230:231]
	v_add_f64 v[228:229], v[246:247], 0
	;; [unrolled: 1-line block ×8, first 2 shown]
	scratch_load_dwordx4 v[228:231], off, off offset:256
	v_add_f64 v[16:17], v[20:21], v[16:17]
	v_add_f64 v[12:13], v[16:17], v[12:13]
	v_add_f64 v[10:11], v[12:13], v[10:11]
	v_add_f64 v[10:11], v[10:11], v[14:15]
	v_add_f64 v[8:9], v[10:11], v[8:9]
	v_add_f64 v[8:9], v[8:9], v[18:19]
	v_add_f64 v[4:5], v[8:9], v[4:5]
	v_add_f64 v[242:243], v[4:5], v[22:23]
	v_add_f64 v[4:5], v[242:243], v[6:7]
	v_accvgpr_read_b32 v6, a128
	v_accvgpr_read_b32 v8, a130
	;; [unrolled: 1-line block ×3, first 2 shown]
	v_add_f64 v[0:1], v[4:5], v[0:1]
	v_accvgpr_read_b32 v7, a129
	v_mul_f64 v[4:5], v[102:103], v[8:9]
	v_add_f64 v[0:1], v[0:1], v[238:239]
	v_fma_f64 v[4:5], v[100:101], v[6:7], -v[4:5]
	v_accvgpr_read_b32 v6, a132
	v_add_f64 v[0:1], v[0:1], v[240:241]
	v_accvgpr_read_b32 v8, a134
	v_accvgpr_read_b32 v9, a135
	v_add_f64 v[0:1], v[0:1], v[4:5]
	v_accvgpr_read_b32 v7, a133
	v_mul_f64 v[4:5], v[106:107], v[8:9]
	v_fma_f64 v[4:5], v[104:105], v[6:7], -v[4:5]
	v_accvgpr_read_b32 v6, a136
	v_accvgpr_read_b32 v8, a138
	;; [unrolled: 1-line block ×3, first 2 shown]
	v_add_f64 v[0:1], v[0:1], v[4:5]
	v_accvgpr_read_b32 v7, a137
	v_mul_f64 v[4:5], v[110:111], v[8:9]
	v_fma_f64 v[4:5], v[108:109], v[6:7], -v[4:5]
	v_accvgpr_read_b32 v6, a140
	v_accvgpr_read_b32 v8, a142
	;; [unrolled: 1-line block ×3, first 2 shown]
	v_add_f64 v[0:1], v[0:1], v[4:5]
	v_accvgpr_read_b32 v7, a141
	v_mul_f64 v[4:5], v[118:119], v[8:9]
	v_fma_f64 v[4:5], v[116:117], v[6:7], -v[4:5]
	v_add_f64 v[0:1], v[0:1], v[4:5]
	v_mul_f64 v[4:5], v[122:123], v[236:237]
	v_fma_f64 v[4:5], v[120:121], v[234:235], -v[4:5]
	v_add_f64 v[0:1], v[0:1], v[4:5]
	;; [unrolled: 3-line block ×25, first 2 shown]
	s_waitcnt vmcnt(0)
	v_add_f64 v[4:5], v[228:229], -v[0:1]
	v_accvgpr_read_b32 v0, a126
	v_add_f64 v[6:7], v[230:231], -v[244:245]
	v_cmp_lt_u32_e32 vcc, 14, v0
	scratch_store_dwordx4 off, v[4:7], off offset:256
	s_and_saveexec_b64 s[0:1], vcc
	s_cbranch_execz .LBB62_375
; %bb.374:
	scratch_load_dwordx4 v[6:9], off, s69
	v_mov_b32_e32 v3, v2
	v_mov_b32_e32 v4, v2
	;; [unrolled: 1-line block ×3, first 2 shown]
	v_accvgpr_read_b32 v0, a127
	scratch_store_dwordx4 off, v[2:5], off offset:240
	s_waitcnt vmcnt(1)
	ds_write_b128 v0, v[6:9]
.LBB62_375:
	s_or_b64 exec, exec, s[0:1]
	s_waitcnt lgkmcnt(0)
	; wave barrier
	scratch_load_dwordx4 v[40:43], off, off offset:256
	scratch_load_dwordx4 v[44:47], off, off offset:272
	;; [unrolled: 1-line block ×18, first 2 shown]
	ds_read_b128 v[164:167], v2 offset:1248
	ds_read_b128 v[232:235], v2 offset:1264
	;; [unrolled: 1-line block ×6, first 2 shown]
	scratch_load_dwordx4 v[140:143], off, off offset:544
	ds_read_b128 v[224:227], v2 offset:1344
	ds_read_b128 v[212:215], v2 offset:1360
	;; [unrolled: 1-line block ×3, first 2 shown]
	scratch_load_dwordx4 v[4:7], off, off offset:560
	ds_read_b128 v[228:231], v2 offset:1392
	ds_read_b128 v[216:219], v2 offset:1408
	;; [unrolled: 1-line block ×5, first 2 shown]
	scratch_load_dwordx4 v[8:11], off, off offset:576
	ds_read_b128 v[208:211], v2 offset:1472
	ds_read_b128 v[196:199], v2 offset:1488
	;; [unrolled: 1-line block ×3, first 2 shown]
	scratch_load_dwordx4 v[12:15], off, off offset:592
	ds_read_b128 v[200:203], v2 offset:1520
	scratch_load_dwordx4 v[16:19], off, off offset:608
	scratch_load_dwordx4 v[20:23], off, off offset:624
	;; [unrolled: 1-line block ×7, first 2 shown]
	ds_read_b128 v[236:239], v2 offset:1536
	ds_read_b128 v[156:159], v2 offset:1600
	;; [unrolled: 1-line block ×4, first 2 shown]
	s_waitcnt vmcnt(28) lgkmcnt(14)
	v_mul_f64 v[0:1], v[164:165], v[42:43]
	s_waitcnt vmcnt(27)
	v_mul_f64 v[108:109], v[232:233], v[46:47]
	v_fmac_f64_e32 v[0:1], v[166:167], v[40:41]
	s_waitcnt vmcnt(26)
	v_mul_f64 v[110:111], v[168:169], v[50:51]
	v_fmac_f64_e32 v[108:109], v[234:235], v[44:45]
	v_add_f64 v[0:1], v[0:1], 0
	s_waitcnt vmcnt(25)
	v_mul_f64 v[116:117], v[220:221], v[54:55]
	v_fmac_f64_e32 v[110:111], v[170:171], v[48:49]
	v_add_f64 v[0:1], v[0:1], v[108:109]
	;; [unrolled: 4-line block ×6, first 2 shown]
	s_waitcnt vmcnt(20) lgkmcnt(13)
	v_mul_f64 v[126:127], v[180:181], v[78:79]
	v_fmac_f64_e32 v[124:125], v[214:215], v[68:69]
	v_add_f64 v[0:1], v[0:1], v[122:123]
	s_waitcnt vmcnt(19) lgkmcnt(12)
	v_mul_f64 v[128:129], v[228:229], v[82:83]
	v_fmac_f64_e32 v[126:127], v[182:183], v[76:77]
	v_add_f64 v[0:1], v[0:1], v[124:125]
	s_waitcnt vmcnt(18) lgkmcnt(11)
	v_mul_f64 v[130:131], v[216:217], v[86:87]
	v_fmac_f64_e32 v[128:129], v[230:231], v[80:81]
	v_add_f64 v[0:1], v[0:1], v[126:127]
	s_waitcnt vmcnt(17) lgkmcnt(10)
	v_mul_f64 v[132:133], v[188:189], v[90:91]
	v_fmac_f64_e32 v[130:131], v[218:219], v[84:85]
	v_add_f64 v[0:1], v[0:1], v[128:129]
	s_waitcnt vmcnt(16) lgkmcnt(9)
	v_mul_f64 v[134:135], v[204:205], v[94:95]
	v_fmac_f64_e32 v[132:133], v[190:191], v[88:89]
	v_add_f64 v[0:1], v[0:1], v[130:131]
	s_waitcnt vmcnt(15) lgkmcnt(8)
	v_mul_f64 v[144:145], v[192:193], v[98:99]
	v_fmac_f64_e32 v[134:135], v[206:207], v[92:93]
	v_add_f64 v[0:1], v[0:1], v[132:133]
	s_waitcnt vmcnt(14) lgkmcnt(7)
	v_mul_f64 v[146:147], v[208:209], v[102:103]
	v_fmac_f64_e32 v[144:145], v[194:195], v[96:97]
	v_add_f64 v[0:1], v[0:1], v[134:135]
	s_waitcnt vmcnt(13) lgkmcnt(6)
	v_mul_f64 v[148:149], v[196:197], v[106:107]
	v_fmac_f64_e32 v[146:147], v[210:211], v[100:101]
	v_add_f64 v[0:1], v[0:1], v[144:145]
	s_waitcnt vmcnt(12) lgkmcnt(5)
	v_mul_f64 v[150:151], v[184:185], v[114:115]
	v_fmac_f64_e32 v[148:149], v[198:199], v[104:105]
	v_add_f64 v[0:1], v[0:1], v[146:147]
	v_add_f64 v[0:1], v[0:1], v[148:149]
	v_fmac_f64_e32 v[150:151], v[186:187], v[112:113]
	s_waitcnt vmcnt(11) lgkmcnt(4)
	v_mul_f64 v[116:117], v[200:201], v[138:139]
	v_add_f64 v[0:1], v[0:1], v[150:151]
	v_fmac_f64_e32 v[116:117], v[202:203], v[136:137]
	v_add_f64 v[0:1], v[0:1], v[116:117]
	ds_read_b128 v[144:147], v2 offset:1552
	s_waitcnt vmcnt(10) lgkmcnt(4)
	v_mul_f64 v[116:117], v[236:237], v[142:143]
	scratch_load_dwordx4 v[108:111], off, off offset:720
	v_fmac_f64_e32 v[116:117], v[238:239], v[140:141]
	v_add_f64 v[0:1], v[0:1], v[116:117]
	scratch_load_dwordx4 v[116:119], off, off offset:736
	ds_read_b128 v[148:151], v2 offset:1568
	scratch_load_dwordx4 v[120:123], off, off offset:752
	s_waitcnt vmcnt(12) lgkmcnt(1)
	v_mul_f64 v[124:125], v[144:145], v[6:7]
	v_fmac_f64_e32 v[124:125], v[146:147], v[4:5]
	v_add_f64 v[0:1], v[0:1], v[124:125]
	s_waitcnt vmcnt(11) lgkmcnt(0)
	v_mul_f64 v[124:125], v[148:149], v[10:11]
	v_fmac_f64_e32 v[124:125], v[150:151], v[8:9]
	s_waitcnt vmcnt(10)
	v_mul_f64 v[128:129], v[152:153], v[14:15]
	v_add_f64 v[0:1], v[0:1], v[124:125]
	scratch_load_dwordx4 v[124:127], off, off offset:768
	v_fmac_f64_e32 v[128:129], v[154:155], v[12:13]
	v_add_f64 v[0:1], v[0:1], v[128:129]
	scratch_load_dwordx4 v[128:131], off, off offset:784
	s_waitcnt vmcnt(11)
	v_mul_f64 v[132:133], v[156:157], v[18:19]
	v_fmac_f64_e32 v[132:133], v[158:159], v[16:17]
	v_add_f64 v[0:1], v[0:1], v[132:133]
	scratch_load_dwordx4 v[132:135], off, off offset:800
	v_mul_f64 v[42:43], v[166:167], v[42:43]
	v_fma_f64 v[244:245], v[164:165], v[40:41], -v[42:43]
	scratch_load_dwordx4 v[40:43], off, off offset:816
	v_mul_f64 v[46:47], v[234:235], v[46:47]
	v_fma_f64 v[246:247], v[232:233], v[44:45], -v[46:47]
	;; [unrolled: 3-line block ×3, first 2 shown]
	v_mul_f64 v[48:49], v[222:223], v[54:55]
	v_fma_f64 v[250:251], v[220:221], v[52:53], -v[48:49]
	scratch_load_dwordx4 v[48:51], off, off offset:848
	scratch_load_dwordx4 v[52:55], off, off offset:864
	s_waitcnt vmcnt(15)
	v_mul_f64 v[164:165], v[160:161], v[22:23]
	v_fmac_f64_e32 v[164:165], v[162:163], v[20:21]
	v_add_f64 v[0:1], v[0:1], v[164:165]
	ds_read_b128 v[164:167], v2 offset:1632
	ds_read_b128 v[168:171], v2 offset:1648
	v_mul_f64 v[58:59], v[174:175], v[58:59]
	v_fma_f64 v[252:253], v[172:173], v[56:57], -v[58:59]
	ds_read_b128 v[172:175], v2 offset:1664
	v_mul_f64 v[56:57], v[178:179], v[62:63]
	v_fma_f64 v[254:255], v[176:177], v[60:61], -v[56:57]
	scratch_load_dwordx4 v[60:63], off, off offset:880
	scratch_load_dwordx4 v[56:59], off, off offset:896
	s_waitcnt vmcnt(16) lgkmcnt(2)
	v_mul_f64 v[232:233], v[164:165], v[34:35]
	v_fmac_f64_e32 v[232:233], v[166:167], v[32:33]
	s_waitcnt vmcnt(15) lgkmcnt(1)
	v_mul_f64 v[220:221], v[168:169], v[38:39]
	v_mul_f64 v[66:67], v[226:227], v[66:67]
	v_add_f64 v[0:1], v[0:1], v[232:233]
	v_fmac_f64_e32 v[220:221], v[170:171], v[36:37]
	v_fma_f64 v[240:241], v[224:225], v[64:65], -v[66:67]
	s_waitcnt vmcnt(14) lgkmcnt(0)
	v_mul_f64 v[64:65], v[172:173], v[30:31]
	v_add_f64 v[0:1], v[0:1], v[220:221]
	v_fmac_f64_e32 v[64:65], v[174:175], v[28:29]
	v_accvgpr_write_b32 a155, v23
	v_add_f64 v[0:1], v[0:1], v[64:65]
	v_mul_f64 v[64:65], v[214:215], v[70:71]
	v_accvgpr_write_b32 a154, v22
	v_accvgpr_write_b32 a153, v21
	;; [unrolled: 1-line block ×3, first 2 shown]
	ds_read_b128 v[176:179], v2 offset:1680
	v_fma_f64 v[20:21], v[212:213], v[68:69], -v[64:65]
	scratch_load_dwordx4 v[68:71], off, off offset:912
	scratch_load_dwordx4 v[64:67], off, off offset:928
	v_accvgpr_write_b32 a139, v7
	v_accvgpr_write_b32 a138, v6
	;; [unrolled: 1-line block ×5, first 2 shown]
	v_mul_f64 v[6:7], v[182:183], v[78:79]
	v_accvgpr_write_b32 a150, v18
	v_accvgpr_write_b32 a149, v17
	v_accvgpr_write_b32 a148, v16
	v_fma_f64 v[16:17], v[180:181], v[76:77], -v[6:7]
	s_waitcnt vmcnt(15) lgkmcnt(0)
	v_mul_f64 v[76:77], v[176:177], v[26:27]
	v_fmac_f64_e32 v[76:77], v[178:179], v[24:25]
	v_accvgpr_write_b32 a147, v15
	v_add_f64 v[0:1], v[0:1], v[76:77]
	v_mul_f64 v[76:77], v[230:231], v[82:83]
	v_accvgpr_write_b32 a146, v14
	v_accvgpr_write_b32 a145, v13
	v_accvgpr_write_b32 a144, v12
	v_fma_f64 v[12:13], v[228:229], v[80:81], -v[76:77]
	scratch_load_dwordx4 v[76:79], off, off offset:944
	scratch_load_dwordx4 v[232:235], off, off offset:1008
	ds_read_b128 v[180:183], v2 offset:1696
	ds_read_b128 v[80:83], v2 offset:1712
	v_accvgpr_write_b32 a143, v11
	v_accvgpr_write_b32 a142, v10
	;; [unrolled: 1-line block ×4, first 2 shown]
	s_waitcnt vmcnt(16) lgkmcnt(1)
	v_mul_f64 v[10:11], v[180:181], v[74:75]
	v_fmac_f64_e32 v[10:11], v[182:183], v[72:73]
	v_add_f64 v[0:1], v[0:1], v[10:11]
	v_mul_f64 v[10:11], v[218:219], v[86:87]
	v_fma_f64 v[10:11], v[216:217], v[84:85], -v[10:11]
	ds_read_b128 v[84:87], v2 offset:1728
	v_mul_f64 v[90:91], v[190:191], v[90:91]
	v_fma_f64 v[8:9], v[188:189], v[88:89], -v[90:91]
	ds_read_b128 v[88:91], v2 offset:1744
	s_waitcnt vmcnt(15) lgkmcnt(2)
	v_mul_f64 v[212:213], v[80:81], v[110:111]
	v_fmac_f64_e32 v[212:213], v[82:83], v[108:109]
	s_waitcnt vmcnt(14) lgkmcnt(1)
	v_mul_f64 v[14:15], v[84:85], v[118:119]
	v_add_f64 v[0:1], v[0:1], v[212:213]
	v_fmac_f64_e32 v[14:15], v[86:87], v[116:117]
	v_add_f64 v[0:1], v[0:1], v[14:15]
	s_waitcnt vmcnt(13) lgkmcnt(0)
	v_mul_f64 v[14:15], v[88:89], v[122:123]
	v_fmac_f64_e32 v[14:15], v[90:91], v[120:121]
	ds_read_b128 v[188:191], v2 offset:1760
	v_add_f64 v[0:1], v[0:1], v[14:15]
	v_mul_f64 v[14:15], v[206:207], v[94:95]
	v_fma_f64 v[14:15], v[204:205], v[92:93], -v[14:15]
	ds_read_b128 v[92:95], v2 offset:1776
	v_mul_f64 v[98:99], v[194:195], v[98:99]
	v_fma_f64 v[6:7], v[192:193], v[96:97], -v[98:99]
	ds_read_b128 v[96:99], v2 offset:1792
	ds_read_b128 v[192:195], v2 offset:1808
	s_waitcnt vmcnt(12) lgkmcnt(3)
	v_mul_f64 v[204:205], v[188:189], v[126:127]
	v_fmac_f64_e32 v[204:205], v[190:191], v[124:125]
	s_waitcnt vmcnt(11) lgkmcnt(2)
	v_mul_f64 v[18:19], v[92:93], v[130:131]
	v_add_f64 v[0:1], v[0:1], v[204:205]
	v_fmac_f64_e32 v[18:19], v[94:95], v[128:129]
	v_add_f64 v[0:1], v[0:1], v[18:19]
	s_waitcnt vmcnt(10) lgkmcnt(1)
	v_mul_f64 v[18:19], v[96:97], v[134:135]
	v_fmac_f64_e32 v[18:19], v[98:99], v[132:133]
	v_add_f64 v[0:1], v[0:1], v[18:19]
	v_mul_f64 v[18:19], v[210:211], v[102:103]
	v_fma_f64 v[18:19], v[208:209], v[100:101], -v[18:19]
	ds_read_b128 v[100:103], v2 offset:1824
	v_mul_f64 v[106:107], v[198:199], v[106:107]
	v_fma_f64 v[4:5], v[196:197], v[104:105], -v[106:107]
	ds_read_b128 v[104:107], v2 offset:1840
	s_waitcnt vmcnt(9) lgkmcnt(2)
	v_mul_f64 v[204:205], v[192:193], v[42:43]
	v_fmac_f64_e32 v[204:205], v[194:195], v[40:41]
	s_waitcnt vmcnt(8) lgkmcnt(1)
	v_mul_f64 v[22:23], v[100:101], v[46:47]
	v_add_f64 v[0:1], v[0:1], v[204:205]
	v_fmac_f64_e32 v[22:23], v[102:103], v[44:45]
	v_add_f64 v[0:1], v[0:1], v[22:23]
	s_waitcnt vmcnt(7) lgkmcnt(0)
	v_mul_f64 v[22:23], v[104:105], v[50:51]
	ds_read_b128 v[196:199], v2 offset:1856
	v_fmac_f64_e32 v[22:23], v[106:107], v[48:49]
	v_add_f64 v[0:1], v[0:1], v[22:23]
	v_mul_f64 v[22:23], v[186:187], v[114:115]
	v_fma_f64 v[22:23], v[184:185], v[112:113], -v[22:23]
	ds_read_b128 v[112:115], v2 offset:1872
	s_waitcnt vmcnt(6) lgkmcnt(1)
	v_mul_f64 v[184:185], v[196:197], v[54:55]
	v_fmac_f64_e32 v[184:185], v[198:199], v[52:53]
	v_add_f64 v[184:185], v[0:1], v[184:185]
	v_mul_f64 v[0:1], v[202:203], v[138:139]
	v_fma_f64 v[0:1], v[200:201], v[136:137], -v[0:1]
	ds_read_b128 v[136:139], v2 offset:1888
	s_waitcnt vmcnt(5) lgkmcnt(1)
	v_mul_f64 v[186:187], v[112:113], v[62:63]
	v_fmac_f64_e32 v[186:187], v[114:115], v[60:61]
	v_add_f64 v[200:201], v[184:185], v[186:187]
	ds_read_b128 v[184:187], v2 offset:1904
	v_mul_f64 v[142:143], v[238:239], v[142:143]
	v_fma_f64 v[242:243], v[236:237], v[140:141], -v[142:143]
	ds_read_b128 v[140:143], v2 offset:1920
	ds_read_b128 v[208:211], v2 offset:1952
	s_waitcnt vmcnt(4) lgkmcnt(3)
	v_mul_f64 v[202:203], v[136:137], v[58:59]
	v_fmac_f64_e32 v[202:203], v[138:139], v[56:57]
	v_add_f64 v[200:201], v[200:201], v[202:203]
	s_waitcnt vmcnt(3) lgkmcnt(2)
	v_mul_f64 v[202:203], v[184:185], v[70:71]
	v_fmac_f64_e32 v[202:203], v[186:187], v[68:69]
	v_add_f64 v[200:201], v[200:201], v[202:203]
	;; [unrolled: 4-line block ×3, first 2 shown]
	ds_read_b128 v[200:203], v2 offset:1936
	ds_read_b128 v[216:219], v2 offset:1968
	;; [unrolled: 1-line block ×3, first 2 shown]
	s_waitcnt vmcnt(1) lgkmcnt(2)
	v_mul_f64 v[206:207], v[200:201], v[78:79]
	v_fmac_f64_e32 v[206:207], v[202:203], v[76:77]
	v_add_f64 v[212:213], v[204:205], v[206:207]
	scratch_load_dwordx4 v[204:207], off, off offset:960
	s_waitcnt vmcnt(0)
	v_mul_f64 v[214:215], v[208:209], v[206:207]
	v_fmac_f64_e32 v[214:215], v[210:211], v[204:205]
	v_add_f64 v[220:221], v[212:213], v[214:215]
	scratch_load_dwordx4 v[212:215], off, off offset:976
	s_waitcnt vmcnt(0) lgkmcnt(1)
	v_mul_f64 v[222:223], v[216:217], v[214:215]
	v_fmac_f64_e32 v[222:223], v[218:219], v[212:213]
	v_add_f64 v[228:229], v[220:221], v[222:223]
	scratch_load_dwordx4 v[220:223], off, off offset:992
	s_waitcnt vmcnt(0) lgkmcnt(0)
	v_mul_f64 v[230:231], v[224:225], v[222:223]
	v_fmac_f64_e32 v[230:231], v[226:227], v[220:221]
	v_add_f64 v[236:237], v[228:229], v[230:231]
	ds_read_b128 v[228:231], v2 offset:2000
	s_waitcnt lgkmcnt(0)
	v_mul_f64 v[2:3], v[228:229], v[234:235]
	v_fmac_f64_e32 v[2:3], v[230:231], v[232:233]
	v_add_f64 v[2:3], v[236:237], v[2:3]
	v_add_f64 v[236:237], v[244:245], 0
	;; [unrolled: 1-line block ×9, first 2 shown]
	scratch_load_dwordx4 v[236:239], off, off offset:240
	v_add_f64 v[16:17], v[20:21], v[16:17]
	v_add_f64 v[12:13], v[16:17], v[12:13]
	v_add_f64 v[10:11], v[12:13], v[10:11]
	v_add_f64 v[8:9], v[10:11], v[8:9]
	v_add_f64 v[8:9], v[8:9], v[14:15]
	v_add_f64 v[6:7], v[8:9], v[6:7]
	v_add_f64 v[6:7], v[6:7], v[18:19]
	v_add_f64 v[4:5], v[6:7], v[4:5]
	v_accvgpr_read_b32 v6, a136
	v_accvgpr_read_b32 v8, a138
	;; [unrolled: 1-line block ×3, first 2 shown]
	v_add_f64 v[254:255], v[4:5], v[22:23]
	v_accvgpr_read_b32 v7, a137
	v_mul_f64 v[4:5], v[146:147], v[8:9]
	v_add_f64 v[0:1], v[254:255], v[0:1]
	v_fma_f64 v[4:5], v[144:145], v[6:7], -v[4:5]
	v_accvgpr_read_b32 v6, a140
	v_add_f64 v[0:1], v[0:1], v[242:243]
	v_accvgpr_read_b32 v8, a142
	v_accvgpr_read_b32 v9, a143
	v_add_f64 v[0:1], v[0:1], v[4:5]
	v_accvgpr_read_b32 v7, a141
	v_mul_f64 v[4:5], v[150:151], v[8:9]
	v_fma_f64 v[4:5], v[148:149], v[6:7], -v[4:5]
	v_accvgpr_read_b32 v6, a144
	v_accvgpr_read_b32 v8, a146
	v_accvgpr_read_b32 v9, a147
	v_add_f64 v[0:1], v[0:1], v[4:5]
	v_accvgpr_read_b32 v7, a145
	v_mul_f64 v[4:5], v[154:155], v[8:9]
	v_fma_f64 v[4:5], v[152:153], v[6:7], -v[4:5]
	v_accvgpr_read_b32 v6, a148
	v_accvgpr_read_b32 v8, a150
	v_accvgpr_read_b32 v9, a151
	v_add_f64 v[0:1], v[0:1], v[4:5]
	v_accvgpr_read_b32 v7, a149
	v_mul_f64 v[4:5], v[158:159], v[8:9]
	v_fma_f64 v[4:5], v[156:157], v[6:7], -v[4:5]
	v_accvgpr_read_b32 v6, a152
	v_accvgpr_read_b32 v8, a154
	v_accvgpr_read_b32 v9, a155
	v_add_f64 v[0:1], v[0:1], v[4:5]
	v_accvgpr_read_b32 v7, a153
	v_mul_f64 v[4:5], v[162:163], v[8:9]
	v_fma_f64 v[4:5], v[160:161], v[6:7], -v[4:5]
	v_add_f64 v[0:1], v[0:1], v[4:5]
	v_mul_f64 v[4:5], v[166:167], v[34:35]
	v_fma_f64 v[4:5], v[164:165], v[32:33], -v[4:5]
	v_add_f64 v[0:1], v[0:1], v[4:5]
	;; [unrolled: 3-line block ×25, first 2 shown]
	s_waitcnt vmcnt(0)
	v_add_f64 v[4:5], v[236:237], -v[0:1]
	v_accvgpr_read_b32 v0, a126
	v_add_f64 v[6:7], v[238:239], -v[2:3]
	v_cmp_lt_u32_e32 vcc, 13, v0
	scratch_store_dwordx4 off, v[4:7], off offset:240
	s_and_saveexec_b64 s[0:1], vcc
	s_cbranch_execz .LBB62_377
; %bb.376:
	scratch_load_dwordx4 v[2:5], off, s68
	v_mov_b32_e32 v6, 0
	v_mov_b32_e32 v7, v6
	v_mov_b32_e32 v8, v6
	v_mov_b32_e32 v9, v6
	v_accvgpr_read_b32 v0, a127
	scratch_store_dwordx4 off, v[6:9], off offset:224
	s_waitcnt vmcnt(1)
	ds_write_b128 v0, v[2:5]
.LBB62_377:
	s_or_b64 exec, exec, s[0:1]
	s_waitcnt lgkmcnt(0)
	; wave barrier
	scratch_load_dwordx4 v[56:59], off, off offset:240
	scratch_load_dwordx4 v[60:63], off, off offset:256
	;; [unrolled: 1-line block ×28, first 2 shown]
	v_mov_b32_e32 v2, 0
	ds_read_b128 v[116:119], v2 offset:1232
	ds_read_b128 v[120:123], v2 offset:1248
	;; [unrolled: 1-line block ×22, first 2 shown]
	s_waitcnt vmcnt(27) lgkmcnt(14)
	v_mul_f64 v[0:1], v[116:117], v[58:59]
	s_waitcnt vmcnt(26)
	v_mul_f64 v[32:33], v[120:121], v[62:63]
	v_fmac_f64_e32 v[0:1], v[118:119], v[56:57]
	s_waitcnt vmcnt(25)
	v_mul_f64 v[34:35], v[124:125], v[66:67]
	v_fmac_f64_e32 v[32:33], v[122:123], v[60:61]
	v_add_f64 v[0:1], v[0:1], 0
	v_fmac_f64_e32 v[34:35], v[126:127], v[64:65]
	v_add_f64 v[0:1], v[0:1], v[32:33]
	v_add_f64 v[0:1], v[0:1], v[34:35]
	scratch_load_dwordx4 v[32:35], off, off offset:688
	s_waitcnt vmcnt(25)
	v_mul_f64 v[36:37], v[128:129], v[70:71]
	s_waitcnt vmcnt(24)
	v_mul_f64 v[38:39], v[132:133], v[74:75]
	v_fmac_f64_e32 v[36:37], v[130:131], v[68:69]
	s_waitcnt vmcnt(23)
	v_mul_f64 v[40:41], v[140:141], v[78:79]
	v_fmac_f64_e32 v[38:39], v[134:135], v[72:73]
	v_add_f64 v[0:1], v[0:1], v[36:37]
	s_waitcnt vmcnt(22)
	v_mul_f64 v[42:43], v[152:153], v[82:83]
	v_fmac_f64_e32 v[40:41], v[142:143], v[76:77]
	v_add_f64 v[0:1], v[0:1], v[38:39]
	;; [unrolled: 4-line block ×3, first 2 shown]
	s_waitcnt vmcnt(20) lgkmcnt(13)
	v_mul_f64 v[46:47], v[176:177], v[94:95]
	v_fmac_f64_e32 v[44:45], v[166:167], v[84:85]
	v_add_f64 v[0:1], v[0:1], v[42:43]
	s_waitcnt vmcnt(19) lgkmcnt(12)
	v_mul_f64 v[48:49], v[188:189], v[98:99]
	v_fmac_f64_e32 v[46:47], v[178:179], v[92:93]
	v_add_f64 v[0:1], v[0:1], v[44:45]
	;; [unrolled: 4-line block ×9, first 2 shown]
	v_add_f64 v[0:1], v[0:1], v[104:105]
	v_fmac_f64_e32 v[106:107], v[222:223], v[168:169]
	s_waitcnt vmcnt(11) lgkmcnt(4)
	v_mul_f64 v[40:41], v[224:225], v[174:175]
	v_add_f64 v[0:1], v[0:1], v[106:107]
	v_fmac_f64_e32 v[40:41], v[226:227], v[172:173]
	scratch_load_dwordx4 v[36:39], off, off offset:704
	v_add_f64 v[0:1], v[0:1], v[40:41]
	s_waitcnt vmcnt(11) lgkmcnt(3)
	v_mul_f64 v[40:41], v[228:229], v[182:183]
	v_fmac_f64_e32 v[40:41], v[230:231], v[180:181]
	s_waitcnt vmcnt(10) lgkmcnt(2)
	v_mul_f64 v[44:45], v[238:239], v[186:187]
	v_add_f64 v[0:1], v[0:1], v[40:41]
	v_fmac_f64_e32 v[44:45], v[240:241], v[184:185]
	scratch_load_dwordx4 v[40:43], off, off offset:720
	ds_read_b128 v[88:91], v2 offset:1568
	v_add_f64 v[0:1], v[0:1], v[44:45]
	s_waitcnt vmcnt(10) lgkmcnt(2)
	v_mul_f64 v[44:45], v[242:243], v[194:195]
	v_fmac_f64_e32 v[44:45], v[244:245], v[192:193]
	v_add_f64 v[0:1], v[0:1], v[44:45]
	scratch_load_dwordx4 v[44:47], off, off offset:736
	ds_read_b128 v[104:107], v2 offset:1584
	s_waitcnt vmcnt(10) lgkmcnt(1)
	v_mul_f64 v[48:49], v[88:89], v[6:7]
	v_accvgpr_write_b32 a131, v7
	v_fmac_f64_e32 v[48:49], v[90:91], v[4:5]
	v_accvgpr_write_b32 a130, v6
	v_accvgpr_write_b32 a129, v5
	;; [unrolled: 1-line block ×3, first 2 shown]
	s_waitcnt vmcnt(9)
	v_mov_b64_e32 v[4:5], v[8:9]
	v_add_f64 v[0:1], v[0:1], v[48:49]
	scratch_load_dwordx4 v[48:51], off, off offset:752
	v_mov_b64_e32 v[6:7], v[10:11]
	s_waitcnt lgkmcnt(0)
	v_mul_f64 v[52:53], v[104:105], v[6:7]
	v_fmac_f64_e32 v[52:53], v[106:107], v[4:5]
	v_add_f64 v[0:1], v[0:1], v[52:53]
	scratch_load_dwordx4 v[52:55], off, off offset:768
	v_mul_f64 v[58:59], v[118:119], v[58:59]
	v_fma_f64 v[246:247], v[116:117], v[56:57], -v[58:59]
	scratch_load_dwordx4 v[56:59], off, off offset:784
	s_waitcnt vmcnt(11)
	v_mov_b64_e32 v[4:5], v[12:13]
	v_mov_b64_e32 v[6:7], v[14:15]
	v_mul_f64 v[112:113], v[108:109], v[6:7]
	v_fmac_f64_e32 v[112:113], v[110:111], v[4:5]
	v_mul_f64 v[62:63], v[122:123], v[62:63]
	v_add_f64 v[0:1], v[0:1], v[112:113]
	ds_read_b128 v[112:115], v2 offset:1616
	ds_read_b128 v[116:119], v2 offset:1632
	v_fma_f64 v[248:249], v[120:121], v[60:61], -v[62:63]
	scratch_load_dwordx4 v[60:63], off, off offset:800
	v_mul_f64 v[66:67], v[126:127], v[66:67]
	v_fma_f64 v[250:251], v[124:125], v[64:65], -v[66:67]
	scratch_load_dwordx4 v[64:67], off, off offset:816
	s_waitcnt vmcnt(12)
	v_mov_b64_e32 v[4:5], v[16:17]
	v_mov_b64_e32 v[6:7], v[18:19]
	s_waitcnt lgkmcnt(1)
	v_mul_f64 v[120:121], v[112:113], v[6:7]
	v_fmac_f64_e32 v[120:121], v[114:115], v[4:5]
	s_waitcnt vmcnt(11)
	v_mov_b64_e32 v[4:5], v[20:21]
	v_mov_b64_e32 v[6:7], v[22:23]
	v_mul_f64 v[70:71], v[130:131], v[70:71]
	v_add_f64 v[0:1], v[0:1], v[120:121]
	s_waitcnt lgkmcnt(0)
	v_mul_f64 v[120:121], v[116:117], v[6:7]
	v_fma_f64 v[252:253], v[128:129], v[68:69], -v[70:71]
	scratch_load_dwordx4 v[68:71], off, off offset:832
	v_fmac_f64_e32 v[120:121], v[118:119], v[4:5]
	v_mul_f64 v[74:75], v[134:135], v[74:75]
	v_add_f64 v[0:1], v[0:1], v[120:121]
	ds_read_b128 v[120:123], v2 offset:1648
	ds_read_b128 v[124:127], v2 offset:1664
	v_fma_f64 v[254:255], v[132:133], v[72:73], -v[74:75]
	scratch_load_dwordx4 v[72:75], off, off offset:848
	v_mul_f64 v[78:79], v[142:143], v[78:79]
	v_fma_f64 v[232:233], v[140:141], v[76:77], -v[78:79]
	scratch_load_dwordx4 v[76:79], off, off offset:864
	s_waitcnt vmcnt(13) lgkmcnt(1)
	v_mul_f64 v[128:129], v[120:121], v[236:237]
	v_fmac_f64_e32 v[128:129], v[122:123], v[234:235]
	v_mul_f64 v[82:83], v[154:155], v[82:83]
	s_waitcnt vmcnt(12) lgkmcnt(0)
	v_mul_f64 v[6:7], v[124:125], v[30:31]
	v_add_f64 v[0:1], v[0:1], v[128:129]
	v_fma_f64 v[24:25], v[152:153], v[80:81], -v[82:83]
	v_fmac_f64_e32 v[6:7], v[126:127], v[28:29]
	scratch_load_dwordx4 v[80:83], off, off offset:880
	v_accvgpr_write_b32 a147, v23
	v_add_f64 v[0:1], v[0:1], v[6:7]
	v_mul_f64 v[6:7], v[166:167], v[86:87]
	v_accvgpr_write_b32 a146, v22
	v_accvgpr_write_b32 a145, v21
	;; [unrolled: 1-line block ×3, first 2 shown]
	v_fma_f64 v[20:21], v[164:165], v[84:85], -v[6:7]
	scratch_load_dwordx4 v[84:87], off, off offset:896
	ds_read_b128 v[132:135], v2 offset:1680
	ds_read_b128 v[128:131], v2 offset:1696
	v_accvgpr_write_b32 a143, v19
	v_mul_f64 v[6:7], v[178:179], v[94:95]
	v_accvgpr_write_b32 a139, v15
	v_accvgpr_write_b32 a142, v18
	;; [unrolled: 1-line block ×4, first 2 shown]
	v_fma_f64 v[16:17], v[176:177], v[92:93], -v[6:7]
	v_mul_f64 v[6:7], v[190:191], v[98:99]
	v_accvgpr_write_b32 a138, v14
	v_accvgpr_write_b32 a137, v13
	;; [unrolled: 1-line block ×3, first 2 shown]
	v_fma_f64 v[12:13], v[188:189], v[96:97], -v[6:7]
	scratch_load_dwordx4 v[96:99], off, off offset:912
	scratch_load_dwordx4 v[92:95], off, off offset:928
	s_waitcnt vmcnt(15) lgkmcnt(1)
	v_mul_f64 v[6:7], v[132:133], v[34:35]
	v_fmac_f64_e32 v[6:7], v[134:135], v[32:33]
	v_add_f64 v[0:1], v[0:1], v[6:7]
	v_mul_f64 v[6:7], v[198:199], v[102:103]
	v_fma_f64 v[14:15], v[196:197], v[100:101], -v[6:7]
	scratch_load_dwordx4 v[100:103], off, off offset:944
	v_accvgpr_write_b32 a135, v11
	v_mul_f64 v[6:7], v[202:203], v[138:139]
	v_accvgpr_write_b32 a134, v10
	v_accvgpr_write_b32 a133, v9
	;; [unrolled: 1-line block ×3, first 2 shown]
	v_fma_f64 v[10:11], v[200:201], v[136:137], -v[6:7]
	ds_read_b128 v[136:139], v2 offset:1712
	ds_read_b128 v[140:143], v2 offset:1728
	s_waitcnt vmcnt(15) lgkmcnt(2)
	v_mul_f64 v[6:7], v[128:129], v[38:39]
	v_fmac_f64_e32 v[6:7], v[130:131], v[36:37]
	v_add_f64 v[0:1], v[0:1], v[6:7]
	s_waitcnt vmcnt(14) lgkmcnt(1)
	v_mul_f64 v[6:7], v[136:137], v[42:43]
	v_fmac_f64_e32 v[6:7], v[138:139], v[40:41]
	v_add_f64 v[0:1], v[0:1], v[6:7]
	v_mul_f64 v[6:7], v[206:207], v[146:147]
	v_fma_f64 v[18:19], v[204:205], v[144:145], -v[6:7]
	ds_read_b128 v[144:147], v2 offset:1744
	s_waitcnt vmcnt(13) lgkmcnt(1)
	v_mul_f64 v[6:7], v[140:141], v[46:47]
	v_fmac_f64_e32 v[6:7], v[142:143], v[44:45]
	v_add_f64 v[0:1], v[0:1], v[6:7]
	v_mul_f64 v[6:7], v[210:211], v[150:151]
	v_fma_f64 v[8:9], v[208:209], v[148:149], -v[6:7]
	ds_read_b128 v[148:151], v2 offset:1760
	s_waitcnt vmcnt(12) lgkmcnt(1)
	v_mul_f64 v[6:7], v[144:145], v[50:51]
	ds_read_b128 v[152:155], v2 offset:1776
	v_fmac_f64_e32 v[6:7], v[146:147], v[48:49]
	v_add_f64 v[0:1], v[0:1], v[6:7]
	v_mul_f64 v[6:7], v[214:215], v[158:159]
	v_fma_f64 v[22:23], v[212:213], v[156:157], -v[6:7]
	s_waitcnt vmcnt(11) lgkmcnt(1)
	v_mul_f64 v[6:7], v[148:149], v[54:55]
	v_fmac_f64_e32 v[6:7], v[150:151], v[52:53]
	ds_read_b128 v[156:159], v2 offset:1792
	v_add_f64 v[0:1], v[0:1], v[6:7]
	s_waitcnt vmcnt(10) lgkmcnt(1)
	v_mul_f64 v[6:7], v[152:153], v[58:59]
	v_fmac_f64_e32 v[6:7], v[154:155], v[56:57]
	v_add_f64 v[0:1], v[0:1], v[6:7]
	v_mul_f64 v[6:7], v[218:219], v[162:163]
	v_fma_f64 v[4:5], v[216:217], v[160:161], -v[6:7]
	ds_read_b128 v[160:163], v2 offset:1808
	ds_read_b128 v[164:167], v2 offset:1824
	s_waitcnt vmcnt(9) lgkmcnt(2)
	v_mul_f64 v[6:7], v[156:157], v[62:63]
	v_fmac_f64_e32 v[6:7], v[158:159], v[60:61]
	v_add_f64 v[0:1], v[0:1], v[6:7]
	s_waitcnt vmcnt(8) lgkmcnt(1)
	v_mul_f64 v[6:7], v[160:161], v[66:67]
	v_fmac_f64_e32 v[6:7], v[162:163], v[64:65]
	v_add_f64 v[0:1], v[0:1], v[6:7]
	v_mul_f64 v[6:7], v[222:223], v[170:171]
	v_fma_f64 v[26:27], v[220:221], v[168:169], -v[6:7]
	ds_read_b128 v[168:171], v2 offset:1840
	v_mul_f64 v[6:7], v[226:227], v[174:175]
	v_fma_f64 v[6:7], v[224:225], v[172:173], -v[6:7]
	ds_read_b128 v[172:175], v2 offset:1856
	s_waitcnt vmcnt(7) lgkmcnt(2)
	v_mul_f64 v[176:177], v[164:165], v[70:71]
	v_fmac_f64_e32 v[176:177], v[166:167], v[68:69]
	v_add_f64 v[0:1], v[0:1], v[176:177]
	s_waitcnt vmcnt(6) lgkmcnt(1)
	v_mul_f64 v[176:177], v[168:169], v[74:75]
	v_fmac_f64_e32 v[176:177], v[170:171], v[72:73]
	v_add_f64 v[0:1], v[0:1], v[176:177]
	s_waitcnt vmcnt(5) lgkmcnt(0)
	v_mul_f64 v[188:189], v[172:173], v[78:79]
	ds_read_b128 v[176:179], v2 offset:1872
	v_fmac_f64_e32 v[188:189], v[174:175], v[76:77]
	v_add_f64 v[188:189], v[0:1], v[188:189]
	v_mul_f64 v[0:1], v[230:231], v[182:183]
	v_fma_f64 v[0:1], v[228:229], v[180:181], -v[0:1]
	ds_read_b128 v[180:183], v2 offset:1888
	v_mul_f64 v[186:187], v[240:241], v[186:187]
	s_waitcnt vmcnt(4) lgkmcnt(1)
	v_mul_f64 v[190:191], v[176:177], v[82:83]
	v_fma_f64 v[238:239], v[238:239], v[184:185], -v[186:187]
	ds_read_b128 v[184:187], v2 offset:1904
	v_fmac_f64_e32 v[190:191], v[178:179], v[80:81]
	v_add_f64 v[196:197], v[188:189], v[190:191]
	ds_read_b128 v[188:191], v2 offset:1920
	s_waitcnt vmcnt(3) lgkmcnt(2)
	v_mul_f64 v[198:199], v[180:181], v[86:87]
	v_mul_f64 v[194:195], v[244:245], v[194:195]
	v_fmac_f64_e32 v[198:199], v[182:183], v[84:85]
	v_fma_f64 v[240:241], v[242:243], v[192:193], -v[194:195]
	ds_read_b128 v[192:195], v2 offset:1936
	ds_read_b128 v[200:203], v2 offset:1952
	v_add_f64 v[196:197], v[196:197], v[198:199]
	s_waitcnt vmcnt(2) lgkmcnt(3)
	v_mul_f64 v[198:199], v[184:185], v[98:99]
	v_fmac_f64_e32 v[198:199], v[186:187], v[96:97]
	v_add_f64 v[196:197], v[196:197], v[198:199]
	s_waitcnt vmcnt(1) lgkmcnt(2)
	v_mul_f64 v[198:199], v[188:189], v[94:95]
	v_fmac_f64_e32 v[198:199], v[190:191], v[92:93]
	;; [unrolled: 4-line block ×3, first 2 shown]
	v_add_f64 v[204:205], v[196:197], v[198:199]
	scratch_load_dwordx4 v[196:199], off, off offset:960
	ds_read_b128 v[208:211], v2 offset:1968
	ds_read_b128 v[216:219], v2 offset:1984
	;; [unrolled: 1-line block ×3, first 2 shown]
	s_waitcnt vmcnt(0) lgkmcnt(3)
	v_mul_f64 v[206:207], v[200:201], v[198:199]
	v_fmac_f64_e32 v[206:207], v[202:203], v[196:197]
	v_add_f64 v[212:213], v[204:205], v[206:207]
	scratch_load_dwordx4 v[204:207], off, off offset:976
	s_waitcnt vmcnt(0) lgkmcnt(2)
	v_mul_f64 v[214:215], v[208:209], v[206:207]
	v_fmac_f64_e32 v[214:215], v[210:211], v[204:205]
	v_add_f64 v[220:221], v[212:213], v[214:215]
	scratch_load_dwordx4 v[212:215], off, off offset:992
	;; [unrolled: 5-line block ×3, first 2 shown]
	s_waitcnt vmcnt(0) lgkmcnt(0)
	v_mul_f64 v[230:231], v[224:225], v[222:223]
	v_fmac_f64_e32 v[230:231], v[226:227], v[220:221]
	v_add_f64 v[244:245], v[228:229], v[230:231]
	v_add_f64 v[228:229], v[246:247], 0
	;; [unrolled: 1-line block ×8, first 2 shown]
	scratch_load_dwordx4 v[228:231], off, off offset:224
	v_add_f64 v[20:21], v[24:25], v[20:21]
	v_add_f64 v[16:17], v[20:21], v[16:17]
	;; [unrolled: 1-line block ×11, first 2 shown]
	v_accvgpr_read_b32 v6, a128
	v_accvgpr_read_b32 v8, a130
	;; [unrolled: 1-line block ×3, first 2 shown]
	v_add_f64 v[0:1], v[4:5], v[0:1]
	v_accvgpr_read_b32 v7, a129
	v_mul_f64 v[4:5], v[90:91], v[8:9]
	v_add_f64 v[0:1], v[0:1], v[238:239]
	v_fma_f64 v[4:5], v[88:89], v[6:7], -v[4:5]
	v_accvgpr_read_b32 v6, a132
	v_add_f64 v[0:1], v[0:1], v[240:241]
	v_accvgpr_read_b32 v8, a134
	v_accvgpr_read_b32 v9, a135
	v_add_f64 v[0:1], v[0:1], v[4:5]
	v_accvgpr_read_b32 v7, a133
	v_mul_f64 v[4:5], v[106:107], v[8:9]
	v_fma_f64 v[4:5], v[104:105], v[6:7], -v[4:5]
	v_accvgpr_read_b32 v6, a136
	v_accvgpr_read_b32 v8, a138
	v_accvgpr_read_b32 v9, a139
	v_add_f64 v[0:1], v[0:1], v[4:5]
	v_accvgpr_read_b32 v7, a137
	v_mul_f64 v[4:5], v[110:111], v[8:9]
	v_fma_f64 v[4:5], v[108:109], v[6:7], -v[4:5]
	v_accvgpr_read_b32 v6, a140
	;; [unrolled: 7-line block ×3, first 2 shown]
	v_accvgpr_read_b32 v8, a146
	v_accvgpr_read_b32 v9, a147
	v_add_f64 v[0:1], v[0:1], v[4:5]
	v_accvgpr_read_b32 v7, a145
	v_mul_f64 v[4:5], v[118:119], v[8:9]
	v_fma_f64 v[4:5], v[116:117], v[6:7], -v[4:5]
	v_add_f64 v[0:1], v[0:1], v[4:5]
	v_mul_f64 v[4:5], v[122:123], v[236:237]
	v_fma_f64 v[4:5], v[120:121], v[234:235], -v[4:5]
	v_add_f64 v[0:1], v[0:1], v[4:5]
	;; [unrolled: 3-line block ×24, first 2 shown]
	s_waitcnt vmcnt(0)
	v_add_f64 v[4:5], v[228:229], -v[0:1]
	v_accvgpr_read_b32 v0, a126
	v_add_f64 v[6:7], v[230:231], -v[244:245]
	v_cmp_lt_u32_e32 vcc, 12, v0
	scratch_store_dwordx4 off, v[4:7], off offset:224
	s_and_saveexec_b64 s[0:1], vcc
	s_cbranch_execz .LBB62_379
; %bb.378:
	scratch_load_dwordx4 v[6:9], off, s67
	v_mov_b32_e32 v3, v2
	v_mov_b32_e32 v4, v2
	;; [unrolled: 1-line block ×3, first 2 shown]
	v_accvgpr_read_b32 v0, a127
	scratch_store_dwordx4 off, v[2:5], off offset:208
	s_waitcnt vmcnt(1)
	ds_write_b128 v0, v[6:9]
.LBB62_379:
	s_or_b64 exec, exec, s[0:1]
	s_waitcnt lgkmcnt(0)
	; wave barrier
	scratch_load_dwordx4 v[56:59], off, off offset:224
	scratch_load_dwordx4 v[60:63], off, off offset:240
	;; [unrolled: 1-line block ×18, first 2 shown]
	ds_read_b128 v[116:119], v2 offset:1216
	ds_read_b128 v[220:223], v2 offset:1232
	;; [unrolled: 1-line block ×6, first 2 shown]
	scratch_load_dwordx4 v[180:183], off, off offset:512
	ds_read_b128 v[204:207], v2 offset:1312
	ds_read_b128 v[132:135], v2 offset:1328
	scratch_load_dwordx4 v[184:187], off, off offset:528
	ds_read_b128 v[224:227], v2 offset:1344
	ds_read_b128 v[216:219], v2 offset:1360
	;; [unrolled: 1-line block ×5, first 2 shown]
	scratch_load_dwordx4 v[192:195], off, off offset:544
	ds_read_b128 v[200:203], v2 offset:1424
	ds_read_b128 v[164:167], v2 offset:1440
	scratch_load_dwordx4 v[4:7], off, off offset:560
	ds_read_b128 v[212:215], v2 offset:1456
	ds_read_b128 v[188:191], v2 offset:1472
	ds_read_b128 v[176:179], v2 offset:1488
	scratch_load_dwordx4 v[8:11], off, off offset:576
	scratch_load_dwordx4 v[12:15], off, off offset:592
	;; [unrolled: 1-line block ×6, first 2 shown]
	ds_read_b128 v[228:231], v2 offset:1504
	ds_read_b128 v[232:235], v2 offset:1520
	ds_read_b128 v[236:239], v2 offset:1536
	ds_read_b128 v[108:111], v2 offset:1584
	s_waitcnt vmcnt(27) lgkmcnt(14)
	v_mul_f64 v[0:1], v[116:117], v[58:59]
	s_waitcnt vmcnt(26)
	v_mul_f64 v[32:33], v[220:221], v[62:63]
	v_fmac_f64_e32 v[0:1], v[118:119], v[56:57]
	s_waitcnt vmcnt(25)
	v_mul_f64 v[34:35], v[208:209], v[66:67]
	v_fmac_f64_e32 v[32:33], v[222:223], v[60:61]
	v_add_f64 v[0:1], v[0:1], 0
	v_fmac_f64_e32 v[34:35], v[210:211], v[64:65]
	v_add_f64 v[0:1], v[0:1], v[32:33]
	v_add_f64 v[0:1], v[0:1], v[34:35]
	scratch_load_dwordx4 v[32:35], off, off offset:672
	s_waitcnt vmcnt(25)
	v_mul_f64 v[36:37], v[120:121], v[70:71]
	s_waitcnt vmcnt(24)
	v_mul_f64 v[38:39], v[128:129], v[74:75]
	v_fmac_f64_e32 v[36:37], v[122:123], v[68:69]
	s_waitcnt vmcnt(23)
	v_mul_f64 v[40:41], v[124:125], v[78:79]
	v_fmac_f64_e32 v[38:39], v[130:131], v[72:73]
	v_add_f64 v[0:1], v[0:1], v[36:37]
	s_waitcnt vmcnt(22)
	v_mul_f64 v[42:43], v[204:205], v[82:83]
	v_fmac_f64_e32 v[40:41], v[126:127], v[76:77]
	v_add_f64 v[0:1], v[0:1], v[38:39]
	s_waitcnt vmcnt(21)
	v_mul_f64 v[44:45], v[132:133], v[86:87]
	v_fmac_f64_e32 v[42:43], v[206:207], v[80:81]
	v_add_f64 v[0:1], v[0:1], v[40:41]
	s_waitcnt vmcnt(20) lgkmcnt(13)
	v_mul_f64 v[46:47], v[224:225], v[94:95]
	v_fmac_f64_e32 v[44:45], v[134:135], v[84:85]
	v_add_f64 v[0:1], v[0:1], v[42:43]
	s_waitcnt vmcnt(19) lgkmcnt(12)
	v_mul_f64 v[48:49], v[216:217], v[98:99]
	v_fmac_f64_e32 v[46:47], v[226:227], v[92:93]
	v_add_f64 v[0:1], v[0:1], v[44:45]
	s_waitcnt vmcnt(18) lgkmcnt(11)
	v_mul_f64 v[50:51], v[196:197], v[102:103]
	v_fmac_f64_e32 v[48:49], v[218:219], v[96:97]
	v_add_f64 v[0:1], v[0:1], v[46:47]
	s_waitcnt vmcnt(17) lgkmcnt(10)
	v_mul_f64 v[52:53], v[140:141], v[138:139]
	v_fmac_f64_e32 v[50:51], v[198:199], v[100:101]
	v_add_f64 v[0:1], v[0:1], v[48:49]
	s_waitcnt vmcnt(16) lgkmcnt(9)
	v_mul_f64 v[54:55], v[152:153], v[146:147]
	v_fmac_f64_e32 v[52:53], v[142:143], v[136:137]
	v_add_f64 v[0:1], v[0:1], v[50:51]
	s_waitcnt vmcnt(15) lgkmcnt(8)
	v_mul_f64 v[88:89], v[200:201], v[150:151]
	v_fmac_f64_e32 v[54:55], v[154:155], v[144:145]
	v_add_f64 v[0:1], v[0:1], v[52:53]
	s_waitcnt vmcnt(14) lgkmcnt(7)
	v_mul_f64 v[90:91], v[164:165], v[158:159]
	v_fmac_f64_e32 v[88:89], v[202:203], v[148:149]
	v_add_f64 v[0:1], v[0:1], v[54:55]
	s_waitcnt vmcnt(13) lgkmcnt(6)
	v_mul_f64 v[104:105], v[212:213], v[162:163]
	v_fmac_f64_e32 v[90:91], v[166:167], v[156:157]
	v_add_f64 v[0:1], v[0:1], v[88:89]
	s_waitcnt vmcnt(12) lgkmcnt(5)
	v_mul_f64 v[106:107], v[188:189], v[170:171]
	v_fmac_f64_e32 v[104:105], v[214:215], v[160:161]
	v_add_f64 v[0:1], v[0:1], v[90:91]
	v_fmac_f64_e32 v[106:107], v[190:191], v[168:169]
	v_add_f64 v[0:1], v[0:1], v[104:105]
	s_waitcnt vmcnt(11) lgkmcnt(4)
	v_mul_f64 v[40:41], v[176:177], v[174:175]
	v_add_f64 v[0:1], v[0:1], v[106:107]
	v_fmac_f64_e32 v[40:41], v[178:179], v[172:173]
	scratch_load_dwordx4 v[36:39], off, off offset:688
	v_add_f64 v[0:1], v[0:1], v[40:41]
	s_waitcnt vmcnt(11) lgkmcnt(3)
	v_mul_f64 v[40:41], v[228:229], v[182:183]
	v_fmac_f64_e32 v[40:41], v[230:231], v[180:181]
	v_add_f64 v[0:1], v[0:1], v[40:41]
	scratch_load_dwordx4 v[40:43], off, off offset:704
	ds_read_b128 v[88:91], v2 offset:1552
	s_waitcnt vmcnt(11) lgkmcnt(3)
	v_mul_f64 v[44:45], v[232:233], v[186:187]
	v_fmac_f64_e32 v[44:45], v[234:235], v[184:185]
	v_add_f64 v[0:1], v[0:1], v[44:45]
	s_waitcnt vmcnt(10) lgkmcnt(2)
	v_mul_f64 v[44:45], v[236:237], v[194:195]
	v_fmac_f64_e32 v[44:45], v[238:239], v[192:193]
	s_waitcnt vmcnt(9) lgkmcnt(0)
	v_mul_f64 v[48:49], v[88:89], v[6:7]
	ds_read_b128 v[104:107], v2 offset:1568
	v_add_f64 v[0:1], v[0:1], v[44:45]
	scratch_load_dwordx4 v[44:47], off, off offset:720
	v_fmac_f64_e32 v[48:49], v[90:91], v[4:5]
	v_accvgpr_write_b32 a131, v7
	v_add_f64 v[0:1], v[0:1], v[48:49]
	scratch_load_dwordx4 v[48:51], off, off offset:736
	v_accvgpr_write_b32 a130, v6
	v_accvgpr_write_b32 a129, v5
	;; [unrolled: 1-line block ×3, first 2 shown]
	s_waitcnt vmcnt(10)
	v_mov_b64_e32 v[4:5], v[8:9]
	v_mov_b64_e32 v[6:7], v[10:11]
	s_waitcnt lgkmcnt(0)
	v_mul_f64 v[52:53], v[104:105], v[6:7]
	v_fmac_f64_e32 v[52:53], v[106:107], v[4:5]
	v_add_f64 v[0:1], v[0:1], v[52:53]
	scratch_load_dwordx4 v[52:55], off, off offset:752
	v_mul_f64 v[58:59], v[118:119], v[58:59]
	v_fma_f64 v[244:245], v[116:117], v[56:57], -v[58:59]
	scratch_load_dwordx4 v[56:59], off, off offset:768
	v_mul_f64 v[62:63], v[222:223], v[62:63]
	v_fma_f64 v[246:247], v[220:221], v[60:61], -v[62:63]
	scratch_load_dwordx4 v[60:63], off, off offset:784
	s_waitcnt vmcnt(12)
	v_mov_b64_e32 v[4:5], v[12:13]
	v_mul_f64 v[66:67], v[210:211], v[66:67]
	v_mov_b64_e32 v[6:7], v[14:15]
	v_fma_f64 v[248:249], v[208:209], v[64:65], -v[66:67]
	scratch_load_dwordx4 v[64:67], off, off offset:800
	v_mul_f64 v[112:113], v[108:109], v[6:7]
	v_fmac_f64_e32 v[112:113], v[110:111], v[4:5]
	v_add_f64 v[0:1], v[0:1], v[112:113]
	ds_read_b128 v[112:115], v2 offset:1600
	ds_read_b128 v[116:119], v2 offset:1616
	s_waitcnt vmcnt(12)
	v_mov_b64_e32 v[4:5], v[16:17]
	v_mul_f64 v[70:71], v[122:123], v[70:71]
	v_mov_b64_e32 v[6:7], v[18:19]
	v_fma_f64 v[250:251], v[120:121], v[68:69], -v[70:71]
	scratch_load_dwordx4 v[68:71], off, off offset:816
	v_mul_f64 v[74:75], v[130:131], v[74:75]
	s_waitcnt lgkmcnt(1)
	v_mul_f64 v[220:221], v[112:113], v[6:7]
	v_fma_f64 v[252:253], v[128:129], v[72:73], -v[74:75]
	scratch_load_dwordx4 v[72:75], off, off offset:832
	v_fmac_f64_e32 v[220:221], v[114:115], v[4:5]
	s_waitcnt vmcnt(13)
	v_mov_b64_e32 v[4:5], v[20:21]
	ds_read_b128 v[120:123], v2 offset:1632
	v_mul_f64 v[78:79], v[126:127], v[78:79]
	v_mov_b64_e32 v[6:7], v[22:23]
	v_fma_f64 v[254:255], v[124:125], v[76:77], -v[78:79]
	scratch_load_dwordx4 v[76:79], off, off offset:848
	s_waitcnt lgkmcnt(1)
	v_mul_f64 v[208:209], v[116:117], v[6:7]
	ds_read_b128 v[124:127], v2 offset:1648
	v_fmac_f64_e32 v[208:209], v[118:119], v[4:5]
	s_waitcnt vmcnt(13)
	v_mov_b64_e32 v[4:5], v[24:25]
	v_mul_f64 v[82:83], v[206:207], v[82:83]
	v_mov_b64_e32 v[6:7], v[26:27]
	v_fma_f64 v[240:241], v[204:205], v[80:81], -v[82:83]
	scratch_load_dwordx4 v[80:83], off, off offset:864
	v_add_f64 v[0:1], v[0:1], v[220:221]
	s_waitcnt lgkmcnt(1)
	v_mul_f64 v[128:129], v[120:121], v[6:7]
	v_add_f64 v[0:1], v[0:1], v[208:209]
	v_fmac_f64_e32 v[128:129], v[122:123], v[4:5]
	v_add_f64 v[0:1], v[0:1], v[128:129]
	s_waitcnt vmcnt(13) lgkmcnt(0)
	v_mul_f64 v[128:129], v[124:125], v[30:31]
	v_accvgpr_write_b32 a151, v27
	v_fmac_f64_e32 v[128:129], v[126:127], v[28:29]
	v_mul_f64 v[86:87], v[134:135], v[86:87]
	v_accvgpr_write_b32 a150, v26
	v_accvgpr_write_b32 a149, v25
	;; [unrolled: 1-line block ×3, first 2 shown]
	v_add_f64 v[0:1], v[0:1], v[128:129]
	v_fma_f64 v[24:25], v[132:133], v[84:85], -v[86:87]
	scratch_load_dwordx4 v[84:87], off, off offset:880
	ds_read_b128 v[132:135], v2 offset:1664
	ds_read_b128 v[128:131], v2 offset:1680
	v_accvgpr_write_b32 a147, v23
	v_mul_f64 v[6:7], v[226:227], v[94:95]
	v_accvgpr_write_b32 a143, v19
	v_accvgpr_write_b32 a146, v22
	;; [unrolled: 1-line block ×4, first 2 shown]
	v_fma_f64 v[20:21], v[224:225], v[92:93], -v[6:7]
	v_mul_f64 v[92:93], v[218:219], v[98:99]
	v_accvgpr_write_b32 a135, v11
	v_accvgpr_write_b32 a142, v18
	;; [unrolled: 1-line block ×4, first 2 shown]
	v_fma_f64 v[16:17], v[216:217], v[96:97], -v[92:93]
	scratch_load_dwordx4 v[96:99], off, off offset:896
	scratch_load_dwordx4 v[92:95], off, off offset:912
	v_accvgpr_write_b32 a134, v10
	v_accvgpr_write_b32 a133, v9
	;; [unrolled: 1-line block ×3, first 2 shown]
	s_waitcnt vmcnt(15) lgkmcnt(1)
	v_mul_f64 v[10:11], v[132:133], v[34:35]
	v_fmac_f64_e32 v[10:11], v[134:135], v[32:33]
	v_accvgpr_write_b32 a139, v15
	v_add_f64 v[0:1], v[0:1], v[10:11]
	v_mul_f64 v[10:11], v[198:199], v[102:103]
	v_accvgpr_write_b32 a138, v14
	v_accvgpr_write_b32 a137, v13
	;; [unrolled: 1-line block ×3, first 2 shown]
	v_fma_f64 v[12:13], v[196:197], v[100:101], -v[10:11]
	scratch_load_dwordx4 v[100:103], off, off offset:928
	v_mul_f64 v[138:139], v[142:143], v[138:139]
	v_fma_f64 v[10:11], v[140:141], v[136:137], -v[138:139]
	ds_read_b128 v[136:139], v2 offset:1696
	ds_read_b128 v[140:143], v2 offset:1712
	s_waitcnt vmcnt(15) lgkmcnt(2)
	v_mul_f64 v[14:15], v[128:129], v[38:39]
	v_fmac_f64_e32 v[14:15], v[130:131], v[36:37]
	v_add_f64 v[0:1], v[0:1], v[14:15]
	s_waitcnt vmcnt(14) lgkmcnt(1)
	v_mul_f64 v[14:15], v[136:137], v[42:43]
	v_fmac_f64_e32 v[14:15], v[138:139], v[40:41]
	v_add_f64 v[0:1], v[0:1], v[14:15]
	v_mul_f64 v[14:15], v[154:155], v[146:147]
	v_fma_f64 v[14:15], v[152:153], v[144:145], -v[14:15]
	ds_read_b128 v[144:147], v2 offset:1728
	s_waitcnt vmcnt(13) lgkmcnt(1)
	v_mul_f64 v[152:153], v[140:141], v[46:47]
	v_mul_f64 v[150:151], v[202:203], v[150:151]
	v_fmac_f64_e32 v[152:153], v[142:143], v[44:45]
	v_fma_f64 v[8:9], v[200:201], v[148:149], -v[150:151]
	ds_read_b128 v[148:151], v2 offset:1744
	s_waitcnt vmcnt(12) lgkmcnt(1)
	v_mul_f64 v[18:19], v[144:145], v[50:51]
	v_add_f64 v[0:1], v[0:1], v[152:153]
	v_fmac_f64_e32 v[18:19], v[146:147], v[48:49]
	v_add_f64 v[0:1], v[0:1], v[18:19]
	ds_read_b128 v[152:155], v2 offset:1760
	v_mul_f64 v[18:19], v[166:167], v[158:159]
	v_fma_f64 v[18:19], v[164:165], v[156:157], -v[18:19]
	ds_read_b128 v[156:159], v2 offset:1776
	v_mul_f64 v[162:163], v[214:215], v[162:163]
	s_waitcnt vmcnt(11) lgkmcnt(2)
	v_mul_f64 v[164:165], v[148:149], v[54:55]
	v_fma_f64 v[6:7], v[212:213], v[160:161], -v[162:163]
	ds_read_b128 v[160:163], v2 offset:1792
	v_fmac_f64_e32 v[164:165], v[150:151], v[52:53]
	v_add_f64 v[0:1], v[0:1], v[164:165]
	s_waitcnt vmcnt(10) lgkmcnt(2)
	v_mul_f64 v[164:165], v[152:153], v[58:59]
	v_fmac_f64_e32 v[164:165], v[154:155], v[56:57]
	s_waitcnt vmcnt(9) lgkmcnt(1)
	v_mul_f64 v[22:23], v[156:157], v[62:63]
	v_add_f64 v[0:1], v[0:1], v[164:165]
	v_fmac_f64_e32 v[22:23], v[158:159], v[60:61]
	v_add_f64 v[0:1], v[0:1], v[22:23]
	ds_read_b128 v[164:167], v2 offset:1808
	s_waitcnt vmcnt(8) lgkmcnt(1)
	v_mul_f64 v[22:23], v[160:161], v[66:67]
	v_fmac_f64_e32 v[22:23], v[162:163], v[64:65]
	v_add_f64 v[0:1], v[0:1], v[22:23]
	v_mul_f64 v[22:23], v[190:191], v[170:171]
	v_fma_f64 v[22:23], v[188:189], v[168:169], -v[22:23]
	ds_read_b128 v[168:171], v2 offset:1824
	v_mul_f64 v[174:175], v[178:179], v[174:175]
	v_fma_f64 v[4:5], v[176:177], v[172:173], -v[174:175]
	ds_read_b128 v[172:175], v2 offset:1840
	s_waitcnt vmcnt(7) lgkmcnt(2)
	v_mul_f64 v[188:189], v[164:165], v[70:71]
	v_fmac_f64_e32 v[188:189], v[166:167], v[68:69]
	s_waitcnt vmcnt(6) lgkmcnt(1)
	v_mul_f64 v[26:27], v[168:169], v[74:75]
	ds_read_b128 v[176:179], v2 offset:1856
	v_add_f64 v[0:1], v[0:1], v[188:189]
	v_fmac_f64_e32 v[26:27], v[170:171], v[72:73]
	v_add_f64 v[0:1], v[0:1], v[26:27]
	s_waitcnt vmcnt(5) lgkmcnt(1)
	v_mul_f64 v[26:27], v[172:173], v[78:79]
	v_fmac_f64_e32 v[26:27], v[174:175], v[76:77]
	v_add_f64 v[0:1], v[0:1], v[26:27]
	v_mul_f64 v[26:27], v[230:231], v[182:183]
	v_fma_f64 v[26:27], v[228:229], v[180:181], -v[26:27]
	ds_read_b128 v[180:183], v2 offset:1872
	s_waitcnt vmcnt(4) lgkmcnt(1)
	v_mul_f64 v[188:189], v[176:177], v[82:83]
	v_fmac_f64_e32 v[188:189], v[178:179], v[80:81]
	v_add_f64 v[196:197], v[0:1], v[188:189]
	v_mul_f64 v[0:1], v[234:235], v[186:187]
	v_fma_f64 v[0:1], v[232:233], v[184:185], -v[0:1]
	ds_read_b128 v[184:187], v2 offset:1888
	ds_read_b128 v[188:191], v2 offset:1904
	s_waitcnt vmcnt(3) lgkmcnt(2)
	v_mul_f64 v[198:199], v[180:181], v[86:87]
	v_mul_f64 v[194:195], v[238:239], v[194:195]
	v_fmac_f64_e32 v[198:199], v[182:183], v[84:85]
	v_fma_f64 v[242:243], v[236:237], v[192:193], -v[194:195]
	ds_read_b128 v[192:195], v2 offset:1920
	ds_read_b128 v[200:203], v2 offset:1936
	v_add_f64 v[196:197], v[196:197], v[198:199]
	s_waitcnt vmcnt(2) lgkmcnt(3)
	v_mul_f64 v[198:199], v[184:185], v[98:99]
	v_fmac_f64_e32 v[198:199], v[186:187], v[96:97]
	v_add_f64 v[196:197], v[196:197], v[198:199]
	s_waitcnt vmcnt(1) lgkmcnt(2)
	v_mul_f64 v[198:199], v[188:189], v[94:95]
	v_fmac_f64_e32 v[198:199], v[190:191], v[92:93]
	v_add_f64 v[196:197], v[196:197], v[198:199]
	scratch_load_dwordx4 v[232:235], off, off offset:1008
	s_waitcnt vmcnt(1) lgkmcnt(1)
	v_mul_f64 v[198:199], v[192:193], v[102:103]
	v_fmac_f64_e32 v[198:199], v[194:195], v[100:101]
	v_add_f64 v[204:205], v[196:197], v[198:199]
	scratch_load_dwordx4 v[196:199], off, off offset:944
	ds_read_b128 v[208:211], v2 offset:1952
	ds_read_b128 v[216:219], v2 offset:1968
	;; [unrolled: 1-line block ×3, first 2 shown]
	s_waitcnt vmcnt(0) lgkmcnt(3)
	v_mul_f64 v[206:207], v[200:201], v[198:199]
	v_fmac_f64_e32 v[206:207], v[202:203], v[196:197]
	v_add_f64 v[212:213], v[204:205], v[206:207]
	scratch_load_dwordx4 v[204:207], off, off offset:960
	s_waitcnt vmcnt(0) lgkmcnt(2)
	v_mul_f64 v[214:215], v[208:209], v[206:207]
	v_fmac_f64_e32 v[214:215], v[210:211], v[204:205]
	v_add_f64 v[220:221], v[212:213], v[214:215]
	scratch_load_dwordx4 v[212:215], off, off offset:976
	;; [unrolled: 5-line block ×3, first 2 shown]
	s_waitcnt vmcnt(0) lgkmcnt(0)
	v_mul_f64 v[230:231], v[224:225], v[222:223]
	v_fmac_f64_e32 v[230:231], v[226:227], v[220:221]
	v_add_f64 v[236:237], v[228:229], v[230:231]
	ds_read_b128 v[228:231], v2 offset:2000
	s_waitcnt lgkmcnt(0)
	v_mul_f64 v[2:3], v[228:229], v[234:235]
	v_fmac_f64_e32 v[2:3], v[230:231], v[232:233]
	v_add_f64 v[2:3], v[236:237], v[2:3]
	v_add_f64 v[236:237], v[244:245], 0
	;; [unrolled: 1-line block ×9, first 2 shown]
	scratch_load_dwordx4 v[236:239], off, off offset:208
	v_add_f64 v[20:21], v[24:25], v[20:21]
	v_add_f64 v[16:17], v[20:21], v[16:17]
	;; [unrolled: 1-line block ×10, first 2 shown]
	v_accvgpr_read_b32 v6, a128
	v_accvgpr_read_b32 v8, a130
	;; [unrolled: 1-line block ×3, first 2 shown]
	v_add_f64 v[254:255], v[4:5], v[26:27]
	v_accvgpr_read_b32 v7, a129
	v_mul_f64 v[4:5], v[90:91], v[8:9]
	v_add_f64 v[0:1], v[254:255], v[0:1]
	v_fma_f64 v[4:5], v[88:89], v[6:7], -v[4:5]
	v_accvgpr_read_b32 v6, a132
	v_add_f64 v[0:1], v[0:1], v[242:243]
	v_accvgpr_read_b32 v8, a134
	v_accvgpr_read_b32 v9, a135
	v_add_f64 v[0:1], v[0:1], v[4:5]
	v_accvgpr_read_b32 v7, a133
	v_mul_f64 v[4:5], v[106:107], v[8:9]
	v_fma_f64 v[4:5], v[104:105], v[6:7], -v[4:5]
	v_accvgpr_read_b32 v6, a136
	v_accvgpr_read_b32 v8, a138
	v_accvgpr_read_b32 v9, a139
	v_add_f64 v[0:1], v[0:1], v[4:5]
	v_accvgpr_read_b32 v7, a137
	v_mul_f64 v[4:5], v[110:111], v[8:9]
	v_fma_f64 v[4:5], v[108:109], v[6:7], -v[4:5]
	v_accvgpr_read_b32 v6, a140
	;; [unrolled: 7-line block ×4, first 2 shown]
	v_accvgpr_read_b32 v8, a150
	v_accvgpr_read_b32 v9, a151
	v_add_f64 v[0:1], v[0:1], v[4:5]
	v_accvgpr_read_b32 v7, a149
	v_mul_f64 v[4:5], v[122:123], v[8:9]
	v_fma_f64 v[4:5], v[120:121], v[6:7], -v[4:5]
	v_add_f64 v[0:1], v[0:1], v[4:5]
	v_mul_f64 v[4:5], v[126:127], v[30:31]
	v_fma_f64 v[4:5], v[124:125], v[28:29], -v[4:5]
	v_add_f64 v[0:1], v[0:1], v[4:5]
	;; [unrolled: 3-line block ×24, first 2 shown]
	s_waitcnt vmcnt(0)
	v_add_f64 v[4:5], v[236:237], -v[0:1]
	v_accvgpr_read_b32 v0, a126
	v_add_f64 v[6:7], v[238:239], -v[2:3]
	v_cmp_lt_u32_e32 vcc, 11, v0
	scratch_store_dwordx4 off, v[4:7], off offset:208
	s_and_saveexec_b64 s[0:1], vcc
	s_cbranch_execz .LBB62_381
; %bb.380:
	scratch_load_dwordx4 v[2:5], off, s66
	v_mov_b32_e32 v6, 0
	v_mov_b32_e32 v7, v6
	;; [unrolled: 1-line block ×4, first 2 shown]
	v_accvgpr_read_b32 v0, a127
	scratch_store_dwordx4 off, v[6:9], off offset:192
	s_waitcnt vmcnt(1)
	ds_write_b128 v0, v[2:5]
.LBB62_381:
	s_or_b64 exec, exec, s[0:1]
	s_waitcnt lgkmcnt(0)
	; wave barrier
	scratch_load_dwordx4 v[48:51], off, off offset:208
	scratch_load_dwordx4 v[52:55], off, off offset:224
	scratch_load_dwordx4 v[56:59], off, off offset:240
	scratch_load_dwordx4 v[60:63], off, off offset:256
	scratch_load_dwordx4 v[64:67], off, off offset:272
	scratch_load_dwordx4 v[68:71], off, off offset:288
	scratch_load_dwordx4 v[72:75], off, off offset:304
	scratch_load_dwordx4 v[76:79], off, off offset:320
	scratch_load_dwordx4 v[80:83], off, off offset:336
	scratch_load_dwordx4 v[84:87], off, off offset:352
	scratch_load_dwordx4 v[92:95], off, off offset:368
	scratch_load_dwordx4 v[100:103], off, off offset:384
	scratch_load_dwordx4 v[108:111], off, off offset:400
	scratch_load_dwordx4 v[136:139], off, off offset:416
	scratch_load_dwordx4 v[140:143], off, off offset:432
	scratch_load_dwordx4 v[144:147], off, off offset:448
	scratch_load_dwordx4 v[152:155], off, off offset:464
	scratch_load_dwordx4 v[156:159], off, off offset:480
	scratch_load_dwordx4 v[164:167], off, off offset:496
	scratch_load_dwordx4 v[168:171], off, off offset:512
	scratch_load_dwordx4 v[176:179], off, off offset:528
	scratch_load_dwordx4 v[180:183], off, off offset:544
	scratch_load_dwordx4 v[188:191], off, off offset:560
	scratch_load_dwordx4 v[4:7], off, off offset:576
	scratch_load_dwordx4 v[8:11], off, off offset:592
	scratch_load_dwordx4 v[12:15], off, off offset:608
	scratch_load_dwordx4 v[16:19], off, off offset:624
	scratch_load_dwordx4 v[20:23], off, off offset:640
	v_mov_b32_e32 v2, 0
	ds_read_b128 v[104:107], v2 offset:1200
	ds_read_b128 v[112:115], v2 offset:1216
	;; [unrolled: 1-line block ×18, first 2 shown]
	scratch_load_dwordx4 a[128:131], off, off offset:656
	scratch_load_dwordx4 v[234:237], off, off offset:672
	ds_read_b128 v[220:223], v2 offset:1488
	ds_read_b128 v[224:227], v2 offset:1504
	;; [unrolled: 1-line block ×5, first 2 shown]
	s_waitcnt vmcnt(29) lgkmcnt(14)
	v_mul_f64 v[0:1], v[104:105], v[50:51]
	s_waitcnt vmcnt(28)
	v_mul_f64 v[24:25], v[112:113], v[54:55]
	v_fmac_f64_e32 v[0:1], v[106:107], v[48:49]
	s_waitcnt vmcnt(27)
	v_mul_f64 v[26:27], v[116:117], v[58:59]
	v_fmac_f64_e32 v[24:25], v[114:115], v[52:53]
	v_add_f64 v[0:1], v[0:1], 0
	s_waitcnt vmcnt(26)
	v_mul_f64 v[28:29], v[120:121], v[62:63]
	v_fmac_f64_e32 v[26:27], v[118:119], v[56:57]
	v_add_f64 v[0:1], v[0:1], v[24:25]
	;; [unrolled: 4-line block ×7, first 2 shown]
	s_waitcnt vmcnt(20) lgkmcnt(13)
	v_mul_f64 v[40:41], v[172:173], v[86:87]
	v_fmac_f64_e32 v[38:39], v[162:163], v[80:81]
	v_add_f64 v[0:1], v[0:1], v[36:37]
	s_waitcnt vmcnt(19) lgkmcnt(12)
	v_mul_f64 v[42:43], v[184:185], v[94:95]
	v_fmac_f64_e32 v[40:41], v[174:175], v[84:85]
	v_add_f64 v[0:1], v[0:1], v[38:39]
	;; [unrolled: 4-line block ×8, first 2 shown]
	v_add_f64 v[0:1], v[0:1], v[96:97]
	v_fmac_f64_e32 v[98:99], v[214:215], v[152:153]
	s_waitcnt vmcnt(12) lgkmcnt(5)
	v_mul_f64 v[32:33], v[216:217], v[158:159]
	v_add_f64 v[0:1], v[0:1], v[98:99]
	v_fmac_f64_e32 v[32:33], v[218:219], v[156:157]
	v_add_f64 v[0:1], v[0:1], v[32:33]
	s_waitcnt vmcnt(11) lgkmcnt(4)
	v_mul_f64 v[32:33], v[220:221], v[166:167]
	v_fmac_f64_e32 v[32:33], v[222:223], v[164:165]
	v_add_f64 v[0:1], v[0:1], v[32:33]
	scratch_load_dwordx4 v[32:35], off, off offset:688
	s_waitcnt vmcnt(11) lgkmcnt(3)
	v_mul_f64 v[36:37], v[224:225], v[170:171]
	v_fmac_f64_e32 v[36:37], v[226:227], v[168:169]
	v_add_f64 v[0:1], v[0:1], v[36:37]
	s_waitcnt vmcnt(10) lgkmcnt(2)
	v_mul_f64 v[36:37], v[228:229], v[178:179]
	v_fmac_f64_e32 v[36:37], v[230:231], v[176:177]
	v_add_f64 v[0:1], v[0:1], v[36:37]
	scratch_load_dwordx4 v[36:39], off, off offset:704
	s_waitcnt vmcnt(10) lgkmcnt(1)
	v_mul_f64 v[40:41], v[238:239], v[182:183]
	v_fmac_f64_e32 v[40:41], v[240:241], v[180:181]
	v_add_f64 v[0:1], v[0:1], v[40:41]
	scratch_load_dwordx4 v[40:43], off, off offset:720
	ds_read_b128 v[88:91], v2 offset:1568
	s_waitcnt vmcnt(10) lgkmcnt(1)
	v_mul_f64 v[44:45], v[242:243], v[190:191]
	v_fmac_f64_e32 v[44:45], v[244:245], v[188:189]
	v_add_f64 v[0:1], v[0:1], v[44:45]
	scratch_load_dwordx4 v[44:47], off, off offset:736
	v_mul_f64 v[50:51], v[106:107], v[50:51]
	v_fma_f64 v[246:247], v[104:105], v[48:49], -v[50:51]
	scratch_load_dwordx4 v[48:51], off, off offset:752
	v_mul_f64 v[54:55], v[114:115], v[54:55]
	v_fma_f64 v[248:249], v[112:113], v[52:53], -v[54:55]
	scratch_load_dwordx4 v[52:55], off, off offset:768
	s_waitcnt vmcnt(12) lgkmcnt(0)
	v_mul_f64 v[96:97], v[88:89], v[6:7]
	v_fmac_f64_e32 v[96:97], v[90:91], v[4:5]
	v_mul_f64 v[58:59], v[118:119], v[58:59]
	v_add_f64 v[0:1], v[0:1], v[96:97]
	ds_read_b128 v[96:99], v2 offset:1584
	ds_read_b128 v[104:107], v2 offset:1600
	v_fma_f64 v[250:251], v[116:117], v[56:57], -v[58:59]
	scratch_load_dwordx4 v[56:59], off, off offset:784
	v_mul_f64 v[62:63], v[122:123], v[62:63]
	v_accvgpr_write_b32 a135, v7
	v_fma_f64 v[252:253], v[120:121], v[60:61], -v[62:63]
	scratch_load_dwordx4 v[60:63], off, off offset:800
	v_accvgpr_write_b32 a134, v6
	v_accvgpr_write_b32 a133, v5
	;; [unrolled: 1-line block ×3, first 2 shown]
	s_waitcnt vmcnt(13)
	v_mov_b64_e32 v[4:5], v[8:9]
	v_mov_b64_e32 v[6:7], v[10:11]
	v_mul_f64 v[66:67], v[126:127], v[66:67]
	s_waitcnt lgkmcnt(1)
	v_mul_f64 v[112:113], v[96:97], v[6:7]
	v_fma_f64 v[254:255], v[124:125], v[64:65], -v[66:67]
	scratch_load_dwordx4 v[64:67], off, off offset:816
	v_fmac_f64_e32 v[112:113], v[98:99], v[4:5]
	s_waitcnt vmcnt(13)
	v_mov_b64_e32 v[4:5], v[12:13]
	v_mov_b64_e32 v[6:7], v[14:15]
	v_add_f64 v[0:1], v[0:1], v[112:113]
	s_waitcnt lgkmcnt(0)
	v_mul_f64 v[112:113], v[104:105], v[6:7]
	v_fmac_f64_e32 v[112:113], v[106:107], v[4:5]
	v_add_f64 v[0:1], v[0:1], v[112:113]
	ds_read_b128 v[112:115], v2 offset:1616
	ds_read_b128 v[116:119], v2 offset:1632
	v_mul_f64 v[70:71], v[130:131], v[70:71]
	v_fma_f64 v[232:233], v[128:129], v[68:69], -v[70:71]
	scratch_load_dwordx4 v[68:71], off, off offset:832
	v_mul_f64 v[74:75], v[134:135], v[74:75]
	v_accvgpr_write_b32 a139, v11
	s_waitcnt vmcnt(13)
	v_mov_b64_e32 v[4:5], v[16:17]
	v_fma_f64 v[28:29], v[132:133], v[72:73], -v[74:75]
	scratch_load_dwordx4 v[72:75], off, off offset:848
	v_accvgpr_write_b32 a138, v10
	v_accvgpr_write_b32 a137, v9
	;; [unrolled: 1-line block ×3, first 2 shown]
	v_mov_b64_e32 v[6:7], v[18:19]
	s_waitcnt vmcnt(13)
	v_mov_b64_e32 v[8:9], v[20:21]
	s_waitcnt lgkmcnt(1)
	v_mul_f64 v[120:121], v[112:113], v[6:7]
	v_mov_b64_e32 v[10:11], v[22:23]
	v_fmac_f64_e32 v[120:121], v[114:115], v[4:5]
	s_waitcnt lgkmcnt(0)
	v_mul_f64 v[6:7], v[116:117], v[10:11]
	v_add_f64 v[0:1], v[0:1], v[120:121]
	v_fmac_f64_e32 v[6:7], v[118:119], v[8:9]
	v_add_f64 v[0:1], v[0:1], v[6:7]
	v_mul_f64 v[6:7], v[150:151], v[78:79]
	v_accvgpr_write_b32 a151, v23
	v_fma_f64 v[24:25], v[148:149], v[76:77], -v[6:7]
	scratch_load_dwordx4 v[76:79], off, off offset:864
	v_mul_f64 v[6:7], v[162:163], v[82:83]
	ds_read_b128 v[124:127], v2 offset:1648
	ds_read_b128 v[120:123], v2 offset:1664
	v_accvgpr_write_b32 a147, v19
	v_accvgpr_write_b32 a150, v22
	;; [unrolled: 1-line block ×4, first 2 shown]
	v_fma_f64 v[20:21], v[160:161], v[80:81], -v[6:7]
	v_mul_f64 v[6:7], v[174:175], v[86:87]
	v_accvgpr_write_b32 a146, v18
	v_accvgpr_write_b32 a145, v17
	;; [unrolled: 1-line block ×3, first 2 shown]
	v_fma_f64 v[16:17], v[172:173], v[84:85], -v[6:7]
	scratch_load_dwordx4 v[84:87], off, off offset:880
	scratch_load_dwordx4 v[80:83], off, off offset:896
	s_waitcnt vmcnt(15)
	v_accvgpr_read_b32 v8, a128
	v_accvgpr_read_b32 v10, a130
	;; [unrolled: 1-line block ×4, first 2 shown]
	s_waitcnt lgkmcnt(1)
	v_mul_f64 v[6:7], v[124:125], v[10:11]
	v_fmac_f64_e32 v[6:7], v[126:127], v[8:9]
	v_add_f64 v[0:1], v[0:1], v[6:7]
	s_waitcnt vmcnt(14) lgkmcnt(0)
	v_mul_f64 v[6:7], v[120:121], v[236:237]
	v_fmac_f64_e32 v[6:7], v[122:123], v[234:235]
	v_accvgpr_write_b32 a143, v15
	v_add_f64 v[0:1], v[0:1], v[6:7]
	v_mul_f64 v[6:7], v[186:187], v[94:95]
	v_accvgpr_write_b32 a142, v14
	v_accvgpr_write_b32 a141, v13
	;; [unrolled: 1-line block ×3, first 2 shown]
	v_fma_f64 v[14:15], v[184:185], v[92:93], -v[6:7]
	scratch_load_dwordx4 v[92:95], off, off offset:912
	v_mul_f64 v[6:7], v[194:195], v[102:103]
	v_fma_f64 v[12:13], v[192:193], v[100:101], -v[6:7]
	scratch_load_dwordx4 v[100:103], off, off offset:928
	v_mul_f64 v[6:7], v[198:199], v[110:111]
	v_fma_f64 v[18:19], v[196:197], v[108:109], -v[6:7]
	scratch_load_dwordx4 v[108:111], off, off offset:944
	ds_read_b128 v[128:131], v2 offset:1680
	ds_read_b128 v[132:135], v2 offset:1696
	ds_read_b128 v[148:151], v2 offset:1760
	ds_read_b128 v[160:163], v2 offset:1808
	v_mul_f64 v[182:183], v[240:241], v[182:183]
	s_waitcnt vmcnt(16) lgkmcnt(3)
	v_mul_f64 v[6:7], v[128:129], v[34:35]
	v_fmac_f64_e32 v[6:7], v[130:131], v[32:33]
	v_add_f64 v[0:1], v[0:1], v[6:7]
	v_mul_f64 v[6:7], v[202:203], v[138:139]
	v_fma_f64 v[10:11], v[200:201], v[136:137], -v[6:7]
	ds_read_b128 v[136:139], v2 offset:1712
	s_waitcnt vmcnt(15) lgkmcnt(3)
	v_mul_f64 v[6:7], v[132:133], v[38:39]
	v_fmac_f64_e32 v[6:7], v[134:135], v[36:37]
	v_add_f64 v[0:1], v[0:1], v[6:7]
	v_mul_f64 v[6:7], v[206:207], v[142:143]
	v_fma_f64 v[22:23], v[204:205], v[140:141], -v[6:7]
	ds_read_b128 v[140:143], v2 offset:1728
	;; [unrolled: 7-line block ×3, first 2 shown]
	s_waitcnt vmcnt(13) lgkmcnt(1)
	v_mul_f64 v[6:7], v[140:141], v[46:47]
	v_fmac_f64_e32 v[6:7], v[142:143], v[44:45]
	v_add_f64 v[0:1], v[0:1], v[6:7]
	v_fma_f64 v[238:239], v[238:239], v[180:181], -v[182:183]
	s_waitcnt vmcnt(12) lgkmcnt(0)
	v_mul_f64 v[6:7], v[144:145], v[50:51]
	v_fmac_f64_e32 v[6:7], v[146:147], v[48:49]
	v_add_f64 v[0:1], v[0:1], v[6:7]
	v_mul_f64 v[6:7], v[214:215], v[154:155]
	v_fma_f64 v[26:27], v[212:213], v[152:153], -v[6:7]
	s_waitcnt vmcnt(11)
	v_mul_f64 v[6:7], v[148:149], v[54:55]
	v_fmac_f64_e32 v[6:7], v[150:151], v[52:53]
	ds_read_b128 v[152:155], v2 offset:1776
	v_add_f64 v[0:1], v[0:1], v[6:7]
	v_mul_f64 v[6:7], v[218:219], v[158:159]
	v_fma_f64 v[4:5], v[216:217], v[156:157], -v[6:7]
	ds_read_b128 v[156:159], v2 offset:1792
	s_waitcnt vmcnt(10) lgkmcnt(1)
	v_mul_f64 v[6:7], v[152:153], v[58:59]
	v_fmac_f64_e32 v[6:7], v[154:155], v[56:57]
	v_add_f64 v[0:1], v[0:1], v[6:7]
	ds_read_b128 v[180:183], v2 offset:1888
	s_waitcnt vmcnt(9) lgkmcnt(1)
	v_mul_f64 v[6:7], v[156:157], v[62:63]
	v_fmac_f64_e32 v[6:7], v[158:159], v[60:61]
	v_add_f64 v[0:1], v[0:1], v[6:7]
	v_mul_f64 v[6:7], v[222:223], v[166:167]
	v_fma_f64 v[30:31], v[220:221], v[164:165], -v[6:7]
	ds_read_b128 v[164:167], v2 offset:1824
	s_waitcnt vmcnt(8)
	v_mul_f64 v[6:7], v[160:161], v[66:67]
	v_fmac_f64_e32 v[6:7], v[162:163], v[64:65]
	v_add_f64 v[0:1], v[0:1], v[6:7]
	v_mul_f64 v[6:7], v[226:227], v[170:171]
	v_fma_f64 v[6:7], v[224:225], v[168:169], -v[6:7]
	ds_read_b128 v[168:171], v2 offset:1840
	s_waitcnt vmcnt(7) lgkmcnt(1)
	v_mul_f64 v[172:173], v[164:165], v[70:71]
	v_fmac_f64_e32 v[172:173], v[166:167], v[68:69]
	v_add_f64 v[0:1], v[0:1], v[172:173]
	ds_read_b128 v[172:175], v2 offset:1856
	s_waitcnt vmcnt(6) lgkmcnt(1)
	v_mul_f64 v[184:185], v[168:169], v[74:75]
	v_fmac_f64_e32 v[184:185], v[170:171], v[72:73]
	v_add_f64 v[184:185], v[0:1], v[184:185]
	v_mul_f64 v[0:1], v[230:231], v[178:179]
	v_fma_f64 v[0:1], v[228:229], v[176:177], -v[0:1]
	ds_read_b128 v[176:179], v2 offset:1872
	s_waitcnt vmcnt(5) lgkmcnt(1)
	v_mul_f64 v[186:187], v[172:173], v[78:79]
	v_fmac_f64_e32 v[186:187], v[174:175], v[76:77]
	v_add_f64 v[184:185], v[184:185], v[186:187]
	v_mul_f64 v[190:191], v[244:245], v[190:191]
	s_waitcnt vmcnt(4) lgkmcnt(0)
	v_mul_f64 v[186:187], v[176:177], v[86:87]
	v_fmac_f64_e32 v[186:187], v[178:179], v[84:85]
	v_add_f64 v[192:193], v[184:185], v[186:187]
	ds_read_b128 v[184:187], v2 offset:1904
	v_fma_f64 v[240:241], v[242:243], v[188:189], -v[190:191]
	ds_read_b128 v[188:191], v2 offset:1920
	s_waitcnt vmcnt(3)
	v_mul_f64 v[194:195], v[180:181], v[82:83]
	v_fmac_f64_e32 v[194:195], v[182:183], v[80:81]
	v_add_f64 v[192:193], v[192:193], v[194:195]
	s_waitcnt vmcnt(2) lgkmcnt(1)
	v_mul_f64 v[194:195], v[184:185], v[94:95]
	v_fmac_f64_e32 v[194:195], v[186:187], v[92:93]
	v_add_f64 v[192:193], v[192:193], v[194:195]
	s_waitcnt vmcnt(1) lgkmcnt(0)
	v_mul_f64 v[194:195], v[188:189], v[102:103]
	v_fmac_f64_e32 v[194:195], v[190:191], v[100:101]
	v_add_f64 v[196:197], v[192:193], v[194:195]
	ds_read_b128 v[192:195], v2 offset:1936
	ds_read_b128 v[200:203], v2 offset:1952
	;; [unrolled: 1-line block ×5, first 2 shown]
	s_waitcnt vmcnt(0) lgkmcnt(4)
	v_mul_f64 v[198:199], v[192:193], v[110:111]
	v_fmac_f64_e32 v[198:199], v[194:195], v[108:109]
	v_add_f64 v[204:205], v[196:197], v[198:199]
	scratch_load_dwordx4 v[196:199], off, off offset:960
	s_waitcnt vmcnt(0) lgkmcnt(3)
	v_mul_f64 v[206:207], v[200:201], v[198:199]
	v_fmac_f64_e32 v[206:207], v[202:203], v[196:197]
	v_add_f64 v[212:213], v[204:205], v[206:207]
	scratch_load_dwordx4 v[204:207], off, off offset:976
	;; [unrolled: 5-line block ×4, first 2 shown]
	s_waitcnt vmcnt(0) lgkmcnt(0)
	v_mul_f64 v[230:231], v[224:225], v[222:223]
	v_fmac_f64_e32 v[230:231], v[226:227], v[220:221]
	v_add_f64 v[244:245], v[228:229], v[230:231]
	v_add_f64 v[228:229], v[246:247], 0
	;; [unrolled: 1-line block ×8, first 2 shown]
	scratch_load_dwordx4 v[228:231], off, off offset:192
	v_add_f64 v[24:25], v[28:29], v[24:25]
	v_add_f64 v[20:21], v[24:25], v[20:21]
	;; [unrolled: 1-line block ×13, first 2 shown]
	v_accvgpr_read_b32 v6, a132
	v_accvgpr_read_b32 v8, a134
	;; [unrolled: 1-line block ×3, first 2 shown]
	v_add_f64 v[0:1], v[4:5], v[0:1]
	v_accvgpr_read_b32 v7, a133
	v_mul_f64 v[4:5], v[90:91], v[8:9]
	v_add_f64 v[0:1], v[0:1], v[238:239]
	v_fma_f64 v[4:5], v[88:89], v[6:7], -v[4:5]
	v_accvgpr_read_b32 v6, a136
	v_add_f64 v[0:1], v[0:1], v[240:241]
	v_accvgpr_read_b32 v8, a138
	v_accvgpr_read_b32 v9, a139
	v_add_f64 v[0:1], v[0:1], v[4:5]
	v_accvgpr_read_b32 v7, a137
	v_mul_f64 v[4:5], v[98:99], v[8:9]
	v_fma_f64 v[4:5], v[96:97], v[6:7], -v[4:5]
	v_accvgpr_read_b32 v6, a140
	v_accvgpr_read_b32 v8, a142
	v_accvgpr_read_b32 v9, a143
	v_add_f64 v[0:1], v[0:1], v[4:5]
	v_accvgpr_read_b32 v7, a141
	v_mul_f64 v[4:5], v[106:107], v[8:9]
	v_fma_f64 v[4:5], v[104:105], v[6:7], -v[4:5]
	v_accvgpr_read_b32 v6, a144
	;; [unrolled: 7-line block ×4, first 2 shown]
	v_accvgpr_read_b32 v8, a130
	v_accvgpr_read_b32 v9, a131
	v_add_f64 v[0:1], v[0:1], v[4:5]
	v_accvgpr_read_b32 v7, a129
	v_mul_f64 v[4:5], v[126:127], v[8:9]
	v_fma_f64 v[4:5], v[124:125], v[6:7], -v[4:5]
	v_add_f64 v[0:1], v[0:1], v[4:5]
	v_mul_f64 v[4:5], v[122:123], v[236:237]
	v_fma_f64 v[4:5], v[120:121], v[234:235], -v[4:5]
	v_add_f64 v[0:1], v[0:1], v[4:5]
	;; [unrolled: 3-line block ×23, first 2 shown]
	s_waitcnt vmcnt(0)
	v_add_f64 v[4:5], v[228:229], -v[0:1]
	v_accvgpr_read_b32 v0, a126
	v_add_f64 v[6:7], v[230:231], -v[244:245]
	v_cmp_lt_u32_e32 vcc, 10, v0
	scratch_store_dwordx4 off, v[4:7], off offset:192
	s_and_saveexec_b64 s[0:1], vcc
	s_cbranch_execz .LBB62_383
; %bb.382:
	scratch_load_dwordx4 v[6:9], off, s65
	v_mov_b32_e32 v3, v2
	v_mov_b32_e32 v4, v2
	;; [unrolled: 1-line block ×3, first 2 shown]
	v_accvgpr_read_b32 v0, a127
	scratch_store_dwordx4 off, v[2:5], off offset:176
	s_waitcnt vmcnt(1)
	ds_write_b128 v0, v[6:9]
.LBB62_383:
	s_or_b64 exec, exec, s[0:1]
	s_waitcnt lgkmcnt(0)
	; wave barrier
	scratch_load_dwordx4 v[48:51], off, off offset:192
	scratch_load_dwordx4 v[52:55], off, off offset:208
	;; [unrolled: 1-line block ×18, first 2 shown]
	ds_read_b128 v[104:107], v2 offset:1184
	ds_read_b128 v[208:211], v2 offset:1200
	ds_read_b128 v[196:199], v2 offset:1216
	ds_read_b128 v[112:115], v2 offset:1232
	ds_read_b128 v[120:123], v2 offset:1248
	ds_read_b128 v[116:119], v2 offset:1264
	scratch_load_dwordx4 v[164:167], off, off offset:480
	ds_read_b128 v[192:195], v2 offset:1280
	ds_read_b128 v[124:127], v2 offset:1296
	scratch_load_dwordx4 v[168:171], off, off offset:496
	ds_read_b128 v[212:215], v2 offset:1312
	ds_read_b128 v[204:207], v2 offset:1328
	;; [unrolled: 1-line block ×5, first 2 shown]
	scratch_load_dwordx4 v[176:179], off, off offset:512
	ds_read_b128 v[200:203], v2 offset:1392
	ds_read_b128 v[172:175], v2 offset:1408
	scratch_load_dwordx4 v[180:183], off, off offset:528
	ds_read_b128 v[216:219], v2 offset:1424
	ds_read_b128 v[184:187], v2 offset:1440
	;; [unrolled: 1-line block ×3, first 2 shown]
	scratch_load_dwordx4 v[188:191], off, off offset:544
	scratch_load_dwordx4 v[4:7], off, off offset:560
	;; [unrolled: 1-line block ×8, first 2 shown]
	ds_read_b128 v[220:223], v2 offset:1472
	ds_read_b128 v[224:227], v2 offset:1488
	;; [unrolled: 1-line block ×5, first 2 shown]
	s_waitcnt vmcnt(29) lgkmcnt(14)
	v_mul_f64 v[0:1], v[104:105], v[50:51]
	s_waitcnt vmcnt(28)
	v_mul_f64 v[24:25], v[208:209], v[54:55]
	v_fmac_f64_e32 v[0:1], v[106:107], v[48:49]
	s_waitcnt vmcnt(27)
	v_mul_f64 v[26:27], v[196:197], v[58:59]
	v_fmac_f64_e32 v[24:25], v[210:211], v[52:53]
	v_add_f64 v[0:1], v[0:1], 0
	s_waitcnt vmcnt(26)
	v_mul_f64 v[28:29], v[112:113], v[62:63]
	v_fmac_f64_e32 v[26:27], v[198:199], v[56:57]
	v_add_f64 v[0:1], v[0:1], v[24:25]
	;; [unrolled: 4-line block ×7, first 2 shown]
	s_waitcnt vmcnt(20) lgkmcnt(13)
	v_mul_f64 v[40:41], v[204:205], v[86:87]
	v_fmac_f64_e32 v[38:39], v[214:215], v[80:81]
	v_add_f64 v[0:1], v[0:1], v[36:37]
	s_waitcnt vmcnt(19) lgkmcnt(12)
	v_mul_f64 v[42:43], v[128:129], v[94:95]
	v_fmac_f64_e32 v[40:41], v[206:207], v[84:85]
	v_add_f64 v[0:1], v[0:1], v[38:39]
	;; [unrolled: 4-line block ×8, first 2 shown]
	v_fmac_f64_e32 v[98:99], v[186:187], v[152:153]
	v_add_f64 v[0:1], v[0:1], v[96:97]
	s_waitcnt vmcnt(12) lgkmcnt(5)
	v_mul_f64 v[32:33], v[160:161], v[158:159]
	v_add_f64 v[0:1], v[0:1], v[98:99]
	v_fmac_f64_e32 v[32:33], v[162:163], v[156:157]
	v_add_f64 v[0:1], v[0:1], v[32:33]
	s_waitcnt vmcnt(11) lgkmcnt(4)
	v_mul_f64 v[32:33], v[220:221], v[166:167]
	v_fmac_f64_e32 v[32:33], v[222:223], v[164:165]
	v_add_f64 v[0:1], v[0:1], v[32:33]
	scratch_load_dwordx4 v[32:35], off, off offset:672
	s_waitcnt vmcnt(11) lgkmcnt(3)
	v_mul_f64 v[36:37], v[224:225], v[170:171]
	v_fmac_f64_e32 v[36:37], v[226:227], v[168:169]
	v_add_f64 v[0:1], v[0:1], v[36:37]
	s_waitcnt vmcnt(10) lgkmcnt(2)
	v_mul_f64 v[36:37], v[228:229], v[178:179]
	v_fmac_f64_e32 v[36:37], v[230:231], v[176:177]
	v_add_f64 v[0:1], v[0:1], v[36:37]
	scratch_load_dwordx4 v[36:39], off, off offset:688
	s_waitcnt vmcnt(10) lgkmcnt(1)
	v_mul_f64 v[40:41], v[232:233], v[182:183]
	v_fmac_f64_e32 v[40:41], v[234:235], v[180:181]
	ds_read_b128 v[88:91], v2 offset:1552
	s_waitcnt vmcnt(9) lgkmcnt(1)
	v_mul_f64 v[44:45], v[236:237], v[190:191]
	v_add_f64 v[0:1], v[0:1], v[40:41]
	scratch_load_dwordx4 v[40:43], off, off offset:704
	v_fmac_f64_e32 v[44:45], v[238:239], v[188:189]
	v_add_f64 v[0:1], v[0:1], v[44:45]
	scratch_load_dwordx4 v[44:47], off, off offset:720
	v_mul_f64 v[50:51], v[106:107], v[50:51]
	v_fma_f64 v[244:245], v[104:105], v[48:49], -v[50:51]
	scratch_load_dwordx4 v[48:51], off, off offset:736
	s_waitcnt vmcnt(11) lgkmcnt(0)
	v_mul_f64 v[96:97], v[88:89], v[6:7]
	v_mul_f64 v[54:55], v[210:211], v[54:55]
	v_fmac_f64_e32 v[96:97], v[90:91], v[4:5]
	v_fma_f64 v[246:247], v[208:209], v[52:53], -v[54:55]
	scratch_load_dwordx4 v[52:55], off, off offset:752
	v_mul_f64 v[58:59], v[198:199], v[58:59]
	v_add_f64 v[0:1], v[0:1], v[96:97]
	ds_read_b128 v[96:99], v2 offset:1568
	ds_read_b128 v[104:107], v2 offset:1584
	v_fma_f64 v[248:249], v[196:197], v[56:57], -v[58:59]
	scratch_load_dwordx4 v[56:59], off, off offset:768
	v_mul_f64 v[62:63], v[114:115], v[62:63]
	v_accvgpr_write_b32 a139, v7
	v_fma_f64 v[250:251], v[112:113], v[60:61], -v[62:63]
	scratch_load_dwordx4 v[60:63], off, off offset:784
	v_accvgpr_write_b32 a138, v6
	v_accvgpr_write_b32 a137, v5
	;; [unrolled: 1-line block ×3, first 2 shown]
	s_waitcnt vmcnt(13)
	v_mov_b64_e32 v[4:5], v[8:9]
	v_mov_b64_e32 v[6:7], v[10:11]
	s_waitcnt lgkmcnt(1)
	v_mul_f64 v[208:209], v[96:97], v[6:7]
	v_fmac_f64_e32 v[208:209], v[98:99], v[4:5]
	s_waitcnt vmcnt(12)
	v_mov_b64_e32 v[4:5], v[12:13]
	ds_read_b128 v[112:115], v2 offset:1600
	v_mov_b64_e32 v[6:7], v[14:15]
	s_waitcnt lgkmcnt(1)
	v_mul_f64 v[196:197], v[104:105], v[6:7]
	v_mul_f64 v[66:67], v[122:123], v[66:67]
	;; [unrolled: 1-line block ×3, first 2 shown]
	v_fmac_f64_e32 v[196:197], v[106:107], v[4:5]
	v_fma_f64 v[252:253], v[120:121], v[64:65], -v[66:67]
	scratch_load_dwordx4 v[64:67], off, off offset:800
	v_fma_f64 v[254:255], v[116:117], v[68:69], -v[70:71]
	ds_read_b128 v[116:119], v2 offset:1616
	s_waitcnt vmcnt(12)
	v_mov_b64_e32 v[4:5], v[16:17]
	v_mov_b64_e32 v[6:7], v[18:19]
	scratch_load_dwordx4 v[68:71], off, off offset:816
	s_waitcnt lgkmcnt(1)
	v_mul_f64 v[120:121], v[112:113], v[6:7]
	v_mul_f64 v[74:75], v[194:195], v[74:75]
	v_add_f64 v[0:1], v[0:1], v[208:209]
	v_fmac_f64_e32 v[120:121], v[114:115], v[4:5]
	v_fma_f64 v[240:241], v[192:193], v[72:73], -v[74:75]
	s_waitcnt vmcnt(12)
	v_mov_b64_e32 v[4:5], v[20:21]
	scratch_load_dwordx4 v[72:75], off, off offset:832
	v_add_f64 v[0:1], v[0:1], v[196:197]
	v_mov_b64_e32 v[6:7], v[22:23]
	v_add_f64 v[0:1], v[0:1], v[120:121]
	s_waitcnt lgkmcnt(0)
	v_mul_f64 v[120:121], v[116:117], v[6:7]
	v_fmac_f64_e32 v[120:121], v[118:119], v[4:5]
	v_mul_f64 v[78:79], v[126:127], v[78:79]
	v_add_f64 v[0:1], v[0:1], v[120:121]
	v_fma_f64 v[28:29], v[124:125], v[76:77], -v[78:79]
	scratch_load_dwordx4 v[76:79], off, off offset:848
	ds_read_b128 v[124:127], v2 offset:1632
	ds_read_b128 v[120:123], v2 offset:1648
	v_mul_f64 v[6:7], v[214:215], v[82:83]
	v_fma_f64 v[24:25], v[212:213], v[80:81], -v[6:7]
	s_waitcnt vmcnt(13)
	v_accvgpr_read_b32 v4, a128
	v_accvgpr_write_b32 a143, v11
	v_accvgpr_write_b32 a155, v23
	v_mul_f64 v[80:81], v[206:207], v[86:87]
	v_accvgpr_read_b32 v6, a130
	v_accvgpr_read_b32 v7, a131
	v_accvgpr_write_b32 a142, v10
	v_accvgpr_write_b32 a141, v9
	;; [unrolled: 1-line block ×6, first 2 shown]
	v_fma_f64 v[20:21], v[204:205], v[84:85], -v[80:81]
	scratch_load_dwordx4 v[84:87], off, off offset:864
	v_accvgpr_read_b32 v5, a129
	s_waitcnt lgkmcnt(1)
	v_mul_f64 v[10:11], v[124:125], v[6:7]
	v_fmac_f64_e32 v[10:11], v[126:127], v[4:5]
	s_waitcnt vmcnt(13)
	v_accvgpr_read_b32 v4, a132
	v_accvgpr_read_b32 v6, a134
	;; [unrolled: 1-line block ×3, first 2 shown]
	v_add_f64 v[0:1], v[0:1], v[10:11]
	v_accvgpr_read_b32 v5, a133
	s_waitcnt lgkmcnt(0)
	v_mul_f64 v[10:11], v[120:121], v[6:7]
	v_fmac_f64_e32 v[10:11], v[122:123], v[4:5]
	v_accvgpr_write_b32 a151, v19
	scratch_load_dwordx4 v[80:83], off, off offset:880
	v_add_f64 v[0:1], v[0:1], v[10:11]
	v_mul_f64 v[10:11], v[130:131], v[94:95]
	v_accvgpr_write_b32 a147, v15
	v_accvgpr_write_b32 a150, v18
	;; [unrolled: 1-line block ×4, first 2 shown]
	v_fma_f64 v[16:17], v[128:129], v[92:93], -v[10:11]
	v_mul_f64 v[92:93], v[134:135], v[102:103]
	v_accvgpr_write_b32 a146, v14
	v_accvgpr_write_b32 a145, v13
	;; [unrolled: 1-line block ×3, first 2 shown]
	v_fma_f64 v[12:13], v[132:133], v[100:101], -v[92:93]
	scratch_load_dwordx4 v[92:95], off, off offset:896
	ds_read_b128 v[128:131], v2 offset:1664
	ds_read_b128 v[132:135], v2 offset:1680
	scratch_load_dwordx4 v[100:103], off, off offset:912
	v_mul_f64 v[14:15], v[150:151], v[110:111]
	v_fma_f64 v[14:15], v[148:149], v[108:109], -v[14:15]
	s_waitcnt vmcnt(15) lgkmcnt(1)
	v_mul_f64 v[108:109], v[128:129], v[34:35]
	v_fmac_f64_e32 v[108:109], v[130:131], v[32:33]
	v_add_f64 v[0:1], v[0:1], v[108:109]
	v_mul_f64 v[108:109], v[202:203], v[138:139]
	v_fma_f64 v[10:11], v[200:201], v[136:137], -v[108:109]
	scratch_load_dwordx4 v[108:111], off, off offset:928
	s_waitcnt vmcnt(15) lgkmcnt(0)
	v_mul_f64 v[18:19], v[132:133], v[38:39]
	v_fmac_f64_e32 v[18:19], v[134:135], v[36:37]
	ds_read_b128 v[136:139], v2 offset:1696
	v_add_f64 v[0:1], v[0:1], v[18:19]
	v_mul_f64 v[18:19], v[174:175], v[142:143]
	v_fma_f64 v[18:19], v[172:173], v[140:141], -v[18:19]
	ds_read_b128 v[140:143], v2 offset:1712
	v_mul_f64 v[146:147], v[218:219], v[146:147]
	v_fma_f64 v[8:9], v[216:217], v[144:145], -v[146:147]
	ds_read_b128 v[144:147], v2 offset:1728
	s_waitcnt vmcnt(14) lgkmcnt(2)
	v_mul_f64 v[148:149], v[136:137], v[42:43]
	v_fmac_f64_e32 v[148:149], v[138:139], v[40:41]
	s_waitcnt vmcnt(13) lgkmcnt(1)
	v_mul_f64 v[22:23], v[140:141], v[46:47]
	v_add_f64 v[0:1], v[0:1], v[148:149]
	v_fmac_f64_e32 v[22:23], v[142:143], v[44:45]
	ds_read_b128 v[148:151], v2 offset:1744
	v_add_f64 v[0:1], v[0:1], v[22:23]
	s_waitcnt vmcnt(12) lgkmcnt(1)
	v_mul_f64 v[22:23], v[144:145], v[50:51]
	v_fmac_f64_e32 v[22:23], v[146:147], v[48:49]
	v_add_f64 v[0:1], v[0:1], v[22:23]
	v_mul_f64 v[22:23], v[186:187], v[154:155]
	v_fma_f64 v[22:23], v[184:185], v[152:153], -v[22:23]
	ds_read_b128 v[152:155], v2 offset:1760
	v_mul_f64 v[158:159], v[162:163], v[158:159]
	v_fma_f64 v[6:7], v[160:161], v[156:157], -v[158:159]
	ds_read_b128 v[156:159], v2 offset:1776
	s_waitcnt vmcnt(11) lgkmcnt(2)
	v_mul_f64 v[172:173], v[148:149], v[54:55]
	v_fmac_f64_e32 v[172:173], v[150:151], v[52:53]
	s_waitcnt vmcnt(10) lgkmcnt(1)
	v_mul_f64 v[26:27], v[152:153], v[58:59]
	v_add_f64 v[0:1], v[0:1], v[172:173]
	v_fmac_f64_e32 v[26:27], v[154:155], v[56:57]
	v_add_f64 v[0:1], v[0:1], v[26:27]
	s_waitcnt vmcnt(9) lgkmcnt(0)
	v_mul_f64 v[26:27], v[156:157], v[62:63]
	v_fmac_f64_e32 v[26:27], v[158:159], v[60:61]
	ds_read_b128 v[160:163], v2 offset:1792
	v_add_f64 v[0:1], v[0:1], v[26:27]
	v_mul_f64 v[26:27], v[222:223], v[166:167]
	v_fma_f64 v[26:27], v[220:221], v[164:165], -v[26:27]
	ds_read_b128 v[164:167], v2 offset:1808
	v_mul_f64 v[170:171], v[226:227], v[170:171]
	v_fma_f64 v[4:5], v[224:225], v[168:169], -v[170:171]
	ds_read_b128 v[168:171], v2 offset:1824
	s_waitcnt vmcnt(8) lgkmcnt(2)
	v_mul_f64 v[172:173], v[160:161], v[66:67]
	v_fmac_f64_e32 v[172:173], v[162:163], v[64:65]
	s_waitcnt vmcnt(7) lgkmcnt(1)
	v_mul_f64 v[30:31], v[164:165], v[70:71]
	v_add_f64 v[0:1], v[0:1], v[172:173]
	v_fmac_f64_e32 v[30:31], v[166:167], v[68:69]
	v_add_f64 v[0:1], v[0:1], v[30:31]
	ds_read_b128 v[172:175], v2 offset:1840
	s_waitcnt vmcnt(6) lgkmcnt(1)
	v_mul_f64 v[30:31], v[168:169], v[74:75]
	v_fmac_f64_e32 v[30:31], v[170:171], v[72:73]
	v_add_f64 v[30:31], v[0:1], v[30:31]
	v_mul_f64 v[0:1], v[230:231], v[178:179]
	v_fma_f64 v[0:1], v[228:229], v[176:177], -v[0:1]
	ds_read_b128 v[176:179], v2 offset:1856
	v_mul_f64 v[182:183], v[234:235], v[182:183]
	s_waitcnt vmcnt(5) lgkmcnt(1)
	v_mul_f64 v[184:185], v[172:173], v[78:79]
	v_fma_f64 v[180:181], v[232:233], v[180:181], -v[182:183]
	v_fmac_f64_e32 v[184:185], v[174:175], v[76:77]
	v_accvgpr_write_b32 a156, v180
	v_mul_f64 v[190:191], v[238:239], v[190:191]
	v_accvgpr_write_b32 a157, v181
	ds_read_b128 v[180:183], v2 offset:1872
	v_add_f64 v[30:31], v[30:31], v[184:185]
	v_fma_f64 v[242:243], v[236:237], v[188:189], -v[190:191]
	scratch_load_dwordx4 v[236:239], off, off offset:176
	s_waitcnt vmcnt(5) lgkmcnt(1)
	v_mul_f64 v[184:185], v[176:177], v[86:87]
	v_fmac_f64_e32 v[184:185], v[178:179], v[84:85]
	v_add_f64 v[30:31], v[30:31], v[184:185]
	ds_read_b128 v[184:187], v2 offset:1888
	ds_read_b128 v[188:191], v2 offset:1904
	s_waitcnt vmcnt(4) lgkmcnt(2)
	v_mul_f64 v[192:193], v[180:181], v[82:83]
	v_fmac_f64_e32 v[192:193], v[182:183], v[80:81]
	v_add_f64 v[30:31], v[30:31], v[192:193]
	s_waitcnt vmcnt(3) lgkmcnt(1)
	v_mul_f64 v[192:193], v[184:185], v[94:95]
	v_fmac_f64_e32 v[192:193], v[186:187], v[92:93]
	v_add_f64 v[30:31], v[30:31], v[192:193]
	;; [unrolled: 4-line block ×3, first 2 shown]
	ds_read_b128 v[192:195], v2 offset:1920
	ds_read_b128 v[200:203], v2 offset:1936
	scratch_load_dwordx4 v[232:235], off, off offset:1008
	ds_read_b128 v[208:211], v2 offset:1952
	ds_read_b128 v[216:219], v2 offset:1968
	s_waitcnt vmcnt(2) lgkmcnt(3)
	v_mul_f64 v[196:197], v[192:193], v[110:111]
	v_fmac_f64_e32 v[196:197], v[194:195], v[108:109]
	v_add_f64 v[30:31], v[30:31], v[196:197]
	scratch_load_dwordx4 v[196:199], off, off offset:944
	ds_read_b128 v[224:227], v2 offset:1984
	s_waitcnt vmcnt(0) lgkmcnt(3)
	v_mul_f64 v[204:205], v[200:201], v[198:199]
	v_fmac_f64_e32 v[204:205], v[202:203], v[196:197]
	v_add_f64 v[30:31], v[30:31], v[204:205]
	scratch_load_dwordx4 v[204:207], off, off offset:960
	s_waitcnt vmcnt(0) lgkmcnt(2)
	v_mul_f64 v[212:213], v[208:209], v[206:207]
	v_fmac_f64_e32 v[212:213], v[210:211], v[204:205]
	v_add_f64 v[30:31], v[30:31], v[212:213]
	scratch_load_dwordx4 v[212:215], off, off offset:976
	;; [unrolled: 5-line block ×3, first 2 shown]
	s_waitcnt vmcnt(0) lgkmcnt(0)
	v_mul_f64 v[228:229], v[224:225], v[222:223]
	v_fmac_f64_e32 v[228:229], v[226:227], v[220:221]
	v_add_f64 v[30:31], v[30:31], v[228:229]
	ds_read_b128 v[228:231], v2 offset:2000
	s_waitcnt lgkmcnt(0)
	v_mul_f64 v[2:3], v[228:229], v[234:235]
	v_fmac_f64_e32 v[2:3], v[230:231], v[232:233]
	v_add_f64 v[2:3], v[30:31], v[2:3]
	v_add_f64 v[30:31], v[244:245], 0
	;; [unrolled: 1-line block ×21, first 2 shown]
	v_accvgpr_read_b32 v6, a136
	v_add_f64 v[254:255], v[4:5], v[0:1]
	v_accvgpr_read_b32 v0, a156
	v_accvgpr_read_b32 v8, a138
	;; [unrolled: 1-line block ×5, first 2 shown]
	v_mul_f64 v[4:5], v[90:91], v[8:9]
	v_add_f64 v[0:1], v[254:255], v[0:1]
	v_fma_f64 v[4:5], v[88:89], v[6:7], -v[4:5]
	v_accvgpr_read_b32 v6, a140
	v_add_f64 v[0:1], v[0:1], v[242:243]
	v_accvgpr_read_b32 v8, a142
	v_accvgpr_read_b32 v9, a143
	v_add_f64 v[0:1], v[0:1], v[4:5]
	v_accvgpr_read_b32 v7, a141
	v_mul_f64 v[4:5], v[98:99], v[8:9]
	v_fma_f64 v[4:5], v[96:97], v[6:7], -v[4:5]
	v_accvgpr_read_b32 v6, a144
	v_accvgpr_read_b32 v8, a146
	v_accvgpr_read_b32 v9, a147
	v_add_f64 v[0:1], v[0:1], v[4:5]
	v_accvgpr_read_b32 v7, a145
	v_mul_f64 v[4:5], v[106:107], v[8:9]
	v_fma_f64 v[4:5], v[104:105], v[6:7], -v[4:5]
	v_accvgpr_read_b32 v6, a148
	v_accvgpr_read_b32 v8, a150
	v_accvgpr_read_b32 v9, a151
	v_add_f64 v[0:1], v[0:1], v[4:5]
	v_accvgpr_read_b32 v7, a149
	v_mul_f64 v[4:5], v[114:115], v[8:9]
	v_fma_f64 v[4:5], v[112:113], v[6:7], -v[4:5]
	v_accvgpr_read_b32 v6, a152
	v_accvgpr_read_b32 v8, a154
	v_accvgpr_read_b32 v9, a155
	v_add_f64 v[0:1], v[0:1], v[4:5]
	v_accvgpr_read_b32 v7, a153
	v_mul_f64 v[4:5], v[118:119], v[8:9]
	v_fma_f64 v[4:5], v[116:117], v[6:7], -v[4:5]
	v_accvgpr_read_b32 v6, a128
	v_accvgpr_read_b32 v8, a130
	v_accvgpr_read_b32 v9, a131
	v_add_f64 v[0:1], v[0:1], v[4:5]
	v_accvgpr_read_b32 v7, a129
	v_mul_f64 v[4:5], v[126:127], v[8:9]
	v_fma_f64 v[4:5], v[124:125], v[6:7], -v[4:5]
	v_accvgpr_read_b32 v6, a132
	v_accvgpr_read_b32 v8, a134
	v_accvgpr_read_b32 v9, a135
	v_add_f64 v[0:1], v[0:1], v[4:5]
	v_accvgpr_read_b32 v7, a133
	v_mul_f64 v[4:5], v[122:123], v[8:9]
	v_fma_f64 v[4:5], v[120:121], v[6:7], -v[4:5]
	v_add_f64 v[0:1], v[0:1], v[4:5]
	v_mul_f64 v[4:5], v[130:131], v[34:35]
	v_fma_f64 v[4:5], v[128:129], v[32:33], -v[4:5]
	v_add_f64 v[0:1], v[0:1], v[4:5]
	;; [unrolled: 3-line block ×23, first 2 shown]
	v_add_f64 v[4:5], v[236:237], -v[0:1]
	v_accvgpr_read_b32 v0, a126
	v_add_f64 v[6:7], v[238:239], -v[2:3]
	v_cmp_lt_u32_e32 vcc, 9, v0
	scratch_store_dwordx4 off, v[4:7], off offset:176
	s_and_saveexec_b64 s[0:1], vcc
	s_cbranch_execz .LBB62_385
; %bb.384:
	scratch_load_dwordx4 v[2:5], off, s64
	v_mov_b32_e32 v6, 0
	v_mov_b32_e32 v7, v6
	;; [unrolled: 1-line block ×4, first 2 shown]
	v_accvgpr_read_b32 v0, a127
	scratch_store_dwordx4 off, v[6:9], off offset:160
	s_waitcnt vmcnt(1)
	ds_write_b128 v0, v[2:5]
.LBB62_385:
	s_or_b64 exec, exec, s[0:1]
	s_waitcnt lgkmcnt(0)
	; wave barrier
	scratch_load_dwordx4 v[40:43], off, off offset:176
	scratch_load_dwordx4 v[44:47], off, off offset:192
	;; [unrolled: 1-line block ×29, first 2 shown]
	v_mov_b32_e32 v2, 0
	ds_read_b128 v[80:83], v2 offset:1168
	ds_read_b128 v[100:103], v2 offset:1184
	;; [unrolled: 1-line block ×18, first 2 shown]
	scratch_load_dwordx4 a[128:131], off, off offset:640
	scratch_load_dwordx4 a[132:135], off, off offset:656
	;; [unrolled: 1-line block ×4, first 2 shown]
	ds_read_b128 v[228:231], v2 offset:1520
	ds_read_b128 v[238:241], v2 offset:1536
	;; [unrolled: 1-line block ×4, first 2 shown]
	s_waitcnt vmcnt(32) lgkmcnt(14)
	v_mul_f64 v[0:1], v[80:81], v[42:43]
	s_waitcnt vmcnt(31)
	v_mul_f64 v[20:21], v[100:101], v[46:47]
	v_fmac_f64_e32 v[0:1], v[82:83], v[40:41]
	s_waitcnt vmcnt(30)
	v_mul_f64 v[22:23], v[104:105], v[50:51]
	v_fmac_f64_e32 v[20:21], v[102:103], v[44:45]
	v_add_f64 v[0:1], v[0:1], 0
	s_waitcnt vmcnt(29)
	v_mul_f64 v[24:25], v[108:109], v[54:55]
	v_fmac_f64_e32 v[22:23], v[106:107], v[48:49]
	v_add_f64 v[0:1], v[0:1], v[20:21]
	;; [unrolled: 4-line block ×6, first 2 shown]
	s_waitcnt vmcnt(24) lgkmcnt(13)
	v_mul_f64 v[34:35], v[144:145], v[74:75]
	v_fmac_f64_e32 v[32:33], v[134:135], v[68:69]
	v_add_f64 v[0:1], v[0:1], v[30:31]
	s_waitcnt vmcnt(23) lgkmcnt(12)
	v_mul_f64 v[36:37], v[156:157], v[78:79]
	v_fmac_f64_e32 v[34:35], v[146:147], v[72:73]
	v_add_f64 v[0:1], v[0:1], v[32:33]
	;; [unrolled: 4-line block ×7, first 2 shown]
	v_fmac_f64_e32 v[218:219], v[198:199], v[124:125]
	v_add_f64 v[0:1], v[0:1], v[216:217]
	ds_read_b128 v[212:215], v2 offset:1456
	s_waitcnt vmcnt(17) lgkmcnt(7)
	v_mul_f64 v[220:221], v[200:201], v[130:131]
	v_add_f64 v[0:1], v[0:1], v[218:219]
	ds_read_b128 v[216:219], v2 offset:1472
	v_fmac_f64_e32 v[220:221], v[202:203], v[128:129]
	s_waitcnt vmcnt(16) lgkmcnt(7)
	v_mul_f64 v[20:21], v[204:205], v[138:139]
	v_add_f64 v[0:1], v[0:1], v[220:221]
	v_fmac_f64_e32 v[20:21], v[206:207], v[136:137]
	s_waitcnt vmcnt(15) lgkmcnt(6)
	v_mul_f64 v[24:25], v[208:209], v[142:143]
	ds_read_b128 v[220:223], v2 offset:1488
	v_add_f64 v[0:1], v[0:1], v[20:21]
	v_fmac_f64_e32 v[24:25], v[210:211], v[140:141]
	v_add_f64 v[0:1], v[0:1], v[24:25]
	s_waitcnt vmcnt(14) lgkmcnt(2)
	v_mul_f64 v[24:25], v[212:213], v[150:151]
	v_fmac_f64_e32 v[24:25], v[214:215], v[148:149]
	s_waitcnt vmcnt(13) lgkmcnt(1)
	v_mul_f64 v[28:29], v[216:217], v[154:155]
	v_add_f64 v[0:1], v[0:1], v[24:25]
	v_fmac_f64_e32 v[28:29], v[218:219], v[152:153]
	v_add_f64 v[0:1], v[0:1], v[28:29]
	s_waitcnt vmcnt(12) lgkmcnt(0)
	v_mul_f64 v[28:29], v[220:221], v[162:163]
	v_fmac_f64_e32 v[28:29], v[222:223], v[160:161]
	s_waitcnt vmcnt(11)
	v_mul_f64 v[32:33], v[224:225], v[166:167]
	v_add_f64 v[0:1], v[0:1], v[28:29]
	v_fmac_f64_e32 v[32:33], v[226:227], v[164:165]
	v_add_f64 v[0:1], v[0:1], v[32:33]
	s_waitcnt vmcnt(10)
	v_mul_f64 v[32:33], v[228:229], v[174:175]
	v_fmac_f64_e32 v[32:33], v[230:231], v[172:173]
	s_waitcnt vmcnt(9)
	v_mul_f64 v[36:37], v[238:239], v[178:179]
	v_add_f64 v[0:1], v[0:1], v[32:33]
	v_fmac_f64_e32 v[36:37], v[240:241], v[176:177]
	v_mul_f64 v[42:43], v[82:83], v[42:43]
	v_add_f64 v[0:1], v[0:1], v[36:37]
	scratch_load_dwordx4 v[36:39], off, off offset:704
	v_fma_f64 v[246:247], v[80:81], v[40:41], -v[42:43]
	ds_read_b128 v[80:83], v2 offset:1568
	s_waitcnt vmcnt(9)
	v_mul_f64 v[40:41], v[242:243], v[186:187]
	v_fmac_f64_e32 v[40:41], v[244:245], v[184:185]
	v_add_f64 v[0:1], v[0:1], v[40:41]
	v_mul_f64 v[40:41], v[102:103], v[46:47]
	v_fma_f64 v[248:249], v[100:101], v[44:45], -v[40:41]
	scratch_load_dwordx4 v[40:43], off, off offset:720
	s_waitcnt vmcnt(9) lgkmcnt(0)
	v_mul_f64 v[44:45], v[80:81], v[6:7]
	v_fmac_f64_e32 v[44:45], v[82:83], v[4:5]
	v_add_f64 v[0:1], v[0:1], v[44:45]
	scratch_load_dwordx4 v[44:47], off, off offset:736
	v_mul_f64 v[50:51], v[106:107], v[50:51]
	v_fma_f64 v[250:251], v[104:105], v[48:49], -v[50:51]
	ds_read_b128 v[100:103], v2 offset:1584
	v_mul_f64 v[48:49], v[110:111], v[54:55]
	v_fma_f64 v[252:253], v[108:109], v[52:53], -v[48:49]
	scratch_load_dwordx4 v[52:55], off, off offset:752
	scratch_load_dwordx4 v[48:51], off, off offset:768
	v_accvgpr_write_b32 a143, v7
	v_accvgpr_write_b32 a142, v6
	;; [unrolled: 1-line block ×4, first 2 shown]
	s_waitcnt vmcnt(11)
	v_mov_b64_e32 v[4:5], v[8:9]
	v_mul_f64 v[58:59], v[114:115], v[58:59]
	v_mov_b64_e32 v[6:7], v[10:11]
	v_fma_f64 v[254:255], v[112:113], v[56:57], -v[58:59]
	s_waitcnt lgkmcnt(0)
	v_mul_f64 v[56:57], v[100:101], v[6:7]
	v_fmac_f64_e32 v[56:57], v[102:103], v[4:5]
	v_add_f64 v[0:1], v[0:1], v[56:57]
	v_mul_f64 v[56:57], v[118:119], v[62:63]
	v_fma_f64 v[232:233], v[116:117], v[60:61], -v[56:57]
	scratch_load_dwordx4 v[56:59], off, off offset:784
	scratch_load_dwordx4 v[60:63], off, off offset:800
	ds_read_b128 v[104:107], v2 offset:1600
	ds_read_b128 v[112:115], v2 offset:1632
	v_mul_f64 v[66:67], v[122:123], v[66:67]
	v_fma_f64 v[32:33], v[120:121], v[64:65], -v[66:67]
	scratch_load_dwordx4 v[64:67], off, off offset:816
	s_waitcnt vmcnt(13)
	v_mov_b64_e32 v[4:5], v[12:13]
	v_mov_b64_e32 v[6:7], v[14:15]
	s_waitcnt lgkmcnt(1)
	v_mul_f64 v[108:109], v[104:105], v[6:7]
	v_fmac_f64_e32 v[108:109], v[106:107], v[4:5]
	v_mul_f64 v[6:7], v[134:135], v[70:71]
	v_add_f64 v[0:1], v[0:1], v[108:109]
	ds_read_b128 v[108:111], v2 offset:1616
	ds_read_b128 v[116:119], v2 offset:1648
	v_fma_f64 v[28:29], v[132:133], v[68:69], -v[6:7]
	scratch_load_dwordx4 v[68:71], off, off offset:832
	v_mul_f64 v[6:7], v[146:147], v[74:75]
	v_accvgpr_write_b32 a147, v11
	v_fma_f64 v[24:25], v[144:145], v[72:73], -v[6:7]
	scratch_load_dwordx4 v[72:75], off, off offset:848
	v_accvgpr_write_b32 a146, v10
	v_accvgpr_write_b32 a145, v9
	;; [unrolled: 1-line block ×3, first 2 shown]
	s_waitcnt vmcnt(14)
	v_mov_b64_e32 v[8:9], v[16:17]
	v_mov_b64_e32 v[10:11], v[18:19]
	s_waitcnt lgkmcnt(1)
	v_mul_f64 v[6:7], v[108:109], v[10:11]
	v_fmac_f64_e32 v[6:7], v[110:111], v[8:9]
	s_waitcnt vmcnt(13)
	v_accvgpr_read_b32 v8, a128
	v_add_f64 v[0:1], v[0:1], v[6:7]
	v_mul_f64 v[6:7], v[158:159], v[78:79]
	v_accvgpr_read_b32 v10, a130
	v_accvgpr_read_b32 v11, a131
	v_fma_f64 v[20:21], v[156:157], v[76:77], -v[6:7]
	v_accvgpr_read_b32 v9, a129
	v_mul_f64 v[6:7], v[112:113], v[10:11]
	scratch_load_dwordx4 v[76:79], off, off offset:864
	v_accvgpr_write_b32 a151, v15
	v_fmac_f64_e32 v[6:7], v[114:115], v[8:9]
	v_accvgpr_write_b32 a150, v14
	v_accvgpr_write_b32 a149, v13
	;; [unrolled: 1-line block ×4, first 2 shown]
	v_mul_f64 v[14:15], v[170:171], v[86:87]
	v_add_f64 v[0:1], v[0:1], v[6:7]
	v_mul_f64 v[6:7], v[182:183], v[90:91]
	v_accvgpr_write_b32 a154, v18
	v_accvgpr_write_b32 a153, v17
	;; [unrolled: 1-line block ×3, first 2 shown]
	v_fma_f64 v[16:17], v[168:169], v[84:85], -v[14:15]
	v_fma_f64 v[14:15], v[180:181], v[88:89], -v[6:7]
	ds_read_b128 v[120:123], v2 offset:1664
	scratch_load_dwordx4 v[88:91], off, off offset:880
	scratch_load_dwordx4 v[84:87], off, off offset:896
	s_waitcnt vmcnt(15)
	v_accvgpr_read_b32 v8, a132
	v_accvgpr_read_b32 v10, a134
	;; [unrolled: 1-line block ×3, first 2 shown]
	v_mul_f64 v[18:19], v[190:191], v[94:95]
	v_accvgpr_read_b32 v9, a133
	s_waitcnt lgkmcnt(1)
	v_mul_f64 v[6:7], v[116:117], v[10:11]
	v_fma_f64 v[18:19], v[188:189], v[92:93], -v[18:19]
	v_mul_f64 v[92:93], v[194:195], v[98:99]
	v_fmac_f64_e32 v[6:7], v[118:119], v[8:9]
	s_waitcnt vmcnt(14)
	v_accvgpr_read_b32 v8, a136
	v_fma_f64 v[12:13], v[192:193], v[96:97], -v[92:93]
	scratch_load_dwordx4 v[92:95], off, off offset:912
	v_accvgpr_read_b32 v10, a138
	v_accvgpr_read_b32 v11, a139
	v_mul_f64 v[96:97], v[202:203], v[130:131]
	v_add_f64 v[0:1], v[0:1], v[6:7]
	s_waitcnt lgkmcnt(0)
	v_mul_f64 v[6:7], v[120:121], v[10:11]
	v_fma_f64 v[10:11], v[200:201], v[128:129], -v[96:97]
	scratch_load_dwordx4 v[96:99], off, off offset:928
	v_mul_f64 v[22:23], v[198:199], v[126:127]
	v_fma_f64 v[22:23], v[196:197], v[124:125], -v[22:23]
	ds_read_b128 v[124:127], v2 offset:1680
	ds_read_b128 v[128:131], v2 offset:1696
	v_accvgpr_read_b32 v9, a137
	v_fmac_f64_e32 v[6:7], v[122:123], v[8:9]
	v_add_f64 v[0:1], v[0:1], v[6:7]
	s_waitcnt vmcnt(15) lgkmcnt(1)
	v_mul_f64 v[6:7], v[124:125], v[236:237]
	ds_read_b128 v[132:135], v2 offset:1712
	v_fmac_f64_e32 v[6:7], v[126:127], v[234:235]
	v_add_f64 v[0:1], v[0:1], v[6:7]
	s_waitcnt vmcnt(14) lgkmcnt(1)
	v_mul_f64 v[6:7], v[128:129], v[38:39]
	v_fmac_f64_e32 v[6:7], v[130:131], v[36:37]
	v_add_f64 v[0:1], v[0:1], v[6:7]
	v_mul_f64 v[6:7], v[206:207], v[138:139]
	v_fma_f64 v[26:27], v[204:205], v[136:137], -v[6:7]
	ds_read_b128 v[136:139], v2 offset:1728
	s_waitcnt vmcnt(13) lgkmcnt(1)
	v_mul_f64 v[6:7], v[132:133], v[42:43]
	v_fmac_f64_e32 v[6:7], v[134:135], v[40:41]
	v_add_f64 v[0:1], v[0:1], v[6:7]
	v_mul_f64 v[6:7], v[210:211], v[142:143]
	v_fma_f64 v[8:9], v[208:209], v[140:141], -v[6:7]
	ds_read_b128 v[140:143], v2 offset:1744
	ds_read_b128 v[144:147], v2 offset:1760
	s_waitcnt vmcnt(12) lgkmcnt(2)
	v_mul_f64 v[6:7], v[136:137], v[46:47]
	v_fmac_f64_e32 v[6:7], v[138:139], v[44:45]
	v_add_f64 v[0:1], v[0:1], v[6:7]
	s_waitcnt vmcnt(11) lgkmcnt(1)
	v_mul_f64 v[6:7], v[140:141], v[54:55]
	v_fmac_f64_e32 v[6:7], v[142:143], v[52:53]
	v_add_f64 v[0:1], v[0:1], v[6:7]
	v_mul_f64 v[6:7], v[214:215], v[150:151]
	v_fma_f64 v[30:31], v[212:213], v[148:149], -v[6:7]
	ds_read_b128 v[148:151], v2 offset:1776
	v_mul_f64 v[154:155], v[218:219], v[154:155]
	v_fma_f64 v[4:5], v[216:217], v[152:153], -v[154:155]
	ds_read_b128 v[152:155], v2 offset:1792
	s_waitcnt vmcnt(10) lgkmcnt(2)
	v_mul_f64 v[6:7], v[144:145], v[50:51]
	v_fmac_f64_e32 v[6:7], v[146:147], v[48:49]
	v_add_f64 v[0:1], v[0:1], v[6:7]
	s_waitcnt vmcnt(9) lgkmcnt(1)
	v_mul_f64 v[6:7], v[148:149], v[58:59]
	ds_read_b128 v[156:159], v2 offset:1808
	v_fmac_f64_e32 v[6:7], v[150:151], v[56:57]
	v_add_f64 v[0:1], v[0:1], v[6:7]
	s_waitcnt vmcnt(8) lgkmcnt(1)
	v_mul_f64 v[6:7], v[152:153], v[62:63]
	v_fmac_f64_e32 v[6:7], v[154:155], v[60:61]
	v_add_f64 v[0:1], v[0:1], v[6:7]
	v_mul_f64 v[6:7], v[222:223], v[162:163]
	v_fma_f64 v[34:35], v[220:221], v[160:161], -v[6:7]
	ds_read_b128 v[160:163], v2 offset:1824
	s_waitcnt vmcnt(7) lgkmcnt(1)
	v_mul_f64 v[6:7], v[156:157], v[66:67]
	v_fmac_f64_e32 v[6:7], v[158:159], v[64:65]
	v_add_f64 v[0:1], v[0:1], v[6:7]
	v_mul_f64 v[6:7], v[226:227], v[166:167]
	v_fma_f64 v[6:7], v[224:225], v[164:165], -v[6:7]
	ds_read_b128 v[164:167], v2 offset:1840
	s_waitcnt vmcnt(6) lgkmcnt(1)
	v_mul_f64 v[168:169], v[160:161], v[70:71]
	v_fmac_f64_e32 v[168:169], v[162:163], v[68:69]
	v_add_f64 v[0:1], v[0:1], v[168:169]
	ds_read_b128 v[168:171], v2 offset:1856
	s_waitcnt vmcnt(5) lgkmcnt(1)
	v_mul_f64 v[180:181], v[164:165], v[74:75]
	v_fmac_f64_e32 v[180:181], v[166:167], v[72:73]
	v_add_f64 v[180:181], v[0:1], v[180:181]
	v_mul_f64 v[0:1], v[230:231], v[174:175]
	v_fma_f64 v[0:1], v[228:229], v[172:173], -v[0:1]
	ds_read_b128 v[172:175], v2 offset:1872
	s_waitcnt vmcnt(4) lgkmcnt(1)
	v_mul_f64 v[182:183], v[168:169], v[78:79]
	v_fmac_f64_e32 v[182:183], v[170:171], v[76:77]
	v_mul_f64 v[178:179], v[240:241], v[178:179]
	v_fma_f64 v[238:239], v[238:239], v[176:177], -v[178:179]
	ds_read_b128 v[176:179], v2 offset:1888
	v_add_f64 v[180:181], v[180:181], v[182:183]
	s_waitcnt vmcnt(3) lgkmcnt(1)
	v_mul_f64 v[182:183], v[172:173], v[90:91]
	v_fmac_f64_e32 v[182:183], v[174:175], v[88:89]
	v_add_f64 v[188:189], v[180:181], v[182:183]
	ds_read_b128 v[180:183], v2 offset:1904
	v_mul_f64 v[186:187], v[244:245], v[186:187]
	v_fma_f64 v[240:241], v[242:243], v[184:185], -v[186:187]
	ds_read_b128 v[184:187], v2 offset:1920
	s_waitcnt vmcnt(2) lgkmcnt(2)
	v_mul_f64 v[190:191], v[176:177], v[86:87]
	v_fmac_f64_e32 v[190:191], v[178:179], v[84:85]
	v_add_f64 v[188:189], v[188:189], v[190:191]
	s_waitcnt vmcnt(1) lgkmcnt(1)
	v_mul_f64 v[190:191], v[180:181], v[94:95]
	v_fmac_f64_e32 v[190:191], v[182:183], v[92:93]
	v_add_f64 v[188:189], v[188:189], v[190:191]
	;; [unrolled: 4-line block ×3, first 2 shown]
	scratch_load_dwordx4 v[188:191], off, off offset:944
	ds_read_b128 v[192:195], v2 offset:1936
	ds_read_b128 v[200:203], v2 offset:1952
	;; [unrolled: 1-line block ×5, first 2 shown]
	s_waitcnt vmcnt(0) lgkmcnt(4)
	v_mul_f64 v[198:199], v[192:193], v[190:191]
	v_fmac_f64_e32 v[198:199], v[194:195], v[188:189]
	v_add_f64 v[204:205], v[196:197], v[198:199]
	scratch_load_dwordx4 v[196:199], off, off offset:960
	s_waitcnt vmcnt(0) lgkmcnt(3)
	v_mul_f64 v[206:207], v[200:201], v[198:199]
	v_fmac_f64_e32 v[206:207], v[202:203], v[196:197]
	v_add_f64 v[212:213], v[204:205], v[206:207]
	scratch_load_dwordx4 v[204:207], off, off offset:976
	;; [unrolled: 5-line block ×4, first 2 shown]
	s_waitcnt vmcnt(0) lgkmcnt(0)
	v_mul_f64 v[230:231], v[224:225], v[222:223]
	v_fmac_f64_e32 v[230:231], v[226:227], v[220:221]
	v_add_f64 v[242:243], v[228:229], v[230:231]
	v_add_f64 v[228:229], v[246:247], 0
	;; [unrolled: 1-line block ×8, first 2 shown]
	scratch_load_dwordx4 v[228:231], off, off offset:160
	v_add_f64 v[28:29], v[32:33], v[28:29]
	v_add_f64 v[24:25], v[28:29], v[24:25]
	;; [unrolled: 1-line block ×15, first 2 shown]
	v_accvgpr_read_b32 v6, a140
	v_accvgpr_read_b32 v8, a142
	;; [unrolled: 1-line block ×3, first 2 shown]
	v_add_f64 v[0:1], v[4:5], v[0:1]
	v_accvgpr_read_b32 v7, a141
	v_mul_f64 v[4:5], v[82:83], v[8:9]
	v_add_f64 v[0:1], v[0:1], v[238:239]
	v_fma_f64 v[4:5], v[80:81], v[6:7], -v[4:5]
	v_accvgpr_read_b32 v6, a144
	v_add_f64 v[0:1], v[0:1], v[240:241]
	v_accvgpr_read_b32 v8, a146
	v_accvgpr_read_b32 v9, a147
	v_add_f64 v[0:1], v[0:1], v[4:5]
	v_accvgpr_read_b32 v7, a145
	v_mul_f64 v[4:5], v[102:103], v[8:9]
	v_fma_f64 v[4:5], v[100:101], v[6:7], -v[4:5]
	v_accvgpr_read_b32 v6, a148
	v_accvgpr_read_b32 v8, a150
	v_accvgpr_read_b32 v9, a151
	v_add_f64 v[0:1], v[0:1], v[4:5]
	v_accvgpr_read_b32 v7, a149
	v_mul_f64 v[4:5], v[106:107], v[8:9]
	v_fma_f64 v[4:5], v[104:105], v[6:7], -v[4:5]
	v_accvgpr_read_b32 v6, a152
	;; [unrolled: 7-line block ×5, first 2 shown]
	v_accvgpr_read_b32 v8, a138
	v_accvgpr_read_b32 v9, a139
	v_add_f64 v[0:1], v[0:1], v[4:5]
	v_accvgpr_read_b32 v7, a137
	v_mul_f64 v[4:5], v[122:123], v[8:9]
	v_fma_f64 v[4:5], v[120:121], v[6:7], -v[4:5]
	v_add_f64 v[0:1], v[0:1], v[4:5]
	v_mul_f64 v[4:5], v[126:127], v[236:237]
	v_fma_f64 v[4:5], v[124:125], v[234:235], -v[4:5]
	v_add_f64 v[0:1], v[0:1], v[4:5]
	;; [unrolled: 3-line block ×22, first 2 shown]
	s_waitcnt vmcnt(0)
	v_add_f64 v[4:5], v[228:229], -v[0:1]
	v_accvgpr_read_b32 v0, a126
	v_add_f64 v[6:7], v[230:231], -v[242:243]
	v_cmp_lt_u32_e32 vcc, 8, v0
	scratch_store_dwordx4 off, v[4:7], off offset:160
	s_and_saveexec_b64 s[0:1], vcc
	s_cbranch_execz .LBB62_387
; %bb.386:
	scratch_load_dwordx4 v[6:9], off, s63
	v_mov_b32_e32 v3, v2
	v_mov_b32_e32 v4, v2
	;; [unrolled: 1-line block ×3, first 2 shown]
	v_accvgpr_read_b32 v0, a127
	scratch_store_dwordx4 off, v[2:5], off offset:144
	s_waitcnt vmcnt(1)
	ds_write_b128 v0, v[6:9]
.LBB62_387:
	s_or_b64 exec, exec, s[0:1]
	s_waitcnt lgkmcnt(0)
	; wave barrier
	scratch_load_dwordx4 v[40:43], off, off offset:160
	scratch_load_dwordx4 v[44:47], off, off offset:176
	;; [unrolled: 1-line block ×18, first 2 shown]
	ds_read_b128 v[80:83], v2 offset:1152
	ds_read_b128 v[204:207], v2 offset:1168
	;; [unrolled: 1-line block ×6, first 2 shown]
	scratch_load_dwordx4 v[148:151], off, off offset:448
	ds_read_b128 v[180:183], v2 offset:1248
	ds_read_b128 v[112:115], v2 offset:1264
	scratch_load_dwordx4 v[152:155], off, off offset:464
	ds_read_b128 v[208:211], v2 offset:1280
	ds_read_b128 v[200:203], v2 offset:1296
	;; [unrolled: 1-line block ×5, first 2 shown]
	scratch_load_dwordx4 v[160:163], off, off offset:480
	ds_read_b128 v[196:199], v2 offset:1360
	ds_read_b128 v[192:195], v2 offset:1376
	;; [unrolled: 1-line block ×4, first 2 shown]
	scratch_load_dwordx4 v[164:167], off, off offset:496
	ds_read_b128 v[168:171], v2 offset:1424
	scratch_load_dwordx4 v[172:175], off, off offset:512
	scratch_load_dwordx4 v[176:179], off, off offset:528
	;; [unrolled: 1-line block ×7, first 2 shown]
	ds_read_b128 v[228:231], v2 offset:1504
	ds_read_b128 v[232:235], v2 offset:1520
	scratch_load_dwordx4 a[132:135], off, off offset:656
	scratch_load_dwordx4 a[136:139], off, off offset:672
	ds_read_b128 v[236:239], v2 offset:1536
	scratch_load_dwordx4 a[128:131], off, off offset:640
	ds_read_b128 v[224:227], v2 offset:1488
	s_waitcnt vmcnt(31) lgkmcnt(14)
	v_mul_f64 v[0:1], v[80:81], v[42:43]
	s_waitcnt vmcnt(30)
	v_mul_f64 v[20:21], v[204:205], v[46:47]
	v_fmac_f64_e32 v[0:1], v[82:83], v[40:41]
	s_waitcnt vmcnt(29)
	v_mul_f64 v[22:23], v[100:101], v[50:51]
	v_fmac_f64_e32 v[20:21], v[206:207], v[44:45]
	v_add_f64 v[0:1], v[0:1], 0
	v_fmac_f64_e32 v[22:23], v[102:103], v[48:49]
	v_add_f64 v[0:1], v[0:1], v[20:21]
	v_add_f64 v[0:1], v[0:1], v[22:23]
	scratch_load_dwordx4 v[20:23], off, off offset:624
	s_waitcnt vmcnt(29)
	v_mul_f64 v[24:25], v[116:117], v[54:55]
	s_waitcnt vmcnt(28)
	v_mul_f64 v[26:27], v[104:105], v[58:59]
	v_fmac_f64_e32 v[24:25], v[118:119], v[52:53]
	s_waitcnt vmcnt(27)
	v_mul_f64 v[28:29], v[108:109], v[62:63]
	v_fmac_f64_e32 v[26:27], v[106:107], v[56:57]
	v_add_f64 v[0:1], v[0:1], v[24:25]
	s_waitcnt vmcnt(26)
	v_mul_f64 v[30:31], v[180:181], v[66:67]
	v_fmac_f64_e32 v[28:29], v[110:111], v[60:61]
	v_add_f64 v[0:1], v[0:1], v[26:27]
	;; [unrolled: 4-line block ×3, first 2 shown]
	s_waitcnt vmcnt(24) lgkmcnt(13)
	v_mul_f64 v[34:35], v[208:209], v[74:75]
	v_fmac_f64_e32 v[32:33], v[114:115], v[68:69]
	v_add_f64 v[0:1], v[0:1], v[30:31]
	s_waitcnt vmcnt(23) lgkmcnt(12)
	v_mul_f64 v[36:37], v[200:201], v[78:79]
	v_fmac_f64_e32 v[34:35], v[210:211], v[72:73]
	v_add_f64 v[0:1], v[0:1], v[32:33]
	;; [unrolled: 4-line block ×8, first 2 shown]
	ds_read_b128 v[212:215], v2 offset:1440
	s_waitcnt vmcnt(16) lgkmcnt(6)
	v_mul_f64 v[222:223], v[144:145], v[138:139]
	v_fmac_f64_e32 v[220:221], v[158:159], v[128:129]
	v_add_f64 v[0:1], v[0:1], v[218:219]
	ds_read_b128 v[216:219], v2 offset:1456
	v_add_f64 v[0:1], v[0:1], v[220:221]
	v_fmac_f64_e32 v[222:223], v[146:147], v[136:137]
	v_add_f64 v[0:1], v[0:1], v[222:223]
	s_waitcnt vmcnt(15) lgkmcnt(6)
	v_mul_f64 v[24:25], v[168:169], v[142:143]
	ds_read_b128 v[220:223], v2 offset:1472
	v_fmac_f64_e32 v[24:25], v[170:171], v[140:141]
	v_add_f64 v[0:1], v[0:1], v[24:25]
	s_waitcnt vmcnt(14) lgkmcnt(2)
	v_mul_f64 v[24:25], v[212:213], v[150:151]
	v_fmac_f64_e32 v[24:25], v[214:215], v[148:149]
	s_waitcnt vmcnt(13) lgkmcnt(1)
	v_mul_f64 v[28:29], v[216:217], v[154:155]
	v_add_f64 v[0:1], v[0:1], v[24:25]
	v_fmac_f64_e32 v[28:29], v[218:219], v[152:153]
	v_add_f64 v[0:1], v[0:1], v[28:29]
	s_waitcnt vmcnt(12) lgkmcnt(0)
	v_mul_f64 v[28:29], v[220:221], v[162:163]
	v_fmac_f64_e32 v[28:29], v[222:223], v[160:161]
	s_waitcnt vmcnt(11)
	v_mul_f64 v[32:33], v[224:225], v[166:167]
	v_add_f64 v[0:1], v[0:1], v[28:29]
	v_fmac_f64_e32 v[32:33], v[226:227], v[164:165]
	v_add_f64 v[0:1], v[0:1], v[32:33]
	s_waitcnt vmcnt(10)
	v_mul_f64 v[32:33], v[228:229], v[174:175]
	v_fmac_f64_e32 v[32:33], v[230:231], v[172:173]
	s_waitcnt vmcnt(9)
	v_mul_f64 v[36:37], v[232:233], v[178:179]
	v_add_f64 v[0:1], v[0:1], v[32:33]
	v_fmac_f64_e32 v[36:37], v[234:235], v[176:177]
	v_mul_f64 v[42:43], v[82:83], v[42:43]
	v_add_f64 v[0:1], v[0:1], v[36:37]
	scratch_load_dwordx4 v[36:39], off, off offset:688
	v_fma_f64 v[242:243], v[80:81], v[40:41], -v[42:43]
	ds_read_b128 v[80:83], v2 offset:1552
	s_waitcnt vmcnt(9)
	v_mul_f64 v[40:41], v[236:237], v[186:187]
	v_fmac_f64_e32 v[40:41], v[238:239], v[184:185]
	v_add_f64 v[0:1], v[0:1], v[40:41]
	v_mul_f64 v[40:41], v[206:207], v[46:47]
	v_fma_f64 v[244:245], v[204:205], v[44:45], -v[40:41]
	scratch_load_dwordx4 v[40:43], off, off offset:704
	s_waitcnt vmcnt(9) lgkmcnt(0)
	v_mul_f64 v[44:45], v[80:81], v[6:7]
	v_fmac_f64_e32 v[44:45], v[82:83], v[4:5]
	v_add_f64 v[0:1], v[0:1], v[44:45]
	scratch_load_dwordx4 v[44:47], off, off offset:720
	v_mul_f64 v[50:51], v[102:103], v[50:51]
	v_fma_f64 v[246:247], v[100:101], v[48:49], -v[50:51]
	ds_read_b128 v[100:103], v2 offset:1568
	v_mul_f64 v[48:49], v[118:119], v[54:55]
	v_fma_f64 v[248:249], v[116:117], v[52:53], -v[48:49]
	scratch_load_dwordx4 v[52:55], off, off offset:736
	scratch_load_dwordx4 v[48:51], off, off offset:752
	v_accvgpr_write_b32 a143, v7
	v_accvgpr_write_b32 a142, v6
	;; [unrolled: 1-line block ×4, first 2 shown]
	s_waitcnt vmcnt(11)
	v_mov_b64_e32 v[4:5], v[8:9]
	v_mul_f64 v[58:59], v[106:107], v[58:59]
	v_mov_b64_e32 v[6:7], v[10:11]
	v_fma_f64 v[250:251], v[104:105], v[56:57], -v[58:59]
	s_waitcnt lgkmcnt(0)
	v_mul_f64 v[56:57], v[100:101], v[6:7]
	ds_read_b128 v[104:107], v2 offset:1584
	v_fmac_f64_e32 v[56:57], v[102:103], v[4:5]
	v_add_f64 v[0:1], v[0:1], v[56:57]
	v_mul_f64 v[56:57], v[110:111], v[62:63]
	v_fma_f64 v[252:253], v[108:109], v[60:61], -v[56:57]
	scratch_load_dwordx4 v[56:59], off, off offset:768
	scratch_load_dwordx4 v[60:63], off, off offset:784
	s_waitcnt vmcnt(12)
	v_mov_b64_e32 v[4:5], v[12:13]
	v_mul_f64 v[66:67], v[182:183], v[66:67]
	v_mov_b64_e32 v[6:7], v[14:15]
	v_fma_f64 v[240:241], v[180:181], v[64:65], -v[66:67]
	v_mul_f64 v[64:65], v[114:115], v[70:71]
	v_fma_f64 v[32:33], v[112:113], v[68:69], -v[64:65]
	ds_read_b128 v[112:115], v2 offset:1616
	s_waitcnt lgkmcnt(1)
	v_mul_f64 v[108:109], v[104:105], v[6:7]
	v_fmac_f64_e32 v[108:109], v[106:107], v[4:5]
	v_add_f64 v[0:1], v[0:1], v[108:109]
	ds_read_b128 v[108:111], v2 offset:1600
	ds_read_b128 v[116:119], v2 offset:1632
	scratch_load_dwordx4 v[64:67], off, off offset:800
	scratch_load_dwordx4 v[68:71], off, off offset:816
	v_mul_f64 v[6:7], v[210:211], v[74:75]
	v_fma_f64 v[28:29], v[208:209], v[72:73], -v[6:7]
	s_waitcnt vmcnt(13)
	v_mov_b64_e32 v[4:5], v[16:17]
	v_mov_b64_e32 v[6:7], v[18:19]
	s_waitcnt lgkmcnt(1)
	v_mul_f64 v[72:73], v[108:109], v[6:7]
	v_fmac_f64_e32 v[72:73], v[110:111], v[4:5]
	v_add_f64 v[0:1], v[0:1], v[72:73]
	v_mul_f64 v[72:73], v[202:203], v[78:79]
	v_fma_f64 v[24:25], v[200:201], v[76:77], -v[72:73]
	scratch_load_dwordx4 v[72:75], off, off offset:832
	s_waitcnt vmcnt(10)
	v_mov_b64_e32 v[4:5], v[20:21]
	v_accvgpr_write_b32 a147, v11
	v_mov_b64_e32 v[6:7], v[22:23]
	v_mul_f64 v[76:77], v[190:191], v[86:87]
	v_accvgpr_write_b32 a146, v10
	v_accvgpr_write_b32 a145, v9
	;; [unrolled: 1-line block ×3, first 2 shown]
	v_mul_f64 v[10:11], v[112:113], v[6:7]
	v_fma_f64 v[254:255], v[188:189], v[84:85], -v[76:77]
	scratch_load_dwordx4 v[76:79], off, off offset:848
	v_fmac_f64_e32 v[10:11], v[114:115], v[4:5]
	v_accvgpr_write_b32 a159, v23
	v_add_f64 v[0:1], v[0:1], v[10:11]
	v_mul_f64 v[10:11], v[122:123], v[90:91]
	v_accvgpr_write_b32 a158, v22
	v_accvgpr_write_b32 a157, v21
	;; [unrolled: 1-line block ×3, first 2 shown]
	v_fma_f64 v[20:21], v[120:121], v[88:89], -v[10:11]
	ds_read_b128 v[120:123], v2 offset:1648
	scratch_load_dwordx4 v[88:91], off, off offset:864
	scratch_load_dwordx4 v[84:87], off, off offset:880
	v_accvgpr_write_b32 a151, v15
	v_accvgpr_write_b32 a150, v14
	;; [unrolled: 1-line block ×5, first 2 shown]
	v_mul_f64 v[14:15], v[134:135], v[94:95]
	v_accvgpr_write_b32 a154, v18
	v_accvgpr_write_b32 a153, v17
	;; [unrolled: 1-line block ×3, first 2 shown]
	v_fma_f64 v[16:17], v[132:133], v[92:93], -v[14:15]
	v_mul_f64 v[92:93], v[198:199], v[98:99]
	v_fma_f64 v[14:15], v[196:197], v[96:97], -v[92:93]
	scratch_load_dwordx4 v[92:95], off, off offset:896
	v_mul_f64 v[96:97], v[158:159], v[130:131]
	v_fma_f64 v[12:13], v[156:157], v[128:129], -v[96:97]
	scratch_load_dwordx4 v[96:99], off, off offset:912
	v_accvgpr_read_b32 v4, a128
	v_accvgpr_read_b32 v6, a130
	v_accvgpr_read_b32 v7, a131
	v_accvgpr_read_b32 v5, a129
	s_waitcnt lgkmcnt(1)
	v_mul_f64 v[10:11], v[116:117], v[6:7]
	v_mul_f64 v[18:19], v[194:195], v[126:127]
	v_fmac_f64_e32 v[10:11], v[118:119], v[4:5]
	v_accvgpr_read_b32 v4, a132
	v_fma_f64 v[18:19], v[192:193], v[124:125], -v[18:19]
	ds_read_b128 v[124:127], v2 offset:1664
	ds_read_b128 v[128:131], v2 offset:1680
	v_accvgpr_read_b32 v6, a134
	v_accvgpr_read_b32 v7, a135
	v_add_f64 v[0:1], v[0:1], v[10:11]
	v_accvgpr_read_b32 v5, a133
	s_waitcnt lgkmcnt(2)
	v_mul_f64 v[10:11], v[120:121], v[6:7]
	v_fmac_f64_e32 v[10:11], v[122:123], v[4:5]
	v_accvgpr_read_b32 v4, a136
	v_accvgpr_read_b32 v6, a138
	;; [unrolled: 1-line block ×3, first 2 shown]
	v_add_f64 v[0:1], v[0:1], v[10:11]
	v_accvgpr_read_b32 v5, a137
	s_waitcnt lgkmcnt(1)
	v_mul_f64 v[10:11], v[124:125], v[6:7]
	ds_read_b128 v[132:135], v2 offset:1696
	v_fmac_f64_e32 v[10:11], v[126:127], v[4:5]
	v_add_f64 v[0:1], v[0:1], v[10:11]
	s_waitcnt vmcnt(14) lgkmcnt(1)
	v_mul_f64 v[10:11], v[128:129], v[38:39]
	v_fmac_f64_e32 v[10:11], v[130:131], v[36:37]
	v_add_f64 v[0:1], v[0:1], v[10:11]
	v_mul_f64 v[10:11], v[146:147], v[138:139]
	v_fma_f64 v[22:23], v[144:145], v[136:137], -v[10:11]
	ds_read_b128 v[136:139], v2 offset:1712
	s_waitcnt vmcnt(13) lgkmcnt(1)
	v_mul_f64 v[10:11], v[132:133], v[42:43]
	v_fmac_f64_e32 v[10:11], v[134:135], v[40:41]
	v_add_f64 v[0:1], v[0:1], v[10:11]
	v_mul_f64 v[10:11], v[170:171], v[142:143]
	v_fma_f64 v[8:9], v[168:169], v[140:141], -v[10:11]
	ds_read_b128 v[140:143], v2 offset:1728
	ds_read_b128 v[144:147], v2 offset:1744
	s_waitcnt vmcnt(12) lgkmcnt(2)
	v_mul_f64 v[10:11], v[136:137], v[46:47]
	v_fmac_f64_e32 v[10:11], v[138:139], v[44:45]
	v_add_f64 v[0:1], v[0:1], v[10:11]
	s_waitcnt vmcnt(11) lgkmcnt(1)
	v_mul_f64 v[10:11], v[140:141], v[54:55]
	v_fmac_f64_e32 v[10:11], v[142:143], v[52:53]
	v_add_f64 v[0:1], v[0:1], v[10:11]
	v_mul_f64 v[10:11], v[214:215], v[150:151]
	v_fma_f64 v[26:27], v[212:213], v[148:149], -v[10:11]
	ds_read_b128 v[148:151], v2 offset:1760
	v_mul_f64 v[154:155], v[218:219], v[154:155]
	v_fma_f64 v[6:7], v[216:217], v[152:153], -v[154:155]
	ds_read_b128 v[152:155], v2 offset:1776
	s_waitcnt vmcnt(10) lgkmcnt(2)
	v_mul_f64 v[10:11], v[144:145], v[50:51]
	v_fmac_f64_e32 v[10:11], v[146:147], v[48:49]
	v_add_f64 v[0:1], v[0:1], v[10:11]
	s_waitcnt vmcnt(9) lgkmcnt(1)
	v_mul_f64 v[10:11], v[148:149], v[58:59]
	ds_read_b128 v[156:159], v2 offset:1792
	v_fmac_f64_e32 v[10:11], v[150:151], v[56:57]
	v_add_f64 v[0:1], v[0:1], v[10:11]
	s_waitcnt vmcnt(8) lgkmcnt(1)
	v_mul_f64 v[10:11], v[152:153], v[62:63]
	v_fmac_f64_e32 v[10:11], v[154:155], v[60:61]
	v_add_f64 v[0:1], v[0:1], v[10:11]
	v_mul_f64 v[10:11], v[222:223], v[162:163]
	v_fma_f64 v[30:31], v[220:221], v[160:161], -v[10:11]
	ds_read_b128 v[160:163], v2 offset:1808
	s_waitcnt vmcnt(7) lgkmcnt(1)
	v_mul_f64 v[10:11], v[156:157], v[66:67]
	v_fmac_f64_e32 v[10:11], v[158:159], v[64:65]
	v_add_f64 v[0:1], v[0:1], v[10:11]
	v_mul_f64 v[10:11], v[226:227], v[166:167]
	v_fma_f64 v[4:5], v[224:225], v[164:165], -v[10:11]
	ds_read_b128 v[164:167], v2 offset:1824
	ds_read_b128 v[168:171], v2 offset:1840
	s_waitcnt vmcnt(6) lgkmcnt(2)
	v_mul_f64 v[10:11], v[160:161], v[70:71]
	v_fmac_f64_e32 v[10:11], v[162:163], v[68:69]
	v_add_f64 v[0:1], v[0:1], v[10:11]
	s_waitcnt vmcnt(5) lgkmcnt(1)
	v_mul_f64 v[10:11], v[164:165], v[74:75]
	v_fmac_f64_e32 v[10:11], v[166:167], v[72:73]
	v_add_f64 v[10:11], v[0:1], v[10:11]
	v_mul_f64 v[0:1], v[230:231], v[174:175]
	v_fma_f64 v[34:35], v[228:229], v[172:173], -v[0:1]
	ds_read_b128 v[172:175], v2 offset:1856
	s_waitcnt vmcnt(4) lgkmcnt(1)
	v_mul_f64 v[180:181], v[168:169], v[78:79]
	v_fmac_f64_e32 v[180:181], v[170:171], v[76:77]
	v_mul_f64 v[0:1], v[234:235], v[178:179]
	v_fma_f64 v[0:1], v[232:233], v[176:177], -v[0:1]
	ds_read_b128 v[176:179], v2 offset:1872
	v_add_f64 v[10:11], v[10:11], v[180:181]
	s_waitcnt vmcnt(3) lgkmcnt(1)
	v_mul_f64 v[180:181], v[172:173], v[90:91]
	v_fmac_f64_e32 v[180:181], v[174:175], v[88:89]
	v_add_f64 v[188:189], v[10:11], v[180:181]
	ds_read_b128 v[180:183], v2 offset:1888
	v_mul_f64 v[10:11], v[238:239], v[186:187]
	v_fma_f64 v[10:11], v[236:237], v[184:185], -v[10:11]
	ds_read_b128 v[184:187], v2 offset:1904
	s_waitcnt vmcnt(2) lgkmcnt(2)
	v_mul_f64 v[190:191], v[176:177], v[86:87]
	v_fmac_f64_e32 v[190:191], v[178:179], v[84:85]
	v_add_f64 v[188:189], v[188:189], v[190:191]
	s_waitcnt vmcnt(1) lgkmcnt(1)
	v_mul_f64 v[190:191], v[180:181], v[94:95]
	v_fmac_f64_e32 v[190:191], v[182:183], v[92:93]
	v_add_f64 v[188:189], v[188:189], v[190:191]
	;; [unrolled: 4-line block ×3, first 2 shown]
	scratch_load_dwordx4 v[188:191], off, off offset:928
	scratch_load_dwordx4 v[232:235], off, off offset:1008
	ds_read_b128 v[192:195], v2 offset:1920
	ds_read_b128 v[200:203], v2 offset:1936
	;; [unrolled: 1-line block ×5, first 2 shown]
	s_waitcnt vmcnt(1) lgkmcnt(4)
	v_mul_f64 v[198:199], v[192:193], v[190:191]
	v_fmac_f64_e32 v[198:199], v[194:195], v[188:189]
	v_add_f64 v[204:205], v[196:197], v[198:199]
	scratch_load_dwordx4 v[196:199], off, off offset:944
	s_waitcnt vmcnt(0) lgkmcnt(3)
	v_mul_f64 v[206:207], v[200:201], v[198:199]
	v_fmac_f64_e32 v[206:207], v[202:203], v[196:197]
	v_add_f64 v[212:213], v[204:205], v[206:207]
	scratch_load_dwordx4 v[204:207], off, off offset:960
	;; [unrolled: 5-line block ×4, first 2 shown]
	s_waitcnt vmcnt(0) lgkmcnt(0)
	v_mul_f64 v[230:231], v[224:225], v[222:223]
	v_fmac_f64_e32 v[230:231], v[226:227], v[220:221]
	v_add_f64 v[236:237], v[228:229], v[230:231]
	ds_read_b128 v[228:231], v2 offset:2000
	s_waitcnt lgkmcnt(0)
	v_mul_f64 v[2:3], v[228:229], v[234:235]
	v_fmac_f64_e32 v[2:3], v[230:231], v[232:233]
	v_add_f64 v[2:3], v[236:237], v[2:3]
	v_add_f64 v[236:237], v[242:243], 0
	;; [unrolled: 1-line block ×11, first 2 shown]
	scratch_load_dwordx4 v[236:239], off, off offset:144
	v_add_f64 v[24:25], v[24:25], v[254:255]
	v_add_f64 v[20:21], v[24:25], v[20:21]
	;; [unrolled: 1-line block ×12, first 2 shown]
	v_accvgpr_read_b32 v6, a140
	v_accvgpr_read_b32 v8, a142
	;; [unrolled: 1-line block ×3, first 2 shown]
	v_add_f64 v[242:243], v[4:5], v[34:35]
	v_accvgpr_read_b32 v7, a141
	v_mul_f64 v[4:5], v[82:83], v[8:9]
	v_add_f64 v[0:1], v[242:243], v[0:1]
	v_fma_f64 v[4:5], v[80:81], v[6:7], -v[4:5]
	v_accvgpr_read_b32 v6, a144
	v_add_f64 v[0:1], v[0:1], v[10:11]
	v_accvgpr_read_b32 v8, a146
	v_accvgpr_read_b32 v9, a147
	v_add_f64 v[0:1], v[0:1], v[4:5]
	v_accvgpr_read_b32 v7, a145
	v_mul_f64 v[4:5], v[102:103], v[8:9]
	v_fma_f64 v[4:5], v[100:101], v[6:7], -v[4:5]
	v_accvgpr_read_b32 v6, a148
	v_accvgpr_read_b32 v8, a150
	v_accvgpr_read_b32 v9, a151
	v_add_f64 v[0:1], v[0:1], v[4:5]
	v_accvgpr_read_b32 v7, a149
	v_mul_f64 v[4:5], v[106:107], v[8:9]
	v_fma_f64 v[4:5], v[104:105], v[6:7], -v[4:5]
	v_accvgpr_read_b32 v6, a152
	;; [unrolled: 7-line block ×6, first 2 shown]
	v_accvgpr_read_b32 v8, a138
	v_accvgpr_read_b32 v9, a139
	v_add_f64 v[0:1], v[0:1], v[4:5]
	v_accvgpr_read_b32 v7, a137
	v_mul_f64 v[4:5], v[126:127], v[8:9]
	v_fma_f64 v[4:5], v[124:125], v[6:7], -v[4:5]
	v_add_f64 v[0:1], v[0:1], v[4:5]
	v_mul_f64 v[4:5], v[130:131], v[38:39]
	v_fma_f64 v[4:5], v[128:129], v[36:37], -v[4:5]
	v_add_f64 v[0:1], v[0:1], v[4:5]
	;; [unrolled: 3-line block ×22, first 2 shown]
	s_waitcnt vmcnt(0)
	v_add_f64 v[4:5], v[236:237], -v[0:1]
	v_accvgpr_read_b32 v0, a126
	v_add_f64 v[6:7], v[238:239], -v[2:3]
	v_cmp_lt_u32_e32 vcc, 7, v0
	scratch_store_dwordx4 off, v[4:7], off offset:144
	s_and_saveexec_b64 s[0:1], vcc
	s_cbranch_execz .LBB62_389
; %bb.388:
	scratch_load_dwordx4 v[2:5], off, s62
	v_mov_b32_e32 v6, 0
	v_mov_b32_e32 v7, v6
	;; [unrolled: 1-line block ×4, first 2 shown]
	v_accvgpr_read_b32 v0, a127
	scratch_store_dwordx4 off, v[6:9], off offset:128
	s_waitcnt vmcnt(1)
	ds_write_b128 v0, v[2:5]
.LBB62_389:
	s_or_b64 exec, exec, s[0:1]
	s_waitcnt lgkmcnt(0)
	; wave barrier
	scratch_load_dwordx4 v[16:19], off, off offset:144
	scratch_load_dwordx4 v[20:23], off, off offset:160
	scratch_load_dwordx4 v[24:27], off, off offset:176
	scratch_load_dwordx4 v[28:31], off, off offset:192
	scratch_load_dwordx4 v[32:35], off, off offset:208
	scratch_load_dwordx4 v[36:39], off, off offset:224
	scratch_load_dwordx4 v[44:47], off, off offset:240
	scratch_load_dwordx4 v[52:55], off, off offset:256
	scratch_load_dwordx4 v[60:63], off, off offset:272
	scratch_load_dwordx4 v[64:67], off, off offset:288
	scratch_load_dwordx4 v[68:71], off, off offset:304
	scratch_load_dwordx4 v[72:75], off, off offset:320
	scratch_load_dwordx4 v[76:79], off, off offset:336
	scratch_load_dwordx4 v[80:83], off, off offset:352
	scratch_load_dwordx4 v[88:91], off, off offset:368
	scratch_load_dwordx4 v[92:95], off, off offset:384
	scratch_load_dwordx4 v[100:103], off, off offset:400
	scratch_load_dwordx4 v[128:131], off, off offset:416
	scratch_load_dwordx4 v[132:135], off, off offset:432
	scratch_load_dwordx4 v[136:139], off, off offset:448
	scratch_load_dwordx4 v[144:147], off, off offset:464
	scratch_load_dwordx4 v[148:151], off, off offset:480
	scratch_load_dwordx4 v[156:159], off, off offset:496
	scratch_load_dwordx4 v[160:163], off, off offset:512
	scratch_load_dwordx4 v[168:171], off, off offset:528
	scratch_load_dwordx4 v[172:175], off, off offset:544
	scratch_load_dwordx4 v[180:183], off, off offset:560
	scratch_load_dwordx4 v[4:7], off, off offset:576
	scratch_load_dwordx4 v[8:11], off, off offset:592
	scratch_load_dwordx4 v[12:15], off, off offset:608
	v_mov_b32_e32 v2, 0
	ds_read_b128 v[84:87], v2 offset:1136
	ds_read_b128 v[96:99], v2 offset:1152
	;; [unrolled: 1-line block ×17, first 2 shown]
	scratch_load_dwordx4 a[128:131], off, off offset:624
	scratch_load_dwordx4 a[132:135], off, off offset:640
	;; [unrolled: 1-line block ×4, first 2 shown]
	ds_read_b128 v[228:231], v2 offset:1504
	ds_read_b128 v[236:239], v2 offset:1520
	scratch_load_dwordx4 a[144:147], off, off offset:688
	ds_read_b128 v[240:243], v2 offset:1536
	ds_read_b128 v[244:247], v2 offset:1552
	;; [unrolled: 1-line block ×3, first 2 shown]
	s_waitcnt vmcnt(34) lgkmcnt(14)
	v_mul_f64 v[0:1], v[84:85], v[18:19]
	s_waitcnt vmcnt(33)
	v_mul_f64 v[40:41], v[96:97], v[22:23]
	v_fmac_f64_e32 v[0:1], v[86:87], v[16:17]
	s_waitcnt vmcnt(32)
	v_mul_f64 v[42:43], v[104:105], v[26:27]
	v_fmac_f64_e32 v[40:41], v[98:99], v[20:21]
	v_add_f64 v[0:1], v[0:1], 0
	s_waitcnt vmcnt(31)
	v_mul_f64 v[48:49], v[108:109], v[30:31]
	v_fmac_f64_e32 v[42:43], v[106:107], v[24:25]
	v_add_f64 v[0:1], v[0:1], v[40:41]
	s_waitcnt vmcnt(30)
	v_mul_f64 v[50:51], v[112:113], v[34:35]
	v_fmac_f64_e32 v[48:49], v[110:111], v[28:29]
	v_add_f64 v[0:1], v[0:1], v[42:43]
	s_waitcnt vmcnt(29)
	v_mul_f64 v[56:57], v[116:117], v[38:39]
	v_fmac_f64_e32 v[50:51], v[114:115], v[32:33]
	v_add_f64 v[0:1], v[0:1], v[48:49]
	s_waitcnt vmcnt(28)
	v_mul_f64 v[58:59], v[120:121], v[46:47]
	v_fmac_f64_e32 v[56:57], v[118:119], v[36:37]
	v_add_f64 v[0:1], v[0:1], v[50:51]
	s_waitcnt vmcnt(27)
	v_mul_f64 v[204:205], v[124:125], v[54:55]
	v_fmac_f64_e32 v[58:59], v[122:123], v[44:45]
	v_add_f64 v[0:1], v[0:1], v[56:57]
	s_waitcnt vmcnt(26) lgkmcnt(13)
	v_mul_f64 v[206:207], v[140:141], v[62:63]
	v_fmac_f64_e32 v[204:205], v[126:127], v[52:53]
	v_add_f64 v[0:1], v[0:1], v[58:59]
	s_waitcnt vmcnt(25) lgkmcnt(12)
	v_mul_f64 v[208:209], v[152:153], v[66:67]
	v_fmac_f64_e32 v[206:207], v[142:143], v[60:61]
	v_add_f64 v[0:1], v[0:1], v[204:205]
	;; [unrolled: 4-line block ×6, first 2 shown]
	ds_read_b128 v[204:207], v2 offset:1408
	ds_read_b128 v[208:211], v2 offset:1424
	s_waitcnt vmcnt(20) lgkmcnt(9)
	v_mul_f64 v[218:219], v[192:193], v[90:91]
	v_fmac_f64_e32 v[216:217], v[190:191], v[80:81]
	v_add_f64 v[0:1], v[0:1], v[214:215]
	s_waitcnt vmcnt(19) lgkmcnt(8)
	v_mul_f64 v[220:221], v[196:197], v[94:95]
	v_fmac_f64_e32 v[218:219], v[194:195], v[88:89]
	v_add_f64 v[0:1], v[0:1], v[216:217]
	v_fmac_f64_e32 v[220:221], v[198:199], v[92:93]
	v_add_f64 v[0:1], v[0:1], v[218:219]
	s_waitcnt vmcnt(18) lgkmcnt(7)
	v_mul_f64 v[40:41], v[200:201], v[102:103]
	ds_read_b128 v[212:215], v2 offset:1440
	ds_read_b128 v[216:219], v2 offset:1456
	v_add_f64 v[0:1], v[0:1], v[220:221]
	v_fmac_f64_e32 v[40:41], v[202:203], v[100:101]
	v_add_f64 v[0:1], v[0:1], v[40:41]
	s_waitcnt vmcnt(17) lgkmcnt(3)
	v_mul_f64 v[40:41], v[204:205], v[130:131]
	v_fmac_f64_e32 v[40:41], v[206:207], v[128:129]
	ds_read_b128 v[220:223], v2 offset:1472
	v_add_f64 v[0:1], v[0:1], v[40:41]
	s_waitcnt vmcnt(16) lgkmcnt(3)
	v_mul_f64 v[40:41], v[208:209], v[134:135]
	v_fmac_f64_e32 v[40:41], v[210:211], v[132:133]
	s_waitcnt vmcnt(15) lgkmcnt(2)
	v_mul_f64 v[48:49], v[212:213], v[138:139]
	v_add_f64 v[0:1], v[0:1], v[40:41]
	v_fmac_f64_e32 v[48:49], v[214:215], v[136:137]
	s_waitcnt vmcnt(14) lgkmcnt(1)
	v_mul_f64 v[56:57], v[216:217], v[146:147]
	v_add_f64 v[0:1], v[0:1], v[48:49]
	v_fmac_f64_e32 v[56:57], v[218:219], v[144:145]
	v_add_f64 v[0:1], v[0:1], v[56:57]
	s_waitcnt vmcnt(13) lgkmcnt(0)
	v_mul_f64 v[56:57], v[220:221], v[150:151]
	v_fmac_f64_e32 v[56:57], v[222:223], v[148:149]
	v_add_f64 v[0:1], v[0:1], v[56:57]
	s_waitcnt vmcnt(12)
	v_mul_f64 v[56:57], v[224:225], v[158:159]
	v_fmac_f64_e32 v[56:57], v[226:227], v[156:157]
	s_waitcnt vmcnt(11)
	v_mul_f64 v[232:233], v[228:229], v[162:163]
	v_add_f64 v[0:1], v[0:1], v[56:57]
	v_fmac_f64_e32 v[232:233], v[230:231], v[160:161]
	v_add_f64 v[0:1], v[0:1], v[232:233]
	s_waitcnt vmcnt(10)
	v_mul_f64 v[232:233], v[236:237], v[170:171]
	v_mul_f64 v[18:19], v[86:87], v[18:19]
	v_fmac_f64_e32 v[232:233], v[238:239], v[168:169]
	v_fma_f64 v[248:249], v[84:85], v[16:17], -v[18:19]
	s_waitcnt vmcnt(9)
	v_mul_f64 v[84:85], v[240:241], v[174:175]
	v_add_f64 v[0:1], v[0:1], v[232:233]
	v_fmac_f64_e32 v[84:85], v[242:243], v[172:173]
	v_add_f64 v[0:1], v[0:1], v[84:85]
	ds_read_b128 v[84:87], v2 offset:1568
	scratch_load_dwordx4 v[56:59], off, off offset:704
	scratch_load_dwordx4 v[40:43], off, off offset:720
	;; [unrolled: 1-line block ×3, first 2 shown]
	v_mul_f64 v[30:31], v[110:111], v[30:31]
	v_mul_f64 v[22:23], v[98:99], v[22:23]
	;; [unrolled: 1-line block ×3, first 2 shown]
	v_fma_f64 v[254:255], v[108:109], v[28:29], -v[30:31]
	s_waitcnt vmcnt(11)
	v_mul_f64 v[28:29], v[244:245], v[182:183]
	v_fma_f64 v[250:251], v[96:97], v[20:21], -v[22:23]
	v_fma_f64 v[252:253], v[104:105], v[24:25], -v[26:27]
	v_fmac_f64_e32 v[28:29], v[246:247], v[180:181]
	ds_read_b128 v[104:107], v2 offset:1600
	s_waitcnt vmcnt(10) lgkmcnt(1)
	v_mul_f64 v[96:97], v[84:85], v[6:7]
	v_add_f64 v[0:1], v[0:1], v[28:29]
	v_fmac_f64_e32 v[96:97], v[86:87], v[4:5]
	v_add_f64 v[0:1], v[0:1], v[96:97]
	ds_read_b128 v[96:99], v2 offset:1584
	v_mul_f64 v[34:35], v[114:115], v[34:35]
	v_accvgpr_write_b32 a151, v7
	v_mul_f64 v[38:39], v[118:119], v[38:39]
	v_fma_f64 v[232:233], v[112:113], v[32:33], -v[34:35]
	v_accvgpr_write_b32 a150, v6
	v_accvgpr_write_b32 a149, v5
	;; [unrolled: 1-line block ×3, first 2 shown]
	v_fma_f64 v[32:33], v[116:117], v[36:37], -v[38:39]
	scratch_load_dwordx4 v[36:39], off, off offset:752
	v_mul_f64 v[6:7], v[122:123], v[46:47]
	v_mul_f64 v[46:47], v[126:127], v[54:55]
	v_fma_f64 v[28:29], v[120:121], v[44:45], -v[6:7]
	v_fma_f64 v[24:25], v[124:125], v[52:53], -v[46:47]
	scratch_load_dwordx4 v[52:55], off, off offset:768
	ds_read_b128 v[112:115], v2 offset:1632
	s_waitcnt vmcnt(11) lgkmcnt(1)
	v_mul_f64 v[44:45], v[96:97], v[10:11]
	v_fmac_f64_e32 v[44:45], v[98:99], v[8:9]
	v_add_f64 v[0:1], v[0:1], v[44:45]
	scratch_load_dwordx4 v[44:47], off, off offset:784
	s_waitcnt vmcnt(11)
	v_mov_b64_e32 v[4:5], v[12:13]
	v_mov_b64_e32 v[6:7], v[14:15]
	v_accvgpr_write_b32 a155, v11
	v_mul_f64 v[108:109], v[104:105], v[6:7]
	v_accvgpr_write_b32 a154, v10
	v_accvgpr_write_b32 a153, v9
	;; [unrolled: 1-line block ×3, first 2 shown]
	v_mul_f64 v[10:11], v[142:143], v[62:63]
	v_fmac_f64_e32 v[108:109], v[106:107], v[4:5]
	v_fma_f64 v[20:21], v[140:141], v[60:61], -v[10:11]
	scratch_load_dwordx4 v[60:63], off, off offset:800
	v_add_f64 v[0:1], v[0:1], v[108:109]
	ds_read_b128 v[108:111], v2 offset:1616
	v_mul_f64 v[66:67], v[154:155], v[66:67]
	v_fma_f64 v[16:17], v[152:153], v[64:65], -v[66:67]
	scratch_load_dwordx4 v[64:67], off, off offset:816
	s_waitcnt vmcnt(12)
	v_accvgpr_read_b32 v4, a128
	v_accvgpr_write_b32 a159, v15
	v_accvgpr_read_b32 v6, a130
	v_accvgpr_read_b32 v7, a131
	v_accvgpr_write_b32 a158, v14
	v_accvgpr_write_b32 a157, v13
	;; [unrolled: 1-line block ×3, first 2 shown]
	v_mul_f64 v[14:15], v[166:167], v[70:71]
	v_accvgpr_read_b32 v5, a129
	s_waitcnt lgkmcnt(0)
	v_mul_f64 v[116:117], v[108:109], v[6:7]
	v_fma_f64 v[14:15], v[164:165], v[68:69], -v[14:15]
	v_mul_f64 v[68:69], v[178:179], v[74:75]
	v_fmac_f64_e32 v[116:117], v[110:111], v[4:5]
	s_waitcnt vmcnt(11)
	v_accvgpr_read_b32 v4, a132
	v_fma_f64 v[12:13], v[176:177], v[72:73], -v[68:69]
	scratch_load_dwordx4 v[68:71], off, off offset:832
	v_accvgpr_read_b32 v6, a134
	v_accvgpr_read_b32 v7, a135
	;; [unrolled: 1-line block ×3, first 2 shown]
	v_mul_f64 v[18:19], v[112:113], v[6:7]
	v_add_f64 v[0:1], v[0:1], v[116:117]
	v_fmac_f64_e32 v[18:19], v[114:115], v[4:5]
	scratch_load_dwordx4 v[72:75], off, off offset:848
	v_add_f64 v[0:1], v[0:1], v[18:19]
	v_mul_f64 v[18:19], v[186:187], v[78:79]
	v_fma_f64 v[18:19], v[184:185], v[76:77], -v[18:19]
	ds_read_b128 v[116:119], v2 offset:1648
	v_mul_f64 v[76:77], v[190:191], v[82:83]
	v_fma_f64 v[184:185], v[188:189], v[80:81], -v[76:77]
	scratch_load_dwordx4 v[80:83], off, off offset:864
	scratch_load_dwordx4 v[76:79], off, off offset:880
	ds_read_b128 v[120:123], v2 offset:1664
	s_waitcnt vmcnt(14)
	v_accvgpr_read_b32 v4, a136
	v_mul_f64 v[90:91], v[194:195], v[90:91]
	v_accvgpr_read_b32 v6, a138
	v_accvgpr_read_b32 v7, a139
	v_fma_f64 v[186:187], v[192:193], v[88:89], -v[90:91]
	v_accvgpr_read_b32 v5, a137
	s_waitcnt lgkmcnt(1)
	v_mul_f64 v[88:89], v[116:117], v[6:7]
	v_fmac_f64_e32 v[88:89], v[118:119], v[4:5]
	s_waitcnt vmcnt(13)
	v_accvgpr_read_b32 v4, a140
	v_add_f64 v[0:1], v[0:1], v[88:89]
	v_mul_f64 v[88:89], v[198:199], v[94:95]
	v_mul_f64 v[22:23], v[202:203], v[102:103]
	v_accvgpr_read_b32 v6, a142
	v_accvgpr_read_b32 v7, a143
	v_fma_f64 v[10:11], v[196:197], v[92:93], -v[88:89]
	scratch_load_dwordx4 v[92:95], off, off offset:896
	scratch_load_dwordx4 v[88:91], off, off offset:912
	v_fma_f64 v[22:23], v[200:201], v[100:101], -v[22:23]
	v_accvgpr_read_b32 v5, a141
	s_waitcnt lgkmcnt(0)
	v_mul_f64 v[100:101], v[120:121], v[6:7]
	v_fmac_f64_e32 v[100:101], v[122:123], v[4:5]
	v_add_f64 v[0:1], v[0:1], v[100:101]
	v_mul_f64 v[100:101], v[206:207], v[130:131]
	v_fma_f64 v[8:9], v[204:205], v[128:129], -v[100:101]
	scratch_load_dwordx4 v[100:103], off, off offset:928
	ds_read_b128 v[124:127], v2 offset:1680
	ds_read_b128 v[128:131], v2 offset:1696
	s_waitcnt vmcnt(15)
	v_accvgpr_read_b32 v4, a144
	v_accvgpr_read_b32 v6, a146
	;; [unrolled: 1-line block ×4, first 2 shown]
	s_waitcnt lgkmcnt(1)
	v_mul_f64 v[26:27], v[124:125], v[6:7]
	v_fmac_f64_e32 v[26:27], v[126:127], v[4:5]
	v_add_f64 v[0:1], v[0:1], v[26:27]
	v_mul_f64 v[26:27], v[210:211], v[134:135]
	v_fma_f64 v[26:27], v[208:209], v[132:133], -v[26:27]
	ds_read_b128 v[132:135], v2 offset:1712
	v_mul_f64 v[138:139], v[214:215], v[138:139]
	v_fma_f64 v[6:7], v[212:213], v[136:137], -v[138:139]
	ds_read_b128 v[136:139], v2 offset:1728
	s_waitcnt vmcnt(14) lgkmcnt(2)
	v_mul_f64 v[140:141], v[128:129], v[58:59]
	v_fmac_f64_e32 v[140:141], v[130:131], v[56:57]
	s_waitcnt vmcnt(13) lgkmcnt(1)
	v_mul_f64 v[30:31], v[132:133], v[42:43]
	v_add_f64 v[0:1], v[0:1], v[140:141]
	v_fmac_f64_e32 v[30:31], v[134:135], v[40:41]
	v_add_f64 v[0:1], v[0:1], v[30:31]
	s_waitcnt vmcnt(12) lgkmcnt(0)
	v_mul_f64 v[30:31], v[136:137], v[50:51]
	v_fmac_f64_e32 v[30:31], v[138:139], v[48:49]
	ds_read_b128 v[140:143], v2 offset:1744
	v_add_f64 v[0:1], v[0:1], v[30:31]
	v_mul_f64 v[30:31], v[218:219], v[146:147]
	v_fma_f64 v[30:31], v[216:217], v[144:145], -v[30:31]
	ds_read_b128 v[144:147], v2 offset:1760
	v_mul_f64 v[150:151], v[222:223], v[150:151]
	v_fma_f64 v[4:5], v[220:221], v[148:149], -v[150:151]
	ds_read_b128 v[148:151], v2 offset:1776
	s_waitcnt vmcnt(11) lgkmcnt(2)
	v_mul_f64 v[152:153], v[140:141], v[38:39]
	v_fmac_f64_e32 v[152:153], v[142:143], v[36:37]
	s_waitcnt vmcnt(10) lgkmcnt(1)
	v_mul_f64 v[34:35], v[144:145], v[54:55]
	v_add_f64 v[0:1], v[0:1], v[152:153]
	v_fmac_f64_e32 v[34:35], v[146:147], v[52:53]
	v_add_f64 v[0:1], v[0:1], v[34:35]
	ds_read_b128 v[152:155], v2 offset:1792
	s_waitcnt vmcnt(9) lgkmcnt(1)
	v_mul_f64 v[34:35], v[148:149], v[46:47]
	v_fmac_f64_e32 v[34:35], v[150:151], v[44:45]
	v_add_f64 v[0:1], v[0:1], v[34:35]
	v_mul_f64 v[34:35], v[226:227], v[158:159]
	v_fma_f64 v[34:35], v[224:225], v[156:157], -v[34:35]
	ds_read_b128 v[156:159], v2 offset:1808
	s_waitcnt vmcnt(8) lgkmcnt(1)
	v_mul_f64 v[164:165], v[152:153], v[62:63]
	v_fmac_f64_e32 v[164:165], v[154:155], v[60:61]
	v_mul_f64 v[162:163], v[230:231], v[162:163]
	v_fma_f64 v[234:235], v[228:229], v[160:161], -v[162:163]
	ds_read_b128 v[160:163], v2 offset:1824
	v_add_f64 v[0:1], v[0:1], v[164:165]
	s_waitcnt vmcnt(7) lgkmcnt(1)
	v_mul_f64 v[164:165], v[156:157], v[66:67]
	v_fmac_f64_e32 v[164:165], v[158:159], v[64:65]
	v_add_f64 v[0:1], v[0:1], v[164:165]
	ds_read_b128 v[164:167], v2 offset:1840
	v_mul_f64 v[170:171], v[238:239], v[170:171]
	v_fma_f64 v[236:237], v[236:237], v[168:169], -v[170:171]
	ds_read_b128 v[168:171], v2 offset:1856
	s_waitcnt vmcnt(6) lgkmcnt(2)
	v_mul_f64 v[176:177], v[160:161], v[70:71]
	v_fmac_f64_e32 v[176:177], v[162:163], v[68:69]
	v_add_f64 v[0:1], v[0:1], v[176:177]
	s_waitcnt vmcnt(5) lgkmcnt(1)
	v_mul_f64 v[176:177], v[164:165], v[74:75]
	v_fmac_f64_e32 v[176:177], v[166:167], v[72:73]
	v_mul_f64 v[174:175], v[242:243], v[174:175]
	v_add_f64 v[0:1], v[0:1], v[176:177]
	v_fma_f64 v[238:239], v[240:241], v[172:173], -v[174:175]
	ds_read_b128 v[172:175], v2 offset:1872
	s_waitcnt vmcnt(4) lgkmcnt(1)
	v_mul_f64 v[176:177], v[168:169], v[82:83]
	v_fmac_f64_e32 v[176:177], v[170:171], v[80:81]
	v_add_f64 v[0:1], v[0:1], v[176:177]
	ds_read_b128 v[176:179], v2 offset:1888
	v_mul_f64 v[182:183], v[246:247], v[182:183]
	v_fma_f64 v[240:241], v[244:245], v[180:181], -v[182:183]
	ds_read_b128 v[180:183], v2 offset:1904
	ds_read_b128 v[244:247], v2 offset:1920
	s_waitcnt vmcnt(3) lgkmcnt(3)
	v_mul_f64 v[188:189], v[172:173], v[78:79]
	v_fmac_f64_e32 v[188:189], v[174:175], v[76:77]
	v_add_f64 v[0:1], v[0:1], v[188:189]
	s_waitcnt vmcnt(2) lgkmcnt(2)
	v_mul_f64 v[188:189], v[176:177], v[94:95]
	v_fmac_f64_e32 v[188:189], v[178:179], v[92:93]
	v_add_f64 v[0:1], v[0:1], v[188:189]
	;; [unrolled: 4-line block ×4, first 2 shown]
	scratch_load_dwordx4 v[188:191], off, off offset:944
	ds_read_b128 v[192:195], v2 offset:1936
	ds_read_b128 v[200:203], v2 offset:1952
	;; [unrolled: 1-line block ×5, first 2 shown]
	s_waitcnt vmcnt(0) lgkmcnt(4)
	v_mul_f64 v[196:197], v[192:193], v[190:191]
	v_fmac_f64_e32 v[196:197], v[194:195], v[188:189]
	v_add_f64 v[0:1], v[0:1], v[196:197]
	scratch_load_dwordx4 v[196:199], off, off offset:960
	s_waitcnt vmcnt(0) lgkmcnt(3)
	v_mul_f64 v[204:205], v[200:201], v[198:199]
	v_fmac_f64_e32 v[204:205], v[202:203], v[196:197]
	v_add_f64 v[0:1], v[0:1], v[204:205]
	scratch_load_dwordx4 v[204:207], off, off offset:976
	;; [unrolled: 5-line block ×4, first 2 shown]
	s_waitcnt vmcnt(0) lgkmcnt(0)
	v_mul_f64 v[228:229], v[224:225], v[222:223]
	v_fmac_f64_e32 v[228:229], v[226:227], v[220:221]
	v_add_f64 v[0:1], v[0:1], v[228:229]
	v_add_f64 v[228:229], v[248:249], 0
	;; [unrolled: 1-line block ×9, first 2 shown]
	scratch_load_dwordx4 v[228:231], off, off offset:128
	v_add_f64 v[20:21], v[24:25], v[20:21]
	v_add_f64 v[16:17], v[20:21], v[16:17]
	;; [unrolled: 1-line block ×15, first 2 shown]
	v_accvgpr_read_b32 v8, a148
	v_add_f64 v[4:5], v[242:243], v[234:235]
	v_accvgpr_read_b32 v10, a150
	v_accvgpr_read_b32 v11, a151
	v_add_f64 v[4:5], v[4:5], v[236:237]
	v_accvgpr_read_b32 v9, a149
	v_mul_f64 v[6:7], v[86:87], v[10:11]
	v_add_f64 v[4:5], v[4:5], v[238:239]
	v_fma_f64 v[6:7], v[84:85], v[8:9], -v[6:7]
	v_accvgpr_read_b32 v8, a152
	v_add_f64 v[4:5], v[4:5], v[240:241]
	v_accvgpr_read_b32 v10, a154
	v_accvgpr_read_b32 v11, a155
	v_add_f64 v[4:5], v[4:5], v[6:7]
	v_accvgpr_read_b32 v9, a153
	v_mul_f64 v[6:7], v[98:99], v[10:11]
	v_fma_f64 v[6:7], v[96:97], v[8:9], -v[6:7]
	v_accvgpr_read_b32 v8, a156
	v_accvgpr_read_b32 v10, a158
	v_accvgpr_read_b32 v11, a159
	v_add_f64 v[4:5], v[4:5], v[6:7]
	v_accvgpr_read_b32 v9, a157
	v_mul_f64 v[6:7], v[106:107], v[10:11]
	v_fma_f64 v[6:7], v[104:105], v[8:9], -v[6:7]
	v_accvgpr_read_b32 v8, a128
	;; [unrolled: 7-line block ×6, first 2 shown]
	v_accvgpr_read_b32 v10, a146
	v_accvgpr_read_b32 v11, a147
	v_add_f64 v[4:5], v[4:5], v[6:7]
	v_accvgpr_read_b32 v9, a145
	v_mul_f64 v[6:7], v[126:127], v[10:11]
	v_fma_f64 v[6:7], v[124:125], v[8:9], -v[6:7]
	v_add_f64 v[4:5], v[4:5], v[6:7]
	v_mul_f64 v[6:7], v[130:131], v[58:59]
	v_fma_f64 v[6:7], v[128:129], v[56:57], -v[6:7]
	v_add_f64 v[4:5], v[4:5], v[6:7]
	;; [unrolled: 3-line block ×21, first 2 shown]
	s_waitcnt vmcnt(0)
	v_add_f64 v[6:7], v[230:231], -v[0:1]
	v_accvgpr_read_b32 v0, a126
	v_add_f64 v[4:5], v[228:229], -v[4:5]
	v_cmp_lt_u32_e32 vcc, 6, v0
	scratch_store_dwordx4 off, v[4:7], off offset:128
	s_and_saveexec_b64 s[0:1], vcc
	s_cbranch_execz .LBB62_391
; %bb.390:
	scratch_load_dwordx4 v[6:9], off, s61
	v_mov_b32_e32 v3, v2
	v_mov_b32_e32 v4, v2
	;; [unrolled: 1-line block ×3, first 2 shown]
	v_accvgpr_read_b32 v0, a127
	scratch_store_dwordx4 off, v[2:5], off offset:112
	s_waitcnt vmcnt(1)
	ds_write_b128 v0, v[6:9]
.LBB62_391:
	s_or_b64 exec, exec, s[0:1]
	s_waitcnt lgkmcnt(0)
	; wave barrier
	scratch_load_dwordx4 v[16:19], off, off offset:128
	scratch_load_dwordx4 v[20:23], off, off offset:144
	;; [unrolled: 1-line block ×17, first 2 shown]
	ds_read_b128 v[112:115], v2 offset:1120
	ds_read_b128 v[96:99], v2 offset:1136
	ds_read_b128 v[84:87], v2 offset:1152
	scratch_load_dwordx4 v[120:123], off, off offset:400
	ds_read_b128 v[184:187], v2 offset:1168
	ds_read_b128 v[140:143], v2 offset:1184
	ds_read_b128 v[104:107], v2 offset:1200
	scratch_load_dwordx4 v[132:135], off, off offset:416
	;; [unrolled: 4-line block ×3, first 2 shown]
	ds_read_b128 v[200:203], v2 offset:1264
	ds_read_b128 v[192:195], v2 offset:1280
	;; [unrolled: 1-line block ×5, first 2 shown]
	scratch_load_dwordx4 v[144:147], off, off offset:448
	ds_read_b128 v[180:183], v2 offset:1344
	ds_read_b128 v[152:155], v2 offset:1360
	;; [unrolled: 1-line block ×3, first 2 shown]
	scratch_load_dwordx4 v[148:151], off, off offset:464
	scratch_load_dwordx4 v[156:159], off, off offset:480
	;; [unrolled: 1-line block ×13, first 2 shown]
	ds_read_b128 v[204:207], v2 offset:1392
	scratch_load_dwordx4 a[144:147], off, off offset:672
	scratch_load_dwordx4 a[148:151], off, off offset:688
	ds_read_b128 v[228:231], v2 offset:1488
	ds_read_b128 v[232:235], v2 offset:1504
	;; [unrolled: 1-line block ×4, first 2 shown]
	s_waitcnt vmcnt(35) lgkmcnt(14)
	v_mul_f64 v[0:1], v[112:113], v[18:19]
	s_waitcnt vmcnt(34)
	v_mul_f64 v[48:49], v[96:97], v[22:23]
	v_fmac_f64_e32 v[0:1], v[114:115], v[16:17]
	s_waitcnt vmcnt(33)
	v_mul_f64 v[50:51], v[84:85], v[26:27]
	v_fmac_f64_e32 v[48:49], v[98:99], v[20:21]
	v_add_f64 v[0:1], v[0:1], 0
	s_waitcnt vmcnt(32)
	v_mul_f64 v[56:57], v[184:185], v[30:31]
	v_fmac_f64_e32 v[50:51], v[86:87], v[24:25]
	v_add_f64 v[0:1], v[0:1], v[48:49]
	;; [unrolled: 4-line block ×6, first 2 shown]
	s_waitcnt vmcnt(27) lgkmcnt(13)
	v_mul_f64 v[210:211], v[108:109], v[54:55]
	v_fmac_f64_e32 v[208:209], v[166:167], v[44:45]
	v_add_f64 v[0:1], v[0:1], v[66:67]
	s_waitcnt vmcnt(26) lgkmcnt(12)
	v_mul_f64 v[212:213], v[200:201], v[62:63]
	v_fmac_f64_e32 v[210:211], v[110:111], v[52:53]
	v_add_f64 v[0:1], v[0:1], v[208:209]
	;; [unrolled: 4-line block ×8, first 2 shown]
	ds_read_b128 v[208:211], v2 offset:1408
	v_fmac_f64_e32 v[224:225], v[154:155], v[92:93]
	v_add_f64 v[0:1], v[0:1], v[222:223]
	s_waitcnt vmcnt(19) lgkmcnt(6)
	v_mul_f64 v[48:49], v[128:129], v[102:103]
	ds_read_b128 v[212:215], v2 offset:1424
	ds_read_b128 v[216:219], v2 offset:1440
	v_add_f64 v[0:1], v[0:1], v[224:225]
	v_fmac_f64_e32 v[48:49], v[130:131], v[100:101]
	v_add_f64 v[0:1], v[0:1], v[48:49]
	s_waitcnt vmcnt(18) lgkmcnt(7)
	v_mul_f64 v[48:49], v[204:205], v[122:123]
	v_fmac_f64_e32 v[48:49], v[206:207], v[120:121]
	ds_read_b128 v[220:223], v2 offset:1456
	ds_read_b128 v[224:227], v2 offset:1472
	v_add_f64 v[0:1], v[0:1], v[48:49]
	s_waitcnt vmcnt(17) lgkmcnt(4)
	v_mul_f64 v[48:49], v[208:209], v[134:135]
	v_fmac_f64_e32 v[48:49], v[210:211], v[132:133]
	s_waitcnt vmcnt(16) lgkmcnt(3)
	v_mul_f64 v[56:57], v[212:213], v[138:139]
	v_add_f64 v[0:1], v[0:1], v[48:49]
	v_fmac_f64_e32 v[56:57], v[214:215], v[136:137]
	s_waitcnt vmcnt(15) lgkmcnt(2)
	v_mul_f64 v[64:65], v[216:217], v[146:147]
	v_add_f64 v[0:1], v[0:1], v[56:57]
	v_fmac_f64_e32 v[64:65], v[218:219], v[144:145]
	v_add_f64 v[0:1], v[0:1], v[64:65]
	s_waitcnt vmcnt(14) lgkmcnt(1)
	v_mul_f64 v[64:65], v[220:221], v[150:151]
	v_fmac_f64_e32 v[64:65], v[222:223], v[148:149]
	v_add_f64 v[0:1], v[0:1], v[64:65]
	s_waitcnt vmcnt(13) lgkmcnt(0)
	v_mul_f64 v[64:65], v[224:225], v[158:159]
	v_fmac_f64_e32 v[64:65], v[226:227], v[156:157]
	v_mul_f64 v[30:31], v[186:187], v[30:31]
	v_add_f64 v[0:1], v[0:1], v[64:65]
	v_fma_f64 v[252:253], v[184:185], v[28:29], -v[30:31]
	scratch_load_dwordx4 v[64:67], off, off offset:704
	scratch_load_dwordx4 v[184:187], off, off offset:720
	v_mul_f64 v[26:27], v[86:87], v[26:27]
	s_waitcnt vmcnt(14)
	v_mul_f64 v[240:241], v[228:229], v[162:163]
	v_fma_f64 v[250:251], v[84:85], v[24:25], -v[26:27]
	ds_read_b128 v[84:87], v2 offset:1552
	v_fmac_f64_e32 v[240:241], v[230:231], v[160:161]
	v_add_f64 v[0:1], v[0:1], v[240:241]
	s_waitcnt vmcnt(13)
	v_mul_f64 v[240:241], v[232:233], v[170:171]
	v_mul_f64 v[18:19], v[114:115], v[18:19]
	v_fmac_f64_e32 v[240:241], v[234:235], v[168:169]
	v_fma_f64 v[246:247], v[112:113], v[16:17], -v[18:19]
	s_waitcnt vmcnt(12)
	v_mul_f64 v[112:113], v[236:237], v[174:175]
	v_add_f64 v[0:1], v[0:1], v[240:241]
	v_fmac_f64_e32 v[112:113], v[238:239], v[172:173]
	v_mul_f64 v[22:23], v[98:99], v[22:23]
	s_waitcnt vmcnt(11)
	v_mul_f64 v[28:29], v[242:243], v[198:199]
	v_mul_f64 v[38:39], v[106:107], v[38:39]
	v_add_f64 v[0:1], v[0:1], v[112:113]
	v_fma_f64 v[248:249], v[96:97], v[20:21], -v[22:23]
	v_fmac_f64_e32 v[28:29], v[244:245], v[196:197]
	v_fma_f64 v[240:241], v[104:105], v[36:37], -v[38:39]
	ds_read_b128 v[104:107], v2 offset:1584
	s_waitcnt vmcnt(10) lgkmcnt(1)
	v_mul_f64 v[96:97], v[84:85], v[6:7]
	v_add_f64 v[0:1], v[0:1], v[28:29]
	v_fmac_f64_e32 v[96:97], v[86:87], v[4:5]
	scratch_load_dwordx4 v[56:59], off, off offset:736
	v_mul_f64 v[42:43], v[190:191], v[42:43]
	v_add_f64 v[0:1], v[0:1], v[96:97]
	ds_read_b128 v[96:99], v2 offset:1568
	ds_read_b128 v[112:115], v2 offset:1616
	v_fma_f64 v[42:43], v[188:189], v[40:41], -v[42:43]
	v_mul_f64 v[40:41], v[166:167], v[46:47]
	v_fma_f64 v[36:37], v[164:165], v[44:45], -v[40:41]
	scratch_load_dwordx4 v[44:47], off, off offset:752
	v_accvgpr_write_b32 a155, v7
	v_accvgpr_write_b32 a154, v6
	;; [unrolled: 1-line block ×4, first 2 shown]
	s_waitcnt vmcnt(11) lgkmcnt(1)
	v_mul_f64 v[6:7], v[96:97], v[10:11]
	v_fmac_f64_e32 v[6:7], v[98:99], v[8:9]
	v_accvgpr_write_b32 a159, v11
	v_mul_f64 v[34:35], v[142:143], v[34:35]
	v_accvgpr_write_b32 a158, v10
	v_accvgpr_write_b32 a157, v9
	;; [unrolled: 1-line block ×3, first 2 shown]
	v_add_f64 v[0:1], v[0:1], v[6:7]
	scratch_load_dwordx4 v[48:51], off, off offset:768
	v_mul_f64 v[6:7], v[110:111], v[54:55]
	s_waitcnt vmcnt(11)
	v_mul_f64 v[10:11], v[104:105], v[14:15]
	v_fma_f64 v[254:255], v[140:141], v[32:33], -v[34:35]
	v_fma_f64 v[32:33], v[108:109], v[52:53], -v[6:7]
	v_fmac_f64_e32 v[10:11], v[106:107], v[12:13]
	scratch_load_dwordx4 v[52:55], off, off offset:784
	v_add_f64 v[0:1], v[0:1], v[10:11]
	v_mul_f64 v[10:11], v[202:203], v[62:63]
	ds_read_b128 v[108:111], v2 offset:1600
	v_fma_f64 v[28:29], v[200:201], v[60:61], -v[10:11]
	scratch_load_dwordx4 v[60:63], off, off offset:800
	v_mul_f64 v[70:71], v[194:195], v[70:71]
	v_fma_f64 v[24:25], v[192:193], v[68:69], -v[70:71]
	v_mul_f64 v[68:69], v[178:179], v[74:75]
	s_waitcnt vmcnt(12)
	v_accvgpr_read_b32 v4, a128
	v_fma_f64 v[20:21], v[176:177], v[72:73], -v[68:69]
	scratch_load_dwordx4 v[68:71], off, off offset:816
	v_accvgpr_write_b32 a163, v15
	v_accvgpr_read_b32 v6, a130
	v_accvgpr_read_b32 v7, a131
	v_accvgpr_write_b32 a162, v14
	v_accvgpr_write_b32 a161, v13
	;; [unrolled: 1-line block ×3, first 2 shown]
	v_accvgpr_read_b32 v5, a129
	s_waitcnt lgkmcnt(0)
	v_mul_f64 v[14:15], v[108:109], v[6:7]
	v_fmac_f64_e32 v[14:15], v[110:111], v[4:5]
	s_waitcnt vmcnt(12)
	v_accvgpr_read_b32 v4, a132
	v_accvgpr_read_b32 v6, a134
	v_accvgpr_read_b32 v7, a135
	v_add_f64 v[0:1], v[0:1], v[14:15]
	v_accvgpr_read_b32 v5, a133
	v_mul_f64 v[14:15], v[112:113], v[6:7]
	scratch_load_dwordx4 v[72:75], off, off offset:832
	v_fmac_f64_e32 v[14:15], v[114:115], v[4:5]
	v_add_f64 v[0:1], v[0:1], v[14:15]
	v_mul_f64 v[14:15], v[118:119], v[78:79]
	v_fma_f64 v[16:17], v[116:117], v[76:77], -v[14:15]
	ds_read_b128 v[116:119], v2 offset:1632
	v_mul_f64 v[18:19], v[126:127], v[82:83]
	v_fma_f64 v[18:19], v[124:125], v[80:81], -v[18:19]
	scratch_load_dwordx4 v[80:83], off, off offset:848
	scratch_load_dwordx4 v[76:79], off, off offset:864
	s_waitcnt vmcnt(14)
	v_accvgpr_read_b32 v4, a136
	v_accvgpr_read_b32 v6, a138
	v_accvgpr_read_b32 v7, a139
	v_accvgpr_read_b32 v5, a137
	s_waitcnt lgkmcnt(0)
	v_mul_f64 v[22:23], v[116:117], v[6:7]
	v_fmac_f64_e32 v[22:23], v[118:119], v[4:5]
	v_mul_f64 v[90:91], v[182:183], v[90:91]
	v_add_f64 v[0:1], v[0:1], v[22:23]
	v_mul_f64 v[22:23], v[154:155], v[94:95]
	v_fma_f64 v[14:15], v[180:181], v[88:89], -v[90:91]
	ds_read_b128 v[124:127], v2 offset:1648
	v_fma_f64 v[22:23], v[152:153], v[92:93], -v[22:23]
	scratch_load_dwordx4 v[92:95], off, off offset:880
	scratch_load_dwordx4 v[88:91], off, off offset:896
	v_mul_f64 v[102:103], v[130:131], v[102:103]
	v_fma_f64 v[12:13], v[128:129], v[100:101], -v[102:103]
	scratch_load_dwordx4 v[100:103], off, off offset:912
	s_waitcnt vmcnt(16)
	v_accvgpr_read_b32 v4, a140
	v_accvgpr_read_b32 v6, a142
	;; [unrolled: 1-line block ×3, first 2 shown]
	ds_read_b128 v[128:131], v2 offset:1664
	v_accvgpr_read_b32 v5, a141
	s_waitcnt lgkmcnt(1)
	v_mul_f64 v[26:27], v[124:125], v[6:7]
	v_fmac_f64_e32 v[26:27], v[126:127], v[4:5]
	v_add_f64 v[0:1], v[0:1], v[26:27]
	v_mul_f64 v[26:27], v[206:207], v[122:123]
	v_fma_f64 v[26:27], v[204:205], v[120:121], -v[26:27]
	ds_read_b128 v[120:123], v2 offset:1680
	s_waitcnt vmcnt(15)
	v_accvgpr_read_b32 v4, a144
	v_accvgpr_read_b32 v6, a146
	;; [unrolled: 1-line block ×3, first 2 shown]
	v_mul_f64 v[134:135], v[210:211], v[134:135]
	v_accvgpr_read_b32 v5, a145
	s_waitcnt lgkmcnt(1)
	v_mul_f64 v[140:141], v[128:129], v[6:7]
	v_fma_f64 v[10:11], v[208:209], v[132:133], -v[134:135]
	ds_read_b128 v[132:135], v2 offset:1696
	v_fmac_f64_e32 v[140:141], v[130:131], v[4:5]
	s_waitcnt vmcnt(14)
	v_accvgpr_read_b32 v4, a148
	v_mul_f64 v[138:139], v[214:215], v[138:139]
	v_accvgpr_read_b32 v6, a150
	v_accvgpr_read_b32 v7, a151
	v_fma_f64 v[8:9], v[212:213], v[136:137], -v[138:139]
	ds_read_b128 v[136:139], v2 offset:1712
	v_accvgpr_read_b32 v5, a149
	s_waitcnt lgkmcnt(2)
	v_mul_f64 v[30:31], v[120:121], v[6:7]
	v_add_f64 v[0:1], v[0:1], v[140:141]
	v_fmac_f64_e32 v[30:31], v[122:123], v[4:5]
	v_add_f64 v[0:1], v[0:1], v[30:31]
	s_waitcnt vmcnt(13) lgkmcnt(1)
	v_mul_f64 v[30:31], v[132:133], v[66:67]
	s_waitcnt vmcnt(12)
	v_mov_b64_e32 v[4:5], v[184:185]
	v_fmac_f64_e32 v[30:31], v[134:135], v[64:65]
	v_mov_b64_e32 v[6:7], v[186:187]
	v_add_f64 v[0:1], v[0:1], v[30:31]
	s_waitcnt lgkmcnt(0)
	v_mul_f64 v[30:31], v[136:137], v[6:7]
	v_fmac_f64_e32 v[30:31], v[138:139], v[4:5]
	ds_read_b128 v[140:143], v2 offset:1728
	v_add_f64 v[0:1], v[0:1], v[30:31]
	v_mul_f64 v[30:31], v[218:219], v[146:147]
	v_fma_f64 v[30:31], v[216:217], v[144:145], -v[30:31]
	ds_read_b128 v[144:147], v2 offset:1744
	s_waitcnt vmcnt(11) lgkmcnt(1)
	v_mul_f64 v[34:35], v[140:141], v[58:59]
	v_fmac_f64_e32 v[34:35], v[142:143], v[56:57]
	v_add_f64 v[0:1], v[0:1], v[34:35]
	v_mul_f64 v[34:35], v[222:223], v[150:151]
	s_waitcnt vmcnt(10) lgkmcnt(0)
	v_mul_f64 v[152:153], v[144:145], v[46:47]
	v_fma_f64 v[34:35], v[220:221], v[148:149], -v[34:35]
	ds_read_b128 v[148:151], v2 offset:1760
	v_fmac_f64_e32 v[152:153], v[146:147], v[44:45]
	v_add_f64 v[0:1], v[0:1], v[152:153]
	ds_read_b128 v[152:155], v2 offset:1776
	v_mul_f64 v[158:159], v[226:227], v[158:159]
	v_fma_f64 v[6:7], v[224:225], v[156:157], -v[158:159]
	ds_read_b128 v[156:159], v2 offset:1792
	v_mul_f64 v[162:163], v[230:231], v[162:163]
	s_waitcnt vmcnt(9) lgkmcnt(2)
	v_mul_f64 v[164:165], v[148:149], v[50:51]
	v_fma_f64 v[4:5], v[228:229], v[160:161], -v[162:163]
	ds_read_b128 v[160:163], v2 offset:1808
	v_fmac_f64_e32 v[164:165], v[150:151], v[48:49]
	s_waitcnt vmcnt(8) lgkmcnt(2)
	v_mul_f64 v[38:39], v[152:153], v[54:55]
	v_add_f64 v[0:1], v[0:1], v[164:165]
	v_fmac_f64_e32 v[38:39], v[154:155], v[52:53]
	v_add_f64 v[0:1], v[0:1], v[38:39]
	s_waitcnt vmcnt(7) lgkmcnt(1)
	v_mul_f64 v[38:39], v[156:157], v[62:63]
	v_fmac_f64_e32 v[38:39], v[158:159], v[60:61]
	v_add_f64 v[0:1], v[0:1], v[38:39]
	s_waitcnt vmcnt(6) lgkmcnt(0)
	v_mul_f64 v[38:39], v[160:161], v[70:71]
	ds_read_b128 v[164:167], v2 offset:1824
	v_fmac_f64_e32 v[38:39], v[162:163], v[68:69]
	v_add_f64 v[0:1], v[0:1], v[38:39]
	v_mul_f64 v[38:39], v[234:235], v[170:171]
	v_fma_f64 v[38:39], v[232:233], v[168:169], -v[38:39]
	ds_read_b128 v[168:171], v2 offset:1840
	s_waitcnt vmcnt(5) lgkmcnt(1)
	v_mul_f64 v[40:41], v[164:165], v[74:75]
	v_fmac_f64_e32 v[40:41], v[166:167], v[72:73]
	v_add_f64 v[40:41], v[0:1], v[40:41]
	v_mul_f64 v[0:1], v[238:239], v[174:175]
	v_fma_f64 v[0:1], v[236:237], v[172:173], -v[0:1]
	ds_read_b128 v[172:175], v2 offset:1856
	s_waitcnt vmcnt(4) lgkmcnt(1)
	v_mul_f64 v[176:177], v[168:169], v[82:83]
	v_fmac_f64_e32 v[176:177], v[170:171], v[80:81]
	v_add_f64 v[40:41], v[40:41], v[176:177]
	ds_read_b128 v[176:179], v2 offset:1872
	v_mul_f64 v[180:181], v[244:245], v[198:199]
	v_accvgpr_write_b32 a164, v184
	v_fma_f64 v[242:243], v[242:243], v[196:197], -v[180:181]
	ds_read_b128 v[180:183], v2 offset:1888
	ds_read_b128 v[192:195], v2 offset:1920
	v_accvgpr_write_b32 a165, v185
	v_accvgpr_write_b32 a166, v186
	;; [unrolled: 1-line block ×3, first 2 shown]
	s_waitcnt vmcnt(3) lgkmcnt(3)
	v_mul_f64 v[184:185], v[172:173], v[78:79]
	v_fmac_f64_e32 v[184:185], v[174:175], v[76:77]
	v_add_f64 v[40:41], v[40:41], v[184:185]
	s_waitcnt vmcnt(2) lgkmcnt(2)
	v_mul_f64 v[184:185], v[176:177], v[94:95]
	v_fmac_f64_e32 v[184:185], v[178:179], v[92:93]
	v_add_f64 v[40:41], v[40:41], v[184:185]
	;; [unrolled: 4-line block ×3, first 2 shown]
	ds_read_b128 v[184:187], v2 offset:1904
	ds_read_b128 v[200:203], v2 offset:1936
	scratch_load_dwordx4 v[236:239], off, off offset:112
	scratch_load_dwordx4 v[232:235], off, off offset:1008
	ds_read_b128 v[208:211], v2 offset:1952
	ds_read_b128 v[216:219], v2 offset:1968
	s_waitcnt vmcnt(2) lgkmcnt(3)
	v_mul_f64 v[188:189], v[184:185], v[102:103]
	v_fmac_f64_e32 v[188:189], v[186:187], v[100:101]
	v_add_f64 v[40:41], v[40:41], v[188:189]
	scratch_load_dwordx4 v[188:191], off, off offset:928
	ds_read_b128 v[224:227], v2 offset:1984
	s_waitcnt vmcnt(0)
	v_mul_f64 v[196:197], v[192:193], v[190:191]
	v_fmac_f64_e32 v[196:197], v[194:195], v[188:189]
	v_add_f64 v[40:41], v[40:41], v[196:197]
	scratch_load_dwordx4 v[196:199], off, off offset:944
	s_waitcnt vmcnt(0) lgkmcnt(3)
	v_mul_f64 v[204:205], v[200:201], v[198:199]
	v_fmac_f64_e32 v[204:205], v[202:203], v[196:197]
	v_add_f64 v[40:41], v[40:41], v[204:205]
	scratch_load_dwordx4 v[204:207], off, off offset:960
	s_waitcnt vmcnt(0) lgkmcnt(2)
	;; [unrolled: 5-line block ×4, first 2 shown]
	v_mul_f64 v[228:229], v[224:225], v[222:223]
	v_fmac_f64_e32 v[228:229], v[226:227], v[220:221]
	v_add_f64 v[40:41], v[40:41], v[228:229]
	ds_read_b128 v[228:231], v2 offset:2000
	s_waitcnt lgkmcnt(0)
	v_mul_f64 v[2:3], v[228:229], v[234:235]
	v_fmac_f64_e32 v[2:3], v[230:231], v[232:233]
	v_add_f64 v[2:3], v[40:41], v[2:3]
	v_add_f64 v[40:41], v[246:247], 0
	;; [unrolled: 1-line block ×25, first 2 shown]
	v_accvgpr_read_b32 v6, a152
	v_accvgpr_read_b32 v8, a154
	;; [unrolled: 1-line block ×3, first 2 shown]
	v_add_f64 v[254:255], v[4:5], v[38:39]
	v_accvgpr_read_b32 v7, a153
	v_mul_f64 v[4:5], v[86:87], v[8:9]
	v_add_f64 v[0:1], v[254:255], v[0:1]
	v_fma_f64 v[4:5], v[84:85], v[6:7], -v[4:5]
	v_accvgpr_read_b32 v6, a156
	v_add_f64 v[0:1], v[0:1], v[242:243]
	v_accvgpr_read_b32 v8, a158
	v_accvgpr_read_b32 v9, a159
	v_add_f64 v[0:1], v[0:1], v[4:5]
	v_accvgpr_read_b32 v7, a157
	v_mul_f64 v[4:5], v[98:99], v[8:9]
	v_fma_f64 v[4:5], v[96:97], v[6:7], -v[4:5]
	v_accvgpr_read_b32 v6, a160
	v_accvgpr_read_b32 v8, a162
	v_accvgpr_read_b32 v9, a163
	v_add_f64 v[0:1], v[0:1], v[4:5]
	v_accvgpr_read_b32 v7, a161
	v_mul_f64 v[4:5], v[106:107], v[8:9]
	v_fma_f64 v[4:5], v[104:105], v[6:7], -v[4:5]
	v_accvgpr_read_b32 v6, a128
	;; [unrolled: 7-line block ×7, first 2 shown]
	v_accvgpr_read_b32 v8, a150
	v_accvgpr_read_b32 v9, a151
	v_add_f64 v[0:1], v[0:1], v[4:5]
	v_accvgpr_read_b32 v7, a149
	v_mul_f64 v[4:5], v[122:123], v[8:9]
	v_fma_f64 v[4:5], v[120:121], v[6:7], -v[4:5]
	v_add_f64 v[0:1], v[0:1], v[4:5]
	v_mul_f64 v[4:5], v[134:135], v[66:67]
	v_accvgpr_read_b32 v6, a164
	v_fma_f64 v[4:5], v[132:133], v[64:65], -v[4:5]
	v_accvgpr_read_b32 v8, a166
	v_accvgpr_read_b32 v9, a167
	v_add_f64 v[0:1], v[0:1], v[4:5]
	v_accvgpr_read_b32 v7, a165
	v_mul_f64 v[4:5], v[138:139], v[8:9]
	v_fma_f64 v[4:5], v[136:137], v[6:7], -v[4:5]
	v_add_f64 v[0:1], v[0:1], v[4:5]
	v_mul_f64 v[4:5], v[142:143], v[58:59]
	v_fma_f64 v[4:5], v[140:141], v[56:57], -v[4:5]
	v_add_f64 v[0:1], v[0:1], v[4:5]
	;; [unrolled: 3-line block ×19, first 2 shown]
	v_add_f64 v[4:5], v[236:237], -v[0:1]
	v_accvgpr_read_b32 v0, a126
	v_add_f64 v[6:7], v[238:239], -v[2:3]
	v_cmp_lt_u32_e32 vcc, 5, v0
	scratch_store_dwordx4 off, v[4:7], off offset:112
	s_and_saveexec_b64 s[0:1], vcc
	s_cbranch_execz .LBB62_393
; %bb.392:
	scratch_load_dwordx4 v[2:5], off, s60
	v_mov_b32_e32 v6, 0
	v_mov_b32_e32 v7, v6
	;; [unrolled: 1-line block ×4, first 2 shown]
	v_accvgpr_read_b32 v0, a127
	scratch_store_dwordx4 off, v[6:9], off offset:96
	s_waitcnt vmcnt(1)
	ds_write_b128 v0, v[2:5]
.LBB62_393:
	s_or_b64 exec, exec, s[0:1]
	s_waitcnt lgkmcnt(0)
	; wave barrier
	scratch_load_dwordx4 v[24:27], off, off offset:112
	scratch_load_dwordx4 v[28:31], off, off offset:128
	;; [unrolled: 1-line block ×30, first 2 shown]
	v_mov_b32_e32 v2, 0
	ds_read_b128 v[80:83], v2 offset:1104
	ds_read_b128 v[96:99], v2 offset:1120
	;; [unrolled: 1-line block ×17, first 2 shown]
	scratch_load_dwordx4 a[132:135], off, off offset:592
	scratch_load_dwordx4 a[136:139], off, off offset:608
	;; [unrolled: 1-line block ×6, first 2 shown]
	ds_read_b128 v[224:227], v2 offset:1440
	ds_read_b128 v[228:231], v2 offset:1456
	;; [unrolled: 1-line block ×6, first 2 shown]
	scratch_load_dwordx4 a[156:159], off, off offset:688
	ds_read_b128 v[248:251], v2 offset:1536
	ds_read_b128 v[252:255], v2 offset:1552
	s_waitcnt vmcnt(36) lgkmcnt(14)
	v_mul_f64 v[0:1], v[80:81], v[26:27]
	s_waitcnt vmcnt(35)
	v_mul_f64 v[8:9], v[96:97], v[30:31]
	v_fmac_f64_e32 v[0:1], v[82:83], v[24:25]
	s_waitcnt vmcnt(34)
	v_mul_f64 v[10:11], v[100:101], v[34:35]
	v_fmac_f64_e32 v[8:9], v[98:99], v[28:29]
	v_add_f64 v[0:1], v[0:1], 0
	s_waitcnt vmcnt(33)
	v_mul_f64 v[12:13], v[104:105], v[38:39]
	v_fmac_f64_e32 v[10:11], v[102:103], v[32:33]
	v_add_f64 v[0:1], v[0:1], v[8:9]
	;; [unrolled: 4-line block ×9, first 2 shown]
	s_waitcnt vmcnt(25) lgkmcnt(13)
	v_mul_f64 v[212:213], v[184:185], v[70:71]
	v_fmac_f64_e32 v[210:211], v[182:183], v[64:65]
	v_add_f64 v[0:1], v[0:1], v[208:209]
	s_waitcnt vmcnt(24) lgkmcnt(12)
	v_mul_f64 v[214:215], v[188:189], v[74:75]
	v_fmac_f64_e32 v[212:213], v[186:187], v[68:69]
	v_add_f64 v[0:1], v[0:1], v[210:211]
	s_waitcnt vmcnt(23) lgkmcnt(11)
	v_mul_f64 v[216:217], v[192:193], v[78:79]
	v_fmac_f64_e32 v[214:215], v[190:191], v[72:73]
	v_add_f64 v[0:1], v[0:1], v[212:213]
	s_waitcnt vmcnt(22) lgkmcnt(10)
	v_mul_f64 v[218:219], v[196:197], v[86:87]
	v_fmac_f64_e32 v[216:217], v[194:195], v[76:77]
	v_add_f64 v[0:1], v[0:1], v[214:215]
	ds_read_b128 v[208:211], v2 offset:1376
	ds_read_b128 v[212:215], v2 offset:1392
	v_fmac_f64_e32 v[218:219], v[198:199], v[84:85]
	v_add_f64 v[0:1], v[0:1], v[216:217]
	s_waitcnt vmcnt(21) lgkmcnt(11)
	v_mul_f64 v[220:221], v[200:201], v[90:91]
	v_add_f64 v[0:1], v[0:1], v[218:219]
	ds_read_b128 v[216:219], v2 offset:1408
	v_fmac_f64_e32 v[220:221], v[202:203], v[88:89]
	s_waitcnt vmcnt(20) lgkmcnt(11)
	v_mul_f64 v[8:9], v[204:205], v[94:95]
	v_add_f64 v[0:1], v[0:1], v[220:221]
	v_fmac_f64_e32 v[8:9], v[206:207], v[92:93]
	ds_read_b128 v[220:223], v2 offset:1424
	v_add_f64 v[0:1], v[0:1], v[8:9]
	s_waitcnt vmcnt(19) lgkmcnt(3)
	v_mul_f64 v[8:9], v[208:209], v[122:123]
	v_fmac_f64_e32 v[8:9], v[210:211], v[120:121]
	s_waitcnt vmcnt(18) lgkmcnt(2)
	v_mul_f64 v[12:13], v[212:213], v[126:127]
	v_add_f64 v[0:1], v[0:1], v[8:9]
	v_fmac_f64_e32 v[12:13], v[214:215], v[124:125]
	s_waitcnt vmcnt(17) lgkmcnt(1)
	v_mul_f64 v[16:17], v[216:217], v[130:131]
	v_add_f64 v[0:1], v[0:1], v[12:13]
	v_fmac_f64_e32 v[16:17], v[218:219], v[128:129]
	v_add_f64 v[0:1], v[0:1], v[16:17]
	s_waitcnt vmcnt(16) lgkmcnt(0)
	v_mul_f64 v[16:17], v[220:221], v[134:135]
	v_fmac_f64_e32 v[16:17], v[222:223], v[132:133]
	v_add_f64 v[0:1], v[0:1], v[16:17]
	s_waitcnt vmcnt(15)
	v_mul_f64 v[16:17], v[224:225], v[138:139]
	v_fmac_f64_e32 v[16:17], v[226:227], v[136:137]
	s_waitcnt vmcnt(14)
	v_mul_f64 v[20:21], v[228:229], v[142:143]
	v_add_f64 v[0:1], v[0:1], v[16:17]
	v_fmac_f64_e32 v[20:21], v[230:231], v[140:141]
	s_waitcnt vmcnt(13)
	v_mul_f64 v[6:7], v[232:233], v[146:147]
	v_add_f64 v[0:1], v[0:1], v[20:21]
	v_fmac_f64_e32 v[6:7], v[234:235], v[144:145]
	v_add_f64 v[0:1], v[0:1], v[6:7]
	s_waitcnt vmcnt(12)
	v_mul_f64 v[6:7], v[236:237], v[154:155]
	v_fmac_f64_e32 v[6:7], v[238:239], v[152:153]
	v_add_f64 v[0:1], v[0:1], v[6:7]
	s_waitcnt vmcnt(11)
	v_mul_f64 v[6:7], v[240:241], v[158:159]
	v_fmac_f64_e32 v[6:7], v[242:243], v[156:157]
	v_mul_f64 v[10:11], v[106:107], v[38:39]
	v_add_f64 v[0:1], v[0:1], v[6:7]
	v_mul_f64 v[6:7], v[98:99], v[30:31]
	v_fma_f64 v[20:21], v[104:105], v[36:37], -v[10:11]
	v_mul_f64 v[36:37], v[110:111], v[42:43]
	v_mul_f64 v[26:27], v[82:83], v[26:27]
	v_fma_f64 v[30:31], v[96:97], v[28:29], -v[6:7]
	v_mul_f64 v[28:29], v[102:103], v[34:35]
	v_fma_f64 v[16:17], v[108:109], v[40:41], -v[36:37]
	scratch_load_dwordx4 v[36:39], off, off offset:704
	v_fma_f64 v[80:81], v[80:81], v[24:25], -v[26:27]
	v_fma_f64 v[24:25], v[100:101], v[32:33], -v[28:29]
	s_waitcnt vmcnt(11)
	v_mul_f64 v[32:33], v[244:245], v[166:167]
	v_fmac_f64_e32 v[32:33], v[246:247], v[164:165]
	v_mul_f64 v[40:41], v[118:119], v[50:51]
	v_add_f64 v[0:1], v[0:1], v[32:33]
	s_waitcnt vmcnt(10)
	v_mul_f64 v[32:33], v[248:249], v[170:171]
	v_fma_f64 v[12:13], v[116:117], v[48:49], -v[40:41]
	scratch_load_dwordx4 v[40:43], off, off offset:720
	v_fmac_f64_e32 v[32:33], v[250:251], v[168:169]
	v_add_f64 v[0:1], v[0:1], v[32:33]
	ds_read_b128 v[32:35], v2 offset:1568
	ds_read_b128 v[96:99], v2 offset:1584
	v_mul_f64 v[14:15], v[114:115], v[46:47]
	v_fma_f64 v[14:15], v[112:113], v[44:45], -v[14:15]
	v_mul_f64 v[44:45], v[150:151], v[54:55]
	s_waitcnt vmcnt(10)
	v_mul_f64 v[18:19], v[252:253], v[178:179]
	s_waitcnt vmcnt(9)
	v_accvgpr_read_b32 v4, a128
	v_fma_f64 v[10:11], v[148:149], v[52:53], -v[44:45]
	scratch_load_dwordx4 v[44:47], off, off offset:736
	v_fmac_f64_e32 v[18:19], v[254:255], v[176:177]
	v_accvgpr_read_b32 v6, a130
	v_accvgpr_read_b32 v7, a131
	v_add_f64 v[0:1], v[0:1], v[18:19]
	v_accvgpr_read_b32 v5, a129
	s_waitcnt lgkmcnt(1)
	v_mul_f64 v[18:19], v[32:33], v[6:7]
	scratch_load_dwordx4 v[48:51], off, off offset:752
	scratch_load_dwordx4 v[52:55], off, off offset:768
	v_fmac_f64_e32 v[18:19], v[34:35], v[4:5]
	ds_read_b128 v[100:103], v2 offset:1600
	ds_read_b128 v[104:107], v2 offset:1616
	s_waitcnt vmcnt(11)
	v_accvgpr_read_b32 v4, a132
	v_add_f64 v[0:1], v[0:1], v[18:19]
	v_mul_f64 v[18:19], v[162:163], v[58:59]
	v_accvgpr_read_b32 v6, a134
	v_accvgpr_read_b32 v7, a135
	v_fma_f64 v[18:19], v[160:161], v[56:57], -v[18:19]
	v_accvgpr_read_b32 v5, a133
	s_waitcnt lgkmcnt(2)
	v_mul_f64 v[56:57], v[96:97], v[6:7]
	v_fmac_f64_e32 v[56:57], v[98:99], v[4:5]
	s_waitcnt vmcnt(10)
	v_accvgpr_read_b32 v4, a136
	v_mul_f64 v[22:23], v[174:175], v[62:63]
	v_accvgpr_read_b32 v6, a138
	v_accvgpr_read_b32 v7, a139
	v_fma_f64 v[22:23], v[172:173], v[60:61], -v[22:23]
	v_add_f64 v[0:1], v[0:1], v[56:57]
	v_mul_f64 v[56:57], v[182:183], v[66:67]
	v_accvgpr_read_b32 v5, a137
	s_waitcnt lgkmcnt(1)
	v_mul_f64 v[60:61], v[100:101], v[6:7]
	v_fma_f64 v[172:173], v[180:181], v[64:65], -v[56:57]
	scratch_load_dwordx4 v[56:59], off, off offset:784
	v_fmac_f64_e32 v[60:61], v[102:103], v[4:5]
	v_add_f64 v[0:1], v[0:1], v[60:61]
	v_mul_f64 v[60:61], v[186:187], v[70:71]
	v_fma_f64 v[174:175], v[184:185], v[68:69], -v[60:61]
	scratch_load_dwordx4 v[60:63], off, off offset:800
	v_mul_f64 v[64:65], v[190:191], v[74:75]
	v_fma_f64 v[180:181], v[188:189], v[72:73], -v[64:65]
	scratch_load_dwordx4 v[64:67], off, off offset:816
	ds_read_b128 v[108:111], v2 offset:1632
	s_waitcnt vmcnt(12)
	v_accvgpr_read_b32 v4, a140
	v_accvgpr_read_b32 v6, a142
	;; [unrolled: 1-line block ×4, first 2 shown]
	s_waitcnt lgkmcnt(1)
	v_mul_f64 v[72:73], v[104:105], v[6:7]
	v_fmac_f64_e32 v[72:73], v[106:107], v[4:5]
	s_waitcnt vmcnt(11)
	v_accvgpr_read_b32 v4, a144
	v_mul_f64 v[68:69], v[194:195], v[78:79]
	v_accvgpr_read_b32 v6, a146
	v_accvgpr_read_b32 v7, a147
	v_fma_f64 v[182:183], v[192:193], v[76:77], -v[68:69]
	scratch_load_dwordx4 v[68:71], off, off offset:832
	v_accvgpr_read_b32 v5, a145
	s_waitcnt lgkmcnt(0)
	v_mul_f64 v[76:77], v[108:109], v[6:7]
	v_add_f64 v[0:1], v[0:1], v[72:73]
	v_mul_f64 v[72:73], v[198:199], v[86:87]
	v_fmac_f64_e32 v[76:77], v[110:111], v[4:5]
	v_fma_f64 v[184:185], v[196:197], v[84:85], -v[72:73]
	scratch_load_dwordx4 v[72:75], off, off offset:848
	v_add_f64 v[0:1], v[0:1], v[76:77]
	v_mul_f64 v[76:77], v[202:203], v[90:91]
	v_fma_f64 v[186:187], v[200:201], v[88:89], -v[76:77]
	scratch_load_dwordx4 v[76:79], off, off offset:864
	ds_read_b128 v[116:119], v2 offset:1648
	ds_read_b128 v[112:115], v2 offset:1664
	s_waitcnt vmcnt(13)
	v_accvgpr_read_b32 v4, a148
	v_mul_f64 v[84:85], v[206:207], v[94:95]
	scratch_load_dwordx4 v[88:91], off, off offset:880
	v_accvgpr_read_b32 v6, a150
	v_accvgpr_read_b32 v7, a151
	v_fma_f64 v[8:9], v[204:205], v[92:93], -v[84:85]
	v_accvgpr_read_b32 v5, a149
	s_waitcnt lgkmcnt(1)
	v_mul_f64 v[92:93], v[116:117], v[6:7]
	scratch_load_dwordx4 v[84:87], off, off offset:896
	v_fmac_f64_e32 v[92:93], v[118:119], v[4:5]
	v_add_f64 v[0:1], v[0:1], v[92:93]
	v_mul_f64 v[92:93], v[214:215], v[126:127]
	v_fma_f64 v[6:7], v[212:213], v[124:125], -v[92:93]
	scratch_load_dwordx4 v[92:95], off, off offset:912
	v_mul_f64 v[170:171], v[250:251], v[170:171]
	v_mul_f64 v[154:155], v[238:239], v[154:155]
	;; [unrolled: 1-line block ×3, first 2 shown]
	v_fma_f64 v[238:239], v[248:249], v[168:169], -v[170:171]
	scratch_load_dwordx4 v[246:249], off, off offset:928
	v_mul_f64 v[26:27], v[210:211], v[122:123]
	v_fma_f64 v[26:27], v[208:209], v[120:121], -v[26:27]
	v_mul_f64 v[82:83], v[218:219], v[130:131]
	ds_read_b128 v[120:123], v2 offset:1680
	v_fma_f64 v[82:83], v[216:217], v[128:129], -v[82:83]
	s_waitcnt vmcnt(16)
	v_accvgpr_read_b32 v126, a152
	v_accvgpr_read_b32 v128, a154
	;; [unrolled: 1-line block ×4, first 2 shown]
	s_waitcnt lgkmcnt(1)
	v_mul_f64 v[124:125], v[112:113], v[128:129]
	s_waitcnt vmcnt(15)
	v_accvgpr_read_b32 v148, a156
	v_fmac_f64_e32 v[124:125], v[114:115], v[126:127]
	v_accvgpr_read_b32 v150, a158
	v_accvgpr_read_b32 v151, a159
	v_add_f64 v[0:1], v[0:1], v[124:125]
	ds_read_b128 v[124:127], v2 offset:1696
	v_accvgpr_read_b32 v149, a157
	s_waitcnt lgkmcnt(1)
	v_mul_f64 v[128:129], v[120:121], v[150:151]
	v_fmac_f64_e32 v[128:129], v[122:123], v[148:149]
	v_add_f64 v[0:1], v[0:1], v[128:129]
	v_mul_f64 v[128:129], v[222:223], v[134:135]
	v_fma_f64 v[4:5], v[220:221], v[132:133], -v[128:129]
	ds_read_b128 v[128:131], v2 offset:1712
	ds_read_b128 v[132:135], v2 offset:1728
	s_waitcnt vmcnt(14) lgkmcnt(2)
	v_mul_f64 v[28:29], v[124:125], v[38:39]
	v_fmac_f64_e32 v[28:29], v[126:127], v[36:37]
	v_add_f64 v[0:1], v[0:1], v[28:29]
	v_mul_f64 v[28:29], v[226:227], v[138:139]
	v_fma_f64 v[28:29], v[224:225], v[136:137], -v[28:29]
	s_waitcnt vmcnt(13) lgkmcnt(1)
	v_mul_f64 v[136:137], v[128:129], v[42:43]
	v_fmac_f64_e32 v[136:137], v[130:131], v[40:41]
	v_add_f64 v[0:1], v[0:1], v[136:137]
	ds_read_b128 v[136:139], v2 offset:1744
	v_mul_f64 v[142:143], v[230:231], v[142:143]
	v_fma_f64 v[228:229], v[228:229], v[140:141], -v[142:143]
	ds_read_b128 v[140:143], v2 offset:1760
	s_waitcnt vmcnt(12) lgkmcnt(2)
	v_mul_f64 v[148:149], v[132:133], v[46:47]
	v_fmac_f64_e32 v[148:149], v[134:135], v[44:45]
	v_add_f64 v[80:81], v[80:81], 0
	v_add_f64 v[0:1], v[0:1], v[148:149]
	s_waitcnt vmcnt(11) lgkmcnt(1)
	v_mul_f64 v[148:149], v[136:137], v[50:51]
	v_add_f64 v[30:31], v[80:81], v[30:31]
	v_fmac_f64_e32 v[148:149], v[138:139], v[48:49]
	v_mul_f64 v[146:147], v[234:235], v[146:147]
	v_add_f64 v[24:25], v[30:31], v[24:25]
	v_add_f64 v[0:1], v[0:1], v[148:149]
	v_fma_f64 v[230:231], v[232:233], v[144:145], -v[146:147]
	ds_read_b128 v[144:147], v2 offset:1776
	s_waitcnt vmcnt(10) lgkmcnt(1)
	v_mul_f64 v[148:149], v[140:141], v[54:55]
	v_add_f64 v[20:21], v[24:25], v[20:21]
	v_fmac_f64_e32 v[148:149], v[142:143], v[52:53]
	v_add_f64 v[16:17], v[20:21], v[16:17]
	v_add_f64 v[0:1], v[0:1], v[148:149]
	ds_read_b128 v[148:151], v2 offset:1792
	v_add_f64 v[14:15], v[16:17], v[14:15]
	v_add_f64 v[12:13], v[14:15], v[12:13]
	v_fma_f64 v[232:233], v[236:237], v[152:153], -v[154:155]
	ds_read_b128 v[152:155], v2 offset:1808
	v_add_f64 v[10:11], v[12:13], v[10:11]
	s_waitcnt vmcnt(9) lgkmcnt(2)
	v_mul_f64 v[160:161], v[144:145], v[58:59]
	v_add_f64 v[10:11], v[10:11], v[18:19]
	v_fmac_f64_e32 v[160:161], v[146:147], v[56:57]
	v_add_f64 v[10:11], v[10:11], v[22:23]
	v_add_f64 v[0:1], v[0:1], v[160:161]
	s_waitcnt vmcnt(8) lgkmcnt(1)
	v_mul_f64 v[160:161], v[148:149], v[62:63]
	v_add_f64 v[10:11], v[10:11], v[172:173]
	v_fmac_f64_e32 v[160:161], v[150:151], v[60:61]
	v_mul_f64 v[158:159], v[242:243], v[158:159]
	v_add_f64 v[10:11], v[10:11], v[174:175]
	v_fma_f64 v[234:235], v[240:241], v[156:157], -v[158:159]
	ds_read_b128 v[156:159], v2 offset:1824
	v_add_f64 v[0:1], v[0:1], v[160:161]
	s_waitcnt vmcnt(7) lgkmcnt(1)
	v_mul_f64 v[160:161], v[152:153], v[66:67]
	v_add_f64 v[10:11], v[10:11], v[180:181]
	v_fmac_f64_e32 v[160:161], v[154:155], v[64:65]
	v_add_f64 v[10:11], v[10:11], v[182:183]
	v_add_f64 v[0:1], v[0:1], v[160:161]
	ds_read_b128 v[160:163], v2 offset:1840
	v_add_f64 v[10:11], v[10:11], v[184:185]
	v_add_f64 v[10:11], v[10:11], v[186:187]
	v_fma_f64 v[236:237], v[244:245], v[164:165], -v[166:167]
	ds_read_b128 v[164:167], v2 offset:1856
	v_add_f64 v[8:9], v[10:11], v[8:9]
	s_waitcnt vmcnt(6) lgkmcnt(2)
	v_mul_f64 v[188:189], v[156:157], v[70:71]
	v_add_f64 v[8:9], v[8:9], v[26:27]
	v_fmac_f64_e32 v[188:189], v[158:159], v[68:69]
	ds_read_b128 v[168:171], v2 offset:1872
	ds_read_b128 v[242:245], v2 offset:1888
	v_add_f64 v[6:7], v[8:9], v[6:7]
	v_add_f64 v[0:1], v[0:1], v[188:189]
	s_waitcnt vmcnt(5) lgkmcnt(3)
	v_mul_f64 v[188:189], v[160:161], v[74:75]
	v_add_f64 v[6:7], v[6:7], v[82:83]
	v_fmac_f64_e32 v[188:189], v[162:163], v[72:73]
	v_add_f64 v[4:5], v[6:7], v[4:5]
	v_add_f64 v[0:1], v[0:1], v[188:189]
	s_waitcnt vmcnt(4) lgkmcnt(2)
	v_mul_f64 v[188:189], v[164:165], v[78:79]
	v_mul_f64 v[178:179], v[254:255], v[178:179]
	v_add_f64 v[4:5], v[4:5], v[28:29]
	v_fmac_f64_e32 v[188:189], v[166:167], v[76:77]
	v_fma_f64 v[240:241], v[252:253], v[176:177], -v[178:179]
	ds_read_b128 v[176:179], v2 offset:1904
	ds_read_b128 v[250:253], v2 offset:1920
	v_add_f64 v[4:5], v[4:5], v[228:229]
	v_add_f64 v[0:1], v[0:1], v[188:189]
	;; [unrolled: 1-line block ×3, first 2 shown]
	scratch_load_dwordx4 v[228:231], off, off offset:96
	s_waitcnt vmcnt(4) lgkmcnt(3)
	v_mul_f64 v[188:189], v[168:169], v[90:91]
	v_fmac_f64_e32 v[188:189], v[170:171], v[88:89]
	v_add_f64 v[0:1], v[0:1], v[188:189]
	s_waitcnt vmcnt(3) lgkmcnt(2)
	v_mul_f64 v[188:189], v[242:243], v[86:87]
	v_fmac_f64_e32 v[188:189], v[244:245], v[84:85]
	v_add_f64 v[0:1], v[0:1], v[188:189]
	;; [unrolled: 4-line block ×4, first 2 shown]
	scratch_load_dwordx4 v[188:191], off, off offset:944
	ds_read_b128 v[192:195], v2 offset:1936
	ds_read_b128 v[200:203], v2 offset:1952
	;; [unrolled: 1-line block ×5, first 2 shown]
	v_accvgpr_read_b32 v8, a128
	v_accvgpr_read_b32 v10, a130
	;; [unrolled: 1-line block ×4, first 2 shown]
	v_mul_f64 v[6:7], v[34:35], v[10:11]
	v_fma_f64 v[6:7], v[32:33], v[8:9], -v[6:7]
	v_accvgpr_read_b32 v8, a132
	v_accvgpr_read_b32 v10, a134
	;; [unrolled: 1-line block ×4, first 2 shown]
	s_waitcnt vmcnt(0) lgkmcnt(4)
	v_mul_f64 v[196:197], v[192:193], v[190:191]
	v_fmac_f64_e32 v[196:197], v[194:195], v[188:189]
	v_add_f64 v[0:1], v[0:1], v[196:197]
	scratch_load_dwordx4 v[196:199], off, off offset:960
	s_waitcnt vmcnt(0) lgkmcnt(3)
	v_mul_f64 v[204:205], v[200:201], v[198:199]
	v_fmac_f64_e32 v[204:205], v[202:203], v[196:197]
	v_add_f64 v[0:1], v[0:1], v[204:205]
	scratch_load_dwordx4 v[204:207], off, off offset:976
	;; [unrolled: 5-line block ×4, first 2 shown]
	s_waitcnt vmcnt(0) lgkmcnt(0)
	v_mul_f64 v[254:255], v[224:225], v[222:223]
	v_fmac_f64_e32 v[254:255], v[226:227], v[220:221]
	v_add_f64 v[0:1], v[0:1], v[254:255]
	v_add_f64 v[254:255], v[4:5], v[232:233]
	v_add_f64 v[4:5], v[254:255], v[234:235]
	v_add_f64 v[4:5], v[4:5], v[236:237]
	v_add_f64 v[4:5], v[4:5], v[238:239]
	v_add_f64 v[4:5], v[4:5], v[240:241]
	v_add_f64 v[4:5], v[4:5], v[6:7]
	v_mul_f64 v[6:7], v[98:99], v[10:11]
	v_fma_f64 v[6:7], v[96:97], v[8:9], -v[6:7]
	v_accvgpr_read_b32 v8, a136
	v_accvgpr_read_b32 v10, a138
	v_accvgpr_read_b32 v11, a139
	v_add_f64 v[4:5], v[4:5], v[6:7]
	v_accvgpr_read_b32 v9, a137
	v_mul_f64 v[6:7], v[102:103], v[10:11]
	v_fma_f64 v[6:7], v[100:101], v[8:9], -v[6:7]
	v_accvgpr_read_b32 v8, a140
	v_accvgpr_read_b32 v10, a142
	v_accvgpr_read_b32 v11, a143
	v_add_f64 v[4:5], v[4:5], v[6:7]
	v_accvgpr_read_b32 v9, a141
	;; [unrolled: 7-line block ×6, first 2 shown]
	v_mul_f64 v[6:7], v[122:123], v[10:11]
	v_fma_f64 v[6:7], v[120:121], v[8:9], -v[6:7]
	v_add_f64 v[4:5], v[4:5], v[6:7]
	v_mul_f64 v[6:7], v[126:127], v[38:39]
	v_fma_f64 v[6:7], v[124:125], v[36:37], -v[6:7]
	v_add_f64 v[4:5], v[4:5], v[6:7]
	;; [unrolled: 3-line block ×21, first 2 shown]
	v_add_f64 v[6:7], v[230:231], -v[0:1]
	v_accvgpr_read_b32 v0, a126
	v_add_f64 v[4:5], v[228:229], -v[4:5]
	v_cmp_lt_u32_e32 vcc, 4, v0
	scratch_store_dwordx4 off, v[4:7], off offset:96
	s_and_saveexec_b64 s[0:1], vcc
	s_cbranch_execz .LBB62_395
; %bb.394:
	scratch_load_dwordx4 v[6:9], off, s59
	v_mov_b32_e32 v3, v2
	v_mov_b32_e32 v4, v2
	v_mov_b32_e32 v5, v2
	v_accvgpr_read_b32 v0, a127
	scratch_store_dwordx4 off, v[2:5], off offset:80
	s_waitcnt vmcnt(1)
	ds_write_b128 v0, v[6:9]
.LBB62_395:
	s_or_b64 exec, exec, s[0:1]
	s_waitcnt lgkmcnt(0)
	; wave barrier
	scratch_load_dwordx4 v[8:11], off, off offset:96
	scratch_load_dwordx4 v[12:15], off, off offset:112
	;; [unrolled: 1-line block ×17, first 2 shown]
	ds_read_b128 v[180:183], v2 offset:1088
	ds_read_b128 v[108:111], v2 offset:1104
	scratch_load_dwordx4 v[92:95], off, off offset:368
	ds_read_b128 v[184:187], v2 offset:1120
	ds_read_b128 v[172:175], v2 offset:1136
	;; [unrolled: 1-line block ×5, first 2 shown]
	scratch_load_dwordx4 v[100:103], off, off offset:384
	ds_read_b128 v[160:163], v2 offset:1200
	ds_read_b128 v[128:131], v2 offset:1216
	scratch_load_dwordx4 v[116:119], off, off offset:400
	ds_read_b128 v[196:199], v2 offset:1232
	ds_read_b128 v[176:179], v2 offset:1248
	;; [unrolled: 1-line block ×5, first 2 shown]
	scratch_load_dwordx4 v[124:127], off, off offset:416
	ds_read_b128 v[168:171], v2 offset:1312
	ds_read_b128 v[156:159], v2 offset:1328
	;; [unrolled: 1-line block ×3, first 2 shown]
	scratch_load_dwordx4 v[136:139], off, off offset:432
	scratch_load_dwordx4 v[140:143], off, off offset:448
	;; [unrolled: 1-line block ×14, first 2 shown]
	ds_read_b128 v[208:211], v2 offset:1360
	ds_read_b128 v[232:235], v2 offset:1456
	;; [unrolled: 1-line block ×3, first 2 shown]
	scratch_load_dwordx4 a[156:159], off, off offset:672
	scratch_load_dwordx4 a[160:163], off, off offset:688
	ds_read_b128 v[240:243], v2 offset:1504
	ds_read_b128 v[228:231], v2 offset:1440
	;; [unrolled: 1-line block ×3, first 2 shown]
	s_waitcnt vmcnt(36) lgkmcnt(14)
	v_mul_f64 v[0:1], v[180:181], v[10:11]
	s_waitcnt vmcnt(35)
	v_mul_f64 v[56:57], v[108:109], v[14:15]
	v_fmac_f64_e32 v[0:1], v[182:183], v[8:9]
	s_waitcnt vmcnt(34)
	v_mul_f64 v[58:59], v[184:185], v[18:19]
	v_fmac_f64_e32 v[56:57], v[110:111], v[12:13]
	v_add_f64 v[0:1], v[0:1], 0
	s_waitcnt vmcnt(33)
	v_mul_f64 v[60:61], v[172:173], v[22:23]
	v_fmac_f64_e32 v[58:59], v[186:187], v[16:17]
	v_add_f64 v[0:1], v[0:1], v[56:57]
	;; [unrolled: 4-line block ×7, first 2 shown]
	s_waitcnt vmcnt(27) lgkmcnt(13)
	v_mul_f64 v[212:213], v[196:197], v[46:47]
	v_fmac_f64_e32 v[74:75], v[130:131], v[40:41]
	v_add_f64 v[0:1], v[0:1], v[72:73]
	s_waitcnt vmcnt(26) lgkmcnt(12)
	v_mul_f64 v[214:215], v[176:177], v[50:51]
	v_fmac_f64_e32 v[212:213], v[198:199], v[44:45]
	v_add_f64 v[0:1], v[0:1], v[74:75]
	;; [unrolled: 4-line block ×6, first 2 shown]
	ds_read_b128 v[212:215], v2 offset:1376
	s_waitcnt vmcnt(21) lgkmcnt(8)
	v_mul_f64 v[224:225], v[156:157], v[86:87]
	v_fmac_f64_e32 v[222:223], v[170:171], v[80:81]
	v_add_f64 v[0:1], v[0:1], v[220:221]
	ds_read_b128 v[216:219], v2 offset:1392
	v_fmac_f64_e32 v[224:225], v[158:159], v[84:85]
	v_add_f64 v[0:1], v[0:1], v[222:223]
	s_waitcnt vmcnt(20) lgkmcnt(8)
	v_mul_f64 v[56:57], v[132:133], v[90:91]
	v_add_f64 v[0:1], v[0:1], v[224:225]
	v_fmac_f64_e32 v[56:57], v[134:135], v[88:89]
	ds_read_b128 v[220:223], v2 offset:1408
	v_add_f64 v[0:1], v[0:1], v[56:57]
	s_waitcnt vmcnt(19) lgkmcnt(8)
	v_mul_f64 v[56:57], v[208:209], v[94:95]
	v_fmac_f64_e32 v[56:57], v[210:211], v[92:93]
	s_waitcnt vmcnt(18) lgkmcnt(2)
	v_mul_f64 v[60:61], v[212:213], v[102:103]
	ds_read_b128 v[224:227], v2 offset:1424
	v_add_f64 v[0:1], v[0:1], v[56:57]
	v_fmac_f64_e32 v[60:61], v[214:215], v[100:101]
	s_waitcnt vmcnt(17) lgkmcnt(2)
	v_mul_f64 v[68:69], v[216:217], v[118:119]
	v_add_f64 v[0:1], v[0:1], v[60:61]
	v_fmac_f64_e32 v[68:69], v[218:219], v[116:117]
	v_add_f64 v[0:1], v[0:1], v[68:69]
	s_waitcnt vmcnt(16) lgkmcnt(1)
	v_mul_f64 v[68:69], v[220:221], v[126:127]
	v_fmac_f64_e32 v[68:69], v[222:223], v[124:125]
	v_add_f64 v[0:1], v[0:1], v[68:69]
	s_waitcnt vmcnt(15) lgkmcnt(0)
	v_mul_f64 v[68:69], v[224:225], v[138:139]
	v_mul_f64 v[10:11], v[182:183], v[10:11]
	v_fmac_f64_e32 v[68:69], v[226:227], v[136:137]
	s_waitcnt vmcnt(14)
	v_mul_f64 v[72:73], v[228:229], v[142:143]
	v_fma_f64 v[248:249], v[180:181], v[8:9], -v[10:11]
	ds_read_b128 v[180:183], v2 offset:1488
	v_add_f64 v[0:1], v[0:1], v[68:69]
	v_fmac_f64_e32 v[72:73], v[230:231], v[140:141]
	s_waitcnt vmcnt(13)
	v_mul_f64 v[8:9], v[232:233], v[146:147]
	v_add_f64 v[0:1], v[0:1], v[72:73]
	v_fmac_f64_e32 v[8:9], v[234:235], v[144:145]
	v_add_f64 v[0:1], v[0:1], v[8:9]
	s_waitcnt vmcnt(12)
	v_mul_f64 v[8:9], v[236:237], v[154:155]
	v_fmac_f64_e32 v[8:9], v[238:239], v[152:153]
	v_add_f64 v[0:1], v[0:1], v[8:9]
	s_waitcnt vmcnt(11) lgkmcnt(0)
	v_mul_f64 v[8:9], v[180:181], v[190:191]
	v_fmac_f64_e32 v[8:9], v[182:183], v[188:189]
	v_add_f64 v[0:1], v[0:1], v[8:9]
	v_mul_f64 v[8:9], v[110:111], v[14:15]
	v_fma_f64 v[250:251], v[108:109], v[12:13], -v[8:9]
	v_mul_f64 v[12:13], v[186:187], v[18:19]
	v_fma_f64 v[252:253], v[184:185], v[16:17], -v[12:13]
	;; [unrolled: 2-line block ×3, first 2 shown]
	scratch_load_dwordx4 v[172:175], off, off offset:656
	ds_read_b128 v[184:187], v2 offset:1520
	v_mul_f64 v[6:7], v[98:99], v[6:7]
	scratch_load_dwordx4 v[72:75], off, off offset:704
	scratch_load_dwordx4 v[68:71], off, off offset:720
	s_waitcnt vmcnt(13)
	v_mul_f64 v[16:17], v[240:241], v[194:195]
	v_mul_f64 v[20:21], v[114:115], v[32:33]
	v_fma_f64 v[32:33], v[96:97], v[4:5], -v[6:7]
	ds_read_b128 v[96:99], v2 offset:1552
	v_fmac_f64_e32 v[16:17], v[242:243], v[192:193]
	v_add_f64 v[0:1], v[0:1], v[16:17]
	s_waitcnt vmcnt(12) lgkmcnt(1)
	v_mul_f64 v[16:17], v[184:185], v[202:203]
	v_fmac_f64_e32 v[16:17], v[186:187], v[200:201]
	s_waitcnt vmcnt(11)
	v_mul_f64 v[10:11], v[244:245], v[206:207]
	s_waitcnt vmcnt(10)
	v_accvgpr_read_b32 v4, a128
	v_accvgpr_write_b32 a135, v37
	v_add_f64 v[0:1], v[0:1], v[16:17]
	v_mul_f64 v[24:25], v[106:107], v[28:29]
	v_fmac_f64_e32 v[10:11], v[246:247], v[204:205]
	v_accvgpr_read_b32 v6, a130
	v_accvgpr_read_b32 v7, a131
	v_accvgpr_write_b32 a134, v36
	v_accvgpr_write_b32 a133, v35
	;; [unrolled: 1-line block ×3, first 2 shown]
	v_fma_f64 v[36:37], v[112:113], v[30:31], -v[20:21]
	v_fma_f64 v[30:31], v[104:105], v[26:27], -v[24:25]
	v_add_f64 v[0:1], v[0:1], v[10:11]
	v_accvgpr_read_b32 v5, a129
	ds_read_b128 v[104:107], v2 offset:1568
	s_waitcnt lgkmcnt(1)
	v_mul_f64 v[10:11], v[96:97], v[6:7]
	v_fmac_f64_e32 v[10:11], v[98:99], v[4:5]
	v_accvgpr_read_b32 v4, a132
	scratch_load_dwordx4 v[56:59], off, off offset:736
	scratch_load_dwordx4 v[60:63], off, off offset:752
	v_accvgpr_read_b32 v6, a134
	v_accvgpr_read_b32 v7, a135
	;; [unrolled: 1-line block ×3, first 2 shown]
	v_mul_f64 v[28:29], v[162:163], v[6:7]
	v_fma_f64 v[26:27], v[160:161], v[4:5], -v[28:29]
	s_waitcnt vmcnt(11)
	v_accvgpr_read_b32 v4, a136
	v_add_f64 v[0:1], v[0:1], v[10:11]
	v_mul_f64 v[10:11], v[130:131], v[42:43]
	ds_read_b128 v[108:111], v2 offset:1584
	ds_read_b128 v[112:115], v2 offset:1600
	v_accvgpr_read_b32 v6, a138
	v_accvgpr_read_b32 v7, a139
	v_fma_f64 v[20:21], v[128:129], v[40:41], -v[10:11]
	v_accvgpr_read_b32 v5, a137
	s_waitcnt lgkmcnt(2)
	v_mul_f64 v[40:41], v[104:105], v[6:7]
	v_fmac_f64_e32 v[40:41], v[106:107], v[4:5]
	v_add_f64 v[0:1], v[0:1], v[40:41]
	v_mul_f64 v[40:41], v[178:179], v[50:51]
	s_waitcnt vmcnt(10)
	v_accvgpr_read_b32 v4, a140
	v_mul_f64 v[14:15], v[198:199], v[46:47]
	v_fma_f64 v[176:177], v[176:177], v[48:49], -v[40:41]
	scratch_load_dwordx4 v[40:43], off, off offset:768
	v_accvgpr_read_b32 v6, a142
	v_accvgpr_read_b32 v7, a143
	v_fma_f64 v[16:17], v[196:197], v[44:45], -v[14:15]
	v_accvgpr_read_b32 v5, a141
	s_waitcnt lgkmcnt(1)
	v_mul_f64 v[44:45], v[108:109], v[6:7]
	v_fmac_f64_e32 v[44:45], v[110:111], v[4:5]
	v_add_f64 v[0:1], v[0:1], v[44:45]
	v_mul_f64 v[44:45], v[166:167], v[54:55]
	v_fma_f64 v[178:179], v[164:165], v[52:53], -v[44:45]
	scratch_load_dwordx4 v[44:47], off, off offset:784
	v_mul_f64 v[48:49], v[150:151], v[66:67]
	v_fma_f64 v[14:15], v[148:149], v[64:65], -v[48:49]
	scratch_load_dwordx4 v[48:51], off, off offset:800
	scratch_load_dwordx4 v[52:55], off, off offset:816
	s_waitcnt vmcnt(13)
	v_accvgpr_read_b32 v4, a144
	v_accvgpr_read_b32 v6, a146
	;; [unrolled: 1-line block ×4, first 2 shown]
	s_waitcnt lgkmcnt(0)
	v_mul_f64 v[64:65], v[112:113], v[6:7]
	v_mul_f64 v[18:19], v[122:123], v[78:79]
	v_fmac_f64_e32 v[64:65], v[114:115], v[4:5]
	v_fma_f64 v[18:19], v[120:121], v[76:77], -v[18:19]
	ds_read_b128 v[120:123], v2 offset:1616
	v_add_f64 v[0:1], v[0:1], v[64:65]
	v_mul_f64 v[64:65], v[170:171], v[82:83]
	v_fma_f64 v[12:13], v[168:169], v[80:81], -v[64:65]
	scratch_load_dwordx4 v[64:67], off, off offset:832
	scratch_load_dwordx4 v[76:79], off, off offset:848
	s_waitcnt vmcnt(14)
	v_accvgpr_read_b32 v4, a148
	v_accvgpr_read_b32 v6, a150
	;; [unrolled: 1-line block ×3, first 2 shown]
	v_mul_f64 v[80:81], v[134:135], v[90:91]
	v_accvgpr_read_b32 v5, a149
	s_waitcnt lgkmcnt(0)
	v_mul_f64 v[22:23], v[120:121], v[6:7]
	v_fma_f64 v[10:11], v[132:133], v[88:89], -v[80:81]
	ds_read_b128 v[132:135], v2 offset:1632
	ds_read_b128 v[128:131], v2 offset:1648
	v_fmac_f64_e32 v[22:23], v[122:123], v[4:5]
	v_add_f64 v[0:1], v[0:1], v[22:23]
	v_mul_f64 v[22:23], v[158:159], v[86:87]
	s_waitcnt vmcnt(13)
	v_accvgpr_read_b32 v4, a152
	v_fma_f64 v[22:23], v[156:157], v[84:85], -v[22:23]
	scratch_load_dwordx4 v[84:87], off, off offset:864
	scratch_load_dwordx4 v[80:83], off, off offset:880
	v_accvgpr_read_b32 v6, a154
	v_accvgpr_read_b32 v7, a155
	;; [unrolled: 1-line block ×3, first 2 shown]
	s_waitcnt lgkmcnt(1)
	v_mul_f64 v[88:89], v[132:133], v[6:7]
	v_fmac_f64_e32 v[88:89], v[134:135], v[4:5]
	v_add_f64 v[0:1], v[0:1], v[88:89]
	v_mul_f64 v[88:89], v[214:215], v[102:103]
	v_fma_f64 v[8:9], v[212:213], v[100:101], -v[88:89]
	scratch_load_dwordx4 v[88:91], off, off offset:896
	v_mul_f64 v[24:25], v[210:211], v[94:95]
	v_fma_f64 v[24:25], v[208:209], v[92:93], -v[24:25]
	ds_read_b128 v[92:95], v2 offset:1664
	s_waitcnt vmcnt(13)
	v_mov_b64_e32 v[4:5], v[172:173]
	v_mov_b64_e32 v[6:7], v[174:175]
	s_waitcnt lgkmcnt(1)
	v_mul_f64 v[100:101], v[128:129], v[6:7]
	v_fmac_f64_e32 v[100:101], v[130:131], v[4:5]
	v_accvgpr_read_b32 v4, a156
	v_mul_f64 v[28:29], v[218:219], v[118:119]
	v_accvgpr_read_b32 v6, a158
	v_accvgpr_read_b32 v7, a159
	v_fma_f64 v[28:29], v[216:217], v[116:117], -v[28:29]
	v_add_f64 v[0:1], v[0:1], v[100:101]
	ds_read_b128 v[100:103], v2 offset:1680
	v_accvgpr_read_b32 v5, a157
	s_waitcnt lgkmcnt(1)
	v_mul_f64 v[116:117], v[92:93], v[6:7]
	v_fmac_f64_e32 v[116:117], v[94:95], v[4:5]
	v_add_f64 v[0:1], v[0:1], v[116:117]
	v_mul_f64 v[116:117], v[222:223], v[126:127]
	v_fma_f64 v[6:7], v[220:221], v[124:125], -v[116:117]
	ds_read_b128 v[116:119], v2 offset:1696
	v_accvgpr_read_b32 v124, a160
	v_accvgpr_read_b32 v126, a162
	;; [unrolled: 1-line block ×4, first 2 shown]
	s_waitcnt lgkmcnt(1)
	v_mul_f64 v[34:35], v[100:101], v[126:127]
	v_fmac_f64_e32 v[34:35], v[102:103], v[124:125]
	v_add_f64 v[0:1], v[0:1], v[34:35]
	v_mul_f64 v[34:35], v[226:227], v[138:139]
	v_fma_f64 v[34:35], v[224:225], v[136:137], -v[34:35]
	ds_read_b128 v[124:127], v2 offset:1712
	s_waitcnt vmcnt(12) lgkmcnt(1)
	v_mul_f64 v[136:137], v[116:117], v[74:75]
	v_fmac_f64_e32 v[136:137], v[118:119], v[72:73]
	v_add_f64 v[0:1], v[0:1], v[136:137]
	ds_read_b128 v[136:139], v2 offset:1728
	s_waitcnt vmcnt(11) lgkmcnt(1)
	v_mul_f64 v[38:39], v[124:125], v[70:71]
	v_mul_f64 v[142:143], v[230:231], v[142:143]
	v_fmac_f64_e32 v[38:39], v[126:127], v[68:69]
	v_fma_f64 v[4:5], v[228:229], v[140:141], -v[142:143]
	ds_read_b128 v[140:143], v2 offset:1744
	v_add_f64 v[0:1], v[0:1], v[38:39]
	s_waitcnt vmcnt(10) lgkmcnt(1)
	v_mul_f64 v[38:39], v[136:137], v[58:59]
	v_fmac_f64_e32 v[38:39], v[138:139], v[56:57]
	v_add_f64 v[0:1], v[0:1], v[38:39]
	v_mul_f64 v[38:39], v[234:235], v[146:147]
	v_fma_f64 v[38:39], v[232:233], v[144:145], -v[38:39]
	ds_read_b128 v[144:147], v2 offset:1760
	s_waitcnt vmcnt(9) lgkmcnt(1)
	v_mul_f64 v[148:149], v[140:141], v[62:63]
	v_fmac_f64_e32 v[148:149], v[142:143], v[60:61]
	v_add_f64 v[0:1], v[0:1], v[148:149]
	ds_read_b128 v[148:151], v2 offset:1776
	s_waitcnt vmcnt(8) lgkmcnt(1)
	v_mul_f64 v[156:157], v[144:145], v[42:43]
	v_mul_f64 v[154:155], v[238:239], v[154:155]
	v_fmac_f64_e32 v[156:157], v[146:147], v[40:41]
	v_fma_f64 v[236:237], v[236:237], v[152:153], -v[154:155]
	ds_read_b128 v[152:155], v2 offset:1792
	v_add_f64 v[0:1], v[0:1], v[156:157]
	v_mul_f64 v[156:157], v[182:183], v[190:191]
	v_fma_f64 v[238:239], v[180:181], v[188:189], -v[156:157]
	ds_read_b128 v[156:159], v2 offset:1808
	s_waitcnt vmcnt(7) lgkmcnt(2)
	v_mul_f64 v[160:161], v[148:149], v[46:47]
	v_fmac_f64_e32 v[160:161], v[150:151], v[44:45]
	v_add_f64 v[0:1], v[0:1], v[160:161]
	s_waitcnt vmcnt(6) lgkmcnt(1)
	v_mul_f64 v[160:161], v[152:153], v[50:51]
	v_fmac_f64_e32 v[160:161], v[154:155], v[48:49]
	v_add_f64 v[0:1], v[0:1], v[160:161]
	s_waitcnt vmcnt(5) lgkmcnt(0)
	v_mul_f64 v[164:165], v[156:157], v[54:55]
	ds_read_b128 v[160:163], v2 offset:1824
	v_fmac_f64_e32 v[164:165], v[158:159], v[52:53]
	v_add_f64 v[0:1], v[0:1], v[164:165]
	v_mul_f64 v[164:165], v[242:243], v[194:195]
	v_accvgpr_mov_b32 a132, a136
	v_fma_f64 v[240:241], v[240:241], v[192:193], -v[164:165]
	ds_read_b128 v[164:167], v2 offset:1840
	v_accvgpr_mov_b32 a133, a137
	v_accvgpr_mov_b32 a134, a138
	;; [unrolled: 1-line block ×8, first 2 shown]
	s_waitcnt vmcnt(4) lgkmcnt(1)
	v_mul_f64 v[168:169], v[160:161], v[66:67]
	v_accvgpr_mov_b32 a141, a145
	v_accvgpr_mov_b32 a142, a146
	;; [unrolled: 1-line block ×4, first 2 shown]
	v_fmac_f64_e32 v[168:169], v[162:163], v[64:65]
	v_accvgpr_mov_b32 a145, a149
	v_accvgpr_mov_b32 a146, a150
	;; [unrolled: 1-line block ×4, first 2 shown]
	v_add_f64 v[180:181], v[0:1], v[168:169]
	ds_read_b128 v[168:171], v2 offset:1856
	v_accvgpr_mov_b32 a149, a153
	v_accvgpr_mov_b32 a150, a154
	;; [unrolled: 1-line block ×3, first 2 shown]
	v_accvgpr_write_b32 a152, v172
	s_waitcnt vmcnt(3) lgkmcnt(1)
	v_mul_f64 v[182:183], v[164:165], v[78:79]
	v_accvgpr_write_b32 a153, v173
	v_accvgpr_write_b32 a154, v174
	;; [unrolled: 1-line block ×3, first 2 shown]
	v_fmac_f64_e32 v[182:183], v[166:167], v[76:77]
	ds_read_b128 v[172:175], v2 offset:1872
	v_add_f64 v[180:181], v[180:181], v[182:183]
	v_mul_f64 v[182:183], v[246:247], v[206:207]
	v_fma_f64 v[242:243], v[244:245], v[204:205], -v[182:183]
	ds_read_b128 v[244:247], v2 offset:1888
	s_waitcnt vmcnt(2) lgkmcnt(2)
	v_mul_f64 v[182:183], v[168:169], v[86:87]
	v_fmac_f64_e32 v[182:183], v[170:171], v[84:85]
	v_add_f64 v[180:181], v[180:181], v[182:183]
	s_waitcnt vmcnt(1) lgkmcnt(1)
	v_mul_f64 v[182:183], v[172:173], v[82:83]
	v_mul_f64 v[0:1], v[186:187], v[202:203]
	v_fmac_f64_e32 v[182:183], v[174:175], v[80:81]
	v_fma_f64 v[0:1], v[184:185], v[200:201], -v[0:1]
	v_add_f64 v[180:181], v[180:181], v[182:183]
	ds_read_b128 v[184:187], v2 offset:1904
	scratch_load_dwordx4 v[232:235], off, off offset:1008
	s_waitcnt vmcnt(1) lgkmcnt(1)
	v_mul_f64 v[182:183], v[244:245], v[90:91]
	v_fmac_f64_e32 v[182:183], v[246:247], v[88:89]
	v_add_f64 v[188:189], v[180:181], v[182:183]
	scratch_load_dwordx4 v[180:183], off, off offset:912
	ds_read_b128 v[192:195], v2 offset:1920
	ds_read_b128 v[200:203], v2 offset:1936
	;; [unrolled: 1-line block ×5, first 2 shown]
	v_accvgpr_write_b32 a165, v1
	v_accvgpr_write_b32 a164, v0
	s_waitcnt vmcnt(0) lgkmcnt(5)
	v_mul_f64 v[190:191], v[184:185], v[182:183]
	v_fmac_f64_e32 v[190:191], v[186:187], v[180:181]
	v_add_f64 v[196:197], v[188:189], v[190:191]
	scratch_load_dwordx4 v[188:191], off, off offset:928
	s_waitcnt vmcnt(0) lgkmcnt(4)
	v_mul_f64 v[198:199], v[192:193], v[190:191]
	v_fmac_f64_e32 v[198:199], v[194:195], v[188:189]
	v_add_f64 v[204:205], v[196:197], v[198:199]
	scratch_load_dwordx4 v[196:199], off, off offset:944
	;; [unrolled: 5-line block ×5, first 2 shown]
	s_waitcnt vmcnt(0) lgkmcnt(0)
	v_mul_f64 v[230:231], v[224:225], v[222:223]
	v_fmac_f64_e32 v[230:231], v[226:227], v[220:221]
	v_add_f64 v[0:1], v[228:229], v[230:231]
	ds_read_b128 v[228:231], v2 offset:2000
	s_waitcnt lgkmcnt(0)
	v_mul_f64 v[2:3], v[228:229], v[234:235]
	v_fmac_f64_e32 v[2:3], v[230:231], v[232:233]
	v_add_f64 v[2:3], v[0:1], v[2:3]
	v_add_f64 v[0:1], v[248:249], 0
	v_add_f64 v[0:1], v[0:1], v[250:251]
	v_add_f64 v[0:1], v[0:1], v[252:253]
	v_add_f64 v[0:1], v[0:1], v[254:255]
	v_add_f64 v[0:1], v[0:1], v[36:37]
	v_add_f64 v[0:1], v[0:1], v[32:33]
	v_add_f64 v[0:1], v[0:1], v[30:31]
	v_add_f64 v[0:1], v[0:1], v[26:27]
	v_add_f64 v[0:1], v[0:1], v[20:21]
	v_add_f64 v[0:1], v[0:1], v[16:17]
	v_add_f64 v[0:1], v[0:1], v[176:177]
	v_add_f64 v[0:1], v[0:1], v[178:179]
	v_add_f64 v[0:1], v[0:1], v[14:15]
	v_add_f64 v[0:1], v[0:1], v[18:19]
	v_add_f64 v[0:1], v[0:1], v[12:13]
	v_add_f64 v[0:1], v[0:1], v[22:23]
	v_add_f64 v[0:1], v[0:1], v[10:11]
	v_add_f64 v[0:1], v[0:1], v[24:25]
	v_add_f64 v[0:1], v[0:1], v[8:9]
	v_add_f64 v[0:1], v[0:1], v[28:29]
	v_add_f64 v[0:1], v[0:1], v[6:7]
	v_add_f64 v[0:1], v[0:1], v[34:35]
	v_add_f64 v[0:1], v[0:1], v[4:5]
	v_add_f64 v[0:1], v[0:1], v[38:39]
	v_add_f64 v[0:1], v[0:1], v[236:237]
	v_add_f64 v[0:1], v[0:1], v[238:239]
	scratch_load_dwordx4 v[236:239], off, off offset:80
	v_accvgpr_read_b32 v6, a128
	v_add_f64 v[254:255], v[0:1], v[240:241]
	v_accvgpr_read_b32 v0, a164
	v_accvgpr_read_b32 v8, a130
	;; [unrolled: 1-line block ×5, first 2 shown]
	v_mul_f64 v[4:5], v[98:99], v[8:9]
	v_add_f64 v[0:1], v[254:255], v[0:1]
	v_fma_f64 v[4:5], v[96:97], v[6:7], -v[4:5]
	v_accvgpr_read_b32 v6, a132
	v_add_f64 v[0:1], v[0:1], v[242:243]
	v_accvgpr_read_b32 v8, a134
	v_accvgpr_read_b32 v9, a135
	v_add_f64 v[0:1], v[0:1], v[4:5]
	v_accvgpr_read_b32 v7, a133
	v_mul_f64 v[4:5], v[106:107], v[8:9]
	v_fma_f64 v[4:5], v[104:105], v[6:7], -v[4:5]
	v_accvgpr_read_b32 v6, a136
	v_accvgpr_read_b32 v8, a138
	v_accvgpr_read_b32 v9, a139
	v_add_f64 v[0:1], v[0:1], v[4:5]
	v_accvgpr_read_b32 v7, a137
	v_mul_f64 v[4:5], v[110:111], v[8:9]
	v_fma_f64 v[4:5], v[108:109], v[6:7], -v[4:5]
	v_accvgpr_read_b32 v6, a140
	v_accvgpr_read_b32 v8, a142
	v_accvgpr_read_b32 v9, a143
	v_add_f64 v[0:1], v[0:1], v[4:5]
	v_accvgpr_read_b32 v7, a141
	v_mul_f64 v[4:5], v[114:115], v[8:9]
	v_fma_f64 v[4:5], v[112:113], v[6:7], -v[4:5]
	v_accvgpr_read_b32 v6, a144
	v_accvgpr_read_b32 v8, a146
	v_accvgpr_read_b32 v9, a147
	v_add_f64 v[0:1], v[0:1], v[4:5]
	v_accvgpr_read_b32 v7, a145
	v_mul_f64 v[4:5], v[122:123], v[8:9]
	v_fma_f64 v[4:5], v[120:121], v[6:7], -v[4:5]
	v_accvgpr_read_b32 v6, a148
	v_accvgpr_read_b32 v8, a150
	v_accvgpr_read_b32 v9, a151
	v_add_f64 v[0:1], v[0:1], v[4:5]
	v_accvgpr_read_b32 v7, a149
	v_mul_f64 v[4:5], v[134:135], v[8:9]
	v_fma_f64 v[4:5], v[132:133], v[6:7], -v[4:5]
	v_accvgpr_read_b32 v6, a152
	v_accvgpr_read_b32 v8, a154
	v_accvgpr_read_b32 v9, a155
	v_add_f64 v[0:1], v[0:1], v[4:5]
	v_accvgpr_read_b32 v7, a153
	v_mul_f64 v[4:5], v[130:131], v[8:9]
	v_fma_f64 v[4:5], v[128:129], v[6:7], -v[4:5]
	v_accvgpr_read_b32 v6, a156
	v_accvgpr_read_b32 v8, a158
	v_accvgpr_read_b32 v9, a159
	v_add_f64 v[0:1], v[0:1], v[4:5]
	v_accvgpr_read_b32 v7, a157
	v_mul_f64 v[4:5], v[94:95], v[8:9]
	v_fma_f64 v[4:5], v[92:93], v[6:7], -v[4:5]
	v_accvgpr_read_b32 v6, a160
	v_accvgpr_read_b32 v8, a162
	v_accvgpr_read_b32 v9, a163
	v_add_f64 v[0:1], v[0:1], v[4:5]
	v_accvgpr_read_b32 v7, a161
	v_mul_f64 v[4:5], v[102:103], v[8:9]
	v_fma_f64 v[4:5], v[100:101], v[6:7], -v[4:5]
	v_add_f64 v[0:1], v[0:1], v[4:5]
	v_mul_f64 v[4:5], v[118:119], v[74:75]
	v_fma_f64 v[4:5], v[116:117], v[72:73], -v[4:5]
	v_add_f64 v[0:1], v[0:1], v[4:5]
	;; [unrolled: 3-line block ×21, first 2 shown]
	s_waitcnt vmcnt(0)
	v_add_f64 v[4:5], v[236:237], -v[0:1]
	v_accvgpr_read_b32 v0, a126
	v_add_f64 v[6:7], v[238:239], -v[2:3]
	v_cmp_lt_u32_e32 vcc, 3, v0
	scratch_store_dwordx4 off, v[4:7], off offset:80
	s_and_saveexec_b64 s[0:1], vcc
	s_cbranch_execz .LBB62_397
; %bb.396:
	scratch_load_dwordx4 v[2:5], off, s86
	v_mov_b32_e32 v6, 0
	v_mov_b32_e32 v7, v6
	;; [unrolled: 1-line block ×4, first 2 shown]
	v_accvgpr_read_b32 v0, a127
	scratch_store_dwordx4 off, v[6:9], off offset:64
	s_waitcnt vmcnt(1)
	ds_write_b128 v0, v[2:5]
.LBB62_397:
	s_or_b64 exec, exec, s[0:1]
	s_waitcnt lgkmcnt(0)
	; wave barrier
	scratch_load_dwordx4 v[16:19], off, off offset:80
	scratch_load_dwordx4 v[20:23], off, off offset:96
	scratch_load_dwordx4 v[24:27], off, off offset:112
	scratch_load_dwordx4 v[28:31], off, off offset:128
	scratch_load_dwordx4 v[32:35], off, off offset:144
	scratch_load_dwordx4 v[36:39], off, off offset:160
	scratch_load_dwordx4 v[40:43], off, off offset:176
	scratch_load_dwordx4 v[44:47], off, off offset:192
	scratch_load_dwordx4 v[48:51], off, off offset:208
	scratch_load_dwordx4 v[52:55], off, off offset:224
	scratch_load_dwordx4 v[56:59], off, off offset:240
	scratch_load_dwordx4 v[60:63], off, off offset:256
	scratch_load_dwordx4 v[64:67], off, off offset:272
	scratch_load_dwordx4 v[68:71], off, off offset:288
	scratch_load_dwordx4 v[72:75], off, off offset:304
	scratch_load_dwordx4 v[76:79], off, off offset:320
	scratch_load_dwordx4 v[80:83], off, off offset:336
	scratch_load_dwordx4 v[84:87], off, off offset:352
	scratch_load_dwordx4 v[92:95], off, off offset:368
	scratch_load_dwordx4 v[116:119], off, off offset:384
	scratch_load_dwordx4 v[120:123], off, off offset:400
	scratch_load_dwordx4 v[124:127], off, off offset:416
	scratch_load_dwordx4 v[128:131], off, off offset:432
	scratch_load_dwordx4 v[132:135], off, off offset:448
	scratch_load_dwordx4 v[136:139], off, off offset:464
	scratch_load_dwordx4 v[140:143], off, off offset:480
	scratch_load_dwordx4 v[148:151], off, off offset:496
	scratch_load_dwordx4 v[152:155], off, off offset:512
	scratch_load_dwordx4 v[160:163], off, off offset:528
	scratch_load_dwordx4 v[164:167], off, off offset:544
	v_mov_b32_e32 v2, 0
	ds_read_b128 v[88:91], v2 offset:1072
	ds_read_b128 v[96:99], v2 offset:1088
	;; [unrolled: 1-line block ×17, first 2 shown]
	scratch_load_dwordx4 a[132:135], off, off offset:624
	scratch_load_dwordx4 a[136:139], off, off offset:640
	;; [unrolled: 1-line block ×4, first 2 shown]
	ds_read_b128 v[224:227], v2 offset:1408
	ds_read_b128 v[228:231], v2 offset:1424
	;; [unrolled: 1-line block ×8, first 2 shown]
	scratch_load_dwordx4 a[128:131], off, off offset:608
	s_waitcnt vmcnt(34) lgkmcnt(14)
	v_mul_f64 v[0:1], v[88:89], v[18:19]
	s_waitcnt vmcnt(33)
	v_mul_f64 v[4:5], v[96:97], v[22:23]
	v_fmac_f64_e32 v[0:1], v[90:91], v[16:17]
	s_waitcnt vmcnt(32)
	v_mul_f64 v[6:7], v[100:101], v[26:27]
	v_fmac_f64_e32 v[4:5], v[98:99], v[20:21]
	v_add_f64 v[0:1], v[0:1], 0
	s_waitcnt vmcnt(31)
	v_mul_f64 v[8:9], v[104:105], v[30:31]
	v_fmac_f64_e32 v[6:7], v[102:103], v[24:25]
	v_add_f64 v[0:1], v[0:1], v[4:5]
	;; [unrolled: 4-line block ×9, first 2 shown]
	s_waitcnt vmcnt(23) lgkmcnt(13)
	v_mul_f64 v[212:213], v[180:181], v[62:63]
	v_fmac_f64_e32 v[210:211], v[178:179], v[56:57]
	v_add_f64 v[0:1], v[0:1], v[208:209]
	s_waitcnt vmcnt(22) lgkmcnt(12)
	v_mul_f64 v[214:215], v[184:185], v[66:67]
	v_fmac_f64_e32 v[212:213], v[182:183], v[60:61]
	v_add_f64 v[0:1], v[0:1], v[210:211]
	s_waitcnt vmcnt(21) lgkmcnt(11)
	v_mul_f64 v[216:217], v[188:189], v[70:71]
	v_fmac_f64_e32 v[214:215], v[186:187], v[64:65]
	v_add_f64 v[0:1], v[0:1], v[212:213]
	s_waitcnt vmcnt(20) lgkmcnt(10)
	v_mul_f64 v[218:219], v[192:193], v[74:75]
	v_fmac_f64_e32 v[216:217], v[190:191], v[68:69]
	v_add_f64 v[0:1], v[0:1], v[214:215]
	v_fmac_f64_e32 v[218:219], v[194:195], v[72:73]
	v_add_f64 v[0:1], v[0:1], v[216:217]
	v_add_f64 v[0:1], v[0:1], v[218:219]
	scratch_load_dwordx4 v[216:219], off, off offset:560
	scratch_load_dwordx4 v[8:11], off, off offset:576
	;; [unrolled: 1-line block ×3, first 2 shown]
	ds_read_b128 v[204:207], v2 offset:1344
	ds_read_b128 v[208:211], v2 offset:1360
	s_waitcnt vmcnt(22) lgkmcnt(11)
	v_mul_f64 v[220:221], v[196:197], v[78:79]
	v_fmac_f64_e32 v[220:221], v[198:199], v[76:77]
	s_waitcnt vmcnt(21) lgkmcnt(10)
	v_mul_f64 v[4:5], v[200:201], v[82:83]
	v_add_f64 v[0:1], v[0:1], v[220:221]
	v_fmac_f64_e32 v[4:5], v[202:203], v[80:81]
	ds_read_b128 v[212:215], v2 offset:1376
	ds_read_b128 v[220:223], v2 offset:1392
	v_add_f64 v[0:1], v[0:1], v[4:5]
	s_waitcnt vmcnt(20) lgkmcnt(3)
	v_mul_f64 v[4:5], v[204:205], v[86:87]
	v_fmac_f64_e32 v[4:5], v[206:207], v[84:85]
	v_add_f64 v[0:1], v[0:1], v[4:5]
	s_waitcnt vmcnt(19) lgkmcnt(2)
	v_mul_f64 v[4:5], v[208:209], v[94:95]
	v_fmac_f64_e32 v[4:5], v[210:211], v[92:93]
	;; [unrolled: 4-line block ×4, first 2 shown]
	v_add_f64 v[0:1], v[0:1], v[4:5]
	s_waitcnt vmcnt(16)
	v_mul_f64 v[4:5], v[224:225], v[126:127]
	v_fmac_f64_e32 v[4:5], v[226:227], v[124:125]
	v_add_f64 v[0:1], v[0:1], v[4:5]
	s_waitcnt vmcnt(15)
	v_mul_f64 v[4:5], v[228:229], v[130:131]
	v_fmac_f64_e32 v[4:5], v[230:231], v[128:129]
	v_add_f64 v[0:1], v[0:1], v[4:5]
	v_mul_f64 v[4:5], v[90:91], v[18:19]
	v_fma_f64 v[4:5], v[88:89], v[16:17], -v[4:5]
	v_accvgpr_write_b32 a163, v5
	v_accvgpr_write_b32 a162, v4
	s_waitcnt vmcnt(14)
	v_mul_f64 v[4:5], v[232:233], v[134:135]
	v_fmac_f64_e32 v[4:5], v[234:235], v[132:133]
	v_add_f64 v[0:1], v[0:1], v[4:5]
	s_waitcnt vmcnt(13)
	v_mul_f64 v[4:5], v[236:237], v[138:139]
	v_fmac_f64_e32 v[4:5], v[238:239], v[136:137]
	v_add_f64 v[0:1], v[0:1], v[4:5]
	;; [unrolled: 4-line block ×4, first 2 shown]
	s_waitcnt vmcnt(10)
	v_mul_f64 v[4:5], v[248:249], v[154:155]
	v_mul_f64 v[6:7], v[98:99], v[22:23]
	v_fmac_f64_e32 v[4:5], v[250:251], v[152:153]
	v_fma_f64 v[96:97], v[96:97], v[20:21], -v[6:7]
	v_mul_f64 v[6:7], v[102:103], v[26:27]
	v_add_f64 v[0:1], v[0:1], v[4:5]
	v_mul_f64 v[4:5], v[110:111], v[34:35]
	v_fma_f64 v[88:89], v[100:101], v[24:25], -v[6:7]
	v_fma_f64 v[24:25], v[108:109], v[32:33], -v[4:5]
	v_mul_f64 v[32:33], v[146:147], v[42:43]
	v_mul_f64 v[6:7], v[106:107], v[30:31]
	;; [unrolled: 1-line block ×3, first 2 shown]
	v_fma_f64 v[16:17], v[144:145], v[40:41], -v[32:33]
	scratch_load_dwordx4 v[144:147], off, off offset:688
	v_fma_f64 v[28:29], v[104:105], v[28:29], -v[6:7]
	v_fma_f64 v[18:19], v[112:113], v[36:37], -v[4:5]
	ds_read_b128 v[4:7], v2 offset:1536
	v_mul_f64 v[22:23], v[158:159], v[46:47]
	s_waitcnt vmcnt(10)
	v_mul_f64 v[20:21], v[252:253], v[162:163]
	v_fma_f64 v[90:91], v[156:157], v[44:45], -v[22:23]
	ds_read_b128 v[156:159], v2 offset:1552
	v_fmac_f64_e32 v[20:21], v[254:255], v[160:161]
	v_add_f64 v[0:1], v[0:1], v[20:21]
	s_waitcnt vmcnt(9) lgkmcnt(1)
	v_mul_f64 v[20:21], v[4:5], v[166:167]
	scratch_load_dwordx4 v[36:39], off, off offset:704
	v_fmac_f64_e32 v[20:21], v[6:7], v[164:165]
	ds_read_b128 v[30:33], v2 offset:1568
	v_add_f64 v[0:1], v[0:1], v[20:21]
	v_mul_f64 v[20:21], v[170:171], v[50:51]
	scratch_load_dwordx4 v[40:43], off, off offset:720
	scratch_load_dwordx4 v[44:47], off, off offset:736
	v_fma_f64 v[168:169], v[168:169], v[48:49], -v[20:21]
	v_mul_f64 v[20:21], v[174:175], v[54:55]
	s_waitcnt vmcnt(6) lgkmcnt(1)
	v_mul_f64 v[48:49], v[156:157], v[218:219]
	v_fma_f64 v[170:171], v[172:173], v[52:53], -v[20:21]
	v_fmac_f64_e32 v[48:49], v[158:159], v[216:217]
	ds_read_b128 v[20:23], v2 offset:1584
	v_add_f64 v[0:1], v[0:1], v[48:49]
	v_mul_f64 v[48:49], v[178:179], v[58:59]
	v_fma_f64 v[172:173], v[176:177], v[56:57], -v[48:49]
	scratch_load_dwordx4 v[48:51], off, off offset:752
	s_waitcnt vmcnt(6) lgkmcnt(1)
	v_mul_f64 v[52:53], v[30:31], v[10:11]
	v_accvgpr_write_b32 a151, v11
	v_fmac_f64_e32 v[52:53], v[32:33], v[8:9]
	v_accvgpr_write_b32 a150, v10
	v_accvgpr_write_b32 a149, v9
	;; [unrolled: 1-line block ×3, first 2 shown]
	ds_read_b128 v[100:103], v2 offset:1600
	s_waitcnt vmcnt(5)
	v_mov_b64_e32 v[8:9], v[12:13]
	v_mul_f64 v[56:57], v[186:187], v[66:67]
	v_mov_b64_e32 v[10:11], v[14:15]
	v_fma_f64 v[176:177], v[184:185], v[64:65], -v[56:57]
	s_waitcnt lgkmcnt(1)
	v_mul_f64 v[64:65], v[20:21], v[10:11]
	v_add_f64 v[0:1], v[0:1], v[52:53]
	v_mul_f64 v[52:53], v[182:183], v[62:63]
	v_fmac_f64_e32 v[64:65], v[22:23], v[8:9]
	v_accvgpr_read_b32 v8, a128
	v_fma_f64 v[174:175], v[180:181], v[60:61], -v[52:53]
	scratch_load_dwordx4 v[52:55], off, off offset:768
	v_mul_f64 v[60:61], v[190:191], v[70:71]
	v_accvgpr_read_b32 v10, a130
	v_accvgpr_read_b32 v11, a131
	v_fma_f64 v[178:179], v[188:189], v[68:69], -v[60:61]
	v_accvgpr_read_b32 v9, a129
	s_waitcnt lgkmcnt(0)
	v_mul_f64 v[68:69], v[100:101], v[10:11]
	scratch_load_dwordx4 v[56:59], off, off offset:784
	scratch_load_dwordx4 v[60:63], off, off offset:800
	v_add_f64 v[0:1], v[0:1], v[64:65]
	v_fmac_f64_e32 v[68:69], v[102:103], v[8:9]
	v_mul_f64 v[64:65], v[194:195], v[74:75]
	v_add_f64 v[0:1], v[0:1], v[68:69]
	v_mul_f64 v[68:69], v[198:199], v[78:79]
	v_fma_f64 v[180:181], v[192:193], v[72:73], -v[64:65]
	scratch_load_dwordx4 v[64:67], off, off offset:816
	v_fma_f64 v[182:183], v[196:197], v[76:77], -v[68:69]
	scratch_load_dwordx4 v[68:71], off, off offset:832
	ds_read_b128 v[108:111], v2 offset:1616
	ds_read_b128 v[104:107], v2 offset:1632
	v_accvgpr_read_b32 v8, a132
	v_accvgpr_read_b32 v10, a134
	;; [unrolled: 1-line block ×4, first 2 shown]
	s_waitcnt lgkmcnt(1)
	v_mul_f64 v[26:27], v[108:109], v[10:11]
	v_accvgpr_write_b32 a155, v15
	v_mul_f64 v[72:73], v[202:203], v[82:83]
	scratch_load_dwordx4 v[76:79], off, off offset:848
	v_fmac_f64_e32 v[26:27], v[110:111], v[8:9]
	v_accvgpr_read_b32 v8, a136
	ds_read_b128 v[112:115], v2 offset:1648
	v_accvgpr_write_b32 a154, v14
	v_accvgpr_write_b32 a153, v13
	v_accvgpr_write_b32 a152, v12
	v_fma_f64 v[14:15], v[200:201], v[80:81], -v[72:73]
	v_mul_f64 v[72:73], v[206:207], v[86:87]
	v_accvgpr_read_b32 v10, a138
	v_accvgpr_read_b32 v11, a139
	v_fma_f64 v[12:13], v[204:205], v[84:85], -v[72:73]
	v_add_f64 v[0:1], v[0:1], v[26:27]
	v_accvgpr_read_b32 v9, a137
	s_waitcnt lgkmcnt(1)
	v_mul_f64 v[26:27], v[104:105], v[10:11]
	v_mul_f64 v[84:85], v[222:223], v[122:123]
	v_fmac_f64_e32 v[26:27], v[106:107], v[8:9]
	v_fma_f64 v[98:99], v[220:221], v[120:121], -v[84:85]
	v_accvgpr_read_b32 v120, a140
	v_add_f64 v[0:1], v[0:1], v[26:27]
	v_mul_f64 v[26:27], v[210:211], v[94:95]
	v_mul_f64 v[80:81], v[214:215], v[118:119]
	v_accvgpr_read_b32 v122, a142
	v_accvgpr_read_b32 v123, a143
	scratch_load_dwordx4 v[72:75], off, off offset:864
	v_fma_f64 v[26:27], v[208:209], v[92:93], -v[26:27]
	v_fma_f64 v[10:11], v[212:213], v[116:117], -v[80:81]
	ds_read_b128 v[116:119], v2 offset:1664
	v_accvgpr_read_b32 v121, a141
	s_waitcnt lgkmcnt(1)
	v_mul_f64 v[92:93], v[112:113], v[122:123]
	v_fmac_f64_e32 v[92:93], v[114:115], v[120:121]
	scratch_load_dwordx4 v[80:83], off, off offset:880
	scratch_load_dwordx4 v[84:87], off, off offset:896
	v_add_f64 v[0:1], v[0:1], v[92:93]
	v_mul_f64 v[92:93], v[226:227], v[126:127]
	v_fma_f64 v[8:9], v[224:225], v[124:125], -v[92:93]
	v_accvgpr_read_b32 v92, a144
	v_accvgpr_read_b32 v94, a146
	;; [unrolled: 1-line block ×4, first 2 shown]
	s_waitcnt lgkmcnt(0)
	v_mul_f64 v[34:35], v[116:117], v[94:95]
	v_fmac_f64_e32 v[34:35], v[118:119], v[92:93]
	scratch_load_dwordx4 v[92:95], off, off offset:912
	v_mul_f64 v[138:139], v[238:239], v[138:139]
	v_mul_f64 v[162:163], v[254:255], v[162:163]
	v_add_f64 v[0:1], v[0:1], v[34:35]
	v_mul_f64 v[34:35], v[230:231], v[130:131]
	v_fma_f64 v[230:231], v[236:237], v[136:137], -v[138:139]
	v_mul_f64 v[154:155], v[250:251], v[154:155]
	v_fma_f64 v[236:237], v[252:253], v[160:161], -v[162:163]
	scratch_load_dwordx4 v[250:253], off, off offset:928
	ds_read_b128 v[120:123], v2 offset:1680
	ds_read_b128 v[124:127], v2 offset:1696
	v_fma_f64 v[34:35], v[228:229], v[128:129], -v[34:35]
	s_waitcnt vmcnt(15)
	v_accvgpr_write_b32 a159, v147
	v_accvgpr_write_b32 a158, v146
	s_waitcnt lgkmcnt(1)
	v_mul_f64 v[128:129], v[120:121], v[146:147]
	v_fmac_f64_e32 v[128:129], v[122:123], v[144:145]
	v_add_f64 v[0:1], v[0:1], v[128:129]
	v_mul_f64 v[128:129], v[234:235], v[134:135]
	v_fma_f64 v[228:229], v[232:233], v[132:133], -v[128:129]
	ds_read_b128 v[128:131], v2 offset:1712
	ds_read_b128 v[132:135], v2 offset:1728
	v_accvgpr_write_b32 a157, v145
	v_accvgpr_write_b32 a156, v144
	s_waitcnt vmcnt(14) lgkmcnt(2)
	v_mul_f64 v[144:145], v[124:125], v[38:39]
	v_fmac_f64_e32 v[144:145], v[126:127], v[36:37]
	ds_read_b128 v[136:139], v2 offset:1744
	v_add_f64 v[0:1], v[0:1], v[144:145]
	s_waitcnt vmcnt(13) lgkmcnt(2)
	v_mul_f64 v[144:145], v[128:129], v[42:43]
	v_fmac_f64_e32 v[144:145], v[130:131], v[40:41]
	v_add_f64 v[0:1], v[0:1], v[144:145]
	s_waitcnt vmcnt(12) lgkmcnt(1)
	v_mul_f64 v[144:145], v[132:133], v[46:47]
	v_fmac_f64_e32 v[144:145], v[134:135], v[44:45]
	v_mul_f64 v[142:143], v[242:243], v[142:143]
	v_add_f64 v[0:1], v[0:1], v[144:145]
	v_fma_f64 v[240:241], v[240:241], v[140:141], -v[142:143]
	ds_read_b128 v[140:143], v2 offset:1760
	s_waitcnt vmcnt(11) lgkmcnt(1)
	v_mul_f64 v[144:145], v[136:137], v[50:51]
	v_fmac_f64_e32 v[144:145], v[138:139], v[48:49]
	v_add_f64 v[0:1], v[0:1], v[144:145]
	ds_read_b128 v[144:147], v2 offset:1776
	v_mul_f64 v[150:151], v[246:247], v[150:151]
	v_fma_f64 v[232:233], v[244:245], v[148:149], -v[150:151]
	ds_read_b128 v[148:151], v2 offset:1792
	v_fma_f64 v[152:153], v[248:249], v[152:153], -v[154:155]
	s_waitcnt vmcnt(10) lgkmcnt(2)
	v_mul_f64 v[184:185], v[140:141], v[54:55]
	v_accvgpr_write_b32 a161, v153
	v_fmac_f64_e32 v[184:185], v[142:143], v[52:53]
	v_accvgpr_write_b32 a160, v152
	ds_read_b128 v[152:155], v2 offset:1808
	ds_read_b128 v[242:245], v2 offset:1824
	v_add_f64 v[0:1], v[0:1], v[184:185]
	s_waitcnt vmcnt(9) lgkmcnt(3)
	v_mul_f64 v[184:185], v[144:145], v[58:59]
	v_fmac_f64_e32 v[184:185], v[146:147], v[56:57]
	v_add_f64 v[0:1], v[0:1], v[184:185]
	s_waitcnt vmcnt(8) lgkmcnt(2)
	v_mul_f64 v[184:185], v[148:149], v[62:63]
	ds_read_b128 v[160:163], v2 offset:1840
	v_fmac_f64_e32 v[184:185], v[150:151], v[60:61]
	v_add_f64 v[0:1], v[0:1], v[184:185]
	s_waitcnt vmcnt(7) lgkmcnt(2)
	v_mul_f64 v[184:185], v[152:153], v[66:67]
	v_fmac_f64_e32 v[184:185], v[154:155], v[64:65]
	v_add_f64 v[0:1], v[0:1], v[184:185]
	s_waitcnt vmcnt(6) lgkmcnt(1)
	v_mul_f64 v[184:185], v[242:243], v[70:71]
	v_mul_f64 v[6:7], v[6:7], v[166:167]
	v_fmac_f64_e32 v[184:185], v[244:245], v[68:69]
	v_fma_f64 v[238:239], v[4:5], v[164:165], -v[6:7]
	ds_read_b128 v[164:167], v2 offset:1856
	s_waitcnt vmcnt(5) lgkmcnt(1)
	v_mul_f64 v[4:5], v[160:161], v[78:79]
	v_add_f64 v[0:1], v[0:1], v[184:185]
	v_fmac_f64_e32 v[4:5], v[162:163], v[76:77]
	v_add_f64 v[0:1], v[0:1], v[4:5]
	ds_read_b128 v[4:7], v2 offset:1872
	v_mul_f64 v[158:159], v[158:159], v[218:219]
	v_fma_f64 v[254:255], v[156:157], v[216:217], -v[158:159]
	ds_read_b128 v[156:159], v2 offset:1888
	s_waitcnt vmcnt(4) lgkmcnt(2)
	v_mul_f64 v[184:185], v[164:165], v[74:75]
	v_fmac_f64_e32 v[184:185], v[166:167], v[72:73]
	ds_read_b128 v[246:249], v2 offset:1904
	ds_read_b128 v[192:195], v2 offset:1936
	v_add_f64 v[0:1], v[0:1], v[184:185]
	s_waitcnt vmcnt(3) lgkmcnt(3)
	v_mul_f64 v[184:185], v[4:5], v[82:83]
	v_fmac_f64_e32 v[184:185], v[6:7], v[80:81]
	v_add_f64 v[0:1], v[0:1], v[184:185]
	s_waitcnt vmcnt(2) lgkmcnt(2)
	v_mul_f64 v[184:185], v[156:157], v[86:87]
	v_fmac_f64_e32 v[184:185], v[158:159], v[84:85]
	;; [unrolled: 4-line block ×3, first 2 shown]
	v_add_f64 v[0:1], v[0:1], v[184:185]
	ds_read_b128 v[184:187], v2 offset:1920
	ds_read_b128 v[200:203], v2 offset:1952
	;; [unrolled: 1-line block ×5, first 2 shown]
	s_waitcnt vmcnt(0) lgkmcnt(4)
	v_mul_f64 v[188:189], v[184:185], v[252:253]
	v_fmac_f64_e32 v[188:189], v[186:187], v[250:251]
	v_add_f64 v[0:1], v[0:1], v[188:189]
	scratch_load_dwordx4 v[188:191], off, off offset:944
	v_mul_f64 v[6:7], v[6:7], v[82:83]
	v_fma_f64 v[4:5], v[4:5], v[80:81], -v[6:7]
	v_mul_f64 v[6:7], v[158:159], v[86:87]
	v_fma_f64 v[6:7], v[156:157], v[84:85], -v[6:7]
	s_waitcnt vmcnt(0)
	v_mul_f64 v[196:197], v[192:193], v[190:191]
	v_fmac_f64_e32 v[196:197], v[194:195], v[188:189]
	v_add_f64 v[0:1], v[0:1], v[196:197]
	scratch_load_dwordx4 v[196:199], off, off offset:960
	s_waitcnt vmcnt(0) lgkmcnt(3)
	v_mul_f64 v[204:205], v[200:201], v[198:199]
	v_fmac_f64_e32 v[204:205], v[202:203], v[196:197]
	v_add_f64 v[0:1], v[0:1], v[204:205]
	scratch_load_dwordx4 v[204:207], off, off offset:976
	s_waitcnt vmcnt(0) lgkmcnt(2)
	;; [unrolled: 5-line block ×4, first 2 shown]
	v_mul_f64 v[234:235], v[224:225], v[222:223]
	v_fmac_f64_e32 v[234:235], v[226:227], v[220:221]
	v_add_f64 v[0:1], v[0:1], v[234:235]
	v_accvgpr_read_b32 v235, a163
	v_accvgpr_read_b32 v234, a162
	v_add_f64 v[234:235], v[234:235], 0
	v_add_f64 v[96:97], v[234:235], v[96:97]
	;; [unrolled: 1-line block ×25, first 2 shown]
	scratch_load_dwordx4 v[228:231], off, off offset:64
	v_add_f64 v[8:9], v[8:9], v[240:241]
	v_add_f64 v[240:241], v[8:9], v[232:233]
	v_accvgpr_read_b32 v8, a160
	v_accvgpr_read_b32 v9, a161
	;; [unrolled: 1-line block ×3, first 2 shown]
	v_add_f64 v[8:9], v[240:241], v[8:9]
	v_accvgpr_read_b32 v14, a150
	v_accvgpr_read_b32 v15, a151
	v_add_f64 v[8:9], v[8:9], v[236:237]
	v_accvgpr_read_b32 v13, a149
	v_mul_f64 v[10:11], v[32:33], v[14:15]
	v_add_f64 v[8:9], v[8:9], v[238:239]
	v_fma_f64 v[10:11], v[30:31], v[12:13], -v[10:11]
	v_accvgpr_read_b32 v12, a152
	v_add_f64 v[8:9], v[8:9], v[254:255]
	v_accvgpr_read_b32 v14, a154
	v_accvgpr_read_b32 v15, a155
	v_add_f64 v[8:9], v[8:9], v[10:11]
	v_accvgpr_read_b32 v13, a153
	v_mul_f64 v[10:11], v[22:23], v[14:15]
	v_fma_f64 v[10:11], v[20:21], v[12:13], -v[10:11]
	v_accvgpr_read_b32 v12, a128
	v_accvgpr_read_b32 v14, a130
	v_accvgpr_read_b32 v15, a131
	v_add_f64 v[8:9], v[8:9], v[10:11]
	v_accvgpr_read_b32 v13, a129
	v_mul_f64 v[10:11], v[102:103], v[14:15]
	v_fma_f64 v[10:11], v[100:101], v[12:13], -v[10:11]
	v_accvgpr_read_b32 v12, a132
	;; [unrolled: 7-line block ×6, first 2 shown]
	v_accvgpr_read_b32 v14, a158
	v_accvgpr_read_b32 v15, a159
	v_add_f64 v[8:9], v[8:9], v[10:11]
	v_accvgpr_read_b32 v13, a157
	v_mul_f64 v[10:11], v[122:123], v[14:15]
	v_fma_f64 v[10:11], v[120:121], v[12:13], -v[10:11]
	v_add_f64 v[8:9], v[8:9], v[10:11]
	v_mul_f64 v[10:11], v[126:127], v[38:39]
	v_fma_f64 v[10:11], v[124:125], v[36:37], -v[10:11]
	v_add_f64 v[8:9], v[8:9], v[10:11]
	;; [unrolled: 3-line block ×12, first 2 shown]
	v_add_f64 v[4:5], v[8:9], v[4:5]
	v_add_f64 v[4:5], v[4:5], v[6:7]
	v_mul_f64 v[6:7], v[248:249], v[94:95]
	v_fma_f64 v[6:7], v[246:247], v[92:93], -v[6:7]
	v_add_f64 v[4:5], v[4:5], v[6:7]
	v_mul_f64 v[6:7], v[186:187], v[252:253]
	v_fma_f64 v[6:7], v[184:185], v[250:251], -v[6:7]
	v_add_f64 v[4:5], v[4:5], v[6:7]
	v_mul_f64 v[6:7], v[194:195], v[190:191]
	v_fma_f64 v[6:7], v[192:193], v[188:189], -v[6:7]
	v_add_f64 v[4:5], v[4:5], v[6:7]
	v_mul_f64 v[6:7], v[202:203], v[198:199]
	v_fma_f64 v[6:7], v[200:201], v[196:197], -v[6:7]
	v_add_f64 v[4:5], v[4:5], v[6:7]
	v_mul_f64 v[6:7], v[210:211], v[206:207]
	v_fma_f64 v[6:7], v[208:209], v[204:205], -v[6:7]
	v_add_f64 v[4:5], v[4:5], v[6:7]
	v_mul_f64 v[6:7], v[218:219], v[214:215]
	v_fma_f64 v[6:7], v[216:217], v[212:213], -v[6:7]
	v_add_f64 v[4:5], v[4:5], v[6:7]
	v_mul_f64 v[6:7], v[226:227], v[222:223]
	v_fma_f64 v[6:7], v[224:225], v[220:221], -v[6:7]
	v_add_f64 v[4:5], v[4:5], v[6:7]
	s_waitcnt vmcnt(0)
	v_add_f64 v[6:7], v[230:231], -v[0:1]
	v_accvgpr_read_b32 v0, a126
	v_add_f64 v[4:5], v[228:229], -v[4:5]
	v_cmp_lt_u32_e32 vcc, 2, v0
	scratch_store_dwordx4 off, v[4:7], off offset:64
	s_and_saveexec_b64 s[0:1], vcc
	s_cbranch_execz .LBB62_399
; %bb.398:
	scratch_load_dwordx4 v[6:9], off, s87
	v_mov_b32_e32 v3, v2
	v_mov_b32_e32 v4, v2
	;; [unrolled: 1-line block ×3, first 2 shown]
	v_accvgpr_read_b32 v0, a127
	scratch_store_dwordx4 off, v[2:5], off offset:48
	s_waitcnt vmcnt(1)
	ds_write_b128 v0, v[6:9]
.LBB62_399:
	s_or_b64 exec, exec, s[0:1]
	s_waitcnt lgkmcnt(0)
	; wave barrier
	scratch_load_dwordx4 v[4:7], off, off offset:64
	scratch_load_dwordx4 v[8:11], off, off offset:80
	scratch_load_dwordx4 v[12:15], off, off offset:96
	scratch_load_dwordx4 v[36:39], off, off offset:112
	scratch_load_dwordx4 v[242:245], off, off offset:128
	scratch_load_dwordx4 v[18:21], off, off offset:144
	scratch_load_dwordx4 v[248:251], off, off offset:160
	scratch_load_dwordx4 v[44:47], off, off offset:176
	scratch_load_dwordx4 v[48:51], off, off offset:192
	scratch_load_dwordx4 v[52:55], off, off offset:208
	scratch_load_dwordx4 v[56:59], off, off offset:224
	scratch_load_dwordx4 v[60:63], off, off offset:240
	scratch_load_dwordx4 v[64:67], off, off offset:256
	scratch_load_dwordx4 v[68:71], off, off offset:272
	scratch_load_dwordx4 v[72:75], off, off offset:288
	scratch_load_dwordx4 v[76:79], off, off offset:304
	scratch_load_dwordx4 v[80:83], off, off offset:320
	ds_read_b128 v[172:175], v2 offset:1056
	ds_read_b128 v[108:111], v2 offset:1072
	scratch_load_dwordx4 v[84:87], off, off offset:336
	ds_read_b128 v[176:179], v2 offset:1088
	ds_read_b128 v[164:167], v2 offset:1104
	;; [unrolled: 1-line block ×5, first 2 shown]
	scratch_load_dwordx4 v[92:95], off, off offset:352
	ds_read_b128 v[148:151], v2 offset:1168
	ds_read_b128 v[112:115], v2 offset:1184
	scratch_load_dwordx4 v[116:119], off, off offset:368
	ds_read_b128 v[180:183], v2 offset:1200
	ds_read_b128 v[168:171], v2 offset:1216
	;; [unrolled: 1-line block ×5, first 2 shown]
	scratch_load_dwordx4 v[120:123], off, off offset:384
	ds_read_b128 v[156:159], v2 offset:1280
	ds_read_b128 v[140:143], v2 offset:1296
	;; [unrolled: 1-line block ×3, first 2 shown]
	scratch_load_dwordx4 v[124:127], off, off offset:400
	scratch_load_dwordx4 v[128:131], off, off offset:416
	;; [unrolled: 1-line block ×9, first 2 shown]
	ds_read_b128 v[204:207], v2 offset:1328
	scratch_load_dwordx4 a[132:135], off, off offset:576
	scratch_load_dwordx4 a[136:139], off, off offset:608
	scratch_load_dwordx4 a[140:143], off, off offset:624
	ds_read_b128 v[232:235], v2 offset:1424
	ds_read_b128 v[236:239], v2 offset:1440
	scratch_load_dwordx4 a[144:147], off, off offset:640
	scratch_load_dwordx4 a[148:151], off, off offset:656
	;; [unrolled: 1-line block ×5, first 2 shown]
	ds_read_b128 v[228:231], v2 offset:1408
	s_waitcnt vmcnt(37) lgkmcnt(14)
	v_mul_f64 v[0:1], v[172:173], v[6:7]
	s_waitcnt vmcnt(36)
	v_mul_f64 v[24:25], v[108:109], v[10:11]
	v_fmac_f64_e32 v[0:1], v[174:175], v[4:5]
	s_waitcnt vmcnt(35)
	v_mul_f64 v[26:27], v[176:177], v[14:15]
	v_fmac_f64_e32 v[24:25], v[110:111], v[8:9]
	v_add_f64 v[0:1], v[0:1], 0
	s_waitcnt vmcnt(34)
	v_mul_f64 v[28:29], v[164:165], v[38:39]
	v_fmac_f64_e32 v[26:27], v[178:179], v[12:13]
	v_add_f64 v[0:1], v[0:1], v[24:25]
	;; [unrolled: 4-line block ×5, first 2 shown]
	s_waitcnt vmcnt(30) lgkmcnt(13)
	v_mul_f64 v[208:209], v[148:149], v[46:47]
	v_fmac_f64_e32 v[34:35], v[90:91], v[248:249]
	v_add_f64 v[0:1], v[0:1], v[32:33]
	s_waitcnt vmcnt(29) lgkmcnt(12)
	v_mul_f64 v[210:211], v[112:113], v[50:51]
	v_fmac_f64_e32 v[208:209], v[150:151], v[44:45]
	v_add_f64 v[0:1], v[0:1], v[34:35]
	;; [unrolled: 4-line block ×6, first 2 shown]
	v_fmac_f64_e32 v[218:219], v[138:139], v[64:65]
	v_add_f64 v[0:1], v[0:1], v[216:217]
	v_add_f64 v[0:1], v[0:1], v[218:219]
	scratch_load_dwordx4 v[216:219], off, off offset:544
	s_waitcnt vmcnt(25) lgkmcnt(7)
	v_mul_f64 v[220:221], v[104:105], v[70:71]
	s_waitcnt vmcnt(24) lgkmcnt(6)
	v_mul_f64 v[222:223], v[156:157], v[74:75]
	v_fmac_f64_e32 v[220:221], v[106:107], v[68:69]
	s_waitcnt vmcnt(23) lgkmcnt(5)
	v_mul_f64 v[224:225], v[140:141], v[78:79]
	v_fmac_f64_e32 v[222:223], v[158:159], v[72:73]
	v_add_f64 v[0:1], v[0:1], v[220:221]
	ds_read_b128 v[208:211], v2 offset:1344
	v_fmac_f64_e32 v[224:225], v[142:143], v[76:77]
	v_add_f64 v[0:1], v[0:1], v[222:223]
	s_waitcnt vmcnt(22) lgkmcnt(5)
	v_mul_f64 v[24:25], v[132:133], v[82:83]
	ds_read_b128 v[212:215], v2 offset:1360
	ds_read_b128 v[220:223], v2 offset:1376
	v_add_f64 v[0:1], v[0:1], v[224:225]
	v_fmac_f64_e32 v[24:25], v[134:135], v[80:81]
	v_add_f64 v[0:1], v[0:1], v[24:25]
	s_waitcnt vmcnt(21) lgkmcnt(6)
	v_mul_f64 v[24:25], v[204:205], v[86:87]
	v_fmac_f64_e32 v[24:25], v[206:207], v[84:85]
	v_add_f64 v[0:1], v[0:1], v[24:25]
	s_waitcnt vmcnt(20) lgkmcnt(2)
	v_mul_f64 v[24:25], v[208:209], v[94:95]
	ds_read_b128 v[224:227], v2 offset:1392
	v_fmac_f64_e32 v[24:25], v[210:211], v[92:93]
	s_waitcnt vmcnt(19) lgkmcnt(2)
	v_mul_f64 v[28:29], v[212:213], v[118:119]
	v_add_f64 v[0:1], v[0:1], v[24:25]
	v_fmac_f64_e32 v[28:29], v[214:215], v[116:117]
	v_add_f64 v[0:1], v[0:1], v[28:29]
	s_waitcnt vmcnt(18) lgkmcnt(1)
	v_mul_f64 v[28:29], v[220:221], v[122:123]
	v_fmac_f64_e32 v[28:29], v[222:223], v[120:121]
	v_add_f64 v[0:1], v[0:1], v[28:29]
	s_waitcnt vmcnt(17) lgkmcnt(0)
	v_mul_f64 v[28:29], v[224:225], v[126:127]
	v_fmac_f64_e32 v[28:29], v[226:227], v[124:125]
	s_waitcnt vmcnt(16)
	v_mul_f64 v[32:33], v[228:229], v[130:131]
	v_add_f64 v[0:1], v[0:1], v[28:29]
	v_fmac_f64_e32 v[32:33], v[230:231], v[128:129]
	v_add_f64 v[0:1], v[0:1], v[32:33]
	scratch_load_dwordx4 v[30:33], off, off offset:592
	v_mul_f64 v[6:7], v[174:175], v[6:7]
	v_fma_f64 v[252:253], v[172:173], v[4:5], -v[6:7]
	s_waitcnt vmcnt(16)
	v_mul_f64 v[4:5], v[232:233], v[146:147]
	v_fmac_f64_e32 v[4:5], v[234:235], v[144:145]
	v_add_f64 v[0:1], v[0:1], v[4:5]
	s_waitcnt vmcnt(15)
	v_mul_f64 v[4:5], v[236:237], v[162:163]
	ds_read_b128 v[172:175], v2 offset:1456
	v_fmac_f64_e32 v[4:5], v[238:239], v[160:161]
	v_add_f64 v[0:1], v[0:1], v[4:5]
	v_mul_f64 v[4:5], v[110:111], v[10:11]
	v_fma_f64 v[254:255], v[108:109], v[8:9], -v[4:5]
	v_mul_f64 v[8:9], v[178:179], v[14:15]
	v_fma_f64 v[40:41], v[176:177], v[12:13], -v[8:9]
	ds_read_b128 v[176:179], v2 offset:1472
	v_mul_f64 v[6:7], v[166:167], v[38:39]
	v_fma_f64 v[38:39], v[164:165], v[36:37], -v[6:7]
	v_mul_f64 v[36:37], v[150:151], v[46:47]
	s_waitcnt vmcnt(14) lgkmcnt(1)
	v_mul_f64 v[240:241], v[172:173], v[186:187]
	ds_read_b128 v[164:167], v2 offset:1488
	v_fma_f64 v[22:23], v[148:149], v[44:45], -v[36:37]
	scratch_load_dwordx4 v[148:151], off, off offset:688
	v_fmac_f64_e32 v[240:241], v[174:175], v[184:185]
	v_mul_f64 v[16:17], v[102:103], v[244:245]
	v_add_f64 v[0:1], v[0:1], v[240:241]
	v_fma_f64 v[28:29], v[100:101], v[242:243], -v[16:17]
	ds_read_b128 v[240:243], v2 offset:1504
	s_waitcnt vmcnt(14) lgkmcnt(2)
	v_mul_f64 v[12:13], v[176:177], v[190:191]
	v_fmac_f64_e32 v[12:13], v[178:179], v[188:189]
	ds_read_b128 v[244:247], v2 offset:1520
	v_add_f64 v[0:1], v[0:1], v[12:13]
	s_waitcnt vmcnt(13) lgkmcnt(2)
	v_mul_f64 v[12:13], v[164:165], v[194:195]
	v_fmac_f64_e32 v[12:13], v[166:167], v[192:193]
	v_mul_f64 v[10:11], v[98:99], v[20:21]
	v_mul_f64 v[20:21], v[90:91], v[250:251]
	v_add_f64 v[0:1], v[0:1], v[12:13]
	v_fma_f64 v[24:25], v[88:89], v[248:249], -v[20:21]
	s_waitcnt vmcnt(12) lgkmcnt(1)
	v_mul_f64 v[12:13], v[240:241], v[198:199]
	ds_read_b128 v[248:251], v2 offset:1536
	v_fmac_f64_e32 v[12:13], v[242:243], v[196:197]
	scratch_load_dwordx4 v[44:47], off, off offset:720
	ds_read_b128 v[88:91], v2 offset:1552
	v_add_f64 v[0:1], v[0:1], v[12:13]
	s_waitcnt vmcnt(12) lgkmcnt(2)
	v_mul_f64 v[12:13], v[244:245], v[202:203]
	v_fmac_f64_e32 v[12:13], v[246:247], v[200:201]
	v_add_f64 v[0:1], v[0:1], v[12:13]
	v_mul_f64 v[12:13], v[114:115], v[50:51]
	s_waitcnt vmcnt(4)
	v_accvgpr_read_b32 v4, a128
	v_fma_f64 v[26:27], v[96:97], v[18:19], -v[10:11]
	v_fma_f64 v[18:19], v[112:113], v[48:49], -v[12:13]
	v_mul_f64 v[16:17], v[182:183], v[54:55]
	s_waitcnt vmcnt(3) lgkmcnt(1)
	v_mul_f64 v[48:49], v[248:249], v[218:219]
	v_accvgpr_read_b32 v6, a130
	v_accvgpr_read_b32 v7, a131
	v_fma_f64 v[16:17], v[180:181], v[52:53], -v[16:17]
	v_fmac_f64_e32 v[48:49], v[250:251], v[216:217]
	v_accvgpr_read_b32 v5, a129
	ds_read_b128 v[96:99], v2 offset:1568
	s_waitcnt lgkmcnt(1)
	v_mul_f64 v[52:53], v[88:89], v[6:7]
	v_add_f64 v[0:1], v[0:1], v[48:49]
	v_mul_f64 v[48:49], v[170:171], v[58:59]
	v_fmac_f64_e32 v[52:53], v[90:91], v[4:5]
	v_fma_f64 v[168:169], v[168:169], v[56:57], -v[48:49]
	scratch_load_dwordx4 v[48:51], off, off offset:736
	v_add_f64 v[0:1], v[0:1], v[52:53]
	v_mul_f64 v[52:53], v[154:155], v[62:63]
	v_fma_f64 v[170:171], v[152:153], v[60:61], -v[52:53]
	scratch_load_dwordx4 v[52:55], off, off offset:752
	v_accvgpr_read_b32 v4, a132
	v_mul_f64 v[56:57], v[138:139], v[66:67]
	v_accvgpr_read_b32 v6, a134
	v_accvgpr_read_b32 v7, a135
	v_fma_f64 v[180:181], v[136:137], v[64:65], -v[56:57]
	scratch_load_dwordx4 v[56:59], off, off offset:768
	v_mul_f64 v[60:61], v[106:107], v[70:71]
	v_accvgpr_read_b32 v5, a133
	s_waitcnt lgkmcnt(0)
	v_mul_f64 v[64:65], v[96:97], v[6:7]
	v_fma_f64 v[182:183], v[104:105], v[68:69], -v[60:61]
	scratch_load_dwordx4 v[60:63], off, off offset:784
	v_fmac_f64_e32 v[64:65], v[98:99], v[4:5]
	v_add_f64 v[0:1], v[0:1], v[64:65]
	v_mul_f64 v[64:65], v[158:159], v[74:75]
	ds_read_b128 v[100:103], v2 offset:1584
	v_fma_f64 v[14:15], v[156:157], v[72:73], -v[64:65]
	scratch_load_dwordx4 v[64:67], off, off offset:800
	scratch_load_dwordx4 v[68:71], off, off offset:816
	s_waitcnt vmcnt(8)
	v_mov_b64_e32 v[4:5], v[30:31]
	v_mov_b64_e32 v[6:7], v[32:33]
	s_waitcnt lgkmcnt(0)
	v_mul_f64 v[20:21], v[100:101], v[6:7]
	v_fmac_f64_e32 v[20:21], v[102:103], v[4:5]
	v_add_f64 v[0:1], v[0:1], v[20:21]
	v_mul_f64 v[20:21], v[142:143], v[78:79]
	v_fma_f64 v[20:21], v[140:141], v[76:77], -v[20:21]
	ds_read_b128 v[108:111], v2 offset:1600
	ds_read_b128 v[104:107], v2 offset:1616
	scratch_load_dwordx4 v[76:79], off, off offset:832
	v_accvgpr_read_b32 v4, a136
	v_mul_f64 v[72:73], v[134:135], v[82:83]
	v_accvgpr_read_b32 v6, a138
	v_accvgpr_read_b32 v7, a139
	v_fma_f64 v[12:13], v[132:133], v[80:81], -v[72:73]
	v_accvgpr_read_b32 v5, a137
	s_waitcnt lgkmcnt(1)
	v_mul_f64 v[80:81], v[108:109], v[6:7]
	v_fmac_f64_e32 v[80:81], v[110:111], v[4:5]
	v_accvgpr_read_b32 v4, a140
	ds_read_b128 v[112:115], v2 offset:1632
	v_accvgpr_write_b32 a163, v33
	v_accvgpr_read_b32 v6, a142
	v_accvgpr_read_b32 v7, a143
	v_accvgpr_write_b32 a162, v32
	v_accvgpr_write_b32 a161, v31
	;; [unrolled: 1-line block ×3, first 2 shown]
	v_add_f64 v[0:1], v[0:1], v[80:81]
	v_accvgpr_read_b32 v5, a141
	s_waitcnt lgkmcnt(1)
	v_mul_f64 v[80:81], v[104:105], v[6:7]
	v_mul_f64 v[32:33], v[214:215], v[118:119]
	v_fmac_f64_e32 v[80:81], v[106:107], v[4:5]
	v_fma_f64 v[32:33], v[212:213], v[116:117], -v[32:33]
	ds_read_b128 v[116:119], v2 offset:1648
	v_accvgpr_read_b32 v4, a144
	v_accvgpr_read_b32 v6, a146
	;; [unrolled: 1-line block ×4, first 2 shown]
	s_waitcnt lgkmcnt(1)
	v_mul_f64 v[30:31], v[112:113], v[6:7]
	v_add_f64 v[0:1], v[0:1], v[80:81]
	v_fmac_f64_e32 v[30:31], v[114:115], v[4:5]
	v_accvgpr_read_b32 v4, a148
	v_add_f64 v[0:1], v[0:1], v[30:31]
	v_mul_f64 v[30:31], v[226:227], v[126:127]
	v_accvgpr_read_b32 v6, a150
	v_accvgpr_read_b32 v7, a151
	v_mul_f64 v[34:35], v[206:207], v[86:87]
	v_fma_f64 v[30:31], v[224:225], v[124:125], -v[30:31]
	v_accvgpr_read_b32 v5, a149
	s_waitcnt lgkmcnt(0)
	v_mul_f64 v[124:125], v[116:117], v[6:7]
	v_fma_f64 v[34:35], v[204:205], v[84:85], -v[34:35]
	v_mul_f64 v[84:85], v[222:223], v[122:123]
	v_fmac_f64_e32 v[124:125], v[118:119], v[4:5]
	v_fma_f64 v[8:9], v[220:221], v[120:121], -v[84:85]
	ds_read_b128 v[120:123], v2 offset:1664
	v_add_f64 v[0:1], v[0:1], v[124:125]
	v_mul_f64 v[124:125], v[230:231], v[130:131]
	v_fma_f64 v[6:7], v[228:229], v[128:129], -v[124:125]
	ds_read_b128 v[124:127], v2 offset:1680
	v_accvgpr_read_b32 v128, a152
	v_accvgpr_read_b32 v130, a154
	;; [unrolled: 1-line block ×3, first 2 shown]
	s_waitcnt vmcnt(8)
	v_mov_b64_e32 v[132:133], v[148:149]
	v_accvgpr_read_b32 v129, a153
	s_waitcnt lgkmcnt(1)
	v_mul_f64 v[36:37], v[120:121], v[130:131]
	v_mov_b64_e32 v[134:135], v[150:151]
	v_fmac_f64_e32 v[36:37], v[122:123], v[128:129]
	ds_read_b128 v[128:131], v2 offset:1696
	s_waitcnt lgkmcnt(1)
	v_mul_f64 v[136:137], v[124:125], v[134:135]
	v_fmac_f64_e32 v[136:137], v[126:127], v[132:133]
	ds_read_b128 v[132:135], v2 offset:1712
	v_accvgpr_read_b32 v138, a156
	v_add_f64 v[0:1], v[0:1], v[36:37]
	v_accvgpr_read_b32 v140, a158
	v_accvgpr_read_b32 v141, a159
	v_add_f64 v[0:1], v[0:1], v[136:137]
	v_accvgpr_read_b32 v139, a157
	s_waitcnt lgkmcnt(1)
	v_mul_f64 v[136:137], v[128:129], v[140:141]
	v_fmac_f64_e32 v[136:137], v[130:131], v[138:139]
	s_waitcnt vmcnt(7) lgkmcnt(0)
	v_mul_f64 v[140:141], v[132:133], v[46:47]
	v_add_f64 v[0:1], v[0:1], v[136:137]
	v_mul_f64 v[136:137], v[238:239], v[162:163]
	v_fmac_f64_e32 v[140:141], v[134:135], v[44:45]
	v_fma_f64 v[236:237], v[236:237], v[160:161], -v[136:137]
	ds_read_b128 v[136:139], v2 offset:1728
	v_add_f64 v[0:1], v[0:1], v[140:141]
	v_mul_f64 v[140:141], v[174:175], v[186:187]
	v_fma_f64 v[238:239], v[172:173], v[184:185], -v[140:141]
	ds_read_b128 v[140:143], v2 offset:1744
	v_mul_f64 v[36:37], v[234:235], v[146:147]
	v_fma_f64 v[36:37], v[232:233], v[144:145], -v[36:37]
	v_accvgpr_write_b32 a167, v151
	s_waitcnt vmcnt(6) lgkmcnt(1)
	v_mul_f64 v[144:145], v[136:137], v[50:51]
	v_accvgpr_write_b32 a166, v150
	v_accvgpr_write_b32 a165, v149
	;; [unrolled: 1-line block ×3, first 2 shown]
	v_fmac_f64_e32 v[144:145], v[138:139], v[48:49]
	s_waitcnt vmcnt(5) lgkmcnt(0)
	v_mul_f64 v[148:149], v[140:141], v[54:55]
	v_add_f64 v[0:1], v[0:1], v[144:145]
	v_fmac_f64_e32 v[148:149], v[142:143], v[52:53]
	ds_read_b128 v[144:147], v2 offset:1760
	v_add_f64 v[0:1], v[0:1], v[148:149]
	v_mul_f64 v[148:149], v[178:179], v[190:191]
	scratch_load_dwordx4 v[72:75], off, off offset:848
	v_fma_f64 v[4:5], v[176:177], v[188:189], -v[148:149]
	ds_read_b128 v[148:151], v2 offset:1776
	v_mul_f64 v[80:81], v[210:211], v[94:95]
	v_fma_f64 v[10:11], v[208:209], v[92:93], -v[80:81]
	scratch_load_dwordx4 v[80:83], off, off offset:864
	scratch_load_dwordx4 v[84:87], off, off offset:880
	ds_read_b128 v[152:155], v2 offset:1792
	s_waitcnt vmcnt(7) lgkmcnt(2)
	v_mul_f64 v[42:43], v[144:145], v[58:59]
	v_fmac_f64_e32 v[42:43], v[146:147], v[56:57]
	s_waitcnt vmcnt(6) lgkmcnt(1)
	v_mul_f64 v[156:157], v[148:149], v[62:63]
	v_add_f64 v[0:1], v[0:1], v[42:43]
	v_fmac_f64_e32 v[156:157], v[150:151], v[60:61]
	v_add_f64 v[0:1], v[0:1], v[156:157]
	ds_read_b128 v[156:159], v2 offset:1808
	s_waitcnt vmcnt(5) lgkmcnt(1)
	v_mul_f64 v[160:161], v[152:153], v[66:67]
	v_fmac_f64_e32 v[160:161], v[154:155], v[64:65]
	v_add_f64 v[0:1], v[0:1], v[160:161]
	v_mul_f64 v[160:161], v[242:243], v[198:199]
	v_fma_f64 v[242:243], v[240:241], v[196:197], -v[160:161]
	ds_read_b128 v[160:163], v2 offset:1824
	scratch_load_dwordx4 v[92:95], off, off offset:896
	v_mul_f64 v[42:43], v[166:167], v[194:195]
	v_fma_f64 v[42:43], v[164:165], v[192:193], -v[42:43]
	v_mul_f64 v[164:165], v[246:247], v[202:203]
	s_waitcnt vmcnt(5) lgkmcnt(1)
	v_mul_f64 v[172:173], v[156:157], v[70:71]
	v_fma_f64 v[164:165], v[244:245], v[200:201], -v[164:165]
	v_fmac_f64_e32 v[172:173], v[158:159], v[68:69]
	v_accvgpr_write_b32 a169, v165
	v_accvgpr_write_b32 a168, v164
	ds_read_b128 v[164:167], v2 offset:1840
	v_add_f64 v[0:1], v[0:1], v[172:173]
	s_waitcnt vmcnt(4) lgkmcnt(1)
	v_mul_f64 v[172:173], v[160:161], v[78:79]
	v_fmac_f64_e32 v[172:173], v[162:163], v[76:77]
	v_add_f64 v[176:177], v[0:1], v[172:173]
	v_mul_f64 v[0:1], v[250:251], v[218:219]
	v_fma_f64 v[240:241], v[248:249], v[216:217], -v[0:1]
	scratch_load_dwordx4 v[248:251], off, off offset:912
	ds_read_b128 v[244:247], v2 offset:1856
	ds_read_b128 v[172:175], v2 offset:1872
	;; [unrolled: 1-line block ×4, first 2 shown]
	scratch_load_dwordx4 v[232:235], off, off offset:1008
	ds_read_b128 v[208:211], v2 offset:1952
	ds_read_b128 v[216:219], v2 offset:1968
	;; [unrolled: 1-line block ×3, first 2 shown]
	s_waitcnt vmcnt(5) lgkmcnt(7)
	v_mul_f64 v[178:179], v[164:165], v[74:75]
	v_fmac_f64_e32 v[178:179], v[166:167], v[72:73]
	v_add_f64 v[176:177], v[176:177], v[178:179]
	s_waitcnt vmcnt(4) lgkmcnt(6)
	v_mul_f64 v[178:179], v[244:245], v[82:83]
	v_fmac_f64_e32 v[178:179], v[246:247], v[80:81]
	v_add_f64 v[176:177], v[176:177], v[178:179]
	;; [unrolled: 4-line block ×3, first 2 shown]
	ds_read_b128 v[176:179], v2 offset:1888
	s_waitcnt vmcnt(2) lgkmcnt(0)
	v_mul_f64 v[186:187], v[176:177], v[94:95]
	v_fmac_f64_e32 v[186:187], v[178:179], v[92:93]
	v_add_f64 v[188:189], v[184:185], v[186:187]
	ds_read_b128 v[184:187], v2 offset:1904
	s_waitcnt vmcnt(1) lgkmcnt(0)
	v_mul_f64 v[190:191], v[184:185], v[250:251]
	v_fmac_f64_e32 v[190:191], v[186:187], v[248:249]
	v_add_f64 v[196:197], v[188:189], v[190:191]
	scratch_load_dwordx4 v[188:191], off, off offset:928
	s_waitcnt vmcnt(0)
	v_mul_f64 v[198:199], v[192:193], v[190:191]
	v_fmac_f64_e32 v[198:199], v[194:195], v[188:189]
	v_add_f64 v[204:205], v[196:197], v[198:199]
	scratch_load_dwordx4 v[196:199], off, off offset:944
	s_waitcnt vmcnt(0)
	;; [unrolled: 5-line block ×5, first 2 shown]
	v_mul_f64 v[230:231], v[224:225], v[222:223]
	v_fmac_f64_e32 v[230:231], v[226:227], v[220:221]
	v_add_f64 v[0:1], v[228:229], v[230:231]
	ds_read_b128 v[228:231], v2 offset:2000
	s_waitcnt lgkmcnt(0)
	v_mul_f64 v[2:3], v[228:229], v[234:235]
	v_fmac_f64_e32 v[2:3], v[230:231], v[232:233]
	v_add_f64 v[2:3], v[0:1], v[2:3]
	v_add_f64 v[0:1], v[252:253], 0
	;; [unrolled: 1-line block ×27, first 2 shown]
	scratch_load_dwordx4 v[236:239], off, off offset:48
	v_add_f64 v[0:1], v[0:1], v[4:5]
	v_add_f64 v[0:1], v[0:1], v[42:43]
	v_accvgpr_read_b32 v6, a128
	v_add_f64 v[254:255], v[0:1], v[242:243]
	v_accvgpr_read_b32 v0, a168
	v_accvgpr_read_b32 v8, a130
	;; [unrolled: 1-line block ×5, first 2 shown]
	v_mul_f64 v[4:5], v[90:91], v[8:9]
	v_add_f64 v[0:1], v[254:255], v[0:1]
	v_fma_f64 v[4:5], v[88:89], v[6:7], -v[4:5]
	v_accvgpr_read_b32 v6, a132
	v_add_f64 v[0:1], v[0:1], v[240:241]
	v_accvgpr_read_b32 v8, a134
	v_accvgpr_read_b32 v9, a135
	v_add_f64 v[0:1], v[0:1], v[4:5]
	v_accvgpr_read_b32 v7, a133
	v_mul_f64 v[4:5], v[98:99], v[8:9]
	v_fma_f64 v[4:5], v[96:97], v[6:7], -v[4:5]
	v_accvgpr_read_b32 v6, a160
	v_accvgpr_read_b32 v8, a162
	v_accvgpr_read_b32 v9, a163
	v_add_f64 v[0:1], v[0:1], v[4:5]
	v_accvgpr_read_b32 v7, a161
	v_mul_f64 v[4:5], v[102:103], v[8:9]
	v_fma_f64 v[4:5], v[100:101], v[6:7], -v[4:5]
	v_accvgpr_read_b32 v6, a136
	;; [unrolled: 7-line block ×8, first 2 shown]
	v_accvgpr_read_b32 v8, a158
	v_accvgpr_read_b32 v9, a159
	v_add_f64 v[0:1], v[0:1], v[4:5]
	v_accvgpr_read_b32 v7, a157
	v_mul_f64 v[4:5], v[130:131], v[8:9]
	v_fma_f64 v[4:5], v[128:129], v[6:7], -v[4:5]
	v_add_f64 v[0:1], v[0:1], v[4:5]
	v_mul_f64 v[4:5], v[134:135], v[46:47]
	v_fma_f64 v[4:5], v[132:133], v[44:45], -v[4:5]
	v_add_f64 v[0:1], v[0:1], v[4:5]
	;; [unrolled: 3-line block ×20, first 2 shown]
	s_waitcnt vmcnt(0)
	v_add_f64 v[4:5], v[236:237], -v[0:1]
	v_accvgpr_read_b32 v0, a126
	v_add_f64 v[6:7], v[238:239], -v[2:3]
	v_cmp_lt_u32_e32 vcc, 1, v0
	scratch_store_dwordx4 off, v[4:7], off offset:48
	s_and_saveexec_b64 s[0:1], vcc
	s_cbranch_execz .LBB62_401
; %bb.400:
	scratch_load_dwordx4 v[2:5], off, s88
	v_mov_b32_e32 v6, 0
	v_mov_b32_e32 v7, v6
	;; [unrolled: 1-line block ×4, first 2 shown]
	v_accvgpr_read_b32 v0, a127
	scratch_store_dwordx4 off, v[6:9], off offset:32
	s_waitcnt vmcnt(1)
	ds_write_b128 v0, v[2:5]
.LBB62_401:
	s_or_b64 exec, exec, s[0:1]
	s_waitcnt lgkmcnt(0)
	; wave barrier
	scratch_load_dwordx4 v[8:11], off, off offset:48
	scratch_load_dwordx4 v[12:15], off, off offset:64
	;; [unrolled: 1-line block ×30, first 2 shown]
	v_mov_b32_e32 v2, 0
	ds_read_b128 v[88:91], v2 offset:1040
	ds_read_b128 v[92:95], v2 offset:1056
	;; [unrolled: 1-line block ×19, first 2 shown]
	scratch_load_dwordx4 v[228:231], off, off offset:560
	scratch_load_dwordx4 a[128:131], off, off offset:576
	ds_read_b128 v[240:243], v2 offset:1440
	ds_read_b128 v[244:247], v2 offset:1456
	ds_read_b128 v[248:251], v2 offset:1472
	ds_read_b128 v[252:255], v2 offset:1488
	scratch_load_dwordx4 a[132:135], off, off offset:592
	scratch_load_dwordx4 a[136:139], off, off offset:624
	;; [unrolled: 1-line block ×3, first 2 shown]
	ds_read_b128 v[224:227], v2 offset:1392
	s_waitcnt vmcnt(34) lgkmcnt(14)
	v_mul_f64 v[0:1], v[88:89], v[10:11]
	s_waitcnt vmcnt(33)
	v_mul_f64 v[4:5], v[92:93], v[14:15]
	v_fmac_f64_e32 v[0:1], v[90:91], v[8:9]
	s_waitcnt vmcnt(32)
	v_mul_f64 v[6:7], v[96:97], v[18:19]
	v_fmac_f64_e32 v[4:5], v[94:95], v[12:13]
	v_add_f64 v[0:1], v[0:1], 0
	s_waitcnt vmcnt(31)
	v_mul_f64 v[196:197], v[100:101], v[22:23]
	v_fmac_f64_e32 v[6:7], v[98:99], v[16:17]
	v_add_f64 v[0:1], v[0:1], v[4:5]
	;; [unrolled: 4-line block ×8, first 2 shown]
	s_waitcnt vmcnt(24) lgkmcnt(13)
	v_mul_f64 v[210:211], v[168:169], v[50:51]
	v_fmac_f64_e32 v[208:209], v[166:167], v[44:45]
	v_add_f64 v[0:1], v[0:1], v[206:207]
	s_waitcnt vmcnt(23) lgkmcnt(12)
	v_mul_f64 v[212:213], v[172:173], v[54:55]
	v_fmac_f64_e32 v[210:211], v[170:171], v[48:49]
	v_add_f64 v[0:1], v[0:1], v[208:209]
	;; [unrolled: 4-line block ×4, first 2 shown]
	ds_read_b128 v[196:199], v2 offset:1312
	ds_read_b128 v[204:207], v2 offset:1328
	s_waitcnt vmcnt(20) lgkmcnt(11)
	v_mul_f64 v[218:219], v[184:185], v[66:67]
	v_fmac_f64_e32 v[216:217], v[182:183], v[60:61]
	v_add_f64 v[0:1], v[0:1], v[214:215]
	s_waitcnt vmcnt(19) lgkmcnt(10)
	v_mul_f64 v[220:221], v[188:189], v[70:71]
	v_fmac_f64_e32 v[218:219], v[186:187], v[64:65]
	v_add_f64 v[0:1], v[0:1], v[216:217]
	v_fmac_f64_e32 v[220:221], v[190:191], v[68:69]
	v_add_f64 v[0:1], v[0:1], v[218:219]
	s_waitcnt vmcnt(18) lgkmcnt(9)
	v_mul_f64 v[4:5], v[192:193], v[74:75]
	v_add_f64 v[0:1], v[0:1], v[220:221]
	v_fmac_f64_e32 v[4:5], v[194:195], v[72:73]
	ds_read_b128 v[212:215], v2 offset:1344
	ds_read_b128 v[216:219], v2 offset:1360
	v_add_f64 v[0:1], v[0:1], v[4:5]
	s_waitcnt vmcnt(17) lgkmcnt(3)
	v_mul_f64 v[4:5], v[196:197], v[78:79]
	v_fmac_f64_e32 v[4:5], v[198:199], v[76:77]
	v_add_f64 v[0:1], v[0:1], v[4:5]
	s_waitcnt vmcnt(16) lgkmcnt(2)
	v_mul_f64 v[4:5], v[204:205], v[82:83]
	v_fmac_f64_e32 v[4:5], v[206:207], v[80:81]
	ds_read_b128 v[220:223], v2 offset:1376
	v_add_f64 v[0:1], v[0:1], v[4:5]
	s_waitcnt vmcnt(15) lgkmcnt(2)
	v_mul_f64 v[4:5], v[212:213], v[86:87]
	v_fmac_f64_e32 v[4:5], v[214:215], v[84:85]
	scratch_load_dwordx4 v[200:203], off, off offset:528
	scratch_load_dwordx4 v[208:211], off, off offset:544
	v_add_f64 v[0:1], v[0:1], v[4:5]
	s_waitcnt vmcnt(16) lgkmcnt(1)
	v_mul_f64 v[4:5], v[216:217], v[110:111]
	v_fmac_f64_e32 v[4:5], v[218:219], v[108:109]
	v_add_f64 v[0:1], v[0:1], v[4:5]
	s_waitcnt vmcnt(15) lgkmcnt(0)
	v_mul_f64 v[4:5], v[220:221], v[114:115]
	v_fmac_f64_e32 v[4:5], v[222:223], v[112:113]
	v_add_f64 v[0:1], v[0:1], v[4:5]
	s_waitcnt vmcnt(14)
	v_mul_f64 v[4:5], v[224:225], v[118:119]
	v_fmac_f64_e32 v[4:5], v[226:227], v[116:117]
	v_add_f64 v[0:1], v[0:1], v[4:5]
	s_waitcnt vmcnt(13)
	v_mul_f64 v[4:5], v[232:233], v[122:123]
	v_fmac_f64_e32 v[4:5], v[234:235], v[120:121]
	v_add_f64 v[0:1], v[0:1], v[4:5]
	v_mul_f64 v[4:5], v[90:91], v[10:11]
	v_fma_f64 v[4:5], v[88:89], v[8:9], -v[4:5]
	v_accvgpr_write_b32 a169, v5
	v_accvgpr_write_b32 a168, v4
	s_waitcnt vmcnt(12)
	v_mul_f64 v[4:5], v[236:237], v[126:127]
	v_fmac_f64_e32 v[4:5], v[238:239], v[124:125]
	v_add_f64 v[0:1], v[0:1], v[4:5]
	v_mul_f64 v[4:5], v[94:95], v[14:15]
	v_fma_f64 v[4:5], v[92:93], v[12:13], -v[4:5]
	v_accvgpr_write_b32 a171, v5
	v_accvgpr_write_b32 a170, v4
	s_waitcnt vmcnt(11)
	v_mul_f64 v[4:5], v[240:241], v[130:131]
	v_fmac_f64_e32 v[4:5], v[242:243], v[128:129]
	v_add_f64 v[0:1], v[0:1], v[4:5]
	s_waitcnt vmcnt(10)
	v_mul_f64 v[4:5], v[244:245], v[134:135]
	v_fmac_f64_e32 v[4:5], v[246:247], v[132:133]
	v_add_f64 v[0:1], v[0:1], v[4:5]
	s_waitcnt vmcnt(9)
	v_mul_f64 v[4:5], v[248:249], v[138:139]
	v_mul_f64 v[6:7], v[98:99], v[18:19]
	v_fmac_f64_e32 v[4:5], v[250:251], v[136:137]
	v_fma_f64 v[92:93], v[96:97], v[16:17], -v[6:7]
	scratch_load_dwordx4 v[16:19], off, off offset:608
	v_add_f64 v[0:1], v[0:1], v[4:5]
	v_mul_f64 v[4:5], v[106:107], v[26:27]
	v_mul_f64 v[6:7], v[102:103], v[22:23]
	v_fma_f64 v[88:89], v[104:105], v[24:25], -v[4:5]
	v_mul_f64 v[4:5], v[142:143], v[30:31]
	v_fma_f64 v[90:91], v[100:101], v[20:21], -v[6:7]
	v_fma_f64 v[28:29], v[140:141], v[28:29], -v[4:5]
	ds_read_b128 v[4:7], v2 offset:1504
	s_waitcnt vmcnt(9)
	v_mul_f64 v[8:9], v[252:253], v[146:147]
	v_fmac_f64_e32 v[8:9], v[254:255], v[144:145]
	v_add_f64 v[0:1], v[0:1], v[8:9]
	v_mul_f64 v[20:21], v[158:159], v[38:39]
	s_waitcnt vmcnt(8) lgkmcnt(0)
	v_mul_f64 v[8:9], v[4:5], v[150:151]
	v_fmac_f64_e32 v[8:9], v[6:7], v[148:149]
	v_add_f64 v[0:1], v[0:1], v[8:9]
	v_mul_f64 v[8:9], v[154:155], v[34:35]
	v_fma_f64 v[140:141], v[152:153], v[32:33], -v[8:9]
	ds_read_b128 v[8:11], v2 offset:1520
	scratch_load_dwordx4 a[144:147], off, off offset:656
	scratch_load_dwordx4 v[30:33], off, off offset:672
	v_fma_f64 v[142:143], v[156:157], v[36:37], -v[20:21]
	v_mul_f64 v[20:21], v[162:163], v[42:43]
	v_fma_f64 v[152:153], v[160:161], v[40:41], -v[20:21]
	ds_read_b128 v[160:163], v2 offset:1536
	scratch_load_dwordx4 a[148:151], off, off offset:688
	scratch_load_dwordx4 a[152:155], off, off offset:704
	s_waitcnt vmcnt(10)
	v_accvgpr_read_b32 v12, a128
	v_accvgpr_read_b32 v14, a130
	;; [unrolled: 1-line block ×4, first 2 shown]
	v_mul_f64 v[34:35], v[226:227], v[118:119]
	v_fma_f64 v[34:35], v[224:225], v[116:117], -v[34:35]
	v_mul_f64 v[146:147], v[254:255], v[146:147]
	v_mul_f64 v[138:139], v[250:251], v[138:139]
	;; [unrolled: 1-line block ×4, first 2 shown]
	v_fma_f64 v[4:5], v[4:5], v[148:149], -v[6:7]
	s_waitcnt vmcnt(6) lgkmcnt(1)
	v_mul_f64 v[20:21], v[8:9], v[202:203]
	v_fmac_f64_e32 v[20:21], v[10:11], v[200:201]
	v_add_f64 v[0:1], v[0:1], v[20:21]
	v_mul_f64 v[20:21], v[166:167], v[46:47]
	v_fma_f64 v[154:155], v[164:165], v[44:45], -v[20:21]
	s_waitcnt vmcnt(5) lgkmcnt(0)
	v_mul_f64 v[20:21], v[160:161], v[210:211]
	v_fmac_f64_e32 v[20:21], v[162:163], v[208:209]
	v_add_f64 v[0:1], v[0:1], v[20:21]
	v_mul_f64 v[20:21], v[170:171], v[50:51]
	v_fma_f64 v[156:157], v[168:169], v[48:49], -v[20:21]
	ds_read_b128 v[168:171], v2 offset:1552
	scratch_load_dwordx4 v[44:47], off, off offset:720
	scratch_load_dwordx4 a[156:159], off, off offset:736
	ds_read_b128 v[40:43], v2 offset:1568
	ds_read_b128 v[36:39], v2 offset:1584
	v_mul_f64 v[20:21], v[174:175], v[54:55]
	s_waitcnt lgkmcnt(2)
	v_mul_f64 v[48:49], v[168:169], v[230:231]
	v_fma_f64 v[158:159], v[172:173], v[52:53], -v[20:21]
	v_mul_f64 v[20:21], v[178:179], v[58:59]
	v_fmac_f64_e32 v[48:49], v[170:171], v[228:229]
	v_fma_f64 v[164:165], v[176:177], v[56:57], -v[20:21]
	v_add_f64 v[0:1], v[0:1], v[48:49]
	v_mul_f64 v[48:49], v[182:183], v[62:63]
	s_waitcnt lgkmcnt(1)
	v_mul_f64 v[56:57], v[40:41], v[14:15]
	v_fma_f64 v[166:167], v[180:181], v[60:61], -v[48:49]
	scratch_load_dwordx4 v[48:51], off, off offset:752
	scratch_load_dwordx4 v[52:55], off, off offset:768
	v_fmac_f64_e32 v[56:57], v[42:43], v[12:13]
	v_add_f64 v[0:1], v[0:1], v[56:57]
	v_mul_f64 v[56:57], v[186:187], v[66:67]
	v_fma_f64 v[172:173], v[184:185], v[64:65], -v[56:57]
	v_mul_f64 v[56:57], v[190:191], v[70:71]
	v_fma_f64 v[174:175], v[188:189], v[68:69], -v[56:57]
	scratch_load_dwordx4 v[56:59], off, off offset:784
	v_mul_f64 v[60:61], v[194:195], v[74:75]
	v_fma_f64 v[26:27], v[192:193], v[72:73], -v[60:61]
	v_accvgpr_read_b32 v12, a132
	scratch_load_dwordx4 v[60:63], off, off offset:800
	ds_read_b128 v[96:99], v2 offset:1600
	ds_read_b128 v[100:103], v2 offset:1616
	v_accvgpr_read_b32 v14, a134
	v_accvgpr_read_b32 v15, a135
	;; [unrolled: 1-line block ×3, first 2 shown]
	s_waitcnt lgkmcnt(2)
	v_mul_f64 v[64:65], v[36:37], v[14:15]
	v_fmac_f64_e32 v[64:65], v[38:39], v[12:13]
	v_add_f64 v[0:1], v[0:1], v[64:65]
	v_mul_f64 v[64:65], v[198:199], v[78:79]
	s_waitcnt vmcnt(10)
	v_mov_b64_e32 v[12:13], v[16:17]
	v_fma_f64 v[24:25], v[196:197], v[76:77], -v[64:65]
	scratch_load_dwordx4 v[64:67], off, off offset:816
	v_mov_b64_e32 v[14:15], v[18:19]
	s_waitcnt lgkmcnt(1)
	v_mul_f64 v[20:21], v[96:97], v[14:15]
	v_mul_f64 v[68:69], v[206:207], v[82:83]
	v_fmac_f64_e32 v[20:21], v[98:99], v[12:13]
	v_fma_f64 v[22:23], v[204:205], v[80:81], -v[68:69]
	scratch_load_dwordx4 v[68:71], off, off offset:832
	ds_read_b128 v[104:107], v2 offset:1632
	v_accvgpr_read_b32 v12, a136
	v_accvgpr_read_b32 v14, a138
	v_accvgpr_read_b32 v15, a139
	v_accvgpr_read_b32 v13, a137
	s_waitcnt lgkmcnt(1)
	v_mul_f64 v[80:81], v[100:101], v[14:15]
	v_mul_f64 v[72:73], v[218:219], v[110:111]
	v_fma_f64 v[94:95], v[216:217], v[108:109], -v[72:73]
	scratch_load_dwordx4 v[76:79], off, off offset:848
	scratch_load_dwordx4 v[72:75], off, off offset:864
	v_fmac_f64_e32 v[80:81], v[102:103], v[12:13]
	v_accvgpr_read_b32 v12, a140
	ds_read_b128 v[108:111], v2 offset:1648
	v_add_f64 v[0:1], v[0:1], v[20:21]
	v_accvgpr_read_b32 v14, a142
	v_accvgpr_read_b32 v15, a143
	v_accvgpr_write_b32 a163, v19
	v_add_f64 v[0:1], v[0:1], v[80:81]
	v_accvgpr_read_b32 v13, a141
	s_waitcnt lgkmcnt(1)
	v_mul_f64 v[176:177], v[104:105], v[14:15]
	v_mul_f64 v[80:81], v[222:223], v[114:115]
	v_accvgpr_write_b32 a162, v18
	v_accvgpr_write_b32 a161, v17
	;; [unrolled: 1-line block ×3, first 2 shown]
	v_fmac_f64_e32 v[176:177], v[106:107], v[12:13]
	v_fma_f64 v[18:19], v[220:221], v[112:113], -v[80:81]
	ds_read_b128 v[112:115], v2 offset:1664
	s_waitcnt vmcnt(13)
	v_accvgpr_read_b32 v12, a144
	v_accvgpr_read_b32 v14, a146
	;; [unrolled: 1-line block ×3, first 2 shown]
	v_mul_f64 v[20:21], v[214:215], v[86:87]
	scratch_load_dwordx4 v[80:83], off, off offset:880
	v_accvgpr_read_b32 v13, a145
	s_waitcnt lgkmcnt(1)
	v_mul_f64 v[116:117], v[108:109], v[14:15]
	v_fma_f64 v[20:21], v[212:213], v[84:85], -v[20:21]
	v_mul_f64 v[84:85], v[234:235], v[122:123]
	v_fmac_f64_e32 v[116:117], v[110:111], v[12:13]
	s_waitcnt vmcnt(13)
	v_mov_b64_e32 v[12:13], v[30:31]
	v_fma_f64 v[232:233], v[232:233], v[120:121], -v[84:85]
	scratch_load_dwordx4 v[84:87], off, off offset:896
	v_mov_b64_e32 v[14:15], v[32:33]
	s_waitcnt lgkmcnt(0)
	v_mul_f64 v[120:121], v[112:113], v[14:15]
	v_fmac_f64_e32 v[120:121], v[114:115], v[12:13]
	v_fma_f64 v[12:13], v[252:253], v[144:145], -v[146:147]
	scratch_load_dwordx4 v[250:253], off, off offset:912
	scratch_load_dwordx4 v[180:183], off, off offset:928
	;; [unrolled: 1-line block ×7, first 2 shown]
	v_add_f64 v[0:1], v[0:1], v[176:177]
	v_add_f64 v[0:1], v[0:1], v[116:117]
	ds_read_b128 v[116:119], v2 offset:1680
	v_add_f64 v[0:1], v[0:1], v[120:121]
	v_mul_f64 v[120:121], v[238:239], v[126:127]
	v_accvgpr_mov_b32 a167, a147
	v_fma_f64 v[16:17], v[236:237], v[124:125], -v[120:121]
	ds_read_b128 v[120:123], v2 offset:1696
	s_waitcnt vmcnt(20)
	v_accvgpr_read_b32 v237, a151
	v_accvgpr_mov_b32 a166, a146
	v_accvgpr_mov_b32 a165, a145
	;; [unrolled: 1-line block ×3, first 2 shown]
	v_accvgpr_write_b32 a147, v33
	v_accvgpr_read_b32 v236, a150
	v_accvgpr_write_b32 a146, v32
	v_accvgpr_write_b32 a145, v31
	;; [unrolled: 1-line block ×3, first 2 shown]
	v_accvgpr_read_b32 v235, a149
	v_accvgpr_read_b32 v234, a148
	s_waitcnt lgkmcnt(1)
	v_mul_f64 v[32:33], v[116:117], v[236:237]
	v_fmac_f64_e32 v[32:33], v[118:119], v[234:235]
	s_waitcnt vmcnt(19)
	v_accvgpr_read_b32 v237, a155
	v_add_f64 v[0:1], v[0:1], v[32:33]
	v_mul_f64 v[32:33], v[242:243], v[130:131]
	v_accvgpr_read_b32 v236, a154
	v_fma_f64 v[32:33], v[240:241], v[128:129], -v[32:33]
	ds_read_b128 v[124:127], v2 offset:1712
	v_accvgpr_read_b32 v235, a153
	v_accvgpr_read_b32 v234, a152
	s_waitcnt lgkmcnt(1)
	v_mul_f64 v[128:129], v[120:121], v[236:237]
	v_fmac_f64_e32 v[128:129], v[122:123], v[234:235]
	v_add_f64 v[0:1], v[0:1], v[128:129]
	ds_read_b128 v[128:131], v2 offset:1728
	v_fma_f64 v[240:241], v[244:245], v[132:133], -v[134:135]
	ds_read_b128 v[132:135], v2 offset:1744
	s_waitcnt vmcnt(18) lgkmcnt(2)
	v_mul_f64 v[176:177], v[124:125], v[46:47]
	s_waitcnt vmcnt(17)
	v_accvgpr_read_b32 v237, a159
	v_fmac_f64_e32 v[176:177], v[126:127], v[44:45]
	v_accvgpr_read_b32 v236, a158
	v_fma_f64 v[14:15], v[248:249], v[136:137], -v[138:139]
	ds_read_b128 v[136:139], v2 offset:1760
	v_add_f64 v[0:1], v[0:1], v[176:177]
	v_accvgpr_read_b32 v235, a157
	v_accvgpr_read_b32 v234, a156
	s_waitcnt lgkmcnt(2)
	v_mul_f64 v[176:177], v[128:129], v[236:237]
	ds_read_b128 v[242:245], v2 offset:1776
	ds_read_b128 v[144:147], v2 offset:1792
	v_fmac_f64_e32 v[176:177], v[130:131], v[234:235]
	v_add_f64 v[0:1], v[0:1], v[176:177]
	s_waitcnt vmcnt(16) lgkmcnt(3)
	v_mul_f64 v[176:177], v[132:133], v[50:51]
	v_fmac_f64_e32 v[176:177], v[134:135], v[48:49]
	v_add_f64 v[0:1], v[0:1], v[176:177]
	s_waitcnt vmcnt(15) lgkmcnt(2)
	v_mul_f64 v[176:177], v[136:137], v[54:55]
	v_fmac_f64_e32 v[176:177], v[138:139], v[52:53]
	s_waitcnt vmcnt(14) lgkmcnt(1)
	v_mul_f64 v[30:31], v[242:243], v[58:59]
	v_accvgpr_write_b32 a157, v5
	v_add_f64 v[0:1], v[0:1], v[176:177]
	v_fmac_f64_e32 v[30:31], v[244:245], v[56:57]
	v_accvgpr_write_b32 a156, v4
	ds_read_b128 v[148:151], v2 offset:1808
	s_waitcnt vmcnt(13) lgkmcnt(1)
	v_mul_f64 v[4:5], v[144:145], v[62:63]
	v_add_f64 v[0:1], v[0:1], v[30:31]
	v_fmac_f64_e32 v[4:5], v[146:147], v[60:61]
	v_mul_f64 v[10:11], v[10:11], v[202:203]
	v_add_f64 v[0:1], v[0:1], v[4:5]
	ds_read_b128 v[4:7], v2 offset:1824
	v_fma_f64 v[8:9], v[8:9], v[200:201], -v[10:11]
	v_accvgpr_write_b32 a159, v9
	v_accvgpr_write_b32 a158, v8
	ds_read_b128 v[8:11], v2 offset:1840
	s_waitcnt vmcnt(12) lgkmcnt(2)
	v_mul_f64 v[30:31], v[148:149], v[66:67]
	v_fmac_f64_e32 v[30:31], v[150:151], v[64:65]
	v_add_f64 v[0:1], v[0:1], v[30:31]
	s_waitcnt vmcnt(11) lgkmcnt(1)
	v_mul_f64 v[30:31], v[4:5], v[70:71]
	v_mul_f64 v[162:163], v[162:163], v[210:211]
	v_fmac_f64_e32 v[30:31], v[6:7], v[68:69]
	v_fma_f64 v[238:239], v[160:161], v[208:209], -v[162:163]
	ds_read_b128 v[160:163], v2 offset:1856
	v_add_f64 v[0:1], v[0:1], v[30:31]
	s_waitcnt vmcnt(10) lgkmcnt(1)
	v_mul_f64 v[30:31], v[8:9], v[78:79]
	v_fmac_f64_e32 v[30:31], v[10:11], v[76:77]
	ds_read_b128 v[246:249], v2 offset:1872
	v_add_f64 v[0:1], v[0:1], v[30:31]
	v_mul_f64 v[30:31], v[170:171], v[230:231]
	v_fma_f64 v[254:255], v[168:169], v[228:229], -v[30:31]
	ds_read_b128 v[168:171], v2 offset:1888
	s_waitcnt vmcnt(9) lgkmcnt(2)
	v_mul_f64 v[30:31], v[160:161], v[74:75]
	v_fmac_f64_e32 v[30:31], v[162:163], v[72:73]
	ds_read_b128 v[176:179], v2 offset:1904
	ds_read_b128 v[184:187], v2 offset:1920
	v_add_f64 v[0:1], v[0:1], v[30:31]
	s_waitcnt vmcnt(8) lgkmcnt(3)
	v_mul_f64 v[30:31], v[246:247], v[82:83]
	v_fmac_f64_e32 v[30:31], v[248:249], v[80:81]
	v_add_f64 v[0:1], v[0:1], v[30:31]
	s_waitcnt vmcnt(7) lgkmcnt(2)
	v_mul_f64 v[30:31], v[168:169], v[86:87]
	v_fmac_f64_e32 v[30:31], v[170:171], v[84:85]
	ds_read_b128 v[192:195], v2 offset:1936
	ds_read_b128 v[200:203], v2 offset:1952
	v_add_f64 v[0:1], v[0:1], v[30:31]
	s_waitcnt vmcnt(6) lgkmcnt(3)
	v_mul_f64 v[30:31], v[176:177], v[252:253]
	v_fmac_f64_e32 v[30:31], v[178:179], v[250:251]
	v_add_f64 v[0:1], v[0:1], v[30:31]
	;; [unrolled: 10-line block ×3, first 2 shown]
	s_waitcnt vmcnt(3) lgkmcnt(2)
	v_mul_f64 v[30:31], v[200:201], v[198:199]
	v_fmac_f64_e32 v[30:31], v[202:203], v[196:197]
	ds_read_b128 v[224:227], v2 offset:2000
	v_add_f64 v[0:1], v[0:1], v[30:31]
	s_waitcnt vmcnt(2) lgkmcnt(2)
	v_mul_f64 v[30:31], v[208:209], v[206:207]
	v_fmac_f64_e32 v[30:31], v[210:211], v[204:205]
	v_add_f64 v[0:1], v[0:1], v[30:31]
	s_waitcnt vmcnt(1) lgkmcnt(1)
	v_mul_f64 v[30:31], v[216:217], v[214:215]
	v_fmac_f64_e32 v[30:31], v[218:219], v[212:213]
	;; [unrolled: 4-line block ×3, first 2 shown]
	v_add_f64 v[0:1], v[0:1], v[30:31]
	v_accvgpr_read_b32 v30, a168
	v_accvgpr_read_b32 v31, a169
	;; [unrolled: 1-line block ×3, first 2 shown]
	v_add_f64 v[30:31], v[30:31], 0
	v_accvgpr_read_b32 v228, a170
	v_add_f64 v[30:31], v[30:31], v[228:229]
	v_add_f64 v[30:31], v[30:31], v[92:93]
	;; [unrolled: 1-line block ×13, first 2 shown]
	scratch_load_dwordx4 v[228:231], off, off offset:32
	v_add_f64 v[28:29], v[28:29], v[172:173]
	v_add_f64 v[28:29], v[28:29], v[174:175]
	;; [unrolled: 1-line block ×15, first 2 shown]
	v_accvgpr_read_b32 v12, a156
	v_accvgpr_read_b32 v13, a157
	;; [unrolled: 1-line block ×4, first 2 shown]
	v_add_f64 v[12:13], v[240:241], v[12:13]
	v_accvgpr_read_b32 v15, a159
	v_accvgpr_read_b32 v18, a130
	;; [unrolled: 1-line block ×3, first 2 shown]
	v_add_f64 v[12:13], v[12:13], v[14:15]
	v_accvgpr_read_b32 v17, a129
	v_mul_f64 v[14:15], v[42:43], v[18:19]
	v_add_f64 v[12:13], v[12:13], v[238:239]
	v_fma_f64 v[14:15], v[40:41], v[16:17], -v[14:15]
	v_accvgpr_read_b32 v16, a132
	v_add_f64 v[12:13], v[12:13], v[254:255]
	v_accvgpr_read_b32 v18, a134
	v_accvgpr_read_b32 v19, a135
	v_add_f64 v[12:13], v[12:13], v[14:15]
	v_accvgpr_read_b32 v17, a133
	v_mul_f64 v[14:15], v[38:39], v[18:19]
	v_fma_f64 v[14:15], v[36:37], v[16:17], -v[14:15]
	v_accvgpr_read_b32 v16, a160
	v_accvgpr_read_b32 v18, a162
	v_accvgpr_read_b32 v19, a163
	v_add_f64 v[12:13], v[12:13], v[14:15]
	v_accvgpr_read_b32 v17, a161
	v_mul_f64 v[14:15], v[98:99], v[18:19]
	v_fma_f64 v[14:15], v[96:97], v[16:17], -v[14:15]
	v_accvgpr_read_b32 v16, a136
	;; [unrolled: 7-line block ×7, first 2 shown]
	v_accvgpr_read_b32 v18, a154
	v_accvgpr_read_b32 v19, a155
	v_add_f64 v[12:13], v[12:13], v[14:15]
	v_accvgpr_read_b32 v17, a153
	v_mul_f64 v[14:15], v[122:123], v[18:19]
	v_fma_f64 v[14:15], v[120:121], v[16:17], -v[14:15]
	v_add_f64 v[12:13], v[12:13], v[14:15]
	v_mul_f64 v[14:15], v[126:127], v[46:47]
	v_fma_f64 v[14:15], v[124:125], v[44:45], -v[14:15]
	v_add_f64 v[12:13], v[12:13], v[14:15]
	;; [unrolled: 3-line block ×7, first 2 shown]
	v_mul_f64 v[14:15], v[150:151], v[66:67]
	v_fma_f64 v[14:15], v[148:149], v[64:65], -v[14:15]
	v_mul_f64 v[6:7], v[6:7], v[70:71]
	v_add_f64 v[12:13], v[12:13], v[14:15]
	v_fma_f64 v[4:5], v[4:5], v[68:69], -v[6:7]
	v_mul_f64 v[6:7], v[10:11], v[78:79]
	v_add_f64 v[4:5], v[12:13], v[4:5]
	v_fma_f64 v[6:7], v[8:9], v[76:77], -v[6:7]
	v_add_f64 v[4:5], v[4:5], v[6:7]
	v_mul_f64 v[6:7], v[162:163], v[74:75]
	v_fma_f64 v[6:7], v[160:161], v[72:73], -v[6:7]
	v_add_f64 v[4:5], v[4:5], v[6:7]
	v_mul_f64 v[6:7], v[248:249], v[82:83]
	;; [unrolled: 3-line block ×10, first 2 shown]
	v_fma_f64 v[6:7], v[224:225], v[220:221], -v[6:7]
	v_add_f64 v[4:5], v[4:5], v[6:7]
	s_waitcnt vmcnt(0)
	v_add_f64 v[6:7], v[230:231], -v[0:1]
	v_accvgpr_read_b32 v0, a126
	v_add_f64 v[4:5], v[228:229], -v[4:5]
	v_cmp_ne_u32_e32 vcc, 0, v0
	scratch_store_dwordx4 off, v[4:7], off offset:32
	s_and_saveexec_b64 s[0:1], vcc
	s_cbranch_execz .LBB62_403
; %bb.402:
	scratch_load_dwordx4 v[6:9], off, off offset:16
	v_mov_b32_e32 v3, v2
	v_mov_b32_e32 v4, v2
	;; [unrolled: 1-line block ×3, first 2 shown]
	v_accvgpr_read_b32 v0, a127
	scratch_store_dwordx4 off, v[2:5], off offset:16
	s_waitcnt vmcnt(1)
	ds_write_b128 v0, v[6:9]
.LBB62_403:
	s_or_b64 exec, exec, s[0:1]
	s_waitcnt lgkmcnt(0)
	; wave barrier
	scratch_load_dwordx4 v[4:7], off, off offset:32
	scratch_load_dwordx4 v[240:243], off, off offset:48
	;; [unrolled: 1-line block ×17, first 2 shown]
	ds_read_b128 v[168:171], v2 offset:1024
	ds_read_b128 v[144:147], v2 offset:1040
	;; [unrolled: 1-line block ×4, first 2 shown]
	scratch_load_dwordx4 v[76:79], off, off offset:304
	ds_read_b128 v[136:139], v2 offset:1088
	ds_read_b128 v[120:123], v2 offset:1104
	ds_read_b128 v[88:91], v2 offset:1120
	scratch_load_dwordx4 v[80:83], off, off offset:320
	ds_read_b128 v[152:155], v2 offset:1136
	ds_read_b128 v[132:135], v2 offset:1152
	;; [unrolled: 1-line block ×4, first 2 shown]
	scratch_load_dwordx4 v[84:87], off, off offset:336
	ds_read_b128 v[156:159], v2 offset:1200
	ds_read_b128 v[140:143], v2 offset:1216
	;; [unrolled: 1-line block ×3, first 2 shown]
	scratch_load_dwordx4 v[108:111], off, off offset:352
	ds_read_b128 v[160:163], v2 offset:1248
	ds_read_b128 v[148:151], v2 offset:1264
	ds_read_b128 v[128:131], v2 offset:1280
	scratch_load_dwordx4 v[112:115], off, off offset:368
	scratch_load_dwordx4 v[116:119], off, off offset:384
	;; [unrolled: 1-line block ×9, first 2 shown]
	ds_read_b128 v[196:199], v2 offset:1296
	ds_read_b128 v[232:235], v2 offset:1392
	;; [unrolled: 1-line block ×3, first 2 shown]
	scratch_load_dwordx4 a[130:133], off, off offset:576
	scratch_load_dwordx4 a[134:137], off, off offset:640
	;; [unrolled: 1-line block ×3, first 2 shown]
	s_and_b64 vcc, exec, s[18:19]
	ds_read_b128 v[228:231], v2 offset:1376
	scratch_load_dwordx4 a[126:129], off, off offset:560
	s_waitcnt vmcnt(33) lgkmcnt(14)
	v_mul_f64 v[0:1], v[168:169], v[6:7]
	s_waitcnt vmcnt(32)
	v_mul_f64 v[8:9], v[144:145], v[242:243]
	v_fmac_f64_e32 v[0:1], v[170:171], v[4:5]
	s_waitcnt vmcnt(31)
	v_mul_f64 v[10:11], v[124:125], v[246:247]
	v_fmac_f64_e32 v[8:9], v[146:147], v[240:241]
	v_add_f64 v[0:1], v[0:1], 0
	s_waitcnt vmcnt(30)
	v_mul_f64 v[200:201], v[96:97], v[26:27]
	v_fmac_f64_e32 v[10:11], v[126:127], v[244:245]
	v_add_f64 v[0:1], v[0:1], v[8:9]
	;; [unrolled: 4-line block ×5, first 2 shown]
	s_waitcnt vmcnt(26) lgkmcnt(13)
	v_mul_f64 v[208:209], v[152:153], v[254:255]
	v_fmac_f64_e32 v[206:207], v[90:91], v[16:17]
	v_add_f64 v[0:1], v[0:1], v[204:205]
	s_waitcnt vmcnt(25) lgkmcnt(12)
	v_mul_f64 v[210:211], v[132:133], v[40:41]
	v_fmac_f64_e32 v[208:209], v[154:155], v[252:253]
	v_add_f64 v[0:1], v[0:1], v[206:207]
	;; [unrolled: 4-line block ×9, first 2 shown]
	ds_read_b128 v[204:207], v2 offset:1312
	v_fmac_f64_e32 v[224:225], v[150:151], v[68:69]
	v_add_f64 v[0:1], v[0:1], v[222:223]
	s_waitcnt vmcnt(17) lgkmcnt(5)
	v_mul_f64 v[8:9], v[128:129], v[74:75]
	v_add_f64 v[0:1], v[0:1], v[224:225]
	v_fmac_f64_e32 v[8:9], v[130:131], v[72:73]
	ds_read_b128 v[208:211], v2 offset:1328
	ds_read_b128 v[216:219], v2 offset:1344
	v_add_f64 v[0:1], v[0:1], v[8:9]
	s_waitcnt vmcnt(16) lgkmcnt(6)
	v_mul_f64 v[8:9], v[196:197], v[78:79]
	v_fmac_f64_e32 v[8:9], v[198:199], v[76:77]
	v_add_f64 v[0:1], v[0:1], v[8:9]
	s_waitcnt vmcnt(15) lgkmcnt(2)
	v_mul_f64 v[8:9], v[204:205], v[82:83]
	v_fmac_f64_e32 v[8:9], v[206:207], v[80:81]
	ds_read_b128 v[220:223], v2 offset:1360
	v_add_f64 v[0:1], v[0:1], v[8:9]
	s_waitcnt vmcnt(14) lgkmcnt(2)
	v_mul_f64 v[8:9], v[208:209], v[86:87]
	v_fmac_f64_e32 v[8:9], v[210:211], v[84:85]
	v_add_f64 v[0:1], v[0:1], v[8:9]
	s_waitcnt vmcnt(13) lgkmcnt(1)
	v_mul_f64 v[8:9], v[216:217], v[110:111]
	scratch_load_dwordx4 v[200:203], off, off offset:512
	scratch_load_dwordx4 v[212:215], off, off offset:528
	v_fmac_f64_e32 v[8:9], v[218:219], v[108:109]
	v_add_f64 v[0:1], v[0:1], v[8:9]
	s_waitcnt vmcnt(14) lgkmcnt(0)
	v_mul_f64 v[8:9], v[220:221], v[114:115]
	v_fmac_f64_e32 v[8:9], v[222:223], v[112:113]
	v_add_f64 v[0:1], v[0:1], v[8:9]
	s_waitcnt vmcnt(13)
	v_mul_f64 v[8:9], v[228:229], v[118:119]
	scratch_load_dwordx4 v[224:227], off, off offset:544
	v_fmac_f64_e32 v[8:9], v[230:231], v[116:117]
	v_add_f64 v[0:1], v[0:1], v[8:9]
	s_waitcnt vmcnt(13)
	v_mul_f64 v[8:9], v[232:233], v[166:167]
	v_mul_f64 v[6:7], v[170:171], v[6:7]
	v_fmac_f64_e32 v[8:9], v[234:235], v[164:165]
	v_fma_f64 v[46:47], v[168:169], v[4:5], -v[6:7]
	s_waitcnt vmcnt(12)
	v_mul_f64 v[4:5], v[236:237], v[174:175]
	v_add_f64 v[0:1], v[0:1], v[8:9]
	v_fmac_f64_e32 v[4:5], v[238:239], v[172:173]
	v_add_f64 v[0:1], v[0:1], v[4:5]
	v_mul_f64 v[4:5], v[146:147], v[242:243]
	v_fma_f64 v[42:43], v[144:145], v[240:241], -v[4:5]
	v_mul_f64 v[4:5], v[126:127], v[246:247]
	v_fma_f64 v[36:37], v[124:125], v[244:245], -v[4:5]
	scratch_load_dwordx4 v[124:127], off, off offset:592
	ds_read_b128 v[168:171], v2 offset:1424
	ds_read_b128 v[144:147], v2 offset:1440
	v_mul_f64 v[6:7], v[98:99], v[26:27]
	v_fma_f64 v[32:33], v[96:97], v[24:25], -v[6:7]
	v_mul_f64 v[6:7], v[138:139], v[22:23]
	v_fma_f64 v[28:29], v[136:137], v[20:21], -v[6:7]
	scratch_load_dwordx4 v[136:139], off, off offset:608
	ds_read_b128 v[240:243], v2 offset:1456
	ds_read_b128 v[244:247], v2 offset:1472
	s_waitcnt vmcnt(13) lgkmcnt(3)
	v_mul_f64 v[4:5], v[168:169], v[178:179]
	v_fmac_f64_e32 v[4:5], v[170:171], v[176:177]
	v_mul_f64 v[6:7], v[122:123], v[250:251]
	v_add_f64 v[0:1], v[0:1], v[4:5]
	s_waitcnt vmcnt(12) lgkmcnt(2)
	v_mul_f64 v[4:5], v[144:145], v[182:183]
	v_fma_f64 v[24:25], v[120:121], v[248:249], -v[6:7]
	scratch_load_dwordx4 v[120:123], off, off offset:624
	v_fmac_f64_e32 v[4:5], v[146:147], v[180:181]
	ds_read_b128 v[248:251], v2 offset:1488
	v_add_f64 v[0:1], v[0:1], v[4:5]
	s_waitcnt vmcnt(12) lgkmcnt(2)
	v_mul_f64 v[4:5], v[240:241], v[186:187]
	v_fmac_f64_e32 v[4:5], v[242:243], v[184:185]
	v_add_f64 v[0:1], v[0:1], v[4:5]
	s_waitcnt vmcnt(11) lgkmcnt(1)
	v_mul_f64 v[4:5], v[244:245], v[190:191]
	v_fmac_f64_e32 v[4:5], v[246:247], v[188:189]
	;; [unrolled: 4-line block ×3, first 2 shown]
	v_add_f64 v[0:1], v[0:1], v[4:5]
	v_mul_f64 v[4:5], v[90:91], v[18:19]
	v_fma_f64 v[20:21], v[88:89], v[16:17], -v[4:5]
	v_mul_f64 v[4:5], v[154:155], v[254:255]
	v_fma_f64 v[22:23], v[152:153], v[252:253], -v[4:5]
	v_mul_f64 v[4:5], v[134:135], v[40:41]
	ds_read_b128 v[252:255], v2 offset:1504
	v_fma_f64 v[18:19], v[132:133], v[38:39], -v[4:5]
	ds_read_b128 v[4:7], v2 offset:1520
	scratch_load_dwordx4 a[142:145], off, off offset:672
	scratch_load_dwordx4 v[132:135], off, off offset:688
	;; [unrolled: 1-line block ×3, first 2 shown]
	v_mul_f64 v[30:31], v[158:159], v[54:55]
	v_mul_f64 v[44:45], v[142:143], v[58:59]
	v_fma_f64 v[30:31], v[156:157], v[52:53], -v[30:31]
	v_fma_f64 v[156:157], v[140:141], v[56:57], -v[44:45]
	scratch_load_dwordx4 v[140:143], off, off offset:720
	ds_read_b128 v[152:155], v2 offset:1536
	ds_read_b128 v[88:91], v2 offset:1552
	s_waitcnt vmcnt(10)
	v_accvgpr_read_b32 v8, a126
	v_accvgpr_read_b32 v10, a128
	;; [unrolled: 1-line block ×4, first 2 shown]
	s_waitcnt lgkmcnt(0)
	v_mul_f64 v[56:57], v[88:89], v[10:11]
	v_fmac_f64_e32 v[56:57], v[90:91], v[8:9]
	ds_read_b128 v[96:99], v2 offset:1584
	v_accvgpr_read_b32 v8, a130
	v_accvgpr_read_b32 v10, a132
	;; [unrolled: 1-line block ×4, first 2 shown]
	s_waitcnt vmcnt(9)
	v_mul_f64 v[26:27], v[252:253], v[202:203]
	v_fmac_f64_e32 v[26:27], v[254:255], v[200:201]
	s_waitcnt vmcnt(8)
	v_mul_f64 v[40:41], v[4:5], v[214:215]
	v_add_f64 v[0:1], v[0:1], v[26:27]
	v_fmac_f64_e32 v[40:41], v[6:7], v[212:213]
	v_add_f64 v[0:1], v[0:1], v[40:41]
	v_mul_f64 v[40:41], v[94:95], v[50:51]
	v_fma_f64 v[16:17], v[92:93], v[48:49], -v[40:41]
	ds_read_b128 v[92:95], v2 offset:1568
	s_waitcnt vmcnt(7)
	v_mul_f64 v[48:49], v[152:153], v[226:227]
	v_fmac_f64_e32 v[48:49], v[154:155], v[224:225]
	v_mul_f64 v[26:27], v[102:103], v[14:15]
	v_add_f64 v[0:1], v[0:1], v[48:49]
	v_mul_f64 v[48:49], v[106:107], v[62:63]
	s_waitcnt lgkmcnt(0)
	v_mul_f64 v[34:35], v[92:93], v[10:11]
	v_fma_f64 v[26:27], v[100:101], v[12:13], -v[26:27]
	v_fma_f64 v[158:159], v[104:105], v[60:61], -v[48:49]
	scratch_load_dwordx4 v[48:51], off, off offset:736
	v_fmac_f64_e32 v[34:35], v[94:95], v[8:9]
	ds_read_b128 v[100:103], v2 offset:1600
	ds_read_b128 v[104:107], v2 offset:1616
	v_add_f64 v[0:1], v[0:1], v[56:57]
	v_add_f64 v[46:47], v[46:47], 0
	s_waitcnt vmcnt(7)
	v_mov_b64_e32 v[8:9], v[124:125]
	v_mov_b64_e32 v[10:11], v[126:127]
	v_add_f64 v[0:1], v[0:1], v[34:35]
	v_mul_f64 v[34:35], v[96:97], v[10:11]
	v_add_f64 v[42:43], v[46:47], v[42:43]
	v_fmac_f64_e32 v[34:35], v[98:99], v[8:9]
	v_add_f64 v[36:37], v[42:43], v[36:37]
	s_waitcnt vmcnt(6)
	v_mov_b64_e32 v[8:9], v[136:137]
	v_mov_b64_e32 v[10:11], v[138:139]
	v_add_f64 v[32:33], v[36:37], v[32:33]
	scratch_load_dwordx4 v[52:55], off, off offset:752
	v_mul_f64 v[56:57], v[162:163], v[66:67]
	v_add_f64 v[0:1], v[0:1], v[34:35]
	s_waitcnt lgkmcnt(1)
	v_mul_f64 v[34:35], v[100:101], v[10:11]
	v_add_f64 v[28:29], v[32:33], v[28:29]
	v_fma_f64 v[160:161], v[160:161], v[64:65], -v[56:57]
	v_mul_f64 v[56:57], v[150:151], v[70:71]
	v_fmac_f64_e32 v[34:35], v[102:103], v[8:9]
	v_add_f64 v[24:25], v[28:29], v[24:25]
	v_fma_f64 v[162:163], v[148:149], v[68:69], -v[56:57]
	scratch_load_dwordx4 v[56:59], off, off offset:768
	v_add_f64 v[0:1], v[0:1], v[34:35]
	v_mul_f64 v[34:35], v[218:219], v[110:111]
	v_add_f64 v[20:21], v[24:25], v[20:21]
	v_mul_f64 v[60:61], v[130:131], v[74:75]
	v_fma_f64 v[34:35], v[216:217], v[108:109], -v[34:35]
	s_waitcnt vmcnt(7)
	v_mov_b64_e32 v[8:9], v[120:121]
	ds_read_b128 v[108:111], v2 offset:1632
	v_add_f64 v[20:21], v[20:21], v[22:23]
	v_fma_f64 v[14:15], v[128:129], v[72:73], -v[60:61]
	v_mul_f64 v[68:69], v[206:207], v[82:83]
	v_mul_f64 v[72:73], v[210:211], v[86:87]
	v_mov_b64_e32 v[10:11], v[122:123]
	v_add_f64 v[18:19], v[20:21], v[18:19]
	v_mul_f64 v[64:65], v[198:199], v[78:79]
	v_fma_f64 v[198:199], v[204:205], v[80:81], -v[68:69]
	v_fma_f64 v[204:205], v[208:209], v[84:85], -v[72:73]
	s_waitcnt lgkmcnt(1)
	v_mul_f64 v[84:85], v[104:105], v[10:11]
	v_add_f64 v[18:19], v[18:19], v[26:27]
	v_fmac_f64_e32 v[84:85], v[106:107], v[8:9]
	v_mul_f64 v[80:81], v[222:223], v[114:115]
	v_accvgpr_read_b32 v8, a134
	v_add_f64 v[16:17], v[18:19], v[16:17]
	v_fma_f64 v[206:207], v[220:221], v[112:113], -v[80:81]
	v_add_f64 v[0:1], v[0:1], v[84:85]
	v_mul_f64 v[84:85], v[230:231], v[118:119]
	ds_read_b128 v[112:115], v2 offset:1648
	v_accvgpr_read_b32 v10, a136
	v_accvgpr_read_b32 v11, a137
	v_add_f64 v[16:17], v[16:17], v[30:31]
	scratch_load_dwordx4 v[60:63], off, off offset:784
	v_fma_f64 v[12:13], v[228:229], v[116:117], -v[84:85]
	v_accvgpr_read_b32 v9, a135
	s_waitcnt lgkmcnt(1)
	v_mul_f64 v[116:117], v[108:109], v[10:11]
	v_add_f64 v[16:17], v[16:17], v[156:157]
	v_fmac_f64_e32 v[116:117], v[110:111], v[8:9]
	v_add_f64 v[16:17], v[16:17], v[158:159]
	v_fma_f64 v[196:197], v[196:197], v[76:77], -v[64:65]
	scratch_load_dwordx4 v[64:67], off, off offset:800
	v_add_f64 v[0:1], v[0:1], v[116:117]
	ds_read_b128 v[116:119], v2 offset:1664
	v_accvgpr_read_b32 v8, a138
	v_add_f64 v[16:17], v[16:17], v[160:161]
	v_accvgpr_write_b32 a153, v127
	scratch_load_dwordx4 v[68:71], off, off offset:816
	scratch_load_dwordx4 v[72:75], off, off offset:832
	v_accvgpr_read_b32 v10, a140
	v_accvgpr_read_b32 v11, a141
	v_add_f64 v[16:17], v[16:17], v[162:163]
	v_accvgpr_write_b32 a152, v126
	v_accvgpr_write_b32 a151, v125
	;; [unrolled: 1-line block ×4, first 2 shown]
	v_accvgpr_read_b32 v9, a139
	s_waitcnt lgkmcnt(1)
	v_mul_f64 v[124:125], v[112:113], v[10:11]
	v_add_f64 v[14:15], v[16:17], v[14:15]
	v_accvgpr_write_b32 a160, v122
	v_accvgpr_write_b32 a159, v121
	v_accvgpr_write_b32 a158, v120
	v_mul_f64 v[38:39], v[234:235], v[166:167]
	v_mul_f64 v[120:121], v[238:239], v[174:175]
	v_fmac_f64_e32 v[124:125], v[114:115], v[8:9]
	s_waitcnt vmcnt(10)
	v_accvgpr_read_b32 v8, a142
	v_add_f64 v[14:15], v[14:15], v[196:197]
	v_fma_f64 v[38:39], v[232:233], v[164:165], -v[38:39]
	v_fma_f64 v[232:233], v[236:237], v[172:173], -v[120:121]
	ds_read_b128 v[120:123], v2 offset:1680
	v_accvgpr_read_b32 v10, a144
	v_accvgpr_read_b32 v11, a145
	v_add_f64 v[14:15], v[14:15], v[198:199]
	v_add_f64 v[0:1], v[0:1], v[124:125]
	v_accvgpr_read_b32 v9, a143
	s_waitcnt lgkmcnt(1)
	v_mul_f64 v[124:125], v[116:117], v[10:11]
	v_add_f64 v[14:15], v[14:15], v[204:205]
	v_fmac_f64_e32 v[124:125], v[118:119], v[8:9]
	v_add_f64 v[14:15], v[14:15], v[34:35]
	v_add_f64 v[0:1], v[0:1], v[124:125]
	v_mul_f64 v[124:125], v[170:171], v[178:179]
	s_waitcnt vmcnt(9)
	v_mov_b64_e32 v[8:9], v[132:133]
	v_add_f64 v[14:15], v[14:15], v[206:207]
	scratch_load_dwordx4 v[76:79], off, off offset:848
	scratch_load_dwordx4 v[80:83], off, off offset:864
	v_fma_f64 v[234:235], v[168:169], v[176:177], -v[124:125]
	ds_read_b128 v[124:127], v2 offset:1696
	v_mov_b64_e32 v[10:11], v[134:135]
	v_add_f64 v[12:13], v[14:15], v[12:13]
	s_waitcnt lgkmcnt(1)
	v_mul_f64 v[128:129], v[120:121], v[10:11]
	v_add_f64 v[12:13], v[12:13], v[38:39]
	v_fmac_f64_e32 v[128:129], v[122:123], v[8:9]
	v_add_f64 v[12:13], v[12:13], v[232:233]
	v_add_f64 v[0:1], v[0:1], v[128:129]
	ds_read_b128 v[128:131], v2 offset:1712
	v_add_f64 v[12:13], v[12:13], v[234:235]
	scratch_load_dwordx4 v[232:235], off, off offset:16
	s_waitcnt vmcnt(11)
	v_accvgpr_read_b32 v8, a146
	scratch_load_dwordx4 v[84:87], off, off offset:880
	scratch_load_dwordx4 v[172:175], off, off offset:896
	v_accvgpr_write_b32 a165, v135
	v_accvgpr_read_b32 v10, a148
	v_accvgpr_read_b32 v11, a149
	v_accvgpr_write_b32 a157, v139
	v_accvgpr_write_b32 a164, v134
	;; [unrolled: 1-line block ×4, first 2 shown]
	v_accvgpr_read_b32 v9, a147
	s_waitcnt lgkmcnt(1)
	v_mul_f64 v[132:133], v[124:125], v[10:11]
	v_accvgpr_write_b32 a156, v138
	v_accvgpr_write_b32 a155, v137
	;; [unrolled: 1-line block ×3, first 2 shown]
	v_fmac_f64_e32 v[132:133], v[126:127], v[8:9]
	s_waitcnt vmcnt(12)
	v_mov_b64_e32 v[136:137], v[140:141]
	v_add_f64 v[0:1], v[0:1], v[132:133]
	v_mul_f64 v[132:133], v[146:147], v[182:183]
	v_mov_b64_e32 v[138:139], v[142:143]
	v_fma_f64 v[10:11], v[144:145], v[180:181], -v[132:133]
	s_waitcnt lgkmcnt(0)
	v_mul_f64 v[40:41], v[128:129], v[138:139]
	scratch_load_dwordx4 v[180:183], off, off offset:912
	v_fmac_f64_e32 v[40:41], v[130:131], v[136:137]
	v_mul_f64 v[144:145], v[246:247], v[190:191]
	v_add_f64 v[0:1], v[0:1], v[40:41]
	v_mul_f64 v[40:41], v[242:243], v[186:187]
	v_fma_f64 v[242:243], v[244:245], v[188:189], -v[144:145]
	scratch_load_dwordx4 v[188:191], off, off offset:928
	ds_read_b128 v[132:135], v2 offset:1728
	ds_read_b128 v[136:139], v2 offset:1744
	v_accvgpr_write_b32 a169, v143
	v_accvgpr_write_b32 a168, v142
	;; [unrolled: 1-line block ×4, first 2 shown]
	s_waitcnt vmcnt(13) lgkmcnt(1)
	v_mul_f64 v[140:141], v[132:133], v[50:51]
	v_fmac_f64_e32 v[140:141], v[134:135], v[48:49]
	v_add_f64 v[0:1], v[0:1], v[140:141]
	ds_read_b128 v[140:143], v2 offset:1760
	ds_read_b128 v[144:147], v2 offset:1776
	s_waitcnt vmcnt(12) lgkmcnt(2)
	v_mul_f64 v[148:149], v[136:137], v[54:55]
	v_fmac_f64_e32 v[148:149], v[138:139], v[52:53]
	v_add_f64 v[0:1], v[0:1], v[148:149]
	s_waitcnt vmcnt(11) lgkmcnt(1)
	v_mul_f64 v[148:149], v[140:141], v[58:59]
	v_fmac_f64_e32 v[148:149], v[142:143], v[56:57]
	v_add_f64 v[0:1], v[0:1], v[148:149]
	v_mul_f64 v[148:149], v[250:251], v[194:195]
	v_fma_f64 v[8:9], v[248:249], v[192:193], -v[148:149]
	ds_read_b128 v[148:151], v2 offset:1792
	ds_read_b128 v[244:247], v2 offset:1808
	s_waitcnt vmcnt(10) lgkmcnt(2)
	v_mul_f64 v[44:45], v[144:145], v[62:63]
	ds_read_b128 v[248:251], v2 offset:1824
	v_fmac_f64_e32 v[44:45], v[146:147], v[60:61]
	v_add_f64 v[0:1], v[0:1], v[44:45]
	s_waitcnt vmcnt(9) lgkmcnt(2)
	v_mul_f64 v[44:45], v[148:149], v[66:67]
	v_mul_f64 v[6:7], v[6:7], v[214:215]
	v_fmac_f64_e32 v[44:45], v[150:151], v[64:65]
	s_waitcnt vmcnt(8) lgkmcnt(1)
	v_mul_f64 v[164:165], v[244:245], v[70:71]
	v_fma_f64 v[4:5], v[4:5], v[212:213], -v[6:7]
	v_add_f64 v[0:1], v[0:1], v[44:45]
	v_fmac_f64_e32 v[164:165], v[246:247], v[68:69]
	v_accvgpr_write_b32 a171, v5
	v_add_f64 v[0:1], v[0:1], v[164:165]
	v_accvgpr_write_b32 a170, v4
	ds_read_b128 v[4:7], v2 offset:1840
	s_waitcnt vmcnt(7) lgkmcnt(1)
	v_mul_f64 v[164:165], v[248:249], v[74:75]
	v_fmac_f64_e32 v[164:165], v[250:251], v[72:73]
	v_add_f64 v[0:1], v[0:1], v[164:165]
	ds_read_b128 v[164:167], v2 offset:1856
	ds_read_b128 v[168:171], v2 offset:1872
	v_mul_f64 v[154:155], v[154:155], v[226:227]
	v_fma_f64 v[40:41], v[240:241], v[184:185], -v[40:41]
	v_fma_f64 v[240:241], v[152:153], v[224:225], -v[154:155]
	s_waitcnt vmcnt(6) lgkmcnt(2)
	v_mul_f64 v[152:153], v[4:5], v[78:79]
	v_fmac_f64_e32 v[152:153], v[6:7], v[76:77]
	ds_read_b128 v[176:179], v2 offset:1888
	ds_read_b128 v[184:187], v2 offset:1904
	v_add_f64 v[0:1], v[0:1], v[152:153]
	s_waitcnt vmcnt(5) lgkmcnt(3)
	v_mul_f64 v[152:153], v[164:165], v[82:83]
	v_fmac_f64_e32 v[152:153], v[166:167], v[80:81]
	v_add_f64 v[0:1], v[0:1], v[152:153]
	s_waitcnt vmcnt(3) lgkmcnt(2)
	v_mul_f64 v[152:153], v[168:169], v[86:87]
	v_fmac_f64_e32 v[152:153], v[170:171], v[84:85]
	ds_read_b128 v[192:195], v2 offset:1920
	v_add_f64 v[0:1], v[0:1], v[152:153]
	s_waitcnt vmcnt(2) lgkmcnt(2)
	v_mul_f64 v[152:153], v[176:177], v[174:175]
	v_fmac_f64_e32 v[152:153], v[178:179], v[172:173]
	v_add_f64 v[0:1], v[0:1], v[152:153]
	v_mul_f64 v[44:45], v[254:255], v[202:203]
	v_fma_f64 v[44:45], v[252:253], v[200:201], -v[44:45]
	ds_read_b128 v[200:203], v2 offset:1936
	scratch_load_dwordx4 v[252:255], off, off offset:960
	ds_read_b128 v[216:219], v2 offset:1968
	ds_read_b128 v[224:227], v2 offset:1984
	v_add_f64 v[10:11], v[12:13], v[10:11]
	v_add_f64 v[10:11], v[10:11], v[40:41]
	;; [unrolled: 1-line block ×4, first 2 shown]
	v_accvgpr_read_b32 v12, a126
	v_add_f64 v[242:243], v[8:9], v[44:45]
	v_accvgpr_read_b32 v8, a170
	v_accvgpr_read_b32 v14, a128
	s_waitcnt vmcnt(2) lgkmcnt(4)
	v_mul_f64 v[152:153], v[184:185], v[182:183]
	v_fmac_f64_e32 v[152:153], v[186:187], v[180:181]
	v_add_f64 v[0:1], v[0:1], v[152:153]
	v_accvgpr_read_b32 v15, a129
	v_accvgpr_read_b32 v9, a171
	;; [unrolled: 1-line block ×3, first 2 shown]
	s_waitcnt vmcnt(1) lgkmcnt(3)
	v_mul_f64 v[152:153], v[192:193], v[190:191]
	v_fmac_f64_e32 v[152:153], v[194:195], v[188:189]
	v_add_f64 v[0:1], v[0:1], v[152:153]
	scratch_load_dwordx4 v[152:155], off, off offset:944
	v_mul_f64 v[10:11], v[90:91], v[14:15]
	v_add_f64 v[8:9], v[242:243], v[8:9]
	v_fma_f64 v[10:11], v[88:89], v[12:13], -v[10:11]
	v_accvgpr_read_b32 v12, a130
	v_add_f64 v[8:9], v[8:9], v[240:241]
	v_accvgpr_read_b32 v14, a132
	v_accvgpr_read_b32 v15, a133
	v_add_f64 v[8:9], v[8:9], v[10:11]
	v_accvgpr_read_b32 v13, a131
	v_mul_f64 v[10:11], v[94:95], v[14:15]
	v_fma_f64 v[10:11], v[92:93], v[12:13], -v[10:11]
	v_accvgpr_read_b32 v12, a150
	v_accvgpr_read_b32 v14, a152
	v_accvgpr_read_b32 v15, a153
	v_add_f64 v[8:9], v[8:9], v[10:11]
	v_accvgpr_read_b32 v13, a151
	v_mul_f64 v[10:11], v[98:99], v[14:15]
	v_fma_f64 v[10:11], v[96:97], v[12:13], -v[10:11]
	v_accvgpr_read_b32 v12, a154
	;; [unrolled: 7-line block ×9, first 2 shown]
	v_accvgpr_read_b32 v14, a168
	v_accvgpr_read_b32 v15, a169
	v_add_f64 v[8:9], v[8:9], v[10:11]
	v_accvgpr_read_b32 v13, a167
	v_mul_f64 v[10:11], v[130:131], v[14:15]
	v_fma_f64 v[10:11], v[128:129], v[12:13], -v[10:11]
	v_add_f64 v[8:9], v[8:9], v[10:11]
	v_mul_f64 v[10:11], v[134:135], v[50:51]
	v_fma_f64 v[10:11], v[132:133], v[48:49], -v[10:11]
	v_add_f64 v[8:9], v[8:9], v[10:11]
	v_mul_f64 v[10:11], v[138:139], v[54:55]
	s_waitcnt vmcnt(0) lgkmcnt(2)
	v_mul_f64 v[208:209], v[200:201], v[154:155]
	v_fmac_f64_e32 v[208:209], v[202:203], v[152:153]
	v_add_f64 v[0:1], v[0:1], v[208:209]
	ds_read_b128 v[208:211], v2 offset:1952
	v_fma_f64 v[10:11], v[136:137], v[52:53], -v[10:11]
	v_add_f64 v[8:9], v[8:9], v[10:11]
	v_mul_f64 v[10:11], v[142:143], v[58:59]
	v_fma_f64 v[10:11], v[140:141], v[56:57], -v[10:11]
	s_waitcnt lgkmcnt(0)
	v_mul_f64 v[212:213], v[208:209], v[254:255]
	v_fmac_f64_e32 v[212:213], v[210:211], v[252:253]
	v_add_f64 v[0:1], v[0:1], v[212:213]
	scratch_load_dwordx4 v[212:215], off, off offset:976
	v_add_f64 v[8:9], v[8:9], v[10:11]
	v_mul_f64 v[10:11], v[146:147], v[62:63]
	v_fma_f64 v[10:11], v[144:145], v[60:61], -v[10:11]
	v_add_f64 v[8:9], v[8:9], v[10:11]
	v_mul_f64 v[10:11], v[150:151], v[66:67]
	v_fma_f64 v[10:11], v[148:149], v[64:65], -v[10:11]
	v_add_f64 v[8:9], v[8:9], v[10:11]
	v_mul_f64 v[10:11], v[246:247], v[70:71]
	v_fma_f64 v[10:11], v[244:245], v[68:69], -v[10:11]
	v_add_f64 v[8:9], v[8:9], v[10:11]
	v_mul_f64 v[10:11], v[250:251], v[74:75]
	v_fma_f64 v[10:11], v[248:249], v[72:73], -v[10:11]
	v_mul_f64 v[6:7], v[6:7], v[78:79]
	v_add_f64 v[8:9], v[8:9], v[10:11]
	v_fma_f64 v[4:5], v[4:5], v[76:77], -v[6:7]
	v_mul_f64 v[6:7], v[166:167], v[82:83]
	v_add_f64 v[4:5], v[8:9], v[4:5]
	v_fma_f64 v[6:7], v[164:165], v[80:81], -v[6:7]
	v_add_f64 v[4:5], v[4:5], v[6:7]
	v_mul_f64 v[6:7], v[170:171], v[86:87]
	v_fma_f64 v[6:7], v[168:169], v[84:85], -v[6:7]
	v_add_f64 v[4:5], v[4:5], v[6:7]
	v_mul_f64 v[6:7], v[178:179], v[174:175]
	v_fma_f64 v[6:7], v[176:177], v[172:173], -v[6:7]
	v_add_f64 v[4:5], v[4:5], v[6:7]
	v_mul_f64 v[6:7], v[186:187], v[182:183]
	v_fma_f64 v[6:7], v[184:185], v[180:181], -v[6:7]
	v_add_f64 v[4:5], v[4:5], v[6:7]
	v_mul_f64 v[6:7], v[194:195], v[190:191]
	v_fma_f64 v[6:7], v[192:193], v[188:189], -v[6:7]
	v_add_f64 v[4:5], v[4:5], v[6:7]
	v_mul_f64 v[6:7], v[202:203], v[154:155]
	v_fma_f64 v[6:7], v[200:201], v[152:153], -v[6:7]
	v_add_f64 v[4:5], v[4:5], v[6:7]
	v_mul_f64 v[6:7], v[210:211], v[254:255]
	v_fma_f64 v[6:7], v[208:209], v[252:253], -v[6:7]
	v_add_f64 v[4:5], v[4:5], v[6:7]
	s_waitcnt vmcnt(0)
	v_mul_f64 v[220:221], v[216:217], v[214:215]
	v_fmac_f64_e32 v[220:221], v[218:219], v[212:213]
	v_add_f64 v[0:1], v[0:1], v[220:221]
	scratch_load_dwordx4 v[220:223], off, off offset:992
	v_mul_f64 v[6:7], v[218:219], v[214:215]
	v_fma_f64 v[6:7], v[216:217], v[212:213], -v[6:7]
	v_add_f64 v[4:5], v[4:5], v[6:7]
	s_waitcnt vmcnt(0)
	v_mul_f64 v[228:229], v[224:225], v[222:223]
	v_fmac_f64_e32 v[228:229], v[226:227], v[220:221]
	v_add_f64 v[236:237], v[0:1], v[228:229]
	scratch_load_dwordx4 v[228:231], off, off offset:1008
	ds_read_b128 v[0:3], v2 offset:2000
	v_mul_f64 v[6:7], v[226:227], v[222:223]
	v_fma_f64 v[6:7], v[224:225], v[220:221], -v[6:7]
	v_add_f64 v[4:5], v[4:5], v[6:7]
	s_waitcnt vmcnt(0) lgkmcnt(0)
	v_mul_f64 v[238:239], v[0:1], v[230:231]
	v_fmac_f64_e32 v[238:239], v[2:3], v[228:229]
	v_mul_f64 v[2:3], v[2:3], v[230:231]
	v_fma_f64 v[0:1], v[0:1], v[228:229], -v[2:3]
	v_add_f64 v[236:237], v[236:237], v[238:239]
	v_add_f64 v[0:1], v[4:5], v[0:1]
	v_add_f64 v[0:1], v[232:233], -v[0:1]
	v_add_f64 v[2:3], v[234:235], -v[236:237]
	scratch_store_dwordx4 off, v[0:3], off offset:16
	s_cbranch_vccz .LBB62_528
; %bb.404:
	s_nop 0
	v_mov_b32_e32 v0, 0
	global_load_dword v1, v0, s[16:17] offset:244
	s_waitcnt vmcnt(0)
	v_readfirstlane_b32 s0, v1
	s_add_i32 s0, s0, -1
	s_cmp_lg_u32 s0, 61
	s_cbranch_scc0 .LBB62_406
; %bb.405:
	s_lshl_b32 s0, s0, 4
	s_add_i32 s0, s0, 16
	scratch_load_dwordx4 v[2:5], off, s0
	scratch_load_dwordx4 v[6:9], off, s28
	s_waitcnt vmcnt(1)
	scratch_store_dwordx4 off, v[2:5], s28
	s_waitcnt vmcnt(1)
	scratch_store_dwordx4 off, v[6:9], s0
.LBB62_406:
	global_load_dword v0, v0, s[16:17] offset:240
	s_waitcnt vmcnt(0)
	v_readfirstlane_b32 s0, v0
	s_add_i32 s0, s0, -1
	s_cmp_eq_u32 s0, 60
	s_cbranch_scc1 .LBB62_408
; %bb.407:
	s_lshl_b32 s0, s0, 4
	s_add_i32 s0, s0, 16
	scratch_load_dwordx4 v[0:3], off, s0
	scratch_load_dwordx4 v[4:7], off, s27
	s_waitcnt vmcnt(1)
	scratch_store_dwordx4 off, v[0:3], s27
	s_waitcnt vmcnt(1)
	scratch_store_dwordx4 off, v[4:7], s0
.LBB62_408:
	v_mov_b32_e32 v0, 0
	global_load_dword v1, v0, s[16:17] offset:236
	s_waitcnt vmcnt(0)
	v_readfirstlane_b32 s0, v1
	s_add_i32 s0, s0, -1
	s_cmp_eq_u32 s0, 59
	s_cbranch_scc1 .LBB62_410
; %bb.409:
	s_lshl_b32 s0, s0, 4
	s_add_i32 s0, s0, 16
	scratch_load_dwordx4 v[2:5], off, s0
	scratch_load_dwordx4 v[6:9], off, s26
	s_waitcnt vmcnt(1)
	scratch_store_dwordx4 off, v[2:5], s26
	s_waitcnt vmcnt(1)
	scratch_store_dwordx4 off, v[6:9], s0
.LBB62_410:
	global_load_dword v0, v0, s[16:17] offset:232
	s_waitcnt vmcnt(0)
	v_readfirstlane_b32 s0, v0
	s_add_i32 s0, s0, -1
	s_cmp_eq_u32 s0, 58
	s_cbranch_scc1 .LBB62_412
; %bb.411:
	s_lshl_b32 s0, s0, 4
	s_add_i32 s0, s0, 16
	scratch_load_dwordx4 v[0:3], off, s0
	scratch_load_dwordx4 v[4:7], off, s31
	s_waitcnt vmcnt(1)
	scratch_store_dwordx4 off, v[0:3], s31
	s_waitcnt vmcnt(1)
	scratch_store_dwordx4 off, v[4:7], s0
.LBB62_412:
	v_mov_b32_e32 v0, 0
	global_load_dword v1, v0, s[16:17] offset:228
	s_waitcnt vmcnt(0)
	v_readfirstlane_b32 s0, v1
	s_add_i32 s0, s0, -1
	s_cmp_eq_u32 s0, 57
	s_cbranch_scc1 .LBB62_414
; %bb.413:
	s_lshl_b32 s0, s0, 4
	s_add_i32 s0, s0, 16
	scratch_load_dwordx4 v[2:5], off, s0
	scratch_load_dwordx4 v[6:9], off, s30
	s_waitcnt vmcnt(1)
	scratch_store_dwordx4 off, v[2:5], s30
	s_waitcnt vmcnt(1)
	scratch_store_dwordx4 off, v[6:9], s0
.LBB62_414:
	;; [unrolled: 33-line block ×30, first 2 shown]
	global_load_dword v0, v0, s[16:17]
	s_waitcnt vmcnt(0)
	v_readfirstlane_b32 s0, v0
	s_add_i32 s0, s0, -1
	s_cmp_eq_u32 s0, 0
	s_cbranch_scc1 .LBB62_528
; %bb.527:
	s_lshl_b32 s0, s0, 4
	s_add_i32 s0, s0, 16
	scratch_load_dwordx4 v[0:3], off, s0
	scratch_load_dwordx4 v[4:7], off, off offset:16
	s_waitcnt vmcnt(1)
	scratch_store_dwordx4 off, v[0:3], off offset:16
	s_waitcnt vmcnt(1)
	scratch_store_dwordx4 off, v[4:7], s0
.LBB62_528:
	scratch_load_dwordx4 v[0:3], off, off offset:16
	s_nop 0
	scratch_load_dwordx4 v[4:7], off, s88
	scratch_load_dwordx4 v[8:11], off, s87
	;; [unrolled: 1-line block ×30, first 2 shown]
	v_accvgpr_read_b32 v125, a1
	v_accvgpr_read_b32 v124, a0
	;; [unrolled: 1-line block ×22, first 2 shown]
	s_waitcnt vmcnt(30)
	global_store_dwordx4 v[124:125], v[0:3], off
	scratch_load_dwordx4 v[0:3], off, s57
	s_nop 0
	scratch_load_dwordx4 v[124:127], off, s58
	s_waitcnt vmcnt(32)
	global_store_dwordx4 v[128:129], v[4:7], off
	v_accvgpr_read_b32 v129, a7
	v_accvgpr_read_b32 v128, a6
	v_accvgpr_read_b32 v4, a4
	v_accvgpr_read_b32 v5, a5
	s_waitcnt vmcnt(32)
	global_store_dwordx4 v[4:5], v[8:11], off
	scratch_load_dwordx4 v[4:7], off, s55
	s_nop 0
	scratch_load_dwordx4 v[8:11], off, s56
	s_waitcnt vmcnt(34)
	global_store_dwordx4 v[128:129], v[12:15], off
	scratch_load_dwordx4 v[12:15], off, s53
	s_nop 0
	scratch_load_dwordx4 v[128:131], off, s54
	s_waitcnt vmcnt(36)
	global_store_dwordx4 v[132:133], v[16:19], off
	scratch_load_dwordx4 v[16:19], off, s51
	s_nop 0
	scratch_load_dwordx4 v[132:135], off, s52
	s_waitcnt vmcnt(38)
	global_store_dwordx4 v[136:137], v[20:23], off
	v_accvgpr_read_b32 v137, a15
	v_accvgpr_read_b32 v136, a14
	v_accvgpr_read_b32 v21, a13
	v_accvgpr_read_b32 v20, a12
	s_waitcnt vmcnt(38)
	global_store_dwordx4 v[20:21], v[24:27], off
	scratch_load_dwordx4 v[20:23], off, s49
	s_nop 0
	scratch_load_dwordx4 v[24:27], off, s50
	s_waitcnt vmcnt(40)
	global_store_dwordx4 v[136:137], v[28:31], off
	scratch_load_dwordx4 v[28:31], off, s47
	s_nop 0
	scratch_load_dwordx4 v[136:139], off, s48
	s_waitcnt vmcnt(42)
	global_store_dwordx4 v[140:141], v[32:35], off
	scratch_load_dwordx4 v[32:35], off, s45
	s_nop 0
	scratch_load_dwordx4 v[140:143], off, s46
	s_waitcnt vmcnt(44)
	global_store_dwordx4 v[144:145], v[36:39], off
	v_accvgpr_read_b32 v145, a23
	v_accvgpr_read_b32 v144, a22
	v_accvgpr_read_b32 v37, a21
	v_accvgpr_read_b32 v36, a20
	s_waitcnt vmcnt(44)
	global_store_dwordx4 v[36:37], v[40:43], off
	scratch_load_dwordx4 v[36:39], off, s43
	s_nop 0
	scratch_load_dwordx4 v[40:43], off, s44
	s_waitcnt vmcnt(46)
	global_store_dwordx4 v[144:145], v[44:47], off
	scratch_load_dwordx4 v[44:47], off, s41
	s_nop 0
	scratch_load_dwordx4 v[144:147], off, s42
	s_waitcnt vmcnt(48)
	global_store_dwordx4 v[148:149], v[48:51], off
	scratch_load_dwordx4 v[48:51], off, s39
	s_nop 0
	scratch_load_dwordx4 v[148:151], off, s40
	s_waitcnt vmcnt(50)
	global_store_dwordx4 v[152:153], v[52:55], off
	v_accvgpr_read_b32 v153, a31
	v_accvgpr_read_b32 v152, a30
	v_accvgpr_read_b32 v53, a29
	v_accvgpr_read_b32 v52, a28
	s_waitcnt vmcnt(50)
	global_store_dwordx4 v[52:53], v[56:59], off
	scratch_load_dwordx4 v[52:55], off, s37
	s_nop 0
	scratch_load_dwordx4 v[56:59], off, s38
	s_waitcnt vmcnt(52)
	global_store_dwordx4 v[152:153], v[60:63], off
	scratch_load_dwordx4 v[60:63], off, s35
	s_nop 0
	scratch_load_dwordx4 v[152:155], off, s36
	s_waitcnt vmcnt(54)
	global_store_dwordx4 v[156:157], v[64:67], off
	scratch_load_dwordx4 v[64:67], off, s33
	s_nop 0
	scratch_load_dwordx4 v[156:159], off, s34
	s_waitcnt vmcnt(56)
	global_store_dwordx4 v[160:161], v[68:71], off
	v_accvgpr_read_b32 v161, a39
	v_accvgpr_read_b32 v160, a38
	;; [unrolled: 1-line block ×4, first 2 shown]
	s_waitcnt vmcnt(56)
	global_store_dwordx4 v[68:69], v[72:75], off
	scratch_load_dwordx4 v[68:71], off, s30
	s_nop 0
	scratch_load_dwordx4 v[72:75], off, s31
	s_waitcnt vmcnt(58)
	global_store_dwordx4 v[160:161], v[76:79], off
	s_nop 1
	v_accvgpr_read_b32 v77, a41
	v_accvgpr_read_b32 v76, a40
	s_waitcnt vmcnt(58)
	global_store_dwordx4 v[76:77], v[80:83], off
	scratch_load_dwordx4 v[76:79], off, s26
	s_nop 0
	scratch_load_dwordx4 v[80:83], off, s27
	scratch_load_dwordx4 v[160:163], off, s28
	;; [unrolled: 1-line block ×3, first 2 shown]
	s_waitcnt vmcnt(62)
	global_store_dwordx4 v[168:169], v[84:87], off
	s_nop 1
	v_accvgpr_read_b32 v85, a45
	v_accvgpr_read_b32 v84, a44
	s_waitcnt vmcnt(62)
	global_store_dwordx4 v[84:85], v[88:91], off
	v_accvgpr_read_b32 v85, a47
	v_accvgpr_read_b32 v84, a46
	s_waitcnt vmcnt(62)
	global_store_dwordx4 v[84:85], v[92:95], off
	;; [unrolled: 4-line block ×10, first 2 shown]
	s_nop 1
	v_accvgpr_read_b32 v0, a64
	v_accvgpr_read_b32 v1, a65
	s_waitcnt vmcnt(61)
	global_store_dwordx4 v[0:1], v[124:127], off
	v_accvgpr_read_b32 v0, a66
	v_accvgpr_read_b32 v1, a67
	s_waitcnt vmcnt(59)
	global_store_dwordx4 v[0:1], v[4:7], off
	;; [unrolled: 4-line block ×31, first 2 shown]
	s_endpgm
	.section	.rodata,"a",@progbits
	.p2align	6, 0x0
	.amdhsa_kernel _ZN9rocsolver6v33100L18getri_kernel_smallILi63E19rocblas_complex_numIdEPS3_EEvT1_iilPiilS6_bb
		.amdhsa_group_segment_fixed_size 2024
		.amdhsa_private_segment_fixed_size 1040
		.amdhsa_kernarg_size 60
		.amdhsa_user_sgpr_count 2
		.amdhsa_user_sgpr_dispatch_ptr 0
		.amdhsa_user_sgpr_queue_ptr 0
		.amdhsa_user_sgpr_kernarg_segment_ptr 1
		.amdhsa_user_sgpr_dispatch_id 0
		.amdhsa_user_sgpr_kernarg_preload_length 0
		.amdhsa_user_sgpr_kernarg_preload_offset 0
		.amdhsa_user_sgpr_private_segment_size 0
		.amdhsa_uses_dynamic_stack 0
		.amdhsa_enable_private_segment 1
		.amdhsa_system_sgpr_workgroup_id_x 1
		.amdhsa_system_sgpr_workgroup_id_y 0
		.amdhsa_system_sgpr_workgroup_id_z 0
		.amdhsa_system_sgpr_workgroup_info 0
		.amdhsa_system_vgpr_workitem_id 0
		.amdhsa_next_free_vgpr 428
		.amdhsa_next_free_sgpr 89
		.amdhsa_accum_offset 256
		.amdhsa_reserve_vcc 1
		.amdhsa_float_round_mode_32 0
		.amdhsa_float_round_mode_16_64 0
		.amdhsa_float_denorm_mode_32 3
		.amdhsa_float_denorm_mode_16_64 3
		.amdhsa_dx10_clamp 1
		.amdhsa_ieee_mode 1
		.amdhsa_fp16_overflow 0
		.amdhsa_tg_split 0
		.amdhsa_exception_fp_ieee_invalid_op 0
		.amdhsa_exception_fp_denorm_src 0
		.amdhsa_exception_fp_ieee_div_zero 0
		.amdhsa_exception_fp_ieee_overflow 0
		.amdhsa_exception_fp_ieee_underflow 0
		.amdhsa_exception_fp_ieee_inexact 0
		.amdhsa_exception_int_div_zero 0
	.end_amdhsa_kernel
	.section	.text._ZN9rocsolver6v33100L18getri_kernel_smallILi63E19rocblas_complex_numIdEPS3_EEvT1_iilPiilS6_bb,"axG",@progbits,_ZN9rocsolver6v33100L18getri_kernel_smallILi63E19rocblas_complex_numIdEPS3_EEvT1_iilPiilS6_bb,comdat
.Lfunc_end62:
	.size	_ZN9rocsolver6v33100L18getri_kernel_smallILi63E19rocblas_complex_numIdEPS3_EEvT1_iilPiilS6_bb, .Lfunc_end62-_ZN9rocsolver6v33100L18getri_kernel_smallILi63E19rocblas_complex_numIdEPS3_EEvT1_iilPiilS6_bb
                                        ; -- End function
	.set _ZN9rocsolver6v33100L18getri_kernel_smallILi63E19rocblas_complex_numIdEPS3_EEvT1_iilPiilS6_bb.num_vgpr, 256
	.set _ZN9rocsolver6v33100L18getri_kernel_smallILi63E19rocblas_complex_numIdEPS3_EEvT1_iilPiilS6_bb.num_agpr, 172
	.set _ZN9rocsolver6v33100L18getri_kernel_smallILi63E19rocblas_complex_numIdEPS3_EEvT1_iilPiilS6_bb.numbered_sgpr, 89
	.set _ZN9rocsolver6v33100L18getri_kernel_smallILi63E19rocblas_complex_numIdEPS3_EEvT1_iilPiilS6_bb.num_named_barrier, 0
	.set _ZN9rocsolver6v33100L18getri_kernel_smallILi63E19rocblas_complex_numIdEPS3_EEvT1_iilPiilS6_bb.private_seg_size, 1040
	.set _ZN9rocsolver6v33100L18getri_kernel_smallILi63E19rocblas_complex_numIdEPS3_EEvT1_iilPiilS6_bb.uses_vcc, 1
	.set _ZN9rocsolver6v33100L18getri_kernel_smallILi63E19rocblas_complex_numIdEPS3_EEvT1_iilPiilS6_bb.uses_flat_scratch, 0
	.set _ZN9rocsolver6v33100L18getri_kernel_smallILi63E19rocblas_complex_numIdEPS3_EEvT1_iilPiilS6_bb.has_dyn_sized_stack, 0
	.set _ZN9rocsolver6v33100L18getri_kernel_smallILi63E19rocblas_complex_numIdEPS3_EEvT1_iilPiilS6_bb.has_recursion, 0
	.set _ZN9rocsolver6v33100L18getri_kernel_smallILi63E19rocblas_complex_numIdEPS3_EEvT1_iilPiilS6_bb.has_indirect_call, 0
	.section	.AMDGPU.csdata,"",@progbits
; Kernel info:
; codeLenInByte = 167532
; TotalNumSgprs: 95
; NumVgprs: 256
; NumAgprs: 172
; TotalNumVgprs: 428
; ScratchSize: 1040
; MemoryBound: 0
; FloatMode: 240
; IeeeMode: 1
; LDSByteSize: 2024 bytes/workgroup (compile time only)
; SGPRBlocks: 11
; VGPRBlocks: 53
; NumSGPRsForWavesPerEU: 95
; NumVGPRsForWavesPerEU: 428
; AccumOffset: 256
; Occupancy: 1
; WaveLimiterHint : 1
; COMPUTE_PGM_RSRC2:SCRATCH_EN: 1
; COMPUTE_PGM_RSRC2:USER_SGPR: 2
; COMPUTE_PGM_RSRC2:TRAP_HANDLER: 0
; COMPUTE_PGM_RSRC2:TGID_X_EN: 1
; COMPUTE_PGM_RSRC2:TGID_Y_EN: 0
; COMPUTE_PGM_RSRC2:TGID_Z_EN: 0
; COMPUTE_PGM_RSRC2:TIDIG_COMP_CNT: 0
; COMPUTE_PGM_RSRC3_GFX90A:ACCUM_OFFSET: 63
; COMPUTE_PGM_RSRC3_GFX90A:TG_SPLIT: 0
	.section	.text._ZN9rocsolver6v33100L18getri_kernel_smallILi64E19rocblas_complex_numIdEPS3_EEvT1_iilPiilS6_bb,"axG",@progbits,_ZN9rocsolver6v33100L18getri_kernel_smallILi64E19rocblas_complex_numIdEPS3_EEvT1_iilPiilS6_bb,comdat
	.globl	_ZN9rocsolver6v33100L18getri_kernel_smallILi64E19rocblas_complex_numIdEPS3_EEvT1_iilPiilS6_bb ; -- Begin function _ZN9rocsolver6v33100L18getri_kernel_smallILi64E19rocblas_complex_numIdEPS3_EEvT1_iilPiilS6_bb
	.p2align	8
	.type	_ZN9rocsolver6v33100L18getri_kernel_smallILi64E19rocblas_complex_numIdEPS3_EEvT1_iilPiilS6_bb,@function
_ZN9rocsolver6v33100L18getri_kernel_smallILi64E19rocblas_complex_numIdEPS3_EEvT1_iilPiilS6_bb: ; @_ZN9rocsolver6v33100L18getri_kernel_smallILi64E19rocblas_complex_numIdEPS3_EEvT1_iilPiilS6_bb
; %bb.0:
	v_mov_b32_e32 v252, v0
	v_cmp_gt_u32_e32 vcc, 64, v252
	s_and_saveexec_b64 s[4:5], vcc
	s_cbranch_execz .LBB63_282
; %bb.1:
	s_load_dword s4, s[0:1], 0x38
	s_load_dwordx4 s[12:15], s[0:1], 0x10
	s_load_dwordx4 s[8:11], s[0:1], 0x28
                                        ; implicit-def: $sgpr16_sgpr17
	s_waitcnt lgkmcnt(0)
	s_bitcmp1_b32 s4, 8
	s_cselect_b64 s[18:19], -1, 0
	s_ashr_i32 s3, s2, 31
	s_bfe_u32 s4, s4, 0x10008
	s_cmp_eq_u32 s4, 0
	s_cbranch_scc1 .LBB63_3
; %bb.2:
	s_load_dword s4, s[0:1], 0x20
	s_mul_i32 s5, s8, s3
	s_mul_hi_u32 s6, s8, s2
	s_mul_i32 s7, s9, s2
	s_add_i32 s6, s6, s5
	s_add_i32 s7, s6, s7
	s_mul_i32 s6, s8, s2
	s_waitcnt lgkmcnt(0)
	s_ashr_i32 s5, s4, 31
	s_lshl_b64 s[6:7], s[6:7], 2
	s_add_u32 s6, s14, s6
	s_addc_u32 s7, s15, s7
	s_lshl_b64 s[4:5], s[4:5], 2
	s_add_u32 s16, s6, s4
	s_addc_u32 s17, s7, s5
.LBB63_3:
	s_load_dwordx4 s[4:7], s[0:1], 0x0
	s_load_dword s8, s[0:1], 0x38
	s_mul_i32 s9, s12, s3
	s_mul_hi_u32 s14, s12, s2
	s_mul_i32 s12, s12, s2
	s_waitcnt lgkmcnt(0)
	s_ashr_i32 s1, s6, 31
	s_mov_b32 s0, s6
	s_add_i32 s6, s14, s9
	s_mul_i32 s9, s13, s2
	s_add_i32 s13, s6, s9
	s_lshl_b64 s[12:13], s[12:13], 4
	s_add_u32 s4, s4, s12
	s_addc_u32 s5, s5, s13
	s_lshl_b64 s[0:1], s[0:1], 4
	s_add_u32 s0, s4, s0
	s_addc_u32 s1, s5, s1
	v_lshlrev_b32_e32 v46, 4, v252
	v_mov_b32_e32 v47, 0
	v_lshl_add_u64 v[0:1], s[0:1], 0, v[46:47]
	s_ashr_i32 s5, s7, 31
	s_mov_b32 s4, s7
	v_accvgpr_write_b32 a0, v0
	v_accvgpr_write_b32 a1, v1
	v_lshl_add_u64 v[0:1], s[4:5], 4, v[0:1]
	s_add_i32 s4, s7, s7
	v_add_u32_e32 v14, s4, v252
	v_ashrrev_i32_e32 v15, 31, v14
	v_lshl_add_u64 v[10:11], v[14:15], 4, s[0:1]
	v_add_u32_e32 v14, s7, v14
	v_add_u32_e32 v22, s7, v14
	v_ashrrev_i32_e32 v23, 31, v22
	v_accvgpr_write_b32 a3, v1
	v_ashrrev_i32_e32 v15, 31, v14
	v_lshl_add_u64 v[18:19], v[22:23], 4, s[0:1]
	v_add_u32_e32 v22, s7, v22
	global_load_dwordx4 v[2:5], v46, s[0:1]
	global_load_dwordx4 v[6:9], v[0:1], off
	v_accvgpr_write_b32 a2, v0
	v_lshl_add_u64 v[0:1], v[14:15], 4, s[0:1]
	v_add_u32_e32 v30, s7, v22
	v_accvgpr_write_b32 a4, v10
	v_accvgpr_write_b32 a7, v1
	v_ashrrev_i32_e32 v23, 31, v22
	v_ashrrev_i32_e32 v31, 31, v30
	v_accvgpr_write_b32 a5, v11
	global_load_dwordx4 v[10:13], v[10:11], off
	v_accvgpr_write_b32 a6, v0
	global_load_dwordx4 v[14:17], v[0:1], off
	v_lshl_add_u64 v[0:1], v[22:23], 4, s[0:1]
	v_lshl_add_u64 v[26:27], v[30:31], 4, s[0:1]
	v_add_u32_e32 v30, s7, v30
	v_accvgpr_write_b32 a8, v18
	v_accvgpr_write_b32 a11, v1
	v_ashrrev_i32_e32 v31, 31, v30
	v_accvgpr_write_b32 a9, v19
	global_load_dwordx4 v[18:21], v[18:19], off
	v_accvgpr_write_b32 a10, v0
	global_load_dwordx4 v[22:25], v[0:1], off
	v_lshl_add_u64 v[0:1], v[30:31], 4, s[0:1]
	v_add_u32_e32 v30, s7, v30
	v_add_u32_e32 v38, s7, v30
	v_accvgpr_write_b32 a12, v26
	v_ashrrev_i32_e32 v31, 31, v30
	v_ashrrev_i32_e32 v39, 31, v38
	v_add_u32_e32 v40, s7, v38
	v_accvgpr_write_b32 a15, v1
	v_accvgpr_write_b32 a13, v27
	global_load_dwordx4 v[26:29], v[26:27], off
	v_lshl_add_u64 v[34:35], v[30:31], 4, s[0:1]
	v_accvgpr_write_b32 a14, v0
	global_load_dwordx4 v[30:33], v[0:1], off
	v_lshl_add_u64 v[0:1], v[38:39], 4, s[0:1]
	v_add_u32_e32 v48, s7, v40
	v_accvgpr_write_b32 a16, v34
	v_ashrrev_i32_e32 v41, 31, v40
	v_ashrrev_i32_e32 v49, 31, v48
	v_add_u32_e32 v50, s7, v48
	v_accvgpr_write_b32 a19, v1
	v_accvgpr_write_b32 a17, v35
	global_load_dwordx4 v[34:37], v[34:35], off
	v_lshl_add_u64 v[42:43], v[40:41], 4, s[0:1]
	v_accvgpr_write_b32 a18, v0
	global_load_dwordx4 v[38:41], v[0:1], off
	v_lshl_add_u64 v[0:1], v[48:49], 4, s[0:1]
	v_add_u32_e32 v56, s7, v50
	v_accvgpr_write_b32 a20, v42
	v_ashrrev_i32_e32 v51, 31, v50
	v_ashrrev_i32_e32 v57, 31, v56
	v_accvgpr_write_b32 a23, v1
	v_accvgpr_write_b32 a21, v43
	global_load_dwordx4 v[42:45], v[42:43], off
	v_lshl_add_u64 v[52:53], v[50:51], 4, s[0:1]
	v_accvgpr_write_b32 a22, v0
	global_load_dwordx4 v[48:51], v[0:1], off
	v_lshl_add_u64 v[0:1], v[56:57], 4, s[0:1]
	v_add_u32_e32 v56, s7, v56
	v_add_u32_e32 v64, s7, v56
	;; [unrolled: 1-line block ×5, first 2 shown]
	v_ashrrev_i32_e32 v81, 31, v80
	v_lshl_add_u64 v[76:77], v[80:81], 4, s[0:1]
	v_add_u32_e32 v80, s7, v80
	v_add_u32_e32 v88, s7, v80
	v_accvgpr_write_b32 a24, v52
	v_ashrrev_i32_e32 v57, 31, v56
	v_ashrrev_i32_e32 v89, 31, v88
	v_accvgpr_write_b32 a25, v53
	global_load_dwordx4 v[52:55], v[52:53], off
	v_lshl_add_u64 v[60:61], v[56:57], 4, s[0:1]
	v_lshl_add_u64 v[84:85], v[88:89], 4, s[0:1]
	v_add_u32_e32 v88, s7, v88
	v_ashrrev_i32_e32 v65, 31, v64
	v_accvgpr_write_b32 a27, v1
	global_load_dwordx4 v[56:59], v[0:1], off
	v_accvgpr_write_b32 a28, v60
	v_ashrrev_i32_e32 v67, 31, v66
	v_add_u32_e32 v96, s7, v88
	v_accvgpr_write_b32 a26, v0
	v_accvgpr_write_b32 a29, v61
	global_load_dwordx4 v[60:63], v[60:61], off
	v_lshl_add_u64 v[0:1], v[64:65], 4, s[0:1]
	v_lshl_add_u64 v[68:69], v[66:67], 4, s[0:1]
	v_ashrrev_i32_e32 v97, 31, v96
	v_ashrrev_i32_e32 v73, 31, v72
	v_accvgpr_write_b32 a31, v1
	global_load_dwordx4 v[64:67], v[0:1], off
	v_accvgpr_write_b32 a32, v68
	v_lshl_add_u64 v[92:93], v[96:97], 4, s[0:1]
	v_add_u32_e32 v96, s7, v96
	v_accvgpr_write_b32 a30, v0
	v_accvgpr_write_b32 a33, v69
	global_load_dwordx4 v[68:71], v[68:69], off
	v_lshl_add_u64 v[0:1], v[72:73], 4, s[0:1]
	v_add_u32_e32 v104, s7, v96
	v_accvgpr_write_b32 a35, v1
	global_load_dwordx4 v[72:75], v[0:1], off
	v_accvgpr_write_b32 a36, v76
	v_ashrrev_i32_e32 v81, 31, v80
	v_ashrrev_i32_e32 v105, 31, v104
	v_accvgpr_write_b32 a34, v0
	v_accvgpr_write_b32 a37, v77
	global_load_dwordx4 v[76:79], v[76:77], off
	v_lshl_add_u64 v[0:1], v[80:81], 4, s[0:1]
	v_lshl_add_u64 v[100:101], v[104:105], 4, s[0:1]
	v_add_u32_e32 v104, s7, v104
	v_accvgpr_write_b32 a39, v1
	global_load_dwordx4 v[80:83], v[0:1], off
	v_accvgpr_write_b32 a40, v84
	v_ashrrev_i32_e32 v89, 31, v88
	v_add_u32_e32 v112, s7, v104
	v_accvgpr_write_b32 a38, v0
	v_accvgpr_write_b32 a41, v85
	global_load_dwordx4 v[84:87], v[84:85], off
	v_lshl_add_u64 v[0:1], v[88:89], 4, s[0:1]
	v_ashrrev_i32_e32 v113, 31, v112
	v_accvgpr_write_b32 a43, v1
	global_load_dwordx4 v[88:91], v[0:1], off
	v_accvgpr_write_b32 a44, v92
	v_ashrrev_i32_e32 v97, 31, v96
	v_lshl_add_u64 v[108:109], v[112:113], 4, s[0:1]
	v_add_u32_e32 v112, s7, v112
	v_accvgpr_write_b32 a42, v0
	v_accvgpr_write_b32 a45, v93
	global_load_dwordx4 v[92:95], v[92:93], off
	v_lshl_add_u64 v[0:1], v[96:97], 4, s[0:1]
	v_add_u32_e32 v120, s7, v112
	v_accvgpr_write_b32 a47, v1
	global_load_dwordx4 v[96:99], v[0:1], off
	v_accvgpr_write_b32 a48, v100
	v_ashrrev_i32_e32 v105, 31, v104
	v_ashrrev_i32_e32 v121, 31, v120
	v_accvgpr_write_b32 a46, v0
	v_accvgpr_write_b32 a49, v101
	global_load_dwordx4 v[100:103], v[100:101], off
	v_lshl_add_u64 v[0:1], v[104:105], 4, s[0:1]
	v_lshl_add_u64 v[116:117], v[120:121], 4, s[0:1]
	v_add_u32_e32 v120, s7, v120
	v_accvgpr_write_b32 a51, v1
	global_load_dwordx4 v[104:107], v[0:1], off
	v_accvgpr_write_b32 a52, v108
	v_ashrrev_i32_e32 v113, 31, v112
	v_add_u32_e32 v128, s7, v120
	v_accvgpr_write_b32 a50, v0
	v_accvgpr_write_b32 a53, v109
	global_load_dwordx4 v[108:111], v[108:109], off
	v_lshl_add_u64 v[0:1], v[112:113], 4, s[0:1]
	v_ashrrev_i32_e32 v129, 31, v128
	v_accvgpr_write_b32 a55, v1
	global_load_dwordx4 v[112:115], v[0:1], off
	v_accvgpr_write_b32 a56, v116
	v_ashrrev_i32_e32 v121, 31, v120
	v_lshl_add_u64 v[124:125], v[128:129], 4, s[0:1]
	v_add_u32_e32 v128, s7, v128
	v_accvgpr_write_b32 a54, v0
	v_accvgpr_write_b32 a57, v117
	global_load_dwordx4 v[116:119], v[116:117], off
	v_lshl_add_u64 v[0:1], v[120:121], 4, s[0:1]
	v_add_u32_e32 v136, s7, v128
	v_accvgpr_write_b32 a59, v1
	global_load_dwordx4 v[120:123], v[0:1], off
	v_accvgpr_write_b32 a60, v124
	v_ashrrev_i32_e32 v129, 31, v128
	v_ashrrev_i32_e32 v137, 31, v136
	v_accvgpr_write_b32 a58, v0
	v_accvgpr_write_b32 a61, v125
	global_load_dwordx4 v[124:127], v[124:125], off
	v_lshl_add_u64 v[0:1], v[128:129], 4, s[0:1]
	v_lshl_add_u64 v[132:133], v[136:137], 4, s[0:1]
	global_load_dwordx4 v[128:131], v[0:1], off
	v_accvgpr_write_b32 a64, v132
	v_accvgpr_write_b32 a65, v133
	global_load_dwordx4 v[132:135], v[132:133], off
	v_add_u32_e32 v140, s7, v136
	v_accvgpr_write_b32 a63, v1
	v_ashrrev_i32_e32 v141, 31, v140
	v_accvgpr_write_b32 a62, v0
	v_lshl_add_u64 v[0:1], v[140:141], 4, s[0:1]
	global_load_dwordx4 v[136:139], v[0:1], off
	s_waitcnt vmcnt(33)
	scratch_store_dwordx4 off, v[2:5], off offset:16
	s_waitcnt vmcnt(33)
	scratch_store_dwordx4 off, v[6:9], off offset:32
	;; [unrolled: 2-line block ×33, first 2 shown]
	v_add_u32_e32 v6, s7, v140
	v_accvgpr_write_b32 a67, v1
	v_ashrrev_i32_e32 v7, 31, v6
	v_accvgpr_write_b32 a66, v0
	v_lshl_add_u64 v[0:1], v[6:7], 4, s[0:1]
	v_add_u32_e32 v6, s7, v6
	v_add_u32_e32 v14, s7, v6
	v_ashrrev_i32_e32 v15, 31, v14
	v_lshl_add_u64 v[10:11], v[14:15], 4, s[0:1]
	v_add_u32_e32 v14, s7, v14
	v_add_u32_e32 v22, s7, v14
	v_ashrrev_i32_e32 v23, 31, v22
	;; [unrolled: 4-line block ×5, first 2 shown]
	v_lshl_add_u64 v[42:43], v[48:49], 4, s[0:1]
	v_add_u32_e32 v48, s7, v48
	v_add_u32_e32 v56, s7, v48
	v_accvgpr_write_b32 a69, v1
	v_ashrrev_i32_e32 v7, 31, v6
	v_accvgpr_write_b32 a73, v11
	v_ashrrev_i32_e32 v57, 31, v56
	v_accvgpr_write_b32 a68, v0
	global_load_dwordx4 v[2:5], v[0:1], off
	v_accvgpr_write_b32 a72, v10
	global_load_dwordx4 v[10:13], v[10:11], off
	v_lshl_add_u64 v[0:1], v[6:7], 4, s[0:1]
	v_lshl_add_u64 v[52:53], v[56:57], 4, s[0:1]
	v_add_u32_e32 v56, s7, v56
	v_accvgpr_write_b32 a71, v1
	v_ashrrev_i32_e32 v15, 31, v14
	v_accvgpr_write_b32 a77, v19
	v_add_u32_e32 v64, s7, v56
	v_accvgpr_write_b32 a70, v0
	global_load_dwordx4 v[6:9], v[0:1], off
	v_accvgpr_write_b32 a76, v18
	global_load_dwordx4 v[18:21], v[18:19], off
	v_lshl_add_u64 v[0:1], v[14:15], 4, s[0:1]
	v_ashrrev_i32_e32 v65, 31, v64
	v_accvgpr_write_b32 a75, v1
	v_ashrrev_i32_e32 v23, 31, v22
	v_accvgpr_write_b32 a81, v27
	v_lshl_add_u64 v[60:61], v[64:65], 4, s[0:1]
	v_add_u32_e32 v64, s7, v64
	v_accvgpr_write_b32 a74, v0
	global_load_dwordx4 v[14:17], v[0:1], off
	v_accvgpr_write_b32 a80, v26
	global_load_dwordx4 v[26:29], v[26:27], off
	v_lshl_add_u64 v[0:1], v[22:23], 4, s[0:1]
	v_add_u32_e32 v72, s7, v64
	v_accvgpr_write_b32 a79, v1
	v_ashrrev_i32_e32 v31, 31, v30
	v_accvgpr_write_b32 a85, v35
	v_ashrrev_i32_e32 v73, 31, v72
	v_accvgpr_write_b32 a78, v0
	global_load_dwordx4 v[22:25], v[0:1], off
	v_accvgpr_write_b32 a84, v34
	global_load_dwordx4 v[34:37], v[34:35], off
	v_lshl_add_u64 v[0:1], v[30:31], 4, s[0:1]
	v_lshl_add_u64 v[68:69], v[72:73], 4, s[0:1]
	v_add_u32_e32 v72, s7, v72
	v_accvgpr_write_b32 a83, v1
	v_ashrrev_i32_e32 v39, 31, v38
	v_accvgpr_write_b32 a89, v43
	v_add_u32_e32 v80, s7, v72
	v_accvgpr_write_b32 a82, v0
	global_load_dwordx4 v[30:33], v[0:1], off
	v_accvgpr_write_b32 a88, v42
	global_load_dwordx4 v[42:45], v[42:43], off
	v_lshl_add_u64 v[0:1], v[38:39], 4, s[0:1]
	v_ashrrev_i32_e32 v81, 31, v80
	v_accvgpr_write_b32 a87, v1
	v_ashrrev_i32_e32 v49, 31, v48
	v_accvgpr_write_b32 a93, v53
	v_lshl_add_u64 v[76:77], v[80:81], 4, s[0:1]
	v_add_u32_e32 v80, s7, v80
	v_accvgpr_write_b32 a86, v0
	global_load_dwordx4 v[38:41], v[0:1], off
	v_accvgpr_write_b32 a92, v52
	global_load_dwordx4 v[52:55], v[52:53], off
	v_lshl_add_u64 v[0:1], v[48:49], 4, s[0:1]
	;; [unrolled: 32-line block ×4, first 2 shown]
	v_add_u32_e32 v120, s7, v112
	v_accvgpr_write_b32 a115, v1
	v_ashrrev_i32_e32 v105, 31, v104
	v_accvgpr_write_b32 a121, v109
	v_ashrrev_i32_e32 v121, 31, v120
	v_accvgpr_write_b32 a114, v0
	global_load_dwordx4 v[96:99], v[0:1], off
	v_accvgpr_write_b32 a120, v108
	global_load_dwordx4 v[108:111], v[108:109], off
	v_lshl_add_u64 v[0:1], v[104:105], 4, s[0:1]
	v_lshl_add_u64 v[116:117], v[120:121], 4, s[0:1]
	v_accvgpr_write_b32 a119, v1
	v_ashrrev_i32_e32 v113, 31, v112
	v_accvgpr_write_b32 a125, v117
	v_accvgpr_write_b32 a118, v0
	global_load_dwordx4 v[104:107], v[0:1], off
	v_accvgpr_write_b32 a124, v116
	global_load_dwordx4 v[116:119], v[116:117], off
	v_lshl_add_u64 v[0:1], v[112:113], 4, s[0:1]
	v_add_u32_e32 v120, s7, v120
	v_accvgpr_write_b32 a123, v1
	v_ashrrev_i32_e32 v121, 31, v120
	v_accvgpr_write_b32 a122, v0
	global_load_dwordx4 v[112:115], v[0:1], off
	v_lshl_add_u64 v[0:1], v[120:121], 4, s[0:1]
	s_movk_i32 s0, 0x50
	s_add_i32 s62, s0, 16
	s_movk_i32 s0, 0x60
	s_add_i32 s63, s0, 16
	s_movk_i32 s0, 0x70
	s_add_i32 s64, s0, 16
	s_movk_i32 s0, 0x80
	s_add_i32 s65, s0, 16
	s_movk_i32 s0, 0x90
	s_add_i32 s66, s0, 16
	s_movk_i32 s0, 0xa0
	s_add_i32 s67, s0, 16
	s_movk_i32 s0, 0xb0
	s_add_i32 s68, s0, 16
	s_movk_i32 s0, 0xc0
	s_add_i32 s69, s0, 16
	s_movk_i32 s0, 0xd0
	s_add_i32 s70, s0, 16
	s_movk_i32 s0, 0xe0
	global_load_dwordx4 v[120:123], v[0:1], off
	s_add_i32 s71, s0, 16
	s_movk_i32 s0, 0xf0
	s_add_i32 s72, s0, 16
	s_movk_i32 s0, 0x100
	;; [unrolled: 2-line block ×49, first 2 shown]
	v_accvgpr_write_b32 a127, v1
	s_add_i32 s86, s0, 16
	v_accvgpr_write_b32 a126, v0
	s_mov_b32 s89, 32
	s_mov_b32 s88, 48
	;; [unrolled: 1-line block ×3, first 2 shown]
	s_movk_i32 s61, 0x50
	s_bitcmp0_b32 s8, 0
	s_mov_b64 s[4:5], -1
	s_waitcnt vmcnt(62)
	scratch_store_dwordx4 off, v[136:139], off offset:544
	s_waitcnt vmcnt(30)
	scratch_store_dwordx4 off, v[2:5], off offset:560
	;; [unrolled: 2-line block ×3, first 2 shown]
	scratch_store_dwordx4 off, v[10:13], off offset:592
	s_waitcnt vmcnt(29)
	scratch_store_dwordx4 off, v[14:17], off offset:608
	scratch_store_dwordx4 off, v[18:21], off offset:624
	s_waitcnt vmcnt(29)
	scratch_store_dwordx4 off, v[22:25], off offset:640
	;; [unrolled: 3-line block ×14, first 2 shown]
	s_cbranch_scc1 .LBB63_280
; %bb.4:
	v_cmp_eq_u32_e64 s[0:1], 0, v252
	s_and_saveexec_b64 s[4:5], s[0:1]
; %bb.5:
	v_mov_b32_e32 v0, 0
	ds_write_b32 v0, v0 offset:2048
; %bb.6:
	s_or_b64 exec, exec, s[4:5]
	s_waitcnt lgkmcnt(0)
	; wave barrier
	scratch_load_dwordx4 v[2:5], v46, off offset:16
	s_waitcnt vmcnt(0)
	v_cmp_eq_f64_e32 vcc, 0, v[2:3]
	v_cmp_eq_f64_e64 s[4:5], 0, v[4:5]
	s_and_b64 s[4:5], vcc, s[4:5]
	s_and_saveexec_b64 s[6:7], s[4:5]
	s_cbranch_execz .LBB63_10
; %bb.7:
	v_mov_b32_e32 v1, 0
	ds_read_b32 v0, v1 offset:2048
	v_add_u32_e32 v2, 1, v252
	s_waitcnt lgkmcnt(0)
	v_readfirstlane_b32 s4, v0
	s_cmp_eq_u32 s4, 0
	s_cselect_b64 s[8:9], -1, 0
	v_cmp_gt_i32_e32 vcc, s4, v2
	s_or_b64 s[8:9], s[8:9], vcc
	s_and_b64 exec, exec, s[8:9]
	s_cbranch_execz .LBB63_10
; %bb.8:
	s_mov_b64 s[8:9], 0
	v_mov_b32_e32 v3, s4
.LBB63_9:                               ; =>This Inner Loop Header: Depth=1
	ds_cmpst_rtn_b32 v3, v1, v3, v2 offset:2048
	s_waitcnt lgkmcnt(0)
	v_cmp_ne_u32_e32 vcc, 0, v3
	v_cmp_le_i32_e64 s[4:5], v3, v2
	s_and_b64 s[4:5], vcc, s[4:5]
	s_and_b64 s[4:5], exec, s[4:5]
	s_or_b64 s[8:9], s[4:5], s[8:9]
	s_andn2_b64 exec, exec, s[8:9]
	s_cbranch_execnz .LBB63_9
.LBB63_10:
	s_or_b64 exec, exec, s[6:7]
	v_mov_b32_e32 v2, 0
	; wave barrier
	ds_read_b32 v1, v2 offset:2048
	s_and_saveexec_b64 s[4:5], s[0:1]
	s_cbranch_execz .LBB63_12
; %bb.11:
	s_lshl_b64 s[6:7], s[2:3], 2
	s_add_u32 s6, s10, s6
	s_addc_u32 s7, s11, s7
	s_waitcnt lgkmcnt(0)
	global_store_dword v2, v1, s[6:7]
.LBB63_12:
	s_or_b64 exec, exec, s[4:5]
	s_waitcnt lgkmcnt(0)
	v_cmp_ne_u32_e32 vcc, 0, v1
	s_mov_b64 s[4:5], 0
	s_cbranch_vccnz .LBB63_280
; %bb.13:
	v_add_u32_e32 v14, 16, v46
	scratch_load_dwordx4 v[2:5], v14, off
                                        ; implicit-def: $vgpr6_vgpr7
                                        ; implicit-def: $vgpr10_vgpr11
	s_waitcnt vmcnt(0)
	v_cmp_ngt_f64_e64 s[4:5], |v[2:3]|, |v[4:5]|
	s_and_saveexec_b64 s[6:7], s[4:5]
	s_xor_b64 s[4:5], exec, s[6:7]
	s_cbranch_execz .LBB63_15
; %bb.14:
	v_div_scale_f64 v[6:7], s[6:7], v[4:5], v[4:5], v[2:3]
	v_rcp_f64_e32 v[8:9], v[6:7]
	v_div_scale_f64 v[10:11], vcc, v[2:3], v[4:5], v[2:3]
	v_fma_f64 v[12:13], -v[6:7], v[8:9], 1.0
	v_fmac_f64_e32 v[8:9], v[8:9], v[12:13]
	v_fma_f64 v[12:13], -v[6:7], v[8:9], 1.0
	v_fmac_f64_e32 v[8:9], v[8:9], v[12:13]
	v_mul_f64 v[12:13], v[10:11], v[8:9]
	v_fma_f64 v[6:7], -v[6:7], v[12:13], v[10:11]
	v_div_fmas_f64 v[6:7], v[6:7], v[8:9], v[12:13]
	v_div_fixup_f64 v[6:7], v[6:7], v[4:5], v[2:3]
	v_fmac_f64_e32 v[4:5], v[2:3], v[6:7]
	v_div_scale_f64 v[2:3], s[6:7], v[4:5], v[4:5], 1.0
	v_rcp_f64_e32 v[8:9], v[2:3]
	s_nop 0
	v_fma_f64 v[10:11], -v[2:3], v[8:9], 1.0
	v_fmac_f64_e32 v[8:9], v[8:9], v[10:11]
	v_fma_f64 v[10:11], -v[2:3], v[8:9], 1.0
	v_fmac_f64_e32 v[8:9], v[8:9], v[10:11]
	v_div_scale_f64 v[10:11], vcc, 1.0, v[4:5], 1.0
	v_mul_f64 v[12:13], v[10:11], v[8:9]
	v_fma_f64 v[2:3], -v[2:3], v[12:13], v[10:11]
	s_nop 1
	v_div_fmas_f64 v[2:3], v[2:3], v[8:9], v[12:13]
	v_div_fixup_f64 v[8:9], v[2:3], v[4:5], 1.0
	v_mul_f64 v[6:7], v[6:7], v[8:9]
	v_xor_b32_e32 v9, 0x80000000, v9
	v_xor_b32_e32 v11, 0x80000000, v7
	v_mov_b32_e32 v10, v6
                                        ; implicit-def: $vgpr2_vgpr3
.LBB63_15:
	s_andn2_saveexec_b64 s[4:5], s[4:5]
	s_cbranch_execz .LBB63_17
; %bb.16:
	v_div_scale_f64 v[6:7], s[6:7], v[2:3], v[2:3], v[4:5]
	v_rcp_f64_e32 v[8:9], v[6:7]
	v_div_scale_f64 v[10:11], vcc, v[4:5], v[2:3], v[4:5]
	v_fma_f64 v[12:13], -v[6:7], v[8:9], 1.0
	v_fmac_f64_e32 v[8:9], v[8:9], v[12:13]
	v_fma_f64 v[12:13], -v[6:7], v[8:9], 1.0
	v_fmac_f64_e32 v[8:9], v[8:9], v[12:13]
	v_mul_f64 v[12:13], v[10:11], v[8:9]
	v_fma_f64 v[6:7], -v[6:7], v[12:13], v[10:11]
	v_div_fmas_f64 v[6:7], v[6:7], v[8:9], v[12:13]
	v_div_fixup_f64 v[8:9], v[6:7], v[2:3], v[4:5]
	v_fmac_f64_e32 v[2:3], v[4:5], v[8:9]
	v_div_scale_f64 v[4:5], s[6:7], v[2:3], v[2:3], 1.0
	v_rcp_f64_e32 v[6:7], v[4:5]
	s_nop 0
	v_fma_f64 v[10:11], -v[4:5], v[6:7], 1.0
	v_fmac_f64_e32 v[6:7], v[6:7], v[10:11]
	v_fma_f64 v[10:11], -v[4:5], v[6:7], 1.0
	v_fmac_f64_e32 v[6:7], v[6:7], v[10:11]
	v_div_scale_f64 v[10:11], vcc, 1.0, v[2:3], 1.0
	v_mul_f64 v[12:13], v[10:11], v[6:7]
	v_fma_f64 v[4:5], -v[4:5], v[12:13], v[10:11]
	s_nop 1
	v_div_fmas_f64 v[4:5], v[4:5], v[6:7], v[12:13]
	v_div_fixup_f64 v[6:7], v[4:5], v[2:3], 1.0
	v_xor_b32_e32 v11, 0x80000000, v7
	v_mov_b32_e32 v10, v6
	v_mul_f64 v[8:9], v[8:9], -v[6:7]
.LBB63_17:
	s_or_b64 exec, exec, s[4:5]
	scratch_store_dwordx4 v14, v[6:9], off
	scratch_load_dwordx4 v[2:5], off, s89
	v_xor_b32_e32 v13, 0x80000000, v9
	v_mov_b32_e32 v12, v8
	v_or_b32_e32 v1, 0x400, v46
	ds_write_b128 v46, v[10:13]
	s_waitcnt vmcnt(0)
	ds_write_b128 v46, v[2:5] offset:1024
	s_waitcnt lgkmcnt(0)
	; wave barrier
	s_and_saveexec_b64 s[4:5], s[0:1]
	s_cbranch_execz .LBB63_19
; %bb.18:
	scratch_load_dwordx4 v[2:5], v14, off
	ds_read_b128 v[6:9], v1
	v_mov_b32_e32 v0, 0
	ds_read_b128 v[10:13], v0 offset:16
	s_waitcnt vmcnt(0) lgkmcnt(1)
	v_mul_f64 v[16:17], v[8:9], v[4:5]
	v_mul_f64 v[4:5], v[6:7], v[4:5]
	v_fma_f64 v[6:7], v[6:7], v[2:3], -v[16:17]
	v_fmac_f64_e32 v[4:5], v[8:9], v[2:3]
	v_add_f64 v[2:3], v[6:7], 0
	v_add_f64 v[6:7], v[4:5], 0
	s_waitcnt lgkmcnt(0)
	v_mul_f64 v[8:9], v[6:7], v[12:13]
	v_mul_f64 v[4:5], v[2:3], v[12:13]
	v_fma_f64 v[2:3], v[2:3], v[10:11], -v[8:9]
	v_fmac_f64_e32 v[4:5], v[6:7], v[10:11]
	scratch_store_dwordx4 off, v[2:5], off offset:32
.LBB63_19:
	s_or_b64 exec, exec, s[4:5]
	; wave barrier
	scratch_load_dwordx4 v[2:5], off, s88
	v_cmp_gt_u32_e32 vcc, 2, v252
	s_waitcnt vmcnt(0)
	ds_write_b128 v1, v[2:5]
	s_waitcnt lgkmcnt(0)
	; wave barrier
	s_and_saveexec_b64 s[4:5], vcc
	s_cbranch_execz .LBB63_23
; %bb.20:
	scratch_load_dwordx4 v[2:5], v14, off
	ds_read_b128 v[6:9], v1
	s_waitcnt vmcnt(0) lgkmcnt(0)
	v_mul_f64 v[10:11], v[8:9], v[4:5]
	v_mul_f64 v[12:13], v[6:7], v[4:5]
	v_fma_f64 v[4:5], v[6:7], v[2:3], -v[10:11]
	v_fmac_f64_e32 v[12:13], v[8:9], v[2:3]
	v_add_f64 v[4:5], v[4:5], 0
	v_add_f64 v[2:3], v[12:13], 0
	s_and_saveexec_b64 s[6:7], s[0:1]
	s_cbranch_execz .LBB63_22
; %bb.21:
	scratch_load_dwordx4 v[6:9], off, off offset:32
	v_mov_b32_e32 v0, 0
	ds_read_b128 v[10:13], v0 offset:1040
	s_waitcnt vmcnt(0) lgkmcnt(0)
	v_mul_f64 v[16:17], v[10:11], v[8:9]
	v_mul_f64 v[8:9], v[12:13], v[8:9]
	v_fmac_f64_e32 v[16:17], v[12:13], v[6:7]
	v_fma_f64 v[6:7], v[10:11], v[6:7], -v[8:9]
	v_add_f64 v[2:3], v[2:3], v[16:17]
	v_add_f64 v[4:5], v[4:5], v[6:7]
.LBB63_22:
	s_or_b64 exec, exec, s[6:7]
	v_mov_b32_e32 v0, 0
	ds_read_b128 v[6:9], v0 offset:32
	s_waitcnt lgkmcnt(0)
	v_mul_f64 v[12:13], v[2:3], v[8:9]
	v_mul_f64 v[10:11], v[4:5], v[8:9]
	v_fma_f64 v[8:9], v[4:5], v[6:7], -v[12:13]
	v_fmac_f64_e32 v[10:11], v[2:3], v[6:7]
	scratch_store_dwordx4 off, v[8:11], off offset:48
.LBB63_23:
	s_or_b64 exec, exec, s[4:5]
	; wave barrier
	scratch_load_dwordx4 v[2:5], off, s87
	v_cmp_gt_u32_e64 s[4:5], 3, v252
	v_add_u32_e32 v6, -1, v252
	s_waitcnt vmcnt(0)
	ds_write_b128 v1, v[2:5]
	s_waitcnt lgkmcnt(0)
	; wave barrier
	s_and_saveexec_b64 s[6:7], s[4:5]
	s_cbranch_execz .LBB63_27
; %bb.24:
	v_add_u32_e32 v7, -1, v252
	v_or_b32_e32 v8, 0x400, v46
	v_add_u32_e32 v9, 16, v46
	v_mov_b64_e32 v[2:3], 0
	s_mov_b64 s[8:9], 0
	v_mov_b64_e32 v[4:5], 0
.LBB63_25:                              ; =>This Inner Loop Header: Depth=1
	scratch_load_dwordx4 v[10:13], v9, off
	ds_read_b128 v[16:19], v8
	v_add_u32_e32 v7, 1, v7
	v_cmp_lt_u32_e64 s[4:5], 1, v7
	v_add_u32_e32 v8, 16, v8
	v_add_u32_e32 v9, 16, v9
	s_or_b64 s[8:9], s[4:5], s[8:9]
	s_waitcnt vmcnt(0) lgkmcnt(0)
	v_mul_f64 v[20:21], v[18:19], v[12:13]
	v_mul_f64 v[12:13], v[16:17], v[12:13]
	v_fma_f64 v[16:17], v[16:17], v[10:11], -v[20:21]
	v_fmac_f64_e32 v[12:13], v[18:19], v[10:11]
	v_add_f64 v[4:5], v[4:5], v[16:17]
	v_add_f64 v[2:3], v[2:3], v[12:13]
	s_andn2_b64 exec, exec, s[8:9]
	s_cbranch_execnz .LBB63_25
; %bb.26:
	s_or_b64 exec, exec, s[8:9]
	v_mov_b32_e32 v0, 0
	ds_read_b128 v[8:11], v0 offset:48
	s_waitcnt lgkmcnt(0)
	v_mul_f64 v[16:17], v[2:3], v[10:11]
	v_mul_f64 v[12:13], v[4:5], v[10:11]
	v_fma_f64 v[10:11], v[4:5], v[8:9], -v[16:17]
	v_fmac_f64_e32 v[12:13], v[2:3], v[8:9]
	scratch_store_dwordx4 off, v[10:13], off offset:64
.LBB63_27:
	s_or_b64 exec, exec, s[6:7]
	; wave barrier
	scratch_load_dwordx4 v[2:5], off, s61
	v_cmp_gt_u32_e64 s[4:5], 4, v252
	s_waitcnt vmcnt(0)
	ds_write_b128 v1, v[2:5]
	s_waitcnt lgkmcnt(0)
	; wave barrier
	s_and_saveexec_b64 s[8:9], s[4:5]
	s_cbranch_execz .LBB63_31
; %bb.28:
	v_add_u32_e32 v7, -1, v252
	v_or_b32_e32 v8, 0x400, v46
	v_add_u32_e32 v9, 16, v46
	v_mov_b64_e32 v[2:3], 0
	s_mov_b64 s[12:13], 0
	v_mov_b64_e32 v[4:5], 0
.LBB63_29:                              ; =>This Inner Loop Header: Depth=1
	scratch_load_dwordx4 v[10:13], v9, off
	ds_read_b128 v[16:19], v8
	v_add_u32_e32 v7, 1, v7
	v_cmp_lt_u32_e64 s[6:7], 2, v7
	v_add_u32_e32 v8, 16, v8
	v_add_u32_e32 v9, 16, v9
	s_or_b64 s[12:13], s[6:7], s[12:13]
	s_waitcnt vmcnt(0) lgkmcnt(0)
	v_mul_f64 v[20:21], v[18:19], v[12:13]
	v_mul_f64 v[12:13], v[16:17], v[12:13]
	v_fma_f64 v[16:17], v[16:17], v[10:11], -v[20:21]
	v_fmac_f64_e32 v[12:13], v[18:19], v[10:11]
	v_add_f64 v[4:5], v[4:5], v[16:17]
	v_add_f64 v[2:3], v[2:3], v[12:13]
	s_andn2_b64 exec, exec, s[12:13]
	s_cbranch_execnz .LBB63_29
; %bb.30:
	s_or_b64 exec, exec, s[12:13]
	v_mov_b32_e32 v0, 0
	ds_read_b128 v[8:11], v0 offset:64
	s_waitcnt lgkmcnt(0)
	v_mul_f64 v[16:17], v[2:3], v[10:11]
	v_mul_f64 v[12:13], v[4:5], v[10:11]
	v_fma_f64 v[10:11], v[4:5], v[8:9], -v[16:17]
	v_fmac_f64_e32 v[12:13], v[2:3], v[8:9]
	scratch_store_dwordx4 off, v[10:13], off offset:80
.LBB63_31:
	s_or_b64 exec, exec, s[8:9]
	; wave barrier
	scratch_load_dwordx4 v[2:5], off, s62
	v_cmp_gt_u32_e64 s[6:7], 5, v252
	;; [unrolled: 45-line block ×5, first 2 shown]
	s_waitcnt vmcnt(0)
	ds_write_b128 v1, v[2:5]
	s_waitcnt lgkmcnt(0)
	; wave barrier
	s_and_saveexec_b64 s[12:13], s[8:9]
	s_cbranch_execz .LBB63_59
; %bb.44:
	scratch_load_dwordx4 v[2:5], v14, off
	ds_read_b128 v[8:11], v1
	v_cmp_ne_u32_e64 s[8:9], 7, v252
	s_waitcnt vmcnt(0) lgkmcnt(0)
	v_mul_f64 v[12:13], v[10:11], v[4:5]
	v_mul_f64 v[16:17], v[8:9], v[4:5]
	v_fma_f64 v[4:5], v[8:9], v[2:3], -v[12:13]
	v_fmac_f64_e32 v[16:17], v[10:11], v[2:3]
	v_add_f64 v[4:5], v[4:5], 0
	v_add_f64 v[2:3], v[16:17], 0
	s_and_saveexec_b64 s[14:15], s[8:9]
	s_cbranch_execz .LBB63_58
; %bb.45:
	scratch_load_dwordx4 v[8:11], v14, off offset:16
	ds_read_b128 v[16:19], v1 offset:16
	s_waitcnt vmcnt(0) lgkmcnt(0)
	v_mul_f64 v[12:13], v[18:19], v[10:11]
	v_mul_f64 v[10:11], v[16:17], v[10:11]
	v_fma_f64 v[12:13], v[16:17], v[8:9], -v[12:13]
	v_fmac_f64_e32 v[10:11], v[18:19], v[8:9]
	v_add_f64 v[4:5], v[4:5], v[12:13]
	v_add_f64 v[2:3], v[2:3], v[10:11]
	s_and_saveexec_b64 s[8:9], s[6:7]
	s_cbranch_execz .LBB63_57
; %bb.46:
	scratch_load_dwordx4 v[8:11], v14, off offset:32
	ds_read_b128 v[16:19], v1 offset:32
	v_cmp_ne_u32_e64 s[6:7], 5, v252
	s_waitcnt vmcnt(0) lgkmcnt(0)
	v_mul_f64 v[12:13], v[18:19], v[10:11]
	v_mul_f64 v[10:11], v[16:17], v[10:11]
	v_fma_f64 v[12:13], v[16:17], v[8:9], -v[12:13]
	v_fmac_f64_e32 v[10:11], v[18:19], v[8:9]
	v_add_f64 v[4:5], v[4:5], v[12:13]
	v_add_f64 v[2:3], v[2:3], v[10:11]
	s_and_saveexec_b64 s[20:21], s[6:7]
	s_cbranch_execz .LBB63_56
; %bb.47:
	scratch_load_dwordx4 v[8:11], v14, off offset:48
	ds_read_b128 v[16:19], v1 offset:48
	s_waitcnt vmcnt(0) lgkmcnt(0)
	v_mul_f64 v[12:13], v[18:19], v[10:11]
	v_mul_f64 v[10:11], v[16:17], v[10:11]
	v_fma_f64 v[12:13], v[16:17], v[8:9], -v[12:13]
	v_fmac_f64_e32 v[10:11], v[18:19], v[8:9]
	v_add_f64 v[4:5], v[4:5], v[12:13]
	v_add_f64 v[2:3], v[2:3], v[10:11]
	s_and_saveexec_b64 s[6:7], s[4:5]
	s_cbranch_execz .LBB63_55
; %bb.48:
	scratch_load_dwordx4 v[8:11], v14, off offset:64
	ds_read_b128 v[16:19], v1 offset:64
	v_cmp_ne_u32_e64 s[4:5], 3, v252
	s_waitcnt vmcnt(0) lgkmcnt(0)
	v_mul_f64 v[12:13], v[18:19], v[10:11]
	v_mul_f64 v[10:11], v[16:17], v[10:11]
	v_fma_f64 v[12:13], v[16:17], v[8:9], -v[12:13]
	v_fmac_f64_e32 v[10:11], v[18:19], v[8:9]
	v_add_f64 v[4:5], v[4:5], v[12:13]
	v_add_f64 v[2:3], v[2:3], v[10:11]
	s_and_saveexec_b64 s[22:23], s[4:5]
	s_cbranch_execz .LBB63_54
; %bb.49:
	scratch_load_dwordx4 v[8:11], v14, off offset:80
	ds_read_b128 v[16:19], v1 offset:80
	s_waitcnt vmcnt(0) lgkmcnt(0)
	v_mul_f64 v[12:13], v[18:19], v[10:11]
	v_mul_f64 v[10:11], v[16:17], v[10:11]
	v_fma_f64 v[12:13], v[16:17], v[8:9], -v[12:13]
	v_fmac_f64_e32 v[10:11], v[18:19], v[8:9]
	v_add_f64 v[4:5], v[4:5], v[12:13]
	v_add_f64 v[2:3], v[2:3], v[10:11]
	s_and_saveexec_b64 s[4:5], vcc
	s_cbranch_execz .LBB63_53
; %bb.50:
	scratch_load_dwordx4 v[8:11], v14, off offset:96
	ds_read_b128 v[16:19], v1 offset:96
	s_waitcnt vmcnt(0) lgkmcnt(0)
	v_mul_f64 v[12:13], v[18:19], v[10:11]
	v_mul_f64 v[10:11], v[16:17], v[10:11]
	v_fma_f64 v[12:13], v[16:17], v[8:9], -v[12:13]
	v_fmac_f64_e32 v[10:11], v[18:19], v[8:9]
	v_add_f64 v[4:5], v[4:5], v[12:13]
	v_add_f64 v[2:3], v[2:3], v[10:11]
	s_and_saveexec_b64 s[24:25], s[0:1]
	s_cbranch_execz .LBB63_52
; %bb.51:
	scratch_load_dwordx4 v[8:11], v14, off offset:112
	ds_read_b128 v[12:15], v1 offset:112
	s_waitcnt vmcnt(0) lgkmcnt(0)
	v_mul_f64 v[16:17], v[14:15], v[10:11]
	v_mul_f64 v[10:11], v[12:13], v[10:11]
	v_fma_f64 v[12:13], v[12:13], v[8:9], -v[16:17]
	v_fmac_f64_e32 v[10:11], v[14:15], v[8:9]
	v_add_f64 v[4:5], v[4:5], v[12:13]
	v_add_f64 v[2:3], v[2:3], v[10:11]
.LBB63_52:
	s_or_b64 exec, exec, s[24:25]
.LBB63_53:
	s_or_b64 exec, exec, s[4:5]
.LBB63_54:
	s_or_b64 exec, exec, s[22:23]
.LBB63_55:
	s_or_b64 exec, exec, s[6:7]
.LBB63_56:
	s_or_b64 exec, exec, s[20:21]
.LBB63_57:
	s_or_b64 exec, exec, s[8:9]
.LBB63_58:
	s_or_b64 exec, exec, s[14:15]
	v_mov_b32_e32 v0, 0
	ds_read_b128 v[8:11], v0 offset:128
	s_waitcnt lgkmcnt(0)
	v_mul_f64 v[14:15], v[2:3], v[10:11]
	v_mul_f64 v[12:13], v[4:5], v[10:11]
	v_fma_f64 v[10:11], v[4:5], v[8:9], -v[14:15]
	v_fmac_f64_e32 v[12:13], v[2:3], v[8:9]
	scratch_store_dwordx4 off, v[10:13], off offset:144
.LBB63_59:
	s_or_b64 exec, exec, s[12:13]
	; wave barrier
	scratch_load_dwordx4 v[2:5], off, s66
	v_cmp_gt_u32_e32 vcc, 9, v252
	s_waitcnt vmcnt(0)
	ds_write_b128 v1, v[2:5]
	s_waitcnt lgkmcnt(0)
	; wave barrier
	s_and_saveexec_b64 s[0:1], vcc
	s_cbranch_execz .LBB63_63
; %bb.60:
	v_add_u32_e32 v7, -1, v252
	v_or_b32_e32 v8, 0x400, v46
	v_add_u32_e32 v9, 16, v46
	v_mov_b64_e32 v[2:3], 0
	s_mov_b64 s[4:5], 0
	v_mov_b64_e32 v[4:5], 0
.LBB63_61:                              ; =>This Inner Loop Header: Depth=1
	scratch_load_dwordx4 v[10:13], v9, off
	ds_read_b128 v[14:17], v8
	v_add_u32_e32 v7, 1, v7
	v_cmp_lt_u32_e32 vcc, 7, v7
	v_add_u32_e32 v8, 16, v8
	v_add_u32_e32 v9, 16, v9
	s_or_b64 s[4:5], vcc, s[4:5]
	s_waitcnt vmcnt(0) lgkmcnt(0)
	v_mul_f64 v[18:19], v[16:17], v[12:13]
	v_mul_f64 v[12:13], v[14:15], v[12:13]
	v_fma_f64 v[14:15], v[14:15], v[10:11], -v[18:19]
	v_fmac_f64_e32 v[12:13], v[16:17], v[10:11]
	v_add_f64 v[4:5], v[4:5], v[14:15]
	v_add_f64 v[2:3], v[2:3], v[12:13]
	s_andn2_b64 exec, exec, s[4:5]
	s_cbranch_execnz .LBB63_61
; %bb.62:
	s_or_b64 exec, exec, s[4:5]
	v_mov_b32_e32 v0, 0
	ds_read_b128 v[8:11], v0 offset:144
	s_waitcnt lgkmcnt(0)
	v_mul_f64 v[14:15], v[2:3], v[10:11]
	v_mul_f64 v[12:13], v[4:5], v[10:11]
	v_fma_f64 v[10:11], v[4:5], v[8:9], -v[14:15]
	v_fmac_f64_e32 v[12:13], v[2:3], v[8:9]
	scratch_store_dwordx4 off, v[10:13], off offset:160
.LBB63_63:
	s_or_b64 exec, exec, s[0:1]
	; wave barrier
	scratch_load_dwordx4 v[2:5], off, s67
	v_cmp_gt_u32_e32 vcc, 10, v252
	s_waitcnt vmcnt(0)
	ds_write_b128 v1, v[2:5]
	s_waitcnt lgkmcnt(0)
	; wave barrier
	s_and_saveexec_b64 s[0:1], vcc
	s_cbranch_execz .LBB63_67
; %bb.64:
	v_add_u32_e32 v7, -1, v252
	v_or_b32_e32 v8, 0x400, v46
	v_add_u32_e32 v9, 16, v46
	v_mov_b64_e32 v[2:3], 0
	s_mov_b64 s[4:5], 0
	v_mov_b64_e32 v[4:5], 0
.LBB63_65:                              ; =>This Inner Loop Header: Depth=1
	scratch_load_dwordx4 v[10:13], v9, off
	ds_read_b128 v[14:17], v8
	v_add_u32_e32 v7, 1, v7
	v_cmp_lt_u32_e32 vcc, 8, v7
	v_add_u32_e32 v8, 16, v8
	v_add_u32_e32 v9, 16, v9
	s_or_b64 s[4:5], vcc, s[4:5]
	s_waitcnt vmcnt(0) lgkmcnt(0)
	v_mul_f64 v[18:19], v[16:17], v[12:13]
	v_mul_f64 v[12:13], v[14:15], v[12:13]
	v_fma_f64 v[14:15], v[14:15], v[10:11], -v[18:19]
	v_fmac_f64_e32 v[12:13], v[16:17], v[10:11]
	v_add_f64 v[4:5], v[4:5], v[14:15]
	v_add_f64 v[2:3], v[2:3], v[12:13]
	s_andn2_b64 exec, exec, s[4:5]
	s_cbranch_execnz .LBB63_65
; %bb.66:
	s_or_b64 exec, exec, s[4:5]
	v_mov_b32_e32 v0, 0
	ds_read_b128 v[8:11], v0 offset:160
	s_waitcnt lgkmcnt(0)
	v_mul_f64 v[14:15], v[2:3], v[10:11]
	v_mul_f64 v[12:13], v[4:5], v[10:11]
	v_fma_f64 v[10:11], v[4:5], v[8:9], -v[14:15]
	v_fmac_f64_e32 v[12:13], v[2:3], v[8:9]
	scratch_store_dwordx4 off, v[10:13], off offset:176
.LBB63_67:
	;; [unrolled: 45-line block ×10, first 2 shown]
	s_or_b64 exec, exec, s[0:1]
	; wave barrier
	scratch_load_dwordx4 v[2:5], off, s76
	v_cmp_gt_u32_e32 vcc, 19, v252
	s_waitcnt vmcnt(0)
	ds_write_b128 v1, v[2:5]
	s_waitcnt lgkmcnt(0)
	; wave barrier
	s_and_saveexec_b64 s[0:1], vcc
	s_cbranch_execz .LBB63_103
; %bb.100:
	v_add_u32_e32 v7, -1, v252
	v_or_b32_e32 v8, 0x400, v46
	v_add_u32_e32 v9, 16, v46
	v_mov_b64_e32 v[2:3], 0
	s_mov_b64 s[4:5], 0
	v_mov_b64_e32 v[4:5], 0
.LBB63_101:                             ; =>This Inner Loop Header: Depth=1
	scratch_load_dwordx4 v[10:13], v9, off
	ds_read_b128 v[14:17], v8
	v_add_u32_e32 v7, 1, v7
	v_cmp_lt_u32_e32 vcc, 17, v7
	v_add_u32_e32 v8, 16, v8
	v_add_u32_e32 v9, 16, v9
	s_or_b64 s[4:5], vcc, s[4:5]
	s_waitcnt vmcnt(0) lgkmcnt(0)
	v_mul_f64 v[18:19], v[16:17], v[12:13]
	v_mul_f64 v[12:13], v[14:15], v[12:13]
	v_fma_f64 v[14:15], v[14:15], v[10:11], -v[18:19]
	v_fmac_f64_e32 v[12:13], v[16:17], v[10:11]
	v_add_f64 v[4:5], v[4:5], v[14:15]
	v_add_f64 v[2:3], v[2:3], v[12:13]
	s_andn2_b64 exec, exec, s[4:5]
	s_cbranch_execnz .LBB63_101
; %bb.102:
	s_or_b64 exec, exec, s[4:5]
	v_mov_b32_e32 v0, 0
	ds_read_b128 v[8:11], v0 offset:304
	s_waitcnt lgkmcnt(0)
	v_mul_f64 v[14:15], v[2:3], v[10:11]
	v_mul_f64 v[12:13], v[4:5], v[10:11]
	v_fma_f64 v[10:11], v[4:5], v[8:9], -v[14:15]
	v_fmac_f64_e32 v[12:13], v[2:3], v[8:9]
	scratch_store_dwordx4 off, v[10:13], off offset:320
.LBB63_103:
	s_or_b64 exec, exec, s[0:1]
	; wave barrier
	scratch_load_dwordx4 v[2:5], off, s77
	v_cmp_gt_u32_e32 vcc, 20, v252
	s_waitcnt vmcnt(0)
	ds_write_b128 v1, v[2:5]
	s_waitcnt lgkmcnt(0)
	; wave barrier
	s_and_saveexec_b64 s[0:1], vcc
	s_cbranch_execz .LBB63_107
; %bb.104:
	v_add_u32_e32 v7, -1, v252
	v_or_b32_e32 v8, 0x400, v46
	v_add_u32_e32 v9, 16, v46
	v_mov_b64_e32 v[2:3], 0
	s_mov_b64 s[4:5], 0
	v_mov_b64_e32 v[4:5], 0
.LBB63_105:                             ; =>This Inner Loop Header: Depth=1
	scratch_load_dwordx4 v[10:13], v9, off
	ds_read_b128 v[14:17], v8
	v_add_u32_e32 v7, 1, v7
	v_cmp_lt_u32_e32 vcc, 18, v7
	v_add_u32_e32 v8, 16, v8
	v_add_u32_e32 v9, 16, v9
	s_or_b64 s[4:5], vcc, s[4:5]
	s_waitcnt vmcnt(0) lgkmcnt(0)
	v_mul_f64 v[18:19], v[16:17], v[12:13]
	v_mul_f64 v[12:13], v[14:15], v[12:13]
	v_fma_f64 v[14:15], v[14:15], v[10:11], -v[18:19]
	v_fmac_f64_e32 v[12:13], v[16:17], v[10:11]
	v_add_f64 v[4:5], v[4:5], v[14:15]
	v_add_f64 v[2:3], v[2:3], v[12:13]
	s_andn2_b64 exec, exec, s[4:5]
	s_cbranch_execnz .LBB63_105
; %bb.106:
	s_or_b64 exec, exec, s[4:5]
	v_mov_b32_e32 v0, 0
	ds_read_b128 v[8:11], v0 offset:320
	s_waitcnt lgkmcnt(0)
	v_mul_f64 v[14:15], v[2:3], v[10:11]
	v_mul_f64 v[12:13], v[4:5], v[10:11]
	v_fma_f64 v[10:11], v[4:5], v[8:9], -v[14:15]
	v_fmac_f64_e32 v[12:13], v[2:3], v[8:9]
	scratch_store_dwordx4 off, v[10:13], off offset:336
.LBB63_107:
	;; [unrolled: 45-line block ×44, first 2 shown]
	s_or_b64 exec, exec, s[0:1]
	; wave barrier
	scratch_load_dwordx4 v[2:5], off, s86
	v_cmp_ne_u32_e32 vcc, 63, v252
	s_waitcnt vmcnt(0)
	ds_write_b128 v1, v[2:5]
	s_waitcnt lgkmcnt(0)
	; wave barrier
	s_and_saveexec_b64 s[0:1], vcc
	s_cbranch_execz .LBB63_279
; %bb.276:
	v_or_b32_e32 v1, 0x400, v46
	v_add_u32_e32 v7, 16, v46
	v_mov_b64_e32 v[2:3], 0
	s_mov_b64 s[4:5], 0
	v_mov_b64_e32 v[4:5], 0
.LBB63_277:                             ; =>This Inner Loop Header: Depth=1
	scratch_load_dwordx4 v[8:11], v7, off
	ds_read_b128 v[12:15], v1
	v_add_u32_e32 v6, 1, v6
	v_cmp_lt_u32_e32 vcc, 61, v6
	v_add_u32_e32 v1, 16, v1
	v_add_u32_e32 v7, 16, v7
	s_or_b64 s[4:5], vcc, s[4:5]
	s_waitcnt vmcnt(0) lgkmcnt(0)
	v_mul_f64 v[16:17], v[14:15], v[10:11]
	v_mul_f64 v[10:11], v[12:13], v[10:11]
	v_fma_f64 v[12:13], v[12:13], v[8:9], -v[16:17]
	v_fmac_f64_e32 v[10:11], v[14:15], v[8:9]
	v_add_f64 v[4:5], v[4:5], v[12:13]
	v_add_f64 v[2:3], v[2:3], v[10:11]
	s_andn2_b64 exec, exec, s[4:5]
	s_cbranch_execnz .LBB63_277
; %bb.278:
	s_or_b64 exec, exec, s[4:5]
	v_mov_b32_e32 v0, 0
	ds_read_b128 v[6:9], v0 offset:1008
	s_waitcnt lgkmcnt(0)
	v_mul_f64 v[12:13], v[2:3], v[8:9]
	v_mul_f64 v[10:11], v[4:5], v[8:9]
	v_fma_f64 v[8:9], v[4:5], v[6:7], -v[12:13]
	v_fmac_f64_e32 v[10:11], v[2:3], v[6:7]
	scratch_store_dwordx4 off, v[8:11], off offset:1024
.LBB63_279:
	s_or_b64 exec, exec, s[0:1]
	s_mov_b64 s[4:5], -1
	; wave barrier
.LBB63_280:
	s_and_b64 vcc, exec, s[4:5]
	s_cbranch_vccz .LBB63_282
; %bb.281:
	s_lshl_b64 s[0:1], s[2:3], 2
	s_add_u32 s0, s10, s0
	s_addc_u32 s1, s11, s1
	v_mov_b32_e32 v0, 0
	global_load_dword v0, v0, s[0:1]
	s_waitcnt vmcnt(0)
	v_cmp_ne_u32_e32 vcc, 0, v0
	s_cbranch_vccz .LBB63_283
.LBB63_282:
	s_endpgm
.LBB63_283:
	v_mov_b32_e32 v0, 0x400
	v_lshl_or_b32 v0, v252, 4, v0
	v_accvgpr_write_b32 a129, v0
	v_cmp_eq_u32_e32 vcc, 63, v252
	s_and_saveexec_b64 s[0:1], vcc
	s_cbranch_execz .LBB63_285
; %bb.284:
	scratch_load_dwordx4 v[2:5], off, s60
	v_mov_b32_e32 v6, 0
	v_mov_b32_e32 v7, v6
	;; [unrolled: 1-line block ×4, first 2 shown]
	v_accvgpr_read_b32 v0, a129
	scratch_store_dwordx4 off, v[6:9], off offset:1008
	s_waitcnt vmcnt(1)
	ds_write_b128 v0, v[2:5]
.LBB63_285:
	s_or_b64 exec, exec, s[0:1]
	s_waitcnt lgkmcnt(0)
	; wave barrier
	scratch_load_dwordx4 v[4:7], off, off offset:1024
	scratch_load_dwordx4 v[8:11], off, off offset:1008
	v_mov_b32_e32 v2, 0
	ds_read_b128 v[12:15], v2 offset:2032
	v_cmp_lt_u32_e32 vcc, 61, v252
	s_waitcnt vmcnt(1) lgkmcnt(0)
	v_mul_f64 v[16:17], v[12:13], v[6:7]
	v_mul_f64 v[6:7], v[14:15], v[6:7]
	v_fmac_f64_e32 v[16:17], v[14:15], v[4:5]
	v_fma_f64 v[4:5], v[12:13], v[4:5], -v[6:7]
	v_add_f64 v[6:7], v[16:17], 0
	v_add_f64 v[4:5], v[4:5], 0
	s_waitcnt vmcnt(0)
	v_add_f64 v[4:5], v[8:9], -v[4:5]
	v_add_f64 v[6:7], v[10:11], -v[6:7]
	scratch_store_dwordx4 off, v[4:7], off offset:1008
	s_and_saveexec_b64 s[0:1], vcc
	s_cbranch_execz .LBB63_287
; %bb.286:
	scratch_load_dwordx4 v[6:9], off, s59
	v_mov_b32_e32 v3, v2
	v_mov_b32_e32 v4, v2
	;; [unrolled: 1-line block ×3, first 2 shown]
	v_accvgpr_read_b32 v0, a129
	scratch_store_dwordx4 off, v[2:5], off offset:992
	s_waitcnt vmcnt(1)
	ds_write_b128 v0, v[6:9]
.LBB63_287:
	s_or_b64 exec, exec, s[0:1]
	s_waitcnt lgkmcnt(0)
	; wave barrier
	scratch_load_dwordx4 v[4:7], off, off offset:1008
	scratch_load_dwordx4 v[8:11], off, off offset:1024
	;; [unrolled: 1-line block ×3, first 2 shown]
	ds_read_b128 v[16:19], v2 offset:2016
	ds_read_b128 v[20:23], v2 offset:2032
	v_cmp_lt_u32_e32 vcc, 60, v252
	s_waitcnt vmcnt(2) lgkmcnt(1)
	v_mul_f64 v[2:3], v[16:17], v[6:7]
	v_mul_f64 v[6:7], v[18:19], v[6:7]
	s_waitcnt vmcnt(1) lgkmcnt(0)
	v_mul_f64 v[24:25], v[20:21], v[10:11]
	v_mul_f64 v[10:11], v[22:23], v[10:11]
	v_fmac_f64_e32 v[2:3], v[18:19], v[4:5]
	v_fma_f64 v[4:5], v[16:17], v[4:5], -v[6:7]
	v_fmac_f64_e32 v[24:25], v[22:23], v[8:9]
	v_fma_f64 v[6:7], v[20:21], v[8:9], -v[10:11]
	v_add_f64 v[2:3], v[2:3], 0
	v_add_f64 v[4:5], v[4:5], 0
	;; [unrolled: 1-line block ×4, first 2 shown]
	s_waitcnt vmcnt(0)
	v_add_f64 v[2:3], v[12:13], -v[2:3]
	v_add_f64 v[4:5], v[14:15], -v[8:9]
	scratch_store_dwordx4 off, v[2:5], off offset:992
	s_and_saveexec_b64 s[0:1], vcc
	s_cbranch_execz .LBB63_289
; %bb.288:
	scratch_load_dwordx4 v[2:5], off, s58
	v_mov_b32_e32 v6, 0
	v_mov_b32_e32 v7, v6
	;; [unrolled: 1-line block ×4, first 2 shown]
	v_accvgpr_read_b32 v0, a129
	scratch_store_dwordx4 off, v[6:9], off offset:976
	s_waitcnt vmcnt(1)
	ds_write_b128 v0, v[2:5]
.LBB63_289:
	s_or_b64 exec, exec, s[0:1]
	s_waitcnt lgkmcnt(0)
	; wave barrier
	scratch_load_dwordx4 v[4:7], off, off offset:992
	scratch_load_dwordx4 v[8:11], off, off offset:1008
	;; [unrolled: 1-line block ×4, first 2 shown]
	v_mov_b32_e32 v2, 0
	ds_read_b128 v[20:23], v2 offset:2000
	ds_read_b128 v[24:27], v2 offset:2016
	;; [unrolled: 1-line block ×3, first 2 shown]
	v_cmp_lt_u32_e32 vcc, 59, v252
	s_waitcnt vmcnt(3) lgkmcnt(2)
	v_mul_f64 v[32:33], v[20:21], v[6:7]
	v_mul_f64 v[6:7], v[22:23], v[6:7]
	s_waitcnt vmcnt(2) lgkmcnt(1)
	v_mul_f64 v[34:35], v[24:25], v[10:11]
	v_mul_f64 v[10:11], v[26:27], v[10:11]
	v_fmac_f64_e32 v[32:33], v[22:23], v[4:5]
	v_fma_f64 v[4:5], v[20:21], v[4:5], -v[6:7]
	s_waitcnt vmcnt(1) lgkmcnt(0)
	v_mul_f64 v[36:37], v[28:29], v[14:15]
	v_mul_f64 v[14:15], v[30:31], v[14:15]
	v_fmac_f64_e32 v[34:35], v[26:27], v[8:9]
	v_fma_f64 v[6:7], v[24:25], v[8:9], -v[10:11]
	v_add_f64 v[10:11], v[32:33], 0
	v_add_f64 v[4:5], v[4:5], 0
	v_fmac_f64_e32 v[36:37], v[30:31], v[12:13]
	v_fma_f64 v[8:9], v[28:29], v[12:13], -v[14:15]
	v_add_f64 v[10:11], v[10:11], v[34:35]
	v_add_f64 v[4:5], v[4:5], v[6:7]
	;; [unrolled: 1-line block ×4, first 2 shown]
	s_waitcnt vmcnt(0)
	v_add_f64 v[4:5], v[16:17], -v[4:5]
	v_add_f64 v[6:7], v[18:19], -v[6:7]
	scratch_store_dwordx4 off, v[4:7], off offset:976
	s_and_saveexec_b64 s[0:1], vcc
	s_cbranch_execz .LBB63_291
; %bb.290:
	scratch_load_dwordx4 v[6:9], off, s56
	v_mov_b32_e32 v3, v2
	v_mov_b32_e32 v4, v2
	;; [unrolled: 1-line block ×3, first 2 shown]
	v_accvgpr_read_b32 v0, a129
	scratch_store_dwordx4 off, v[2:5], off offset:960
	s_waitcnt vmcnt(1)
	ds_write_b128 v0, v[6:9]
.LBB63_291:
	s_or_b64 exec, exec, s[0:1]
	s_waitcnt lgkmcnt(0)
	; wave barrier
	ds_read_b128 v[4:7], v2 offset:1984
	ds_read_b128 v[8:11], v2 offset:2000
	;; [unrolled: 1-line block ×4, first 2 shown]
	scratch_load_dwordx4 v[20:23], off, off offset:976
	scratch_load_dwordx4 v[24:27], off, off offset:992
	v_cmp_lt_u32_e32 vcc, 58, v252
	s_waitcnt vmcnt(1) lgkmcnt(3)
	v_mul_f64 v[2:3], v[4:5], v[22:23]
	v_fmac_f64_e32 v[2:3], v[6:7], v[20:21]
	s_waitcnt vmcnt(0) lgkmcnt(2)
	v_mul_f64 v[28:29], v[8:9], v[26:27]
	v_add_f64 v[2:3], v[2:3], 0
	v_fmac_f64_e32 v[28:29], v[10:11], v[24:25]
	v_add_f64 v[2:3], v[2:3], v[28:29]
	scratch_load_dwordx4 v[28:31], off, off offset:1008
	s_waitcnt vmcnt(0) lgkmcnt(1)
	v_mul_f64 v[32:33], v[12:13], v[30:31]
	v_fmac_f64_e32 v[32:33], v[14:15], v[28:29]
	v_add_f64 v[2:3], v[2:3], v[32:33]
	scratch_load_dwordx4 v[32:35], off, off offset:1024
	s_waitcnt vmcnt(0) lgkmcnt(0)
	v_mul_f64 v[36:37], v[16:17], v[34:35]
	v_fmac_f64_e32 v[36:37], v[18:19], v[32:33]
	v_add_f64 v[36:37], v[2:3], v[36:37]
	v_mul_f64 v[2:3], v[6:7], v[22:23]
	v_fma_f64 v[2:3], v[4:5], v[20:21], -v[2:3]
	v_mul_f64 v[4:5], v[10:11], v[26:27]
	v_add_f64 v[2:3], v[2:3], 0
	v_fma_f64 v[4:5], v[8:9], v[24:25], -v[4:5]
	v_add_f64 v[2:3], v[2:3], v[4:5]
	v_mul_f64 v[4:5], v[14:15], v[30:31]
	v_fma_f64 v[4:5], v[12:13], v[28:29], -v[4:5]
	v_add_f64 v[2:3], v[2:3], v[4:5]
	v_mul_f64 v[4:5], v[18:19], v[34:35]
	v_fma_f64 v[4:5], v[16:17], v[32:33], -v[4:5]
	v_add_f64 v[6:7], v[2:3], v[4:5]
	scratch_load_dwordx4 v[2:5], off, off offset:960
	s_waitcnt vmcnt(0)
	v_add_f64 v[2:3], v[2:3], -v[6:7]
	v_add_f64 v[4:5], v[4:5], -v[36:37]
	scratch_store_dwordx4 off, v[2:5], off offset:960
	s_and_saveexec_b64 s[0:1], vcc
	s_cbranch_execz .LBB63_293
; %bb.292:
	scratch_load_dwordx4 v[2:5], off, s53
	v_mov_b32_e32 v6, 0
	v_mov_b32_e32 v7, v6
	;; [unrolled: 1-line block ×4, first 2 shown]
	v_accvgpr_read_b32 v0, a129
	scratch_store_dwordx4 off, v[6:9], off offset:944
	s_waitcnt vmcnt(1)
	ds_write_b128 v0, v[2:5]
.LBB63_293:
	s_or_b64 exec, exec, s[0:1]
	s_waitcnt lgkmcnt(0)
	; wave barrier
	scratch_load_dwordx4 v[4:7], off, off offset:960
	scratch_load_dwordx4 v[8:11], off, off offset:976
	;; [unrolled: 1-line block ×6, first 2 shown]
	v_mov_b32_e32 v2, 0
	ds_read_b128 v[28:31], v2 offset:1968
	ds_read_b128 v[32:35], v2 offset:1984
	;; [unrolled: 1-line block ×5, first 2 shown]
	v_cmp_lt_u32_e32 vcc, 57, v252
	s_waitcnt vmcnt(5) lgkmcnt(4)
	v_mul_f64 v[48:49], v[28:29], v[6:7]
	v_mul_f64 v[6:7], v[30:31], v[6:7]
	s_waitcnt vmcnt(4) lgkmcnt(3)
	v_mul_f64 v[50:51], v[32:33], v[10:11]
	s_waitcnt vmcnt(3) lgkmcnt(2)
	v_mul_f64 v[52:53], v[36:37], v[14:15]
	v_mul_f64 v[10:11], v[34:35], v[10:11]
	;; [unrolled: 1-line block ×3, first 2 shown]
	v_fmac_f64_e32 v[48:49], v[30:31], v[4:5]
	v_fma_f64 v[4:5], v[28:29], v[4:5], -v[6:7]
	v_fmac_f64_e32 v[50:51], v[34:35], v[8:9]
	v_fma_f64 v[6:7], v[32:33], v[8:9], -v[10:11]
	v_fma_f64 v[8:9], v[36:37], v[12:13], -v[14:15]
	v_add_f64 v[14:15], v[48:49], 0
	v_add_f64 v[4:5], v[4:5], 0
	s_waitcnt vmcnt(2) lgkmcnt(1)
	v_mul_f64 v[54:55], v[40:41], v[18:19]
	v_mul_f64 v[18:19], v[42:43], v[18:19]
	v_fmac_f64_e32 v[52:53], v[38:39], v[12:13]
	v_add_f64 v[14:15], v[14:15], v[50:51]
	v_add_f64 v[4:5], v[4:5], v[6:7]
	s_waitcnt vmcnt(1) lgkmcnt(0)
	v_mul_f64 v[56:57], v[44:45], v[22:23]
	v_mul_f64 v[22:23], v[46:47], v[22:23]
	v_fmac_f64_e32 v[54:55], v[42:43], v[16:17]
	v_fma_f64 v[10:11], v[40:41], v[16:17], -v[18:19]
	v_add_f64 v[6:7], v[14:15], v[52:53]
	v_add_f64 v[4:5], v[4:5], v[8:9]
	v_fmac_f64_e32 v[56:57], v[46:47], v[20:21]
	v_fma_f64 v[12:13], v[44:45], v[20:21], -v[22:23]
	v_add_f64 v[6:7], v[6:7], v[54:55]
	v_add_f64 v[4:5], v[4:5], v[10:11]
	;; [unrolled: 1-line block ×4, first 2 shown]
	s_waitcnt vmcnt(0)
	v_add_f64 v[4:5], v[24:25], -v[4:5]
	v_add_f64 v[6:7], v[26:27], -v[6:7]
	scratch_store_dwordx4 off, v[4:7], off offset:944
	s_and_saveexec_b64 s[0:1], vcc
	s_cbranch_execz .LBB63_295
; %bb.294:
	scratch_load_dwordx4 v[6:9], off, s49
	v_mov_b32_e32 v3, v2
	v_mov_b32_e32 v4, v2
	v_mov_b32_e32 v5, v2
	v_accvgpr_read_b32 v0, a129
	scratch_store_dwordx4 off, v[2:5], off offset:928
	s_waitcnt vmcnt(1)
	ds_write_b128 v0, v[6:9]
.LBB63_295:
	s_or_b64 exec, exec, s[0:1]
	s_waitcnt lgkmcnt(0)
	; wave barrier
	scratch_load_dwordx4 v[4:7], off, off offset:944
	scratch_load_dwordx4 v[8:11], off, off offset:960
	scratch_load_dwordx4 v[12:15], off, off offset:976
	scratch_load_dwordx4 v[16:19], off, off offset:992
	scratch_load_dwordx4 v[20:23], off, off offset:1008
	scratch_load_dwordx4 v[24:27], off, off offset:1024
	scratch_load_dwordx4 v[28:31], off, off offset:928
	ds_read_b128 v[32:35], v2 offset:1952
	ds_read_b128 v[36:39], v2 offset:1968
	;; [unrolled: 1-line block ×6, first 2 shown]
	v_cmp_lt_u32_e32 vcc, 56, v252
	s_waitcnt vmcnt(6) lgkmcnt(5)
	v_mul_f64 v[2:3], v[32:33], v[6:7]
	v_mul_f64 v[6:7], v[34:35], v[6:7]
	s_waitcnt vmcnt(5) lgkmcnt(4)
	v_mul_f64 v[56:57], v[36:37], v[10:11]
	v_mul_f64 v[10:11], v[38:39], v[10:11]
	v_fmac_f64_e32 v[2:3], v[34:35], v[4:5]
	v_fma_f64 v[4:5], v[32:33], v[4:5], -v[6:7]
	s_waitcnt vmcnt(4) lgkmcnt(3)
	v_mul_f64 v[58:59], v[40:41], v[14:15]
	v_mul_f64 v[14:15], v[42:43], v[14:15]
	v_fmac_f64_e32 v[56:57], v[38:39], v[8:9]
	v_fma_f64 v[6:7], v[36:37], v[8:9], -v[10:11]
	v_add_f64 v[2:3], v[2:3], 0
	v_add_f64 v[4:5], v[4:5], 0
	s_waitcnt vmcnt(3) lgkmcnt(2)
	v_mul_f64 v[60:61], v[44:45], v[18:19]
	v_mul_f64 v[18:19], v[46:47], v[18:19]
	v_fmac_f64_e32 v[58:59], v[42:43], v[12:13]
	v_fma_f64 v[8:9], v[40:41], v[12:13], -v[14:15]
	v_add_f64 v[2:3], v[2:3], v[56:57]
	v_add_f64 v[4:5], v[4:5], v[6:7]
	;; [unrolled: 7-line block ×4, first 2 shown]
	v_fmac_f64_e32 v[64:65], v[54:55], v[24:25]
	v_fma_f64 v[14:15], v[52:53], v[24:25], -v[26:27]
	v_add_f64 v[2:3], v[2:3], v[62:63]
	v_add_f64 v[4:5], v[4:5], v[12:13]
	;; [unrolled: 1-line block ×4, first 2 shown]
	s_waitcnt vmcnt(0)
	v_add_f64 v[2:3], v[28:29], -v[2:3]
	v_add_f64 v[4:5], v[30:31], -v[6:7]
	scratch_store_dwordx4 off, v[2:5], off offset:928
	s_and_saveexec_b64 s[0:1], vcc
	s_cbranch_execz .LBB63_297
; %bb.296:
	scratch_load_dwordx4 v[2:5], off, s57
	v_mov_b32_e32 v6, 0
	v_mov_b32_e32 v7, v6
	;; [unrolled: 1-line block ×4, first 2 shown]
	v_accvgpr_read_b32 v0, a129
	scratch_store_dwordx4 off, v[6:9], off offset:912
	s_waitcnt vmcnt(1)
	ds_write_b128 v0, v[2:5]
.LBB63_297:
	s_or_b64 exec, exec, s[0:1]
	s_waitcnt lgkmcnt(0)
	; wave barrier
	scratch_load_dwordx4 v[4:7], off, off offset:928
	scratch_load_dwordx4 v[8:11], off, off offset:944
	;; [unrolled: 1-line block ×8, first 2 shown]
	v_mov_b32_e32 v2, 0
	ds_read_b128 v[36:39], v2 offset:1936
	ds_read_b128 v[40:43], v2 offset:1952
	;; [unrolled: 1-line block ×7, first 2 shown]
	v_cmp_lt_u32_e32 vcc, 55, v252
	s_waitcnt vmcnt(7) lgkmcnt(6)
	v_mul_f64 v[64:65], v[36:37], v[6:7]
	v_mul_f64 v[6:7], v[38:39], v[6:7]
	s_waitcnt vmcnt(6) lgkmcnt(5)
	v_mul_f64 v[66:67], v[40:41], v[10:11]
	s_waitcnt vmcnt(4) lgkmcnt(3)
	v_mul_f64 v[70:71], v[48:49], v[18:19]
	v_mul_f64 v[10:11], v[42:43], v[10:11]
	;; [unrolled: 1-line block ×3, first 2 shown]
	v_fmac_f64_e32 v[64:65], v[38:39], v[4:5]
	v_fma_f64 v[4:5], v[36:37], v[4:5], -v[6:7]
	v_mul_f64 v[68:69], v[44:45], v[14:15]
	v_mul_f64 v[14:15], v[46:47], v[14:15]
	v_fmac_f64_e32 v[66:67], v[42:43], v[8:9]
	v_fma_f64 v[6:7], v[40:41], v[8:9], -v[10:11]
	v_fma_f64 v[10:11], v[48:49], v[16:17], -v[18:19]
	v_add_f64 v[18:19], v[64:65], 0
	v_add_f64 v[4:5], v[4:5], 0
	v_fmac_f64_e32 v[68:69], v[46:47], v[12:13]
	v_fma_f64 v[8:9], v[44:45], v[12:13], -v[14:15]
	v_add_f64 v[18:19], v[18:19], v[66:67]
	v_add_f64 v[4:5], v[4:5], v[6:7]
	s_waitcnt vmcnt(3) lgkmcnt(2)
	v_mul_f64 v[72:73], v[52:53], v[22:23]
	v_mul_f64 v[22:23], v[54:55], v[22:23]
	v_fmac_f64_e32 v[70:71], v[50:51], v[16:17]
	v_add_f64 v[6:7], v[18:19], v[68:69]
	v_add_f64 v[4:5], v[4:5], v[8:9]
	s_waitcnt vmcnt(2) lgkmcnt(1)
	v_mul_f64 v[74:75], v[56:57], v[26:27]
	v_mul_f64 v[26:27], v[58:59], v[26:27]
	v_fmac_f64_e32 v[72:73], v[54:55], v[20:21]
	v_fma_f64 v[12:13], v[52:53], v[20:21], -v[22:23]
	v_add_f64 v[6:7], v[6:7], v[70:71]
	v_add_f64 v[4:5], v[4:5], v[10:11]
	s_waitcnt vmcnt(1) lgkmcnt(0)
	v_mul_f64 v[76:77], v[60:61], v[30:31]
	v_mul_f64 v[30:31], v[62:63], v[30:31]
	v_fmac_f64_e32 v[74:75], v[58:59], v[24:25]
	v_fma_f64 v[14:15], v[56:57], v[24:25], -v[26:27]
	v_add_f64 v[6:7], v[6:7], v[72:73]
	v_add_f64 v[4:5], v[4:5], v[12:13]
	v_fmac_f64_e32 v[76:77], v[62:63], v[28:29]
	v_fma_f64 v[16:17], v[60:61], v[28:29], -v[30:31]
	v_add_f64 v[6:7], v[6:7], v[74:75]
	v_add_f64 v[4:5], v[4:5], v[14:15]
	;; [unrolled: 1-line block ×4, first 2 shown]
	s_waitcnt vmcnt(0)
	v_add_f64 v[4:5], v[32:33], -v[4:5]
	v_add_f64 v[6:7], v[34:35], -v[6:7]
	scratch_store_dwordx4 off, v[4:7], off offset:912
	s_and_saveexec_b64 s[0:1], vcc
	s_cbranch_execz .LBB63_299
; %bb.298:
	scratch_load_dwordx4 v[6:9], off, s55
	v_mov_b32_e32 v3, v2
	v_mov_b32_e32 v4, v2
	;; [unrolled: 1-line block ×3, first 2 shown]
	v_accvgpr_read_b32 v0, a129
	scratch_store_dwordx4 off, v[2:5], off offset:896
	s_waitcnt vmcnt(1)
	ds_write_b128 v0, v[6:9]
.LBB63_299:
	s_or_b64 exec, exec, s[0:1]
	s_waitcnt lgkmcnt(0)
	; wave barrier
	scratch_load_dwordx4 v[4:7], off, off offset:912
	scratch_load_dwordx4 v[8:11], off, off offset:928
	;; [unrolled: 1-line block ×9, first 2 shown]
	ds_read_b128 v[40:43], v2 offset:1920
	ds_read_b128 v[44:47], v2 offset:1936
	ds_read_b128 v[48:51], v2 offset:1952
	ds_read_b128 v[52:55], v2 offset:1968
	ds_read_b128 v[56:59], v2 offset:1984
	ds_read_b128 v[60:63], v2 offset:2000
	ds_read_b128 v[64:67], v2 offset:2016
	ds_read_b128 v[68:71], v2 offset:2032
	v_cmp_lt_u32_e32 vcc, 54, v252
	s_waitcnt vmcnt(8) lgkmcnt(7)
	v_mul_f64 v[2:3], v[40:41], v[6:7]
	v_mul_f64 v[6:7], v[42:43], v[6:7]
	s_waitcnt vmcnt(7) lgkmcnt(6)
	v_mul_f64 v[72:73], v[44:45], v[10:11]
	v_mul_f64 v[10:11], v[46:47], v[10:11]
	v_fmac_f64_e32 v[2:3], v[42:43], v[4:5]
	v_fma_f64 v[4:5], v[40:41], v[4:5], -v[6:7]
	s_waitcnt vmcnt(6) lgkmcnt(5)
	v_mul_f64 v[74:75], v[48:49], v[14:15]
	v_mul_f64 v[14:15], v[50:51], v[14:15]
	v_fmac_f64_e32 v[72:73], v[46:47], v[8:9]
	v_fma_f64 v[6:7], v[44:45], v[8:9], -v[10:11]
	v_add_f64 v[2:3], v[2:3], 0
	v_add_f64 v[4:5], v[4:5], 0
	s_waitcnt vmcnt(5) lgkmcnt(4)
	v_mul_f64 v[76:77], v[52:53], v[18:19]
	v_mul_f64 v[18:19], v[54:55], v[18:19]
	v_fmac_f64_e32 v[74:75], v[50:51], v[12:13]
	v_fma_f64 v[8:9], v[48:49], v[12:13], -v[14:15]
	v_add_f64 v[2:3], v[2:3], v[72:73]
	v_add_f64 v[4:5], v[4:5], v[6:7]
	;; [unrolled: 7-line block ×6, first 2 shown]
	v_fmac_f64_e32 v[84:85], v[70:71], v[32:33]
	v_fma_f64 v[18:19], v[68:69], v[32:33], -v[34:35]
	v_add_f64 v[2:3], v[2:3], v[82:83]
	v_add_f64 v[4:5], v[4:5], v[16:17]
	;; [unrolled: 1-line block ×4, first 2 shown]
	s_waitcnt vmcnt(0)
	v_add_f64 v[2:3], v[36:37], -v[2:3]
	v_add_f64 v[4:5], v[38:39], -v[6:7]
	scratch_store_dwordx4 off, v[2:5], off offset:896
	s_and_saveexec_b64 s[0:1], vcc
	s_cbranch_execz .LBB63_301
; %bb.300:
	scratch_load_dwordx4 v[2:5], off, s54
	v_mov_b32_e32 v6, 0
	v_mov_b32_e32 v7, v6
	;; [unrolled: 1-line block ×4, first 2 shown]
	v_accvgpr_read_b32 v0, a129
	scratch_store_dwordx4 off, v[6:9], off offset:880
	s_waitcnt vmcnt(1)
	ds_write_b128 v0, v[2:5]
.LBB63_301:
	s_or_b64 exec, exec, s[0:1]
	s_waitcnt lgkmcnt(0)
	; wave barrier
	scratch_load_dwordx4 v[4:7], off, off offset:896
	scratch_load_dwordx4 v[8:11], off, off offset:912
	;; [unrolled: 1-line block ×10, first 2 shown]
	v_mov_b32_e32 v2, 0
	ds_read_b128 v[44:47], v2 offset:1904
	ds_read_b128 v[48:51], v2 offset:1920
	;; [unrolled: 1-line block ×9, first 2 shown]
	v_cmp_lt_u32_e32 vcc, 53, v252
	s_waitcnt vmcnt(9) lgkmcnt(8)
	v_mul_f64 v[80:81], v[44:45], v[6:7]
	v_mul_f64 v[6:7], v[46:47], v[6:7]
	s_waitcnt vmcnt(8) lgkmcnt(7)
	v_mul_f64 v[82:83], v[48:49], v[10:11]
	s_waitcnt vmcnt(7) lgkmcnt(6)
	;; [unrolled: 2-line block ×3, first 2 shown]
	v_mul_f64 v[88:89], v[60:61], v[22:23]
	v_mul_f64 v[10:11], v[50:51], v[10:11]
	;; [unrolled: 1-line block ×4, first 2 shown]
	v_fmac_f64_e32 v[80:81], v[46:47], v[4:5]
	v_fma_f64 v[4:5], v[44:45], v[4:5], -v[6:7]
	v_fmac_f64_e32 v[82:83], v[50:51], v[8:9]
	v_fmac_f64_e32 v[84:85], v[54:55], v[12:13]
	v_fma_f64 v[6:7], v[48:49], v[8:9], -v[10:11]
	v_fma_f64 v[8:9], v[52:53], v[12:13], -v[14:15]
	;; [unrolled: 1-line block ×3, first 2 shown]
	v_add_f64 v[22:23], v[80:81], 0
	v_add_f64 v[4:5], v[4:5], 0
	v_mul_f64 v[86:87], v[56:57], v[18:19]
	v_mul_f64 v[18:19], v[58:59], v[18:19]
	v_add_f64 v[22:23], v[22:23], v[82:83]
	v_add_f64 v[4:5], v[4:5], v[6:7]
	v_fmac_f64_e32 v[86:87], v[58:59], v[16:17]
	v_fma_f64 v[10:11], v[56:57], v[16:17], -v[18:19]
	v_add_f64 v[6:7], v[22:23], v[84:85]
	v_add_f64 v[4:5], v[4:5], v[8:9]
	s_waitcnt vmcnt(4) lgkmcnt(3)
	v_mul_f64 v[90:91], v[64:65], v[26:27]
	v_mul_f64 v[26:27], v[66:67], v[26:27]
	v_fmac_f64_e32 v[88:89], v[62:63], v[20:21]
	v_add_f64 v[6:7], v[6:7], v[86:87]
	v_add_f64 v[4:5], v[4:5], v[10:11]
	s_waitcnt vmcnt(3) lgkmcnt(2)
	v_mul_f64 v[92:93], v[68:69], v[30:31]
	v_mul_f64 v[30:31], v[70:71], v[30:31]
	v_fmac_f64_e32 v[90:91], v[66:67], v[24:25]
	v_fma_f64 v[14:15], v[64:65], v[24:25], -v[26:27]
	v_add_f64 v[6:7], v[6:7], v[88:89]
	v_add_f64 v[4:5], v[4:5], v[12:13]
	s_waitcnt vmcnt(2) lgkmcnt(1)
	v_mul_f64 v[94:95], v[72:73], v[34:35]
	v_mul_f64 v[34:35], v[74:75], v[34:35]
	v_fmac_f64_e32 v[92:93], v[70:71], v[28:29]
	v_fma_f64 v[16:17], v[68:69], v[28:29], -v[30:31]
	;; [unrolled: 7-line block ×3, first 2 shown]
	v_add_f64 v[6:7], v[6:7], v[92:93]
	v_add_f64 v[4:5], v[4:5], v[16:17]
	v_fmac_f64_e32 v[96:97], v[78:79], v[36:37]
	v_fma_f64 v[20:21], v[76:77], v[36:37], -v[38:39]
	v_add_f64 v[6:7], v[6:7], v[94:95]
	v_add_f64 v[4:5], v[4:5], v[18:19]
	;; [unrolled: 1-line block ×4, first 2 shown]
	s_waitcnt vmcnt(0)
	v_add_f64 v[4:5], v[40:41], -v[4:5]
	v_add_f64 v[6:7], v[42:43], -v[6:7]
	scratch_store_dwordx4 off, v[4:7], off offset:880
	s_and_saveexec_b64 s[0:1], vcc
	s_cbranch_execz .LBB63_303
; %bb.302:
	scratch_load_dwordx4 v[6:9], off, s52
	v_mov_b32_e32 v3, v2
	v_mov_b32_e32 v4, v2
	;; [unrolled: 1-line block ×3, first 2 shown]
	v_accvgpr_read_b32 v0, a129
	scratch_store_dwordx4 off, v[2:5], off offset:864
	s_waitcnt vmcnt(1)
	ds_write_b128 v0, v[6:9]
.LBB63_303:
	s_or_b64 exec, exec, s[0:1]
	s_waitcnt lgkmcnt(0)
	; wave barrier
	scratch_load_dwordx4 v[4:7], off, off offset:880
	scratch_load_dwordx4 v[8:11], off, off offset:896
	;; [unrolled: 1-line block ×11, first 2 shown]
	ds_read_b128 v[48:51], v2 offset:1888
	ds_read_b128 v[52:55], v2 offset:1904
	;; [unrolled: 1-line block ×10, first 2 shown]
	v_cmp_lt_u32_e32 vcc, 52, v252
	s_waitcnt vmcnt(10) lgkmcnt(9)
	v_mul_f64 v[2:3], v[48:49], v[6:7]
	v_mul_f64 v[6:7], v[50:51], v[6:7]
	s_waitcnt vmcnt(9) lgkmcnt(8)
	v_mul_f64 v[88:89], v[52:53], v[10:11]
	v_mul_f64 v[10:11], v[54:55], v[10:11]
	v_fmac_f64_e32 v[2:3], v[50:51], v[4:5]
	v_fma_f64 v[4:5], v[48:49], v[4:5], -v[6:7]
	s_waitcnt vmcnt(8) lgkmcnt(7)
	v_mul_f64 v[90:91], v[56:57], v[14:15]
	v_mul_f64 v[14:15], v[58:59], v[14:15]
	v_fmac_f64_e32 v[88:89], v[54:55], v[8:9]
	v_fma_f64 v[6:7], v[52:53], v[8:9], -v[10:11]
	v_add_f64 v[2:3], v[2:3], 0
	v_add_f64 v[4:5], v[4:5], 0
	s_waitcnt vmcnt(7) lgkmcnt(6)
	v_mul_f64 v[92:93], v[60:61], v[18:19]
	v_mul_f64 v[18:19], v[62:63], v[18:19]
	v_fmac_f64_e32 v[90:91], v[58:59], v[12:13]
	v_fma_f64 v[8:9], v[56:57], v[12:13], -v[14:15]
	v_add_f64 v[2:3], v[2:3], v[88:89]
	v_add_f64 v[4:5], v[4:5], v[6:7]
	;; [unrolled: 7-line block ×8, first 2 shown]
	v_fmac_f64_e32 v[104:105], v[86:87], v[40:41]
	v_fma_f64 v[22:23], v[84:85], v[40:41], -v[42:43]
	v_add_f64 v[2:3], v[2:3], v[102:103]
	v_add_f64 v[4:5], v[4:5], v[20:21]
	;; [unrolled: 1-line block ×4, first 2 shown]
	s_waitcnt vmcnt(0)
	v_add_f64 v[2:3], v[44:45], -v[2:3]
	v_add_f64 v[4:5], v[46:47], -v[6:7]
	scratch_store_dwordx4 off, v[2:5], off offset:864
	s_and_saveexec_b64 s[0:1], vcc
	s_cbranch_execz .LBB63_305
; %bb.304:
	scratch_load_dwordx4 v[2:5], off, s51
	v_mov_b32_e32 v6, 0
	v_mov_b32_e32 v7, v6
	;; [unrolled: 1-line block ×4, first 2 shown]
	v_accvgpr_read_b32 v0, a129
	scratch_store_dwordx4 off, v[6:9], off offset:848
	s_waitcnt vmcnt(1)
	ds_write_b128 v0, v[2:5]
.LBB63_305:
	s_or_b64 exec, exec, s[0:1]
	s_waitcnt lgkmcnt(0)
	; wave barrier
	scratch_load_dwordx4 v[4:7], off, off offset:864
	scratch_load_dwordx4 v[8:11], off, off offset:880
	;; [unrolled: 1-line block ×12, first 2 shown]
	v_mov_b32_e32 v2, 0
	ds_read_b128 v[52:55], v2 offset:1872
	ds_read_b128 v[56:59], v2 offset:1888
	ds_read_b128 v[60:63], v2 offset:1904
	ds_read_b128 v[64:67], v2 offset:1920
	ds_read_b128 v[68:71], v2 offset:1936
	ds_read_b128 v[72:75], v2 offset:1952
	ds_read_b128 v[76:79], v2 offset:1968
	ds_read_b128 v[80:83], v2 offset:1984
	ds_read_b128 v[84:87], v2 offset:2000
	ds_read_b128 v[88:91], v2 offset:2016
	ds_read_b128 v[92:95], v2 offset:2032
	v_cmp_lt_u32_e32 vcc, 51, v252
	s_waitcnt vmcnt(11) lgkmcnt(10)
	v_mul_f64 v[96:97], v[52:53], v[6:7]
	v_mul_f64 v[6:7], v[54:55], v[6:7]
	s_waitcnt vmcnt(10) lgkmcnt(9)
	v_mul_f64 v[98:99], v[56:57], v[10:11]
	s_waitcnt vmcnt(9) lgkmcnt(8)
	v_mul_f64 v[100:101], v[60:61], v[14:15]
	v_mul_f64 v[10:11], v[58:59], v[10:11]
	s_waitcnt vmcnt(6) lgkmcnt(5)
	v_mul_f64 v[106:107], v[72:73], v[26:27]
	v_mul_f64 v[14:15], v[62:63], v[14:15]
	v_mul_f64 v[26:27], v[74:75], v[26:27]
	v_fmac_f64_e32 v[96:97], v[54:55], v[4:5]
	v_fma_f64 v[4:5], v[52:53], v[4:5], -v[6:7]
	v_fmac_f64_e32 v[98:99], v[58:59], v[8:9]
	v_fma_f64 v[6:7], v[56:57], v[8:9], -v[10:11]
	v_fma_f64 v[8:9], v[60:61], v[12:13], -v[14:15]
	;; [unrolled: 1-line block ×3, first 2 shown]
	v_add_f64 v[26:27], v[96:97], 0
	v_add_f64 v[4:5], v[4:5], 0
	v_mul_f64 v[102:103], v[64:65], v[18:19]
	v_mul_f64 v[18:19], v[66:67], v[18:19]
	v_fmac_f64_e32 v[100:101], v[62:63], v[12:13]
	v_add_f64 v[26:27], v[26:27], v[98:99]
	v_add_f64 v[4:5], v[4:5], v[6:7]
	v_mul_f64 v[104:105], v[68:69], v[22:23]
	v_mul_f64 v[22:23], v[70:71], v[22:23]
	v_fmac_f64_e32 v[102:103], v[66:67], v[16:17]
	v_fma_f64 v[10:11], v[64:65], v[16:17], -v[18:19]
	v_add_f64 v[6:7], v[26:27], v[100:101]
	v_add_f64 v[4:5], v[4:5], v[8:9]
	v_fmac_f64_e32 v[104:105], v[70:71], v[20:21]
	v_fma_f64 v[12:13], v[68:69], v[20:21], -v[22:23]
	v_add_f64 v[6:7], v[6:7], v[102:103]
	v_add_f64 v[4:5], v[4:5], v[10:11]
	s_waitcnt vmcnt(5) lgkmcnt(4)
	v_mul_f64 v[108:109], v[76:77], v[30:31]
	v_mul_f64 v[30:31], v[78:79], v[30:31]
	v_fmac_f64_e32 v[106:107], v[74:75], v[24:25]
	v_add_f64 v[6:7], v[6:7], v[104:105]
	v_add_f64 v[4:5], v[4:5], v[12:13]
	s_waitcnt vmcnt(4) lgkmcnt(3)
	v_mul_f64 v[110:111], v[80:81], v[34:35]
	v_mul_f64 v[34:35], v[82:83], v[34:35]
	v_fmac_f64_e32 v[108:109], v[78:79], v[28:29]
	v_fma_f64 v[16:17], v[76:77], v[28:29], -v[30:31]
	v_add_f64 v[6:7], v[6:7], v[106:107]
	v_add_f64 v[4:5], v[4:5], v[14:15]
	s_waitcnt vmcnt(3) lgkmcnt(2)
	v_mul_f64 v[112:113], v[84:85], v[38:39]
	v_mul_f64 v[38:39], v[86:87], v[38:39]
	v_fmac_f64_e32 v[110:111], v[82:83], v[32:33]
	v_fma_f64 v[18:19], v[80:81], v[32:33], -v[34:35]
	;; [unrolled: 7-line block ×4, first 2 shown]
	v_add_f64 v[6:7], v[6:7], v[112:113]
	v_add_f64 v[4:5], v[4:5], v[20:21]
	v_fmac_f64_e32 v[116:117], v[94:95], v[44:45]
	v_fma_f64 v[24:25], v[92:93], v[44:45], -v[46:47]
	v_add_f64 v[6:7], v[6:7], v[114:115]
	v_add_f64 v[4:5], v[4:5], v[22:23]
	;; [unrolled: 1-line block ×4, first 2 shown]
	s_waitcnt vmcnt(0)
	v_add_f64 v[4:5], v[48:49], -v[4:5]
	v_add_f64 v[6:7], v[50:51], -v[6:7]
	scratch_store_dwordx4 off, v[4:7], off offset:848
	s_and_saveexec_b64 s[0:1], vcc
	s_cbranch_execz .LBB63_307
; %bb.306:
	scratch_load_dwordx4 v[6:9], off, s48
	v_mov_b32_e32 v3, v2
	v_mov_b32_e32 v4, v2
	;; [unrolled: 1-line block ×3, first 2 shown]
	v_accvgpr_read_b32 v0, a129
	scratch_store_dwordx4 off, v[2:5], off offset:832
	s_waitcnt vmcnt(1)
	ds_write_b128 v0, v[6:9]
.LBB63_307:
	s_or_b64 exec, exec, s[0:1]
	s_waitcnt lgkmcnt(0)
	; wave barrier
	scratch_load_dwordx4 v[4:7], off, off offset:848
	scratch_load_dwordx4 v[8:11], off, off offset:864
	;; [unrolled: 1-line block ×12, first 2 shown]
	ds_read_b128 v[52:55], v2 offset:1856
	ds_read_b128 v[56:59], v2 offset:1872
	;; [unrolled: 1-line block ×4, first 2 shown]
	scratch_load_dwordx4 v[68:71], off, off offset:832
	ds_read_b128 v[72:75], v2 offset:1920
	ds_read_b128 v[76:79], v2 offset:1936
	;; [unrolled: 1-line block ×8, first 2 shown]
	v_cmp_lt_u32_e32 vcc, 50, v252
	s_waitcnt vmcnt(12) lgkmcnt(11)
	v_mul_f64 v[2:3], v[52:53], v[6:7]
	s_waitcnt vmcnt(11) lgkmcnt(10)
	v_mul_f64 v[104:105], v[56:57], v[10:11]
	v_fmac_f64_e32 v[2:3], v[54:55], v[4:5]
	s_waitcnt vmcnt(10) lgkmcnt(9)
	v_mul_f64 v[106:107], v[60:61], v[14:15]
	v_mul_f64 v[6:7], v[54:55], v[6:7]
	v_fmac_f64_e32 v[104:105], v[58:59], v[8:9]
	v_add_f64 v[2:3], v[2:3], 0
	s_waitcnt vmcnt(9) lgkmcnt(8)
	v_mul_f64 v[108:109], v[64:65], v[18:19]
	v_mul_f64 v[10:11], v[58:59], v[10:11]
	v_fmac_f64_e32 v[106:107], v[62:63], v[12:13]
	v_fma_f64 v[4:5], v[52:53], v[4:5], -v[6:7]
	v_add_f64 v[2:3], v[2:3], v[104:105]
	s_waitcnt vmcnt(8) lgkmcnt(7)
	v_mul_f64 v[110:111], v[72:73], v[22:23]
	v_mul_f64 v[14:15], v[62:63], v[14:15]
	v_fmac_f64_e32 v[108:109], v[66:67], v[16:17]
	v_fma_f64 v[6:7], v[56:57], v[8:9], -v[10:11]
	v_add_f64 v[4:5], v[4:5], 0
	v_add_f64 v[2:3], v[2:3], v[106:107]
	s_waitcnt vmcnt(7) lgkmcnt(6)
	v_mul_f64 v[112:113], v[76:77], v[26:27]
	v_mul_f64 v[18:19], v[66:67], v[18:19]
	v_fmac_f64_e32 v[110:111], v[74:75], v[20:21]
	v_fma_f64 v[8:9], v[60:61], v[12:13], -v[14:15]
	v_add_f64 v[4:5], v[4:5], v[6:7]
	;; [unrolled: 7-line block ×8, first 2 shown]
	v_add_f64 v[2:3], v[2:3], v[120:121]
	v_mul_f64 v[46:47], v[98:99], v[46:47]
	v_fmac_f64_e32 v[124:125], v[102:103], v[48:49]
	v_fma_f64 v[22:23], v[92:93], v[40:41], -v[42:43]
	v_add_f64 v[4:5], v[4:5], v[20:21]
	v_add_f64 v[2:3], v[2:3], v[122:123]
	;; [unrolled: 1-line block ×4, first 2 shown]
	v_fma_f64 v[2:3], v[96:97], v[44:45], -v[46:47]
	v_add_f64 v[2:3], v[4:5], v[2:3]
	v_mul_f64 v[4:5], v[102:103], v[50:51]
	v_fma_f64 v[4:5], v[100:101], v[48:49], -v[4:5]
	v_add_f64 v[2:3], v[2:3], v[4:5]
	s_waitcnt vmcnt(0)
	v_add_f64 v[2:3], v[68:69], -v[2:3]
	v_add_f64 v[4:5], v[70:71], -v[6:7]
	scratch_store_dwordx4 off, v[2:5], off offset:832
	s_and_saveexec_b64 s[0:1], vcc
	s_cbranch_execz .LBB63_309
; %bb.308:
	scratch_load_dwordx4 v[2:5], off, s50
	v_mov_b32_e32 v6, 0
	v_mov_b32_e32 v7, v6
	;; [unrolled: 1-line block ×4, first 2 shown]
	v_accvgpr_read_b32 v0, a129
	scratch_store_dwordx4 off, v[6:9], off offset:816
	s_waitcnt vmcnt(1)
	ds_write_b128 v0, v[2:5]
.LBB63_309:
	s_or_b64 exec, exec, s[0:1]
	v_mov_b32_e32 v2, 0
	s_waitcnt lgkmcnt(0)
	; wave barrier
	ds_read_b128 v[16:19], v2 offset:1840
	ds_read_b128 v[12:15], v2 offset:1856
	;; [unrolled: 1-line block ×4, first 2 shown]
	scratch_load_dwordx4 v[20:23], off, off offset:832
	scratch_load_dwordx4 v[42:45], off, off offset:896
	scratch_load_dwordx4 v[74:77], off, off offset:960
	scratch_load_dwordx4 v[82:85], off, off offset:976
	scratch_load_dwordx4 v[90:93], off, off offset:992
	scratch_load_dwordx4 v[98:101], off, off offset:1008
	scratch_load_dwordx4 v[106:109], off, off offset:1024
	v_cmp_lt_u32_e32 vcc, 49, v252
	scratch_load_dwordx4 v[50:53], off, off offset:912
	scratch_load_dwordx4 v[58:61], off, off offset:928
	;; [unrolled: 1-line block ×3, first 2 shown]
	s_waitcnt vmcnt(9) lgkmcnt(3)
	v_mul_f64 v[24:25], v[16:17], v[22:23]
	v_fmac_f64_e32 v[24:25], v[18:19], v[20:21]
	v_add_f64 v[28:29], v[24:25], 0
	scratch_load_dwordx4 v[24:27], off, off offset:848
	v_mul_f64 v[18:19], v[18:19], v[22:23]
	v_fma_f64 v[16:17], v[16:17], v[20:21], -v[18:19]
	v_add_f64 v[16:17], v[16:17], 0
	s_waitcnt vmcnt(0) lgkmcnt(2)
	v_mul_f64 v[30:31], v[12:13], v[26:27]
	v_fmac_f64_e32 v[30:31], v[14:15], v[24:25]
	v_add_f64 v[32:33], v[28:29], v[30:31]
	scratch_load_dwordx4 v[28:31], off, off offset:864
	v_mul_f64 v[14:15], v[14:15], v[26:27]
	v_fma_f64 v[12:13], v[12:13], v[24:25], -v[14:15]
	v_add_f64 v[12:13], v[16:17], v[12:13]
	;; [unrolled: 8-line block ×3, first 2 shown]
	s_waitcnt vmcnt(0) lgkmcnt(0)
	v_mul_f64 v[38:39], v[4:5], v[36:37]
	v_fmac_f64_e32 v[38:39], v[6:7], v[34:35]
	v_add_f64 v[32:33], v[32:33], v[38:39]
	ds_read_b128 v[38:41], v2 offset:1904
	v_mul_f64 v[6:7], v[6:7], v[36:37]
	v_fma_f64 v[4:5], v[4:5], v[34:35], -v[6:7]
	v_add_f64 v[4:5], v[8:9], v[4:5]
	s_waitcnt lgkmcnt(0)
	v_mul_f64 v[46:47], v[38:39], v[44:45]
	v_fmac_f64_e32 v[46:47], v[40:41], v[42:43]
	v_add_f64 v[32:33], v[32:33], v[46:47]
	ds_read_b128 v[46:49], v2 offset:1920
	v_mul_f64 v[6:7], v[40:41], v[44:45]
	v_fma_f64 v[6:7], v[38:39], v[42:43], -v[6:7]
	v_add_f64 v[4:5], v[4:5], v[6:7]
	s_waitcnt lgkmcnt(0)
	;; [unrolled: 8-line block ×9, first 2 shown]
	v_mul_f64 v[6:7], v[104:105], v[108:109]
	v_fma_f64 v[6:7], v[102:103], v[106:107], -v[6:7]
	v_add_f64 v[8:9], v[4:5], v[6:7]
	scratch_load_dwordx4 v[4:7], off, off offset:816
	v_mul_f64 v[110:111], v[102:103], v[108:109]
	v_fmac_f64_e32 v[110:111], v[104:105], v[106:107]
	v_add_f64 v[32:33], v[32:33], v[110:111]
	s_waitcnt vmcnt(0)
	v_add_f64 v[4:5], v[4:5], -v[8:9]
	v_add_f64 v[6:7], v[6:7], -v[32:33]
	scratch_store_dwordx4 off, v[4:7], off offset:816
	s_and_saveexec_b64 s[0:1], vcc
	s_cbranch_execz .LBB63_311
; %bb.310:
	scratch_load_dwordx4 v[6:9], off, s47
	v_mov_b32_e32 v3, v2
	v_mov_b32_e32 v4, v2
	;; [unrolled: 1-line block ×3, first 2 shown]
	v_accvgpr_read_b32 v0, a129
	scratch_store_dwordx4 off, v[2:5], off offset:800
	s_waitcnt vmcnt(1)
	ds_write_b128 v0, v[6:9]
.LBB63_311:
	s_or_b64 exec, exec, s[0:1]
	s_waitcnt lgkmcnt(0)
	; wave barrier
	ds_read_b128 v[16:19], v2 offset:1824
	ds_read_b128 v[12:15], v2 offset:1840
	ds_read_b128 v[8:11], v2 offset:1856
	ds_read_b128 v[4:7], v2 offset:1872
	scratch_load_dwordx4 v[20:23], off, off offset:816
	scratch_load_dwordx4 v[42:45], off, off offset:880
	;; [unrolled: 1-line block ×8, first 2 shown]
	v_cmp_lt_u32_e32 vcc, 48, v252
	scratch_load_dwordx4 v[50:53], off, off offset:896
	scratch_load_dwordx4 v[58:61], off, off offset:912
	;; [unrolled: 1-line block ×3, first 2 shown]
	s_waitcnt vmcnt(10) lgkmcnt(3)
	v_mul_f64 v[24:25], v[16:17], v[22:23]
	v_fmac_f64_e32 v[24:25], v[18:19], v[20:21]
	v_add_f64 v[28:29], v[24:25], 0
	scratch_load_dwordx4 v[24:27], off, off offset:832
	s_waitcnt vmcnt(0) lgkmcnt(2)
	v_mul_f64 v[30:31], v[12:13], v[26:27]
	v_fmac_f64_e32 v[30:31], v[14:15], v[24:25]
	v_add_f64 v[32:33], v[28:29], v[30:31]
	scratch_load_dwordx4 v[28:31], off, off offset:848
	v_mul_f64 v[14:15], v[14:15], v[26:27]
	v_fma_f64 v[12:13], v[12:13], v[24:25], -v[14:15]
	s_waitcnt vmcnt(0) lgkmcnt(1)
	v_mul_f64 v[34:35], v[8:9], v[30:31]
	v_fmac_f64_e32 v[34:35], v[10:11], v[28:29]
	v_add_f64 v[36:37], v[32:33], v[34:35]
	scratch_load_dwordx4 v[32:35], off, off offset:864
	v_mul_f64 v[10:11], v[10:11], v[30:31]
	v_fma_f64 v[8:9], v[8:9], v[28:29], -v[10:11]
	s_waitcnt vmcnt(0) lgkmcnt(0)
	v_mul_f64 v[38:39], v[4:5], v[34:35]
	v_fmac_f64_e32 v[38:39], v[6:7], v[32:33]
	v_add_f64 v[40:41], v[36:37], v[38:39]
	ds_read_b128 v[36:39], v2 offset:1888
	v_mul_f64 v[6:7], v[6:7], v[34:35]
	v_fma_f64 v[4:5], v[4:5], v[32:33], -v[6:7]
	s_waitcnt lgkmcnt(0)
	v_mul_f64 v[46:47], v[36:37], v[44:45]
	v_fmac_f64_e32 v[46:47], v[38:39], v[42:43]
	v_add_f64 v[40:41], v[40:41], v[46:47]
	ds_read_b128 v[46:49], v2 offset:1904
	s_waitcnt lgkmcnt(0)
	v_mul_f64 v[54:55], v[46:47], v[52:53]
	v_fmac_f64_e32 v[54:55], v[48:49], v[50:51]
	v_add_f64 v[40:41], v[40:41], v[54:55]
	ds_read_b128 v[54:57], v2 offset:1920
	s_waitcnt lgkmcnt(0)
	v_mul_f64 v[62:63], v[54:55], v[60:61]
	v_fmac_f64_e32 v[62:63], v[56:57], v[58:59]
	v_add_f64 v[40:41], v[40:41], v[62:63]
	ds_read_b128 v[62:65], v2 offset:1936
	s_waitcnt lgkmcnt(0)
	v_mul_f64 v[70:71], v[62:63], v[68:69]
	v_fmac_f64_e32 v[70:71], v[64:65], v[66:67]
	v_add_f64 v[40:41], v[40:41], v[70:71]
	ds_read_b128 v[70:73], v2 offset:1952
	s_waitcnt lgkmcnt(0)
	v_mul_f64 v[78:79], v[70:71], v[76:77]
	v_fmac_f64_e32 v[78:79], v[72:73], v[74:75]
	v_add_f64 v[40:41], v[40:41], v[78:79]
	ds_read_b128 v[78:81], v2 offset:1968
	s_waitcnt lgkmcnt(0)
	v_mul_f64 v[86:87], v[78:79], v[84:85]
	v_fmac_f64_e32 v[86:87], v[80:81], v[82:83]
	v_add_f64 v[40:41], v[40:41], v[86:87]
	ds_read_b128 v[86:89], v2 offset:1984
	s_waitcnt lgkmcnt(0)
	v_mul_f64 v[94:95], v[86:87], v[92:93]
	v_fmac_f64_e32 v[94:95], v[88:89], v[90:91]
	v_add_f64 v[40:41], v[40:41], v[94:95]
	ds_read_b128 v[94:97], v2 offset:2000
	s_waitcnt lgkmcnt(0)
	v_mul_f64 v[102:103], v[94:95], v[100:101]
	v_fmac_f64_e32 v[102:103], v[96:97], v[98:99]
	v_add_f64 v[40:41], v[40:41], v[102:103]
	ds_read_b128 v[102:105], v2 offset:2016
	s_waitcnt lgkmcnt(0)
	v_mul_f64 v[110:111], v[102:103], v[108:109]
	v_fmac_f64_e32 v[110:111], v[104:105], v[106:107]
	v_add_f64 v[40:41], v[40:41], v[110:111]
	ds_read_b128 v[110:113], v2 offset:2032
	s_waitcnt lgkmcnt(0)
	v_mul_f64 v[2:3], v[110:111], v[116:117]
	v_fmac_f64_e32 v[2:3], v[112:113], v[114:115]
	v_add_f64 v[40:41], v[40:41], v[2:3]
	v_mul_f64 v[2:3], v[18:19], v[22:23]
	v_fma_f64 v[2:3], v[16:17], v[20:21], -v[2:3]
	v_add_f64 v[2:3], v[2:3], 0
	v_add_f64 v[2:3], v[2:3], v[12:13]
	;; [unrolled: 1-line block ×4, first 2 shown]
	v_mul_f64 v[4:5], v[38:39], v[44:45]
	v_fma_f64 v[4:5], v[36:37], v[42:43], -v[4:5]
	v_add_f64 v[2:3], v[2:3], v[4:5]
	v_mul_f64 v[4:5], v[48:49], v[52:53]
	v_fma_f64 v[4:5], v[46:47], v[50:51], -v[4:5]
	v_add_f64 v[2:3], v[2:3], v[4:5]
	;; [unrolled: 3-line block ×10, first 2 shown]
	scratch_load_dwordx4 v[2:5], off, off offset:800
	s_waitcnt vmcnt(0)
	v_add_f64 v[2:3], v[2:3], -v[6:7]
	v_add_f64 v[4:5], v[4:5], -v[40:41]
	scratch_store_dwordx4 off, v[2:5], off offset:800
	s_and_saveexec_b64 s[0:1], vcc
	s_cbranch_execz .LBB63_313
; %bb.312:
	scratch_load_dwordx4 v[2:5], off, s46
	v_mov_b32_e32 v6, 0
	v_mov_b32_e32 v7, v6
	;; [unrolled: 1-line block ×4, first 2 shown]
	v_accvgpr_read_b32 v0, a129
	scratch_store_dwordx4 off, v[6:9], off offset:784
	s_waitcnt vmcnt(1)
	ds_write_b128 v0, v[2:5]
.LBB63_313:
	s_or_b64 exec, exec, s[0:1]
	v_mov_b32_e32 v2, 0
	s_waitcnt lgkmcnt(0)
	; wave barrier
	ds_read_b128 v[16:19], v2 offset:1808
	ds_read_b128 v[12:15], v2 offset:1824
	ds_read_b128 v[8:11], v2 offset:1840
	ds_read_b128 v[4:7], v2 offset:1856
	scratch_load_dwordx4 v[20:23], off, off offset:800
	scratch_load_dwordx4 v[40:43], off, off offset:864
	;; [unrolled: 1-line block ×9, first 2 shown]
	v_cmp_lt_u32_e32 vcc, 47, v252
	scratch_load_dwordx4 v[50:53], off, off offset:880
	scratch_load_dwordx4 v[58:61], off, off offset:896
	;; [unrolled: 1-line block ×3, first 2 shown]
	s_waitcnt vmcnt(11) lgkmcnt(3)
	v_mul_f64 v[24:25], v[16:17], v[22:23]
	v_fmac_f64_e32 v[24:25], v[18:19], v[20:21]
	v_add_f64 v[28:29], v[24:25], 0
	scratch_load_dwordx4 v[24:27], off, off offset:816
	v_mul_f64 v[18:19], v[18:19], v[22:23]
	v_fma_f64 v[16:17], v[16:17], v[20:21], -v[18:19]
	v_add_f64 v[16:17], v[16:17], 0
	s_waitcnt vmcnt(0) lgkmcnt(2)
	v_mul_f64 v[30:31], v[12:13], v[26:27]
	v_fmac_f64_e32 v[30:31], v[14:15], v[24:25]
	v_add_f64 v[32:33], v[28:29], v[30:31]
	scratch_load_dwordx4 v[28:31], off, off offset:832
	v_mul_f64 v[14:15], v[14:15], v[26:27]
	v_fma_f64 v[12:13], v[12:13], v[24:25], -v[14:15]
	v_add_f64 v[12:13], v[16:17], v[12:13]
	;; [unrolled: 8-line block ×3, first 2 shown]
	s_waitcnt vmcnt(0) lgkmcnt(0)
	v_mul_f64 v[38:39], v[4:5], v[34:35]
	v_fmac_f64_e32 v[38:39], v[6:7], v[32:33]
	v_add_f64 v[44:45], v[36:37], v[38:39]
	ds_read_b128 v[36:39], v2 offset:1872
	v_mul_f64 v[6:7], v[6:7], v[34:35]
	v_fma_f64 v[4:5], v[4:5], v[32:33], -v[6:7]
	v_add_f64 v[4:5], v[8:9], v[4:5]
	s_waitcnt lgkmcnt(0)
	v_mul_f64 v[46:47], v[36:37], v[42:43]
	v_fmac_f64_e32 v[46:47], v[38:39], v[40:41]
	v_add_f64 v[48:49], v[44:45], v[46:47]
	ds_read_b128 v[44:47], v2 offset:1888
	v_mul_f64 v[6:7], v[38:39], v[42:43]
	v_fma_f64 v[6:7], v[36:37], v[40:41], -v[6:7]
	v_add_f64 v[4:5], v[4:5], v[6:7]
	s_waitcnt lgkmcnt(0)
	;; [unrolled: 8-line block ×11, first 2 shown]
	v_mul_f64 v[6:7], v[120:121], v[124:125]
	v_fma_f64 v[6:7], v[118:119], v[122:123], -v[6:7]
	v_add_f64 v[8:9], v[4:5], v[6:7]
	scratch_load_dwordx4 v[4:7], off, off offset:784
	v_mul_f64 v[126:127], v[118:119], v[124:125]
	v_fmac_f64_e32 v[126:127], v[120:121], v[122:123]
	v_add_f64 v[48:49], v[48:49], v[126:127]
	s_waitcnt vmcnt(0)
	v_add_f64 v[4:5], v[4:5], -v[8:9]
	v_add_f64 v[6:7], v[6:7], -v[48:49]
	scratch_store_dwordx4 off, v[4:7], off offset:784
	s_and_saveexec_b64 s[0:1], vcc
	s_cbranch_execz .LBB63_315
; %bb.314:
	scratch_load_dwordx4 v[6:9], off, s45
	v_mov_b32_e32 v3, v2
	v_mov_b32_e32 v4, v2
	;; [unrolled: 1-line block ×3, first 2 shown]
	v_accvgpr_read_b32 v0, a129
	scratch_store_dwordx4 off, v[2:5], off offset:768
	s_waitcnt vmcnt(1)
	ds_write_b128 v0, v[6:9]
.LBB63_315:
	s_or_b64 exec, exec, s[0:1]
	s_waitcnt lgkmcnt(0)
	; wave barrier
	ds_read_b128 v[16:19], v2 offset:1792
	ds_read_b128 v[12:15], v2 offset:1808
	;; [unrolled: 1-line block ×4, first 2 shown]
	scratch_load_dwordx4 v[20:23], off, off offset:784
	scratch_load_dwordx4 v[40:43], off, off offset:848
	;; [unrolled: 1-line block ×10, first 2 shown]
	v_cmp_lt_u32_e32 vcc, 46, v252
	scratch_load_dwordx4 v[48:51], off, off offset:864
	scratch_load_dwordx4 v[56:59], off, off offset:880
	;; [unrolled: 1-line block ×3, first 2 shown]
	s_waitcnt vmcnt(12) lgkmcnt(3)
	v_mul_f64 v[24:25], v[16:17], v[22:23]
	v_fmac_f64_e32 v[24:25], v[18:19], v[20:21]
	v_add_f64 v[28:29], v[24:25], 0
	scratch_load_dwordx4 v[24:27], off, off offset:800
	s_waitcnt vmcnt(0) lgkmcnt(2)
	v_mul_f64 v[30:31], v[12:13], v[26:27]
	v_fmac_f64_e32 v[30:31], v[14:15], v[24:25]
	v_add_f64 v[32:33], v[28:29], v[30:31]
	scratch_load_dwordx4 v[28:31], off, off offset:816
	v_mul_f64 v[14:15], v[14:15], v[26:27]
	v_fma_f64 v[12:13], v[12:13], v[24:25], -v[14:15]
	s_waitcnt vmcnt(0) lgkmcnt(1)
	v_mul_f64 v[34:35], v[8:9], v[30:31]
	v_fmac_f64_e32 v[34:35], v[10:11], v[28:29]
	v_add_f64 v[36:37], v[32:33], v[34:35]
	scratch_load_dwordx4 v[32:35], off, off offset:832
	v_mul_f64 v[10:11], v[10:11], v[30:31]
	v_fma_f64 v[8:9], v[8:9], v[28:29], -v[10:11]
	s_waitcnt vmcnt(0) lgkmcnt(0)
	v_mul_f64 v[38:39], v[4:5], v[34:35]
	v_fmac_f64_e32 v[38:39], v[6:7], v[32:33]
	v_add_f64 v[44:45], v[36:37], v[38:39]
	ds_read_b128 v[36:39], v2 offset:1856
	v_mul_f64 v[6:7], v[6:7], v[34:35]
	v_fma_f64 v[4:5], v[4:5], v[32:33], -v[6:7]
	s_waitcnt lgkmcnt(0)
	v_mul_f64 v[46:47], v[36:37], v[42:43]
	v_fmac_f64_e32 v[46:47], v[38:39], v[40:41]
	v_add_f64 v[52:53], v[44:45], v[46:47]
	ds_read_b128 v[44:47], v2 offset:1872
	s_waitcnt lgkmcnt(0)
	v_mul_f64 v[54:55], v[44:45], v[50:51]
	v_fmac_f64_e32 v[54:55], v[46:47], v[48:49]
	v_add_f64 v[60:61], v[52:53], v[54:55]
	ds_read_b128 v[52:55], v2 offset:1888
	;; [unrolled: 5-line block ×11, first 2 shown]
	s_waitcnt lgkmcnt(0)
	v_mul_f64 v[2:3], v[126:127], v[132:133]
	v_fmac_f64_e32 v[2:3], v[128:129], v[130:131]
	v_add_f64 v[64:65], v[64:65], v[2:3]
	v_mul_f64 v[2:3], v[18:19], v[22:23]
	v_fma_f64 v[2:3], v[16:17], v[20:21], -v[2:3]
	v_add_f64 v[2:3], v[2:3], 0
	v_add_f64 v[2:3], v[2:3], v[12:13]
	;; [unrolled: 1-line block ×4, first 2 shown]
	v_mul_f64 v[4:5], v[38:39], v[42:43]
	v_fma_f64 v[4:5], v[36:37], v[40:41], -v[4:5]
	v_add_f64 v[2:3], v[2:3], v[4:5]
	v_mul_f64 v[4:5], v[46:47], v[50:51]
	v_fma_f64 v[4:5], v[44:45], v[48:49], -v[4:5]
	v_add_f64 v[2:3], v[2:3], v[4:5]
	;; [unrolled: 3-line block ×12, first 2 shown]
	scratch_load_dwordx4 v[2:5], off, off offset:768
	s_waitcnt vmcnt(0)
	v_add_f64 v[2:3], v[2:3], -v[6:7]
	v_add_f64 v[4:5], v[4:5], -v[64:65]
	scratch_store_dwordx4 off, v[2:5], off offset:768
	s_and_saveexec_b64 s[0:1], vcc
	s_cbranch_execz .LBB63_317
; %bb.316:
	scratch_load_dwordx4 v[2:5], off, s44
	v_mov_b32_e32 v6, 0
	v_mov_b32_e32 v7, v6
	;; [unrolled: 1-line block ×4, first 2 shown]
	v_accvgpr_read_b32 v0, a129
	scratch_store_dwordx4 off, v[6:9], off offset:752
	s_waitcnt vmcnt(1)
	ds_write_b128 v0, v[2:5]
.LBB63_317:
	s_or_b64 exec, exec, s[0:1]
	v_mov_b32_e32 v2, 0
	s_waitcnt lgkmcnt(0)
	; wave barrier
	ds_read_b128 v[16:19], v2 offset:1776
	ds_read_b128 v[12:15], v2 offset:1792
	;; [unrolled: 1-line block ×4, first 2 shown]
	scratch_load_dwordx4 v[20:23], off, off offset:768
	scratch_load_dwordx4 v[40:43], off, off offset:832
	;; [unrolled: 1-line block ×11, first 2 shown]
	v_cmp_lt_u32_e32 vcc, 45, v252
	scratch_load_dwordx4 v[48:51], off, off offset:848
	scratch_load_dwordx4 v[56:59], off, off offset:864
	;; [unrolled: 1-line block ×3, first 2 shown]
	s_waitcnt vmcnt(13) lgkmcnt(3)
	v_mul_f64 v[24:25], v[16:17], v[22:23]
	v_fmac_f64_e32 v[24:25], v[18:19], v[20:21]
	v_add_f64 v[28:29], v[24:25], 0
	scratch_load_dwordx4 v[24:27], off, off offset:784
	v_mul_f64 v[18:19], v[18:19], v[22:23]
	v_fma_f64 v[16:17], v[16:17], v[20:21], -v[18:19]
	v_add_f64 v[16:17], v[16:17], 0
	s_waitcnt vmcnt(0) lgkmcnt(2)
	v_mul_f64 v[30:31], v[12:13], v[26:27]
	v_fmac_f64_e32 v[30:31], v[14:15], v[24:25]
	v_add_f64 v[32:33], v[28:29], v[30:31]
	scratch_load_dwordx4 v[28:31], off, off offset:800
	v_mul_f64 v[14:15], v[14:15], v[26:27]
	v_fma_f64 v[12:13], v[12:13], v[24:25], -v[14:15]
	v_add_f64 v[12:13], v[16:17], v[12:13]
	;; [unrolled: 8-line block ×3, first 2 shown]
	s_waitcnt vmcnt(0) lgkmcnt(0)
	v_mul_f64 v[38:39], v[4:5], v[34:35]
	v_fmac_f64_e32 v[38:39], v[6:7], v[32:33]
	v_add_f64 v[44:45], v[36:37], v[38:39]
	ds_read_b128 v[36:39], v2 offset:1840
	v_mul_f64 v[6:7], v[6:7], v[34:35]
	v_fma_f64 v[4:5], v[4:5], v[32:33], -v[6:7]
	v_add_f64 v[4:5], v[8:9], v[4:5]
	s_waitcnt lgkmcnt(0)
	v_mul_f64 v[46:47], v[36:37], v[42:43]
	v_fmac_f64_e32 v[46:47], v[38:39], v[40:41]
	v_add_f64 v[52:53], v[44:45], v[46:47]
	ds_read_b128 v[44:47], v2 offset:1856
	v_mul_f64 v[6:7], v[38:39], v[42:43]
	v_fma_f64 v[6:7], v[36:37], v[40:41], -v[6:7]
	v_add_f64 v[4:5], v[4:5], v[6:7]
	s_waitcnt lgkmcnt(0)
	;; [unrolled: 8-line block ×13, first 2 shown]
	v_mul_f64 v[6:7], v[136:137], v[140:141]
	v_fma_f64 v[6:7], v[134:135], v[138:139], -v[6:7]
	v_add_f64 v[8:9], v[4:5], v[6:7]
	scratch_load_dwordx4 v[4:7], off, off offset:752
	v_mul_f64 v[142:143], v[134:135], v[140:141]
	v_fmac_f64_e32 v[142:143], v[136:137], v[138:139]
	v_add_f64 v[72:73], v[72:73], v[142:143]
	s_waitcnt vmcnt(0)
	v_add_f64 v[4:5], v[4:5], -v[8:9]
	v_add_f64 v[6:7], v[6:7], -v[72:73]
	scratch_store_dwordx4 off, v[4:7], off offset:752
	s_and_saveexec_b64 s[0:1], vcc
	s_cbranch_execz .LBB63_319
; %bb.318:
	scratch_load_dwordx4 v[6:9], off, s42
	v_mov_b32_e32 v3, v2
	v_mov_b32_e32 v4, v2
	;; [unrolled: 1-line block ×3, first 2 shown]
	v_accvgpr_read_b32 v0, a129
	scratch_store_dwordx4 off, v[2:5], off offset:736
	s_waitcnt vmcnt(1)
	ds_write_b128 v0, v[6:9]
.LBB63_319:
	s_or_b64 exec, exec, s[0:1]
	s_waitcnt lgkmcnt(0)
	; wave barrier
	ds_read_b128 v[16:19], v2 offset:1760
	ds_read_b128 v[12:15], v2 offset:1776
	;; [unrolled: 1-line block ×4, first 2 shown]
	scratch_load_dwordx4 v[20:23], off, off offset:752
	scratch_load_dwordx4 v[40:43], off, off offset:816
	scratch_load_dwordx4 v[72:75], off, off offset:880
	scratch_load_dwordx4 v[82:85], off, off offset:896
	scratch_load_dwordx4 v[90:93], off, off offset:912
	scratch_load_dwordx4 v[98:101], off, off offset:928
	scratch_load_dwordx4 v[106:109], off, off offset:944
	scratch_load_dwordx4 v[114:117], off, off offset:960
	scratch_load_dwordx4 v[122:125], off, off offset:976
	scratch_load_dwordx4 v[130:133], off, off offset:992
	scratch_load_dwordx4 v[138:141], off, off offset:1008
	scratch_load_dwordx4 v[146:149], off, off offset:1024
	v_cmp_lt_u32_e32 vcc, 44, v252
	scratch_load_dwordx4 v[48:51], off, off offset:832
	scratch_load_dwordx4 v[56:59], off, off offset:848
	;; [unrolled: 1-line block ×3, first 2 shown]
	s_waitcnt vmcnt(14) lgkmcnt(3)
	v_mul_f64 v[24:25], v[16:17], v[22:23]
	v_fmac_f64_e32 v[24:25], v[18:19], v[20:21]
	v_add_f64 v[28:29], v[24:25], 0
	scratch_load_dwordx4 v[24:27], off, off offset:768
	s_waitcnt vmcnt(0) lgkmcnt(2)
	v_mul_f64 v[30:31], v[12:13], v[26:27]
	v_fmac_f64_e32 v[30:31], v[14:15], v[24:25]
	v_add_f64 v[32:33], v[28:29], v[30:31]
	scratch_load_dwordx4 v[28:31], off, off offset:784
	v_mul_f64 v[14:15], v[14:15], v[26:27]
	v_fma_f64 v[12:13], v[12:13], v[24:25], -v[14:15]
	s_waitcnt vmcnt(0) lgkmcnt(1)
	v_mul_f64 v[34:35], v[8:9], v[30:31]
	v_fmac_f64_e32 v[34:35], v[10:11], v[28:29]
	v_add_f64 v[36:37], v[32:33], v[34:35]
	scratch_load_dwordx4 v[32:35], off, off offset:800
	v_mul_f64 v[10:11], v[10:11], v[30:31]
	v_fma_f64 v[8:9], v[8:9], v[28:29], -v[10:11]
	s_waitcnt vmcnt(0) lgkmcnt(0)
	v_mul_f64 v[38:39], v[4:5], v[34:35]
	v_fmac_f64_e32 v[38:39], v[6:7], v[32:33]
	v_add_f64 v[44:45], v[36:37], v[38:39]
	ds_read_b128 v[36:39], v2 offset:1824
	v_mul_f64 v[6:7], v[6:7], v[34:35]
	v_fma_f64 v[4:5], v[4:5], v[32:33], -v[6:7]
	s_waitcnt lgkmcnt(0)
	v_mul_f64 v[46:47], v[36:37], v[42:43]
	v_fmac_f64_e32 v[46:47], v[38:39], v[40:41]
	v_add_f64 v[52:53], v[44:45], v[46:47]
	ds_read_b128 v[44:47], v2 offset:1840
	s_waitcnt lgkmcnt(0)
	v_mul_f64 v[54:55], v[44:45], v[50:51]
	v_fmac_f64_e32 v[54:55], v[46:47], v[48:49]
	v_add_f64 v[60:61], v[52:53], v[54:55]
	ds_read_b128 v[52:55], v2 offset:1856
	;; [unrolled: 5-line block ×13, first 2 shown]
	s_waitcnt lgkmcnt(0)
	v_mul_f64 v[2:3], v[142:143], v[148:149]
	v_fmac_f64_e32 v[2:3], v[144:145], v[146:147]
	v_add_f64 v[80:81], v[80:81], v[2:3]
	v_mul_f64 v[2:3], v[18:19], v[22:23]
	v_fma_f64 v[2:3], v[16:17], v[20:21], -v[2:3]
	v_add_f64 v[2:3], v[2:3], 0
	v_add_f64 v[2:3], v[2:3], v[12:13]
	;; [unrolled: 1-line block ×4, first 2 shown]
	v_mul_f64 v[4:5], v[38:39], v[42:43]
	v_fma_f64 v[4:5], v[36:37], v[40:41], -v[4:5]
	v_add_f64 v[2:3], v[2:3], v[4:5]
	v_mul_f64 v[4:5], v[46:47], v[50:51]
	v_fma_f64 v[4:5], v[44:45], v[48:49], -v[4:5]
	v_add_f64 v[2:3], v[2:3], v[4:5]
	;; [unrolled: 3-line block ×14, first 2 shown]
	scratch_load_dwordx4 v[2:5], off, off offset:736
	s_waitcnt vmcnt(0)
	v_add_f64 v[2:3], v[2:3], -v[6:7]
	v_add_f64 v[4:5], v[4:5], -v[80:81]
	scratch_store_dwordx4 off, v[2:5], off offset:736
	s_and_saveexec_b64 s[0:1], vcc
	s_cbranch_execz .LBB63_321
; %bb.320:
	scratch_load_dwordx4 v[2:5], off, s43
	v_mov_b32_e32 v6, 0
	v_mov_b32_e32 v7, v6
	v_mov_b32_e32 v8, v6
	v_mov_b32_e32 v9, v6
	v_accvgpr_read_b32 v0, a129
	scratch_store_dwordx4 off, v[6:9], off offset:720
	s_waitcnt vmcnt(1)
	ds_write_b128 v0, v[2:5]
.LBB63_321:
	s_or_b64 exec, exec, s[0:1]
	v_mov_b32_e32 v2, 0
	s_waitcnt lgkmcnt(0)
	; wave barrier
	ds_read_b128 v[16:19], v2 offset:1744
	ds_read_b128 v[12:15], v2 offset:1760
	;; [unrolled: 1-line block ×4, first 2 shown]
	scratch_load_dwordx4 v[20:23], off, off offset:736
	scratch_load_dwordx4 v[40:43], off, off offset:800
	scratch_load_dwordx4 v[72:75], off, off offset:864
	scratch_load_dwordx4 v[80:83], off, off offset:880
	scratch_load_dwordx4 v[90:93], off, off offset:896
	scratch_load_dwordx4 v[98:101], off, off offset:912
	scratch_load_dwordx4 v[106:109], off, off offset:928
	scratch_load_dwordx4 v[114:117], off, off offset:944
	scratch_load_dwordx4 v[122:125], off, off offset:960
	scratch_load_dwordx4 v[130:133], off, off offset:976
	scratch_load_dwordx4 v[138:141], off, off offset:992
	scratch_load_dwordx4 v[146:149], off, off offset:1008
	scratch_load_dwordx4 v[154:157], off, off offset:1024
	v_cmp_lt_u32_e32 vcc, 43, v252
	scratch_load_dwordx4 v[48:51], off, off offset:816
	scratch_load_dwordx4 v[56:59], off, off offset:832
	;; [unrolled: 1-line block ×3, first 2 shown]
	s_waitcnt vmcnt(15) lgkmcnt(3)
	v_mul_f64 v[24:25], v[16:17], v[22:23]
	v_fmac_f64_e32 v[24:25], v[18:19], v[20:21]
	v_add_f64 v[28:29], v[24:25], 0
	scratch_load_dwordx4 v[24:27], off, off offset:752
	v_mul_f64 v[18:19], v[18:19], v[22:23]
	v_fma_f64 v[16:17], v[16:17], v[20:21], -v[18:19]
	v_add_f64 v[16:17], v[16:17], 0
	s_waitcnt vmcnt(0) lgkmcnt(2)
	v_mul_f64 v[30:31], v[12:13], v[26:27]
	v_fmac_f64_e32 v[30:31], v[14:15], v[24:25]
	v_add_f64 v[32:33], v[28:29], v[30:31]
	scratch_load_dwordx4 v[28:31], off, off offset:768
	v_mul_f64 v[14:15], v[14:15], v[26:27]
	v_fma_f64 v[12:13], v[12:13], v[24:25], -v[14:15]
	v_add_f64 v[12:13], v[16:17], v[12:13]
	;; [unrolled: 8-line block ×3, first 2 shown]
	s_waitcnt vmcnt(0) lgkmcnt(0)
	v_mul_f64 v[38:39], v[4:5], v[34:35]
	v_fmac_f64_e32 v[38:39], v[6:7], v[32:33]
	v_add_f64 v[44:45], v[36:37], v[38:39]
	ds_read_b128 v[36:39], v2 offset:1808
	v_mul_f64 v[6:7], v[6:7], v[34:35]
	v_fma_f64 v[4:5], v[4:5], v[32:33], -v[6:7]
	v_add_f64 v[4:5], v[8:9], v[4:5]
	s_waitcnt lgkmcnt(0)
	v_mul_f64 v[46:47], v[36:37], v[42:43]
	v_fmac_f64_e32 v[46:47], v[38:39], v[40:41]
	v_add_f64 v[52:53], v[44:45], v[46:47]
	ds_read_b128 v[44:47], v2 offset:1824
	v_mul_f64 v[6:7], v[38:39], v[42:43]
	v_fma_f64 v[6:7], v[36:37], v[40:41], -v[6:7]
	v_add_f64 v[4:5], v[4:5], v[6:7]
	s_waitcnt lgkmcnt(0)
	;; [unrolled: 8-line block ×15, first 2 shown]
	v_mul_f64 v[6:7], v[152:153], v[156:157]
	v_fma_f64 v[6:7], v[150:151], v[154:155], -v[6:7]
	v_add_f64 v[8:9], v[4:5], v[6:7]
	scratch_load_dwordx4 v[4:7], off, off offset:720
	v_mul_f64 v[158:159], v[150:151], v[156:157]
	v_fmac_f64_e32 v[158:159], v[152:153], v[154:155]
	v_add_f64 v[88:89], v[88:89], v[158:159]
	s_waitcnt vmcnt(0)
	v_add_f64 v[4:5], v[4:5], -v[8:9]
	v_add_f64 v[6:7], v[6:7], -v[88:89]
	scratch_store_dwordx4 off, v[4:7], off offset:720
	s_and_saveexec_b64 s[0:1], vcc
	s_cbranch_execz .LBB63_323
; %bb.322:
	scratch_load_dwordx4 v[6:9], off, s41
	v_mov_b32_e32 v3, v2
	v_mov_b32_e32 v4, v2
	;; [unrolled: 1-line block ×3, first 2 shown]
	v_accvgpr_read_b32 v0, a129
	scratch_store_dwordx4 off, v[2:5], off offset:704
	s_waitcnt vmcnt(1)
	ds_write_b128 v0, v[6:9]
.LBB63_323:
	s_or_b64 exec, exec, s[0:1]
	s_waitcnt lgkmcnt(0)
	; wave barrier
	ds_read_b128 v[16:19], v2 offset:1728
	ds_read_b128 v[12:15], v2 offset:1744
	;; [unrolled: 1-line block ×4, first 2 shown]
	scratch_load_dwordx4 v[20:23], off, off offset:720
	scratch_load_dwordx4 v[40:43], off, off offset:784
	;; [unrolled: 1-line block ×14, first 2 shown]
	v_cmp_lt_u32_e32 vcc, 42, v252
	scratch_load_dwordx4 v[48:51], off, off offset:800
	scratch_load_dwordx4 v[56:59], off, off offset:816
	;; [unrolled: 1-line block ×3, first 2 shown]
	s_waitcnt vmcnt(16) lgkmcnt(3)
	v_mul_f64 v[24:25], v[16:17], v[22:23]
	v_fmac_f64_e32 v[24:25], v[18:19], v[20:21]
	v_add_f64 v[28:29], v[24:25], 0
	scratch_load_dwordx4 v[24:27], off, off offset:736
	s_waitcnt vmcnt(0) lgkmcnt(2)
	v_mul_f64 v[30:31], v[12:13], v[26:27]
	v_fmac_f64_e32 v[30:31], v[14:15], v[24:25]
	v_add_f64 v[32:33], v[28:29], v[30:31]
	scratch_load_dwordx4 v[28:31], off, off offset:752
	v_mul_f64 v[14:15], v[14:15], v[26:27]
	v_fma_f64 v[12:13], v[12:13], v[24:25], -v[14:15]
	s_waitcnt vmcnt(0) lgkmcnt(1)
	v_mul_f64 v[34:35], v[8:9], v[30:31]
	v_fmac_f64_e32 v[34:35], v[10:11], v[28:29]
	v_add_f64 v[36:37], v[32:33], v[34:35]
	scratch_load_dwordx4 v[32:35], off, off offset:768
	v_mul_f64 v[10:11], v[10:11], v[30:31]
	v_fma_f64 v[8:9], v[8:9], v[28:29], -v[10:11]
	s_waitcnt vmcnt(0) lgkmcnt(0)
	v_mul_f64 v[38:39], v[4:5], v[34:35]
	v_fmac_f64_e32 v[38:39], v[6:7], v[32:33]
	v_add_f64 v[44:45], v[36:37], v[38:39]
	ds_read_b128 v[36:39], v2 offset:1792
	v_mul_f64 v[6:7], v[6:7], v[34:35]
	v_fma_f64 v[4:5], v[4:5], v[32:33], -v[6:7]
	s_waitcnt lgkmcnt(0)
	v_mul_f64 v[46:47], v[36:37], v[42:43]
	v_fmac_f64_e32 v[46:47], v[38:39], v[40:41]
	v_add_f64 v[52:53], v[44:45], v[46:47]
	ds_read_b128 v[44:47], v2 offset:1808
	s_waitcnt lgkmcnt(0)
	v_mul_f64 v[54:55], v[44:45], v[50:51]
	v_fmac_f64_e32 v[54:55], v[46:47], v[48:49]
	v_add_f64 v[60:61], v[52:53], v[54:55]
	ds_read_b128 v[52:55], v2 offset:1824
	;; [unrolled: 5-line block ×15, first 2 shown]
	s_waitcnt lgkmcnt(0)
	v_mul_f64 v[2:3], v[158:159], v[164:165]
	v_fmac_f64_e32 v[2:3], v[160:161], v[162:163]
	v_add_f64 v[96:97], v[96:97], v[2:3]
	v_mul_f64 v[2:3], v[18:19], v[22:23]
	v_fma_f64 v[2:3], v[16:17], v[20:21], -v[2:3]
	v_add_f64 v[2:3], v[2:3], 0
	v_add_f64 v[2:3], v[2:3], v[12:13]
	;; [unrolled: 1-line block ×4, first 2 shown]
	v_mul_f64 v[4:5], v[38:39], v[42:43]
	v_fma_f64 v[4:5], v[36:37], v[40:41], -v[4:5]
	v_add_f64 v[2:3], v[2:3], v[4:5]
	v_mul_f64 v[4:5], v[46:47], v[50:51]
	v_fma_f64 v[4:5], v[44:45], v[48:49], -v[4:5]
	v_add_f64 v[2:3], v[2:3], v[4:5]
	;; [unrolled: 3-line block ×16, first 2 shown]
	scratch_load_dwordx4 v[2:5], off, off offset:704
	s_waitcnt vmcnt(0)
	v_add_f64 v[2:3], v[2:3], -v[6:7]
	v_add_f64 v[4:5], v[4:5], -v[96:97]
	scratch_store_dwordx4 off, v[2:5], off offset:704
	s_and_saveexec_b64 s[0:1], vcc
	s_cbranch_execz .LBB63_325
; %bb.324:
	scratch_load_dwordx4 v[2:5], off, s40
	v_mov_b32_e32 v6, 0
	v_mov_b32_e32 v7, v6
	;; [unrolled: 1-line block ×4, first 2 shown]
	v_accvgpr_read_b32 v0, a129
	scratch_store_dwordx4 off, v[6:9], off offset:688
	s_waitcnt vmcnt(1)
	ds_write_b128 v0, v[2:5]
.LBB63_325:
	s_or_b64 exec, exec, s[0:1]
	v_mov_b32_e32 v2, 0
	s_waitcnt lgkmcnt(0)
	; wave barrier
	ds_read_b128 v[16:19], v2 offset:1712
	ds_read_b128 v[12:15], v2 offset:1728
	;; [unrolled: 1-line block ×4, first 2 shown]
	scratch_load_dwordx4 v[20:23], off, off offset:704
	scratch_load_dwordx4 v[40:43], off, off offset:768
	;; [unrolled: 1-line block ×15, first 2 shown]
	v_cmp_lt_u32_e32 vcc, 41, v252
	scratch_load_dwordx4 v[48:51], off, off offset:784
	scratch_load_dwordx4 v[56:59], off, off offset:800
	;; [unrolled: 1-line block ×3, first 2 shown]
	s_waitcnt vmcnt(17) lgkmcnt(3)
	v_mul_f64 v[24:25], v[16:17], v[22:23]
	v_fmac_f64_e32 v[24:25], v[18:19], v[20:21]
	v_add_f64 v[28:29], v[24:25], 0
	scratch_load_dwordx4 v[24:27], off, off offset:720
	v_mul_f64 v[18:19], v[18:19], v[22:23]
	v_fma_f64 v[16:17], v[16:17], v[20:21], -v[18:19]
	v_add_f64 v[16:17], v[16:17], 0
	s_waitcnt vmcnt(0) lgkmcnt(2)
	v_mul_f64 v[30:31], v[12:13], v[26:27]
	v_fmac_f64_e32 v[30:31], v[14:15], v[24:25]
	v_add_f64 v[32:33], v[28:29], v[30:31]
	scratch_load_dwordx4 v[28:31], off, off offset:736
	v_mul_f64 v[14:15], v[14:15], v[26:27]
	v_fma_f64 v[12:13], v[12:13], v[24:25], -v[14:15]
	v_add_f64 v[12:13], v[16:17], v[12:13]
	;; [unrolled: 8-line block ×3, first 2 shown]
	s_waitcnt vmcnt(0) lgkmcnt(0)
	v_mul_f64 v[38:39], v[4:5], v[34:35]
	v_fmac_f64_e32 v[38:39], v[6:7], v[32:33]
	v_add_f64 v[44:45], v[36:37], v[38:39]
	ds_read_b128 v[36:39], v2 offset:1776
	v_mul_f64 v[6:7], v[6:7], v[34:35]
	v_fma_f64 v[4:5], v[4:5], v[32:33], -v[6:7]
	v_add_f64 v[4:5], v[8:9], v[4:5]
	s_waitcnt lgkmcnt(0)
	v_mul_f64 v[46:47], v[36:37], v[42:43]
	v_fmac_f64_e32 v[46:47], v[38:39], v[40:41]
	v_add_f64 v[52:53], v[44:45], v[46:47]
	ds_read_b128 v[44:47], v2 offset:1792
	v_mul_f64 v[6:7], v[38:39], v[42:43]
	v_fma_f64 v[6:7], v[36:37], v[40:41], -v[6:7]
	v_add_f64 v[4:5], v[4:5], v[6:7]
	s_waitcnt lgkmcnt(0)
	;; [unrolled: 8-line block ×17, first 2 shown]
	v_mul_f64 v[6:7], v[168:169], v[172:173]
	v_fma_f64 v[6:7], v[166:167], v[170:171], -v[6:7]
	v_add_f64 v[8:9], v[4:5], v[6:7]
	scratch_load_dwordx4 v[4:7], off, off offset:688
	v_mul_f64 v[174:175], v[166:167], v[172:173]
	v_fmac_f64_e32 v[174:175], v[168:169], v[170:171]
	v_add_f64 v[104:105], v[104:105], v[174:175]
	s_waitcnt vmcnt(0)
	v_add_f64 v[4:5], v[4:5], -v[8:9]
	v_add_f64 v[6:7], v[6:7], -v[104:105]
	scratch_store_dwordx4 off, v[4:7], off offset:688
	s_and_saveexec_b64 s[0:1], vcc
	s_cbranch_execz .LBB63_327
; %bb.326:
	scratch_load_dwordx4 v[6:9], off, s39
	v_mov_b32_e32 v3, v2
	v_mov_b32_e32 v4, v2
	;; [unrolled: 1-line block ×3, first 2 shown]
	v_accvgpr_read_b32 v0, a129
	scratch_store_dwordx4 off, v[2:5], off offset:672
	s_waitcnt vmcnt(1)
	ds_write_b128 v0, v[6:9]
.LBB63_327:
	s_or_b64 exec, exec, s[0:1]
	s_waitcnt lgkmcnt(0)
	; wave barrier
	ds_read_b128 v[16:19], v2 offset:1696
	ds_read_b128 v[12:15], v2 offset:1712
	;; [unrolled: 1-line block ×4, first 2 shown]
	scratch_load_dwordx4 v[20:23], off, off offset:688
	scratch_load_dwordx4 v[40:43], off, off offset:752
	;; [unrolled: 1-line block ×16, first 2 shown]
	v_cmp_lt_u32_e32 vcc, 40, v252
	scratch_load_dwordx4 v[48:51], off, off offset:768
	scratch_load_dwordx4 v[56:59], off, off offset:784
	;; [unrolled: 1-line block ×3, first 2 shown]
	s_waitcnt vmcnt(18) lgkmcnt(3)
	v_mul_f64 v[24:25], v[16:17], v[22:23]
	v_fmac_f64_e32 v[24:25], v[18:19], v[20:21]
	v_add_f64 v[28:29], v[24:25], 0
	scratch_load_dwordx4 v[24:27], off, off offset:704
	s_waitcnt vmcnt(0) lgkmcnt(2)
	v_mul_f64 v[30:31], v[12:13], v[26:27]
	v_fmac_f64_e32 v[30:31], v[14:15], v[24:25]
	v_add_f64 v[32:33], v[28:29], v[30:31]
	scratch_load_dwordx4 v[28:31], off, off offset:720
	v_mul_f64 v[14:15], v[14:15], v[26:27]
	v_fma_f64 v[12:13], v[12:13], v[24:25], -v[14:15]
	s_waitcnt vmcnt(0) lgkmcnt(1)
	v_mul_f64 v[34:35], v[8:9], v[30:31]
	v_fmac_f64_e32 v[34:35], v[10:11], v[28:29]
	v_add_f64 v[36:37], v[32:33], v[34:35]
	scratch_load_dwordx4 v[32:35], off, off offset:736
	v_mul_f64 v[10:11], v[10:11], v[30:31]
	v_fma_f64 v[8:9], v[8:9], v[28:29], -v[10:11]
	s_waitcnt vmcnt(0) lgkmcnt(0)
	v_mul_f64 v[38:39], v[4:5], v[34:35]
	v_fmac_f64_e32 v[38:39], v[6:7], v[32:33]
	v_add_f64 v[44:45], v[36:37], v[38:39]
	ds_read_b128 v[36:39], v2 offset:1760
	v_mul_f64 v[6:7], v[6:7], v[34:35]
	v_fma_f64 v[4:5], v[4:5], v[32:33], -v[6:7]
	s_waitcnt lgkmcnt(0)
	v_mul_f64 v[46:47], v[36:37], v[42:43]
	v_fmac_f64_e32 v[46:47], v[38:39], v[40:41]
	v_add_f64 v[52:53], v[44:45], v[46:47]
	ds_read_b128 v[44:47], v2 offset:1776
	s_waitcnt lgkmcnt(0)
	v_mul_f64 v[54:55], v[44:45], v[50:51]
	v_fmac_f64_e32 v[54:55], v[46:47], v[48:49]
	v_add_f64 v[60:61], v[52:53], v[54:55]
	ds_read_b128 v[52:55], v2 offset:1792
	;; [unrolled: 5-line block ×17, first 2 shown]
	s_waitcnt lgkmcnt(0)
	v_mul_f64 v[2:3], v[174:175], v[180:181]
	v_fmac_f64_e32 v[2:3], v[176:177], v[178:179]
	v_add_f64 v[120:121], v[120:121], v[2:3]
	v_mul_f64 v[2:3], v[18:19], v[22:23]
	v_fma_f64 v[2:3], v[16:17], v[20:21], -v[2:3]
	v_add_f64 v[2:3], v[2:3], 0
	v_add_f64 v[2:3], v[2:3], v[12:13]
	;; [unrolled: 1-line block ×4, first 2 shown]
	v_mul_f64 v[4:5], v[38:39], v[42:43]
	v_fma_f64 v[4:5], v[36:37], v[40:41], -v[4:5]
	v_add_f64 v[2:3], v[2:3], v[4:5]
	v_mul_f64 v[4:5], v[46:47], v[50:51]
	v_fma_f64 v[4:5], v[44:45], v[48:49], -v[4:5]
	v_add_f64 v[2:3], v[2:3], v[4:5]
	;; [unrolled: 3-line block ×18, first 2 shown]
	scratch_load_dwordx4 v[2:5], off, off offset:672
	s_waitcnt vmcnt(0)
	v_add_f64 v[2:3], v[2:3], -v[6:7]
	v_add_f64 v[4:5], v[4:5], -v[120:121]
	scratch_store_dwordx4 off, v[2:5], off offset:672
	s_and_saveexec_b64 s[0:1], vcc
	s_cbranch_execz .LBB63_329
; %bb.328:
	scratch_load_dwordx4 v[2:5], off, s38
	v_mov_b32_e32 v6, 0
	v_mov_b32_e32 v7, v6
	;; [unrolled: 1-line block ×4, first 2 shown]
	v_accvgpr_read_b32 v0, a129
	scratch_store_dwordx4 off, v[6:9], off offset:656
	s_waitcnt vmcnt(1)
	ds_write_b128 v0, v[2:5]
.LBB63_329:
	s_or_b64 exec, exec, s[0:1]
	v_mov_b32_e32 v2, 0
	s_waitcnt lgkmcnt(0)
	; wave barrier
	ds_read_b128 v[16:19], v2 offset:1680
	ds_read_b128 v[12:15], v2 offset:1696
	ds_read_b128 v[8:11], v2 offset:1712
	ds_read_b128 v[4:7], v2 offset:1728
	scratch_load_dwordx4 v[20:23], off, off offset:672
	scratch_load_dwordx4 v[40:43], off, off offset:736
	;; [unrolled: 1-line block ×17, first 2 shown]
	v_cmp_lt_u32_e32 vcc, 39, v252
	scratch_load_dwordx4 v[48:51], off, off offset:752
	scratch_load_dwordx4 v[56:59], off, off offset:768
	;; [unrolled: 1-line block ×3, first 2 shown]
	s_waitcnt vmcnt(19) lgkmcnt(3)
	v_mul_f64 v[24:25], v[16:17], v[22:23]
	v_fmac_f64_e32 v[24:25], v[18:19], v[20:21]
	v_add_f64 v[28:29], v[24:25], 0
	scratch_load_dwordx4 v[24:27], off, off offset:688
	v_mul_f64 v[18:19], v[18:19], v[22:23]
	v_fma_f64 v[16:17], v[16:17], v[20:21], -v[18:19]
	v_add_f64 v[16:17], v[16:17], 0
	s_waitcnt vmcnt(0) lgkmcnt(2)
	v_mul_f64 v[30:31], v[12:13], v[26:27]
	v_fmac_f64_e32 v[30:31], v[14:15], v[24:25]
	v_add_f64 v[32:33], v[28:29], v[30:31]
	scratch_load_dwordx4 v[28:31], off, off offset:704
	v_mul_f64 v[14:15], v[14:15], v[26:27]
	v_fma_f64 v[12:13], v[12:13], v[24:25], -v[14:15]
	v_add_f64 v[12:13], v[16:17], v[12:13]
	;; [unrolled: 8-line block ×3, first 2 shown]
	s_waitcnt vmcnt(0) lgkmcnt(0)
	v_mul_f64 v[38:39], v[4:5], v[34:35]
	v_fmac_f64_e32 v[38:39], v[6:7], v[32:33]
	v_add_f64 v[44:45], v[36:37], v[38:39]
	ds_read_b128 v[36:39], v2 offset:1744
	v_mul_f64 v[6:7], v[6:7], v[34:35]
	v_fma_f64 v[4:5], v[4:5], v[32:33], -v[6:7]
	v_add_f64 v[4:5], v[8:9], v[4:5]
	s_waitcnt lgkmcnt(0)
	v_mul_f64 v[46:47], v[36:37], v[42:43]
	v_fmac_f64_e32 v[46:47], v[38:39], v[40:41]
	v_add_f64 v[52:53], v[44:45], v[46:47]
	ds_read_b128 v[44:47], v2 offset:1760
	v_mul_f64 v[6:7], v[38:39], v[42:43]
	v_fma_f64 v[6:7], v[36:37], v[40:41], -v[6:7]
	v_add_f64 v[4:5], v[4:5], v[6:7]
	s_waitcnt lgkmcnt(0)
	;; [unrolled: 8-line block ×19, first 2 shown]
	v_mul_f64 v[6:7], v[184:185], v[188:189]
	v_fma_f64 v[6:7], v[182:183], v[186:187], -v[6:7]
	v_add_f64 v[8:9], v[4:5], v[6:7]
	scratch_load_dwordx4 v[4:7], off, off offset:656
	v_mul_f64 v[190:191], v[182:183], v[188:189]
	v_fmac_f64_e32 v[190:191], v[184:185], v[186:187]
	v_add_f64 v[128:129], v[128:129], v[190:191]
	s_waitcnt vmcnt(0)
	v_add_f64 v[4:5], v[4:5], -v[8:9]
	v_add_f64 v[6:7], v[6:7], -v[128:129]
	scratch_store_dwordx4 off, v[4:7], off offset:656
	s_and_saveexec_b64 s[0:1], vcc
	s_cbranch_execz .LBB63_331
; %bb.330:
	scratch_load_dwordx4 v[6:9], off, s36
	v_mov_b32_e32 v3, v2
	v_mov_b32_e32 v4, v2
	;; [unrolled: 1-line block ×3, first 2 shown]
	v_accvgpr_read_b32 v0, a129
	scratch_store_dwordx4 off, v[2:5], off offset:640
	s_waitcnt vmcnt(1)
	ds_write_b128 v0, v[6:9]
.LBB63_331:
	s_or_b64 exec, exec, s[0:1]
	s_waitcnt lgkmcnt(0)
	; wave barrier
	ds_read_b128 v[16:19], v2 offset:1664
	ds_read_b128 v[12:15], v2 offset:1680
	;; [unrolled: 1-line block ×4, first 2 shown]
	scratch_load_dwordx4 v[20:23], off, off offset:656
	scratch_load_dwordx4 v[40:43], off, off offset:720
	;; [unrolled: 1-line block ×18, first 2 shown]
	v_cmp_lt_u32_e32 vcc, 38, v252
	scratch_load_dwordx4 v[48:51], off, off offset:736
	scratch_load_dwordx4 v[56:59], off, off offset:752
	;; [unrolled: 1-line block ×3, first 2 shown]
	s_waitcnt vmcnt(20) lgkmcnt(3)
	v_mul_f64 v[24:25], v[16:17], v[22:23]
	v_fmac_f64_e32 v[24:25], v[18:19], v[20:21]
	v_add_f64 v[28:29], v[24:25], 0
	scratch_load_dwordx4 v[24:27], off, off offset:672
	s_waitcnt vmcnt(0) lgkmcnt(2)
	v_mul_f64 v[30:31], v[12:13], v[26:27]
	v_fmac_f64_e32 v[30:31], v[14:15], v[24:25]
	v_add_f64 v[32:33], v[28:29], v[30:31]
	scratch_load_dwordx4 v[28:31], off, off offset:688
	v_mul_f64 v[14:15], v[14:15], v[26:27]
	v_fma_f64 v[12:13], v[12:13], v[24:25], -v[14:15]
	s_waitcnt vmcnt(0) lgkmcnt(1)
	v_mul_f64 v[34:35], v[8:9], v[30:31]
	v_fmac_f64_e32 v[34:35], v[10:11], v[28:29]
	v_add_f64 v[36:37], v[32:33], v[34:35]
	scratch_load_dwordx4 v[32:35], off, off offset:704
	v_mul_f64 v[10:11], v[10:11], v[30:31]
	v_fma_f64 v[8:9], v[8:9], v[28:29], -v[10:11]
	s_waitcnt vmcnt(0) lgkmcnt(0)
	v_mul_f64 v[38:39], v[4:5], v[34:35]
	v_fmac_f64_e32 v[38:39], v[6:7], v[32:33]
	v_add_f64 v[44:45], v[36:37], v[38:39]
	ds_read_b128 v[36:39], v2 offset:1728
	v_mul_f64 v[6:7], v[6:7], v[34:35]
	v_fma_f64 v[4:5], v[4:5], v[32:33], -v[6:7]
	s_waitcnt lgkmcnt(0)
	v_mul_f64 v[46:47], v[36:37], v[42:43]
	v_fmac_f64_e32 v[46:47], v[38:39], v[40:41]
	v_add_f64 v[52:53], v[44:45], v[46:47]
	ds_read_b128 v[44:47], v2 offset:1744
	s_waitcnt lgkmcnt(0)
	v_mul_f64 v[54:55], v[44:45], v[50:51]
	v_fmac_f64_e32 v[54:55], v[46:47], v[48:49]
	v_add_f64 v[60:61], v[52:53], v[54:55]
	ds_read_b128 v[52:55], v2 offset:1760
	;; [unrolled: 5-line block ×19, first 2 shown]
	s_waitcnt lgkmcnt(0)
	v_mul_f64 v[2:3], v[190:191], v[196:197]
	v_fmac_f64_e32 v[2:3], v[192:193], v[194:195]
	v_add_f64 v[148:149], v[148:149], v[2:3]
	v_mul_f64 v[2:3], v[18:19], v[22:23]
	v_fma_f64 v[2:3], v[16:17], v[20:21], -v[2:3]
	v_add_f64 v[2:3], v[2:3], 0
	v_add_f64 v[2:3], v[2:3], v[12:13]
	;; [unrolled: 1-line block ×4, first 2 shown]
	v_mul_f64 v[4:5], v[38:39], v[42:43]
	v_fma_f64 v[4:5], v[36:37], v[40:41], -v[4:5]
	v_add_f64 v[2:3], v[2:3], v[4:5]
	v_mul_f64 v[4:5], v[46:47], v[50:51]
	v_fma_f64 v[4:5], v[44:45], v[48:49], -v[4:5]
	v_add_f64 v[2:3], v[2:3], v[4:5]
	;; [unrolled: 3-line block ×20, first 2 shown]
	scratch_load_dwordx4 v[2:5], off, off offset:640
	s_waitcnt vmcnt(0)
	v_add_f64 v[2:3], v[2:3], -v[6:7]
	v_add_f64 v[4:5], v[4:5], -v[148:149]
	scratch_store_dwordx4 off, v[2:5], off offset:640
	s_and_saveexec_b64 s[0:1], vcc
	s_cbranch_execz .LBB63_333
; %bb.332:
	scratch_load_dwordx4 v[2:5], off, s37
	v_mov_b32_e32 v6, 0
	v_mov_b32_e32 v7, v6
	;; [unrolled: 1-line block ×4, first 2 shown]
	v_accvgpr_read_b32 v0, a129
	scratch_store_dwordx4 off, v[6:9], off offset:624
	s_waitcnt vmcnt(1)
	ds_write_b128 v0, v[2:5]
.LBB63_333:
	s_or_b64 exec, exec, s[0:1]
	v_mov_b32_e32 v2, 0
	s_waitcnt lgkmcnt(0)
	; wave barrier
	ds_read_b128 v[16:19], v2 offset:1648
	ds_read_b128 v[12:15], v2 offset:1664
	;; [unrolled: 1-line block ×4, first 2 shown]
	scratch_load_dwordx4 v[20:23], off, off offset:640
	scratch_load_dwordx4 v[40:43], off, off offset:704
	;; [unrolled: 1-line block ×19, first 2 shown]
	v_cmp_lt_u32_e32 vcc, 37, v252
	scratch_load_dwordx4 v[48:51], off, off offset:720
	scratch_load_dwordx4 v[56:59], off, off offset:736
	;; [unrolled: 1-line block ×3, first 2 shown]
	s_waitcnt vmcnt(21) lgkmcnt(3)
	v_mul_f64 v[24:25], v[16:17], v[22:23]
	v_fmac_f64_e32 v[24:25], v[18:19], v[20:21]
	v_add_f64 v[28:29], v[24:25], 0
	scratch_load_dwordx4 v[24:27], off, off offset:656
	v_mul_f64 v[18:19], v[18:19], v[22:23]
	v_fma_f64 v[16:17], v[16:17], v[20:21], -v[18:19]
	v_add_f64 v[16:17], v[16:17], 0
	s_waitcnt vmcnt(0) lgkmcnt(2)
	v_mul_f64 v[30:31], v[12:13], v[26:27]
	v_fmac_f64_e32 v[30:31], v[14:15], v[24:25]
	v_add_f64 v[32:33], v[28:29], v[30:31]
	scratch_load_dwordx4 v[28:31], off, off offset:672
	v_mul_f64 v[14:15], v[14:15], v[26:27]
	v_fma_f64 v[12:13], v[12:13], v[24:25], -v[14:15]
	v_add_f64 v[12:13], v[16:17], v[12:13]
	;; [unrolled: 8-line block ×3, first 2 shown]
	s_waitcnt vmcnt(0) lgkmcnt(0)
	v_mul_f64 v[38:39], v[4:5], v[34:35]
	v_fmac_f64_e32 v[38:39], v[6:7], v[32:33]
	v_add_f64 v[44:45], v[36:37], v[38:39]
	ds_read_b128 v[36:39], v2 offset:1712
	v_mul_f64 v[6:7], v[6:7], v[34:35]
	v_fma_f64 v[4:5], v[4:5], v[32:33], -v[6:7]
	v_add_f64 v[4:5], v[8:9], v[4:5]
	s_waitcnt lgkmcnt(0)
	v_mul_f64 v[46:47], v[36:37], v[42:43]
	v_fmac_f64_e32 v[46:47], v[38:39], v[40:41]
	v_add_f64 v[52:53], v[44:45], v[46:47]
	ds_read_b128 v[44:47], v2 offset:1728
	v_mul_f64 v[6:7], v[38:39], v[42:43]
	v_fma_f64 v[6:7], v[36:37], v[40:41], -v[6:7]
	v_add_f64 v[4:5], v[4:5], v[6:7]
	s_waitcnt lgkmcnt(0)
	;; [unrolled: 8-line block ×21, first 2 shown]
	v_mul_f64 v[6:7], v[200:201], v[204:205]
	v_fma_f64 v[6:7], v[198:199], v[202:203], -v[6:7]
	v_add_f64 v[8:9], v[4:5], v[6:7]
	scratch_load_dwordx4 v[4:7], off, off offset:624
	v_mul_f64 v[206:207], v[198:199], v[204:205]
	v_fmac_f64_e32 v[206:207], v[200:201], v[202:203]
	v_add_f64 v[144:145], v[144:145], v[206:207]
	s_waitcnt vmcnt(0)
	v_add_f64 v[4:5], v[4:5], -v[8:9]
	v_add_f64 v[6:7], v[6:7], -v[144:145]
	scratch_store_dwordx4 off, v[4:7], off offset:624
	s_and_saveexec_b64 s[0:1], vcc
	s_cbranch_execz .LBB63_335
; %bb.334:
	scratch_load_dwordx4 v[6:9], off, s35
	v_mov_b32_e32 v3, v2
	v_mov_b32_e32 v4, v2
	;; [unrolled: 1-line block ×3, first 2 shown]
	v_accvgpr_read_b32 v0, a129
	scratch_store_dwordx4 off, v[2:5], off offset:608
	s_waitcnt vmcnt(1)
	ds_write_b128 v0, v[6:9]
.LBB63_335:
	s_or_b64 exec, exec, s[0:1]
	s_waitcnt lgkmcnt(0)
	; wave barrier
	ds_read_b128 v[16:19], v2 offset:1632
	ds_read_b128 v[12:15], v2 offset:1648
	;; [unrolled: 1-line block ×4, first 2 shown]
	scratch_load_dwordx4 v[20:23], off, off offset:624
	scratch_load_dwordx4 v[40:43], off, off offset:688
	;; [unrolled: 1-line block ×20, first 2 shown]
	v_cmp_lt_u32_e32 vcc, 36, v252
	scratch_load_dwordx4 v[48:51], off, off offset:704
	scratch_load_dwordx4 v[56:59], off, off offset:720
	;; [unrolled: 1-line block ×3, first 2 shown]
	s_waitcnt vmcnt(22) lgkmcnt(3)
	v_mul_f64 v[24:25], v[16:17], v[22:23]
	v_fmac_f64_e32 v[24:25], v[18:19], v[20:21]
	v_add_f64 v[28:29], v[24:25], 0
	scratch_load_dwordx4 v[24:27], off, off offset:640
	s_waitcnt vmcnt(0) lgkmcnt(2)
	v_mul_f64 v[30:31], v[12:13], v[26:27]
	v_fmac_f64_e32 v[30:31], v[14:15], v[24:25]
	v_add_f64 v[32:33], v[28:29], v[30:31]
	scratch_load_dwordx4 v[28:31], off, off offset:656
	v_mul_f64 v[14:15], v[14:15], v[26:27]
	v_fma_f64 v[12:13], v[12:13], v[24:25], -v[14:15]
	s_waitcnt vmcnt(0) lgkmcnt(1)
	v_mul_f64 v[34:35], v[8:9], v[30:31]
	v_fmac_f64_e32 v[34:35], v[10:11], v[28:29]
	v_add_f64 v[36:37], v[32:33], v[34:35]
	scratch_load_dwordx4 v[32:35], off, off offset:672
	v_mul_f64 v[10:11], v[10:11], v[30:31]
	v_fma_f64 v[8:9], v[8:9], v[28:29], -v[10:11]
	s_waitcnt vmcnt(0) lgkmcnt(0)
	v_mul_f64 v[38:39], v[4:5], v[34:35]
	v_fmac_f64_e32 v[38:39], v[6:7], v[32:33]
	v_add_f64 v[44:45], v[36:37], v[38:39]
	ds_read_b128 v[36:39], v2 offset:1696
	v_mul_f64 v[6:7], v[6:7], v[34:35]
	v_fma_f64 v[4:5], v[4:5], v[32:33], -v[6:7]
	s_waitcnt lgkmcnt(0)
	v_mul_f64 v[46:47], v[36:37], v[42:43]
	v_fmac_f64_e32 v[46:47], v[38:39], v[40:41]
	v_add_f64 v[52:53], v[44:45], v[46:47]
	ds_read_b128 v[44:47], v2 offset:1712
	s_waitcnt lgkmcnt(0)
	v_mul_f64 v[54:55], v[44:45], v[50:51]
	v_fmac_f64_e32 v[54:55], v[46:47], v[48:49]
	v_add_f64 v[60:61], v[52:53], v[54:55]
	ds_read_b128 v[52:55], v2 offset:1728
	;; [unrolled: 5-line block ×21, first 2 shown]
	s_waitcnt lgkmcnt(0)
	v_mul_f64 v[2:3], v[206:207], v[212:213]
	v_fmac_f64_e32 v[2:3], v[208:209], v[210:211]
	v_add_f64 v[168:169], v[168:169], v[2:3]
	v_mul_f64 v[2:3], v[18:19], v[22:23]
	v_fma_f64 v[2:3], v[16:17], v[20:21], -v[2:3]
	v_add_f64 v[2:3], v[2:3], 0
	v_add_f64 v[2:3], v[2:3], v[12:13]
	;; [unrolled: 1-line block ×4, first 2 shown]
	v_mul_f64 v[4:5], v[38:39], v[42:43]
	v_fma_f64 v[4:5], v[36:37], v[40:41], -v[4:5]
	v_add_f64 v[2:3], v[2:3], v[4:5]
	v_mul_f64 v[4:5], v[46:47], v[50:51]
	v_fma_f64 v[4:5], v[44:45], v[48:49], -v[4:5]
	v_add_f64 v[2:3], v[2:3], v[4:5]
	v_mul_f64 v[4:5], v[54:55], v[58:59]
	v_fma_f64 v[4:5], v[52:53], v[56:57], -v[4:5]
	v_add_f64 v[2:3], v[2:3], v[4:5]
	v_mul_f64 v[4:5], v[62:63], v[66:67]
	v_fma_f64 v[4:5], v[60:61], v[64:65], -v[4:5]
	v_add_f64 v[2:3], v[2:3], v[4:5]
	v_mul_f64 v[4:5], v[70:71], v[74:75]
	v_fma_f64 v[4:5], v[68:69], v[72:73], -v[4:5]
	v_add_f64 v[2:3], v[2:3], v[4:5]
	v_mul_f64 v[4:5], v[78:79], v[82:83]
	v_fma_f64 v[4:5], v[76:77], v[80:81], -v[4:5]
	v_add_f64 v[2:3], v[2:3], v[4:5]
	v_mul_f64 v[4:5], v[86:87], v[90:91]
	v_fma_f64 v[4:5], v[84:85], v[88:89], -v[4:5]
	v_add_f64 v[2:3], v[2:3], v[4:5]
	v_mul_f64 v[4:5], v[94:95], v[98:99]
	v_fma_f64 v[4:5], v[92:93], v[96:97], -v[4:5]
	v_add_f64 v[2:3], v[2:3], v[4:5]
	v_mul_f64 v[4:5], v[102:103], v[106:107]
	v_fma_f64 v[4:5], v[100:101], v[104:105], -v[4:5]
	v_add_f64 v[2:3], v[2:3], v[4:5]
	v_mul_f64 v[4:5], v[110:111], v[114:115]
	v_fma_f64 v[4:5], v[108:109], v[112:113], -v[4:5]
	v_add_f64 v[2:3], v[2:3], v[4:5]
	v_mul_f64 v[4:5], v[118:119], v[122:123]
	v_fma_f64 v[4:5], v[116:117], v[120:121], -v[4:5]
	v_add_f64 v[2:3], v[2:3], v[4:5]
	v_mul_f64 v[4:5], v[126:127], v[130:131]
	v_fma_f64 v[4:5], v[124:125], v[128:129], -v[4:5]
	v_add_f64 v[2:3], v[2:3], v[4:5]
	v_mul_f64 v[4:5], v[134:135], v[138:139]
	v_fma_f64 v[4:5], v[132:133], v[136:137], -v[4:5]
	v_add_f64 v[2:3], v[2:3], v[4:5]
	v_mul_f64 v[4:5], v[142:143], v[146:147]
	v_fma_f64 v[4:5], v[140:141], v[144:145], -v[4:5]
	v_add_f64 v[2:3], v[2:3], v[4:5]
	v_mul_f64 v[4:5], v[150:151], v[154:155]
	v_fma_f64 v[4:5], v[148:149], v[152:153], -v[4:5]
	v_add_f64 v[2:3], v[2:3], v[4:5]
	v_mul_f64 v[4:5], v[158:159], v[162:163]
	v_fma_f64 v[4:5], v[156:157], v[160:161], -v[4:5]
	v_add_f64 v[2:3], v[2:3], v[4:5]
	v_mul_f64 v[4:5], v[166:167], v[172:173]
	v_fma_f64 v[4:5], v[164:165], v[170:171], -v[4:5]
	v_add_f64 v[2:3], v[2:3], v[4:5]
	v_mul_f64 v[4:5], v[176:177], v[180:181]
	v_fma_f64 v[4:5], v[174:175], v[178:179], -v[4:5]
	v_add_f64 v[2:3], v[2:3], v[4:5]
	v_mul_f64 v[4:5], v[184:185], v[188:189]
	v_fma_f64 v[4:5], v[182:183], v[186:187], -v[4:5]
	v_add_f64 v[2:3], v[2:3], v[4:5]
	v_mul_f64 v[4:5], v[192:193], v[196:197]
	v_fma_f64 v[4:5], v[190:191], v[194:195], -v[4:5]
	v_add_f64 v[2:3], v[2:3], v[4:5]
	v_mul_f64 v[4:5], v[200:201], v[204:205]
	v_fma_f64 v[4:5], v[198:199], v[202:203], -v[4:5]
	v_add_f64 v[2:3], v[2:3], v[4:5]
	v_mul_f64 v[4:5], v[208:209], v[212:213]
	v_fma_f64 v[4:5], v[206:207], v[210:211], -v[4:5]
	v_add_f64 v[6:7], v[2:3], v[4:5]
	scratch_load_dwordx4 v[2:5], off, off offset:608
	s_waitcnt vmcnt(0)
	v_add_f64 v[2:3], v[2:3], -v[6:7]
	v_add_f64 v[4:5], v[4:5], -v[168:169]
	scratch_store_dwordx4 off, v[2:5], off offset:608
	s_and_saveexec_b64 s[0:1], vcc
	s_cbranch_execz .LBB63_337
; %bb.336:
	scratch_load_dwordx4 v[2:5], off, s34
	v_mov_b32_e32 v6, 0
	v_mov_b32_e32 v7, v6
	;; [unrolled: 1-line block ×4, first 2 shown]
	v_accvgpr_read_b32 v0, a129
	scratch_store_dwordx4 off, v[6:9], off offset:592
	s_waitcnt vmcnt(1)
	ds_write_b128 v0, v[2:5]
.LBB63_337:
	s_or_b64 exec, exec, s[0:1]
	v_mov_b32_e32 v2, 0
	s_waitcnt lgkmcnt(0)
	; wave barrier
	ds_read_b128 v[16:19], v2 offset:1616
	ds_read_b128 v[12:15], v2 offset:1632
	;; [unrolled: 1-line block ×4, first 2 shown]
	scratch_load_dwordx4 v[20:23], off, off offset:608
	scratch_load_dwordx4 v[40:43], off, off offset:672
	;; [unrolled: 1-line block ×21, first 2 shown]
	v_cmp_lt_u32_e32 vcc, 35, v252
	scratch_load_dwordx4 v[48:51], off, off offset:688
	scratch_load_dwordx4 v[56:59], off, off offset:704
	;; [unrolled: 1-line block ×3, first 2 shown]
	s_waitcnt vmcnt(23) lgkmcnt(3)
	v_mul_f64 v[24:25], v[16:17], v[22:23]
	v_fmac_f64_e32 v[24:25], v[18:19], v[20:21]
	v_add_f64 v[28:29], v[24:25], 0
	scratch_load_dwordx4 v[24:27], off, off offset:624
	v_mul_f64 v[18:19], v[18:19], v[22:23]
	v_fma_f64 v[16:17], v[16:17], v[20:21], -v[18:19]
	v_add_f64 v[16:17], v[16:17], 0
	s_waitcnt vmcnt(0) lgkmcnt(2)
	v_mul_f64 v[30:31], v[12:13], v[26:27]
	v_fmac_f64_e32 v[30:31], v[14:15], v[24:25]
	v_add_f64 v[32:33], v[28:29], v[30:31]
	scratch_load_dwordx4 v[28:31], off, off offset:640
	v_mul_f64 v[14:15], v[14:15], v[26:27]
	v_fma_f64 v[12:13], v[12:13], v[24:25], -v[14:15]
	v_add_f64 v[12:13], v[16:17], v[12:13]
	;; [unrolled: 8-line block ×3, first 2 shown]
	s_waitcnt vmcnt(0) lgkmcnt(0)
	v_mul_f64 v[38:39], v[4:5], v[34:35]
	v_fmac_f64_e32 v[38:39], v[6:7], v[32:33]
	v_add_f64 v[44:45], v[36:37], v[38:39]
	ds_read_b128 v[36:39], v2 offset:1680
	v_mul_f64 v[6:7], v[6:7], v[34:35]
	v_fma_f64 v[4:5], v[4:5], v[32:33], -v[6:7]
	v_add_f64 v[4:5], v[8:9], v[4:5]
	s_waitcnt lgkmcnt(0)
	v_mul_f64 v[46:47], v[36:37], v[42:43]
	v_fmac_f64_e32 v[46:47], v[38:39], v[40:41]
	v_add_f64 v[52:53], v[44:45], v[46:47]
	ds_read_b128 v[44:47], v2 offset:1696
	v_mul_f64 v[6:7], v[38:39], v[42:43]
	v_fma_f64 v[6:7], v[36:37], v[40:41], -v[6:7]
	v_add_f64 v[4:5], v[4:5], v[6:7]
	s_waitcnt lgkmcnt(0)
	;; [unrolled: 8-line block ×23, first 2 shown]
	v_mul_f64 v[6:7], v[216:217], v[220:221]
	v_fma_f64 v[6:7], v[214:215], v[218:219], -v[6:7]
	v_add_f64 v[8:9], v[4:5], v[6:7]
	scratch_load_dwordx4 v[4:7], off, off offset:592
	v_mul_f64 v[222:223], v[214:215], v[220:221]
	v_fmac_f64_e32 v[222:223], v[216:217], v[218:219]
	v_add_f64 v[160:161], v[160:161], v[222:223]
	s_waitcnt vmcnt(0)
	v_add_f64 v[4:5], v[4:5], -v[8:9]
	v_add_f64 v[6:7], v[6:7], -v[160:161]
	scratch_store_dwordx4 off, v[4:7], off offset:592
	s_and_saveexec_b64 s[0:1], vcc
	s_cbranch_execz .LBB63_339
; %bb.338:
	scratch_load_dwordx4 v[6:9], off, s33
	v_mov_b32_e32 v3, v2
	v_mov_b32_e32 v4, v2
	;; [unrolled: 1-line block ×3, first 2 shown]
	v_accvgpr_read_b32 v0, a129
	scratch_store_dwordx4 off, v[2:5], off offset:576
	s_waitcnt vmcnt(1)
	ds_write_b128 v0, v[6:9]
.LBB63_339:
	s_or_b64 exec, exec, s[0:1]
	s_waitcnt lgkmcnt(0)
	; wave barrier
	ds_read_b128 v[16:19], v2 offset:1600
	ds_read_b128 v[12:15], v2 offset:1616
	;; [unrolled: 1-line block ×4, first 2 shown]
	scratch_load_dwordx4 v[20:23], off, off offset:592
	scratch_load_dwordx4 v[40:43], off, off offset:656
	;; [unrolled: 1-line block ×22, first 2 shown]
	v_cmp_lt_u32_e32 vcc, 34, v252
	scratch_load_dwordx4 v[48:51], off, off offset:672
	scratch_load_dwordx4 v[56:59], off, off offset:688
	;; [unrolled: 1-line block ×3, first 2 shown]
	s_waitcnt vmcnt(24) lgkmcnt(3)
	v_mul_f64 v[24:25], v[16:17], v[22:23]
	v_fmac_f64_e32 v[24:25], v[18:19], v[20:21]
	v_add_f64 v[28:29], v[24:25], 0
	scratch_load_dwordx4 v[24:27], off, off offset:608
	s_waitcnt vmcnt(0) lgkmcnt(2)
	v_mul_f64 v[30:31], v[12:13], v[26:27]
	v_fmac_f64_e32 v[30:31], v[14:15], v[24:25]
	v_add_f64 v[32:33], v[28:29], v[30:31]
	scratch_load_dwordx4 v[28:31], off, off offset:624
	v_mul_f64 v[14:15], v[14:15], v[26:27]
	v_fma_f64 v[12:13], v[12:13], v[24:25], -v[14:15]
	s_waitcnt vmcnt(0) lgkmcnt(1)
	v_mul_f64 v[34:35], v[8:9], v[30:31]
	v_fmac_f64_e32 v[34:35], v[10:11], v[28:29]
	v_add_f64 v[36:37], v[32:33], v[34:35]
	scratch_load_dwordx4 v[32:35], off, off offset:640
	v_mul_f64 v[10:11], v[10:11], v[30:31]
	v_fma_f64 v[8:9], v[8:9], v[28:29], -v[10:11]
	s_waitcnt vmcnt(0) lgkmcnt(0)
	v_mul_f64 v[38:39], v[4:5], v[34:35]
	v_fmac_f64_e32 v[38:39], v[6:7], v[32:33]
	v_add_f64 v[44:45], v[36:37], v[38:39]
	ds_read_b128 v[36:39], v2 offset:1664
	v_mul_f64 v[6:7], v[6:7], v[34:35]
	v_fma_f64 v[4:5], v[4:5], v[32:33], -v[6:7]
	s_waitcnt lgkmcnt(0)
	v_mul_f64 v[46:47], v[36:37], v[42:43]
	v_fmac_f64_e32 v[46:47], v[38:39], v[40:41]
	v_add_f64 v[52:53], v[44:45], v[46:47]
	ds_read_b128 v[44:47], v2 offset:1680
	s_waitcnt lgkmcnt(0)
	v_mul_f64 v[54:55], v[44:45], v[50:51]
	v_fmac_f64_e32 v[54:55], v[46:47], v[48:49]
	v_add_f64 v[60:61], v[52:53], v[54:55]
	ds_read_b128 v[52:55], v2 offset:1696
	;; [unrolled: 5-line block ×23, first 2 shown]
	s_waitcnt lgkmcnt(0)
	v_mul_f64 v[2:3], v[222:223], v[228:229]
	v_fmac_f64_e32 v[2:3], v[224:225], v[226:227]
	v_add_f64 v[176:177], v[176:177], v[2:3]
	v_mul_f64 v[2:3], v[18:19], v[22:23]
	v_fma_f64 v[2:3], v[16:17], v[20:21], -v[2:3]
	v_add_f64 v[2:3], v[2:3], 0
	v_add_f64 v[2:3], v[2:3], v[12:13]
	;; [unrolled: 1-line block ×4, first 2 shown]
	v_mul_f64 v[4:5], v[38:39], v[42:43]
	v_fma_f64 v[4:5], v[36:37], v[40:41], -v[4:5]
	v_add_f64 v[2:3], v[2:3], v[4:5]
	v_mul_f64 v[4:5], v[46:47], v[50:51]
	v_fma_f64 v[4:5], v[44:45], v[48:49], -v[4:5]
	v_add_f64 v[2:3], v[2:3], v[4:5]
	v_mul_f64 v[4:5], v[54:55], v[58:59]
	v_fma_f64 v[4:5], v[52:53], v[56:57], -v[4:5]
	v_add_f64 v[2:3], v[2:3], v[4:5]
	v_mul_f64 v[4:5], v[62:63], v[66:67]
	v_fma_f64 v[4:5], v[60:61], v[64:65], -v[4:5]
	v_add_f64 v[2:3], v[2:3], v[4:5]
	v_mul_f64 v[4:5], v[70:71], v[74:75]
	v_fma_f64 v[4:5], v[68:69], v[72:73], -v[4:5]
	v_add_f64 v[2:3], v[2:3], v[4:5]
	v_mul_f64 v[4:5], v[78:79], v[82:83]
	v_fma_f64 v[4:5], v[76:77], v[80:81], -v[4:5]
	v_add_f64 v[2:3], v[2:3], v[4:5]
	v_mul_f64 v[4:5], v[86:87], v[90:91]
	v_fma_f64 v[4:5], v[84:85], v[88:89], -v[4:5]
	v_add_f64 v[2:3], v[2:3], v[4:5]
	v_mul_f64 v[4:5], v[94:95], v[98:99]
	v_fma_f64 v[4:5], v[92:93], v[96:97], -v[4:5]
	v_add_f64 v[2:3], v[2:3], v[4:5]
	v_mul_f64 v[4:5], v[102:103], v[106:107]
	v_fma_f64 v[4:5], v[100:101], v[104:105], -v[4:5]
	v_add_f64 v[2:3], v[2:3], v[4:5]
	v_mul_f64 v[4:5], v[110:111], v[114:115]
	v_fma_f64 v[4:5], v[108:109], v[112:113], -v[4:5]
	v_add_f64 v[2:3], v[2:3], v[4:5]
	v_mul_f64 v[4:5], v[118:119], v[122:123]
	v_fma_f64 v[4:5], v[116:117], v[120:121], -v[4:5]
	v_add_f64 v[2:3], v[2:3], v[4:5]
	v_mul_f64 v[4:5], v[126:127], v[130:131]
	v_fma_f64 v[4:5], v[124:125], v[128:129], -v[4:5]
	v_add_f64 v[2:3], v[2:3], v[4:5]
	v_mul_f64 v[4:5], v[134:135], v[138:139]
	v_fma_f64 v[4:5], v[132:133], v[136:137], -v[4:5]
	v_add_f64 v[2:3], v[2:3], v[4:5]
	v_mul_f64 v[4:5], v[142:143], v[146:147]
	v_fma_f64 v[4:5], v[140:141], v[144:145], -v[4:5]
	v_add_f64 v[2:3], v[2:3], v[4:5]
	v_mul_f64 v[4:5], v[150:151], v[154:155]
	v_fma_f64 v[4:5], v[148:149], v[152:153], -v[4:5]
	v_add_f64 v[2:3], v[2:3], v[4:5]
	v_mul_f64 v[4:5], v[158:159], v[162:163]
	v_fma_f64 v[4:5], v[156:157], v[160:161], -v[4:5]
	v_add_f64 v[2:3], v[2:3], v[4:5]
	v_mul_f64 v[4:5], v[166:167], v[170:171]
	v_fma_f64 v[4:5], v[164:165], v[168:169], -v[4:5]
	v_add_f64 v[2:3], v[2:3], v[4:5]
	v_mul_f64 v[4:5], v[174:175], v[180:181]
	v_fma_f64 v[4:5], v[172:173], v[178:179], -v[4:5]
	v_add_f64 v[2:3], v[2:3], v[4:5]
	v_mul_f64 v[4:5], v[184:185], v[188:189]
	v_fma_f64 v[4:5], v[182:183], v[186:187], -v[4:5]
	v_add_f64 v[2:3], v[2:3], v[4:5]
	v_mul_f64 v[4:5], v[192:193], v[196:197]
	v_fma_f64 v[4:5], v[190:191], v[194:195], -v[4:5]
	v_add_f64 v[2:3], v[2:3], v[4:5]
	v_mul_f64 v[4:5], v[200:201], v[204:205]
	v_fma_f64 v[4:5], v[198:199], v[202:203], -v[4:5]
	v_add_f64 v[2:3], v[2:3], v[4:5]
	v_mul_f64 v[4:5], v[208:209], v[212:213]
	v_fma_f64 v[4:5], v[206:207], v[210:211], -v[4:5]
	v_add_f64 v[2:3], v[2:3], v[4:5]
	v_mul_f64 v[4:5], v[216:217], v[220:221]
	v_fma_f64 v[4:5], v[214:215], v[218:219], -v[4:5]
	v_add_f64 v[2:3], v[2:3], v[4:5]
	v_mul_f64 v[4:5], v[224:225], v[228:229]
	v_fma_f64 v[4:5], v[222:223], v[226:227], -v[4:5]
	v_add_f64 v[6:7], v[2:3], v[4:5]
	scratch_load_dwordx4 v[2:5], off, off offset:576
	s_waitcnt vmcnt(0)
	v_add_f64 v[2:3], v[2:3], -v[6:7]
	v_add_f64 v[4:5], v[4:5], -v[176:177]
	scratch_store_dwordx4 off, v[2:5], off offset:576
	s_and_saveexec_b64 s[0:1], vcc
	s_cbranch_execz .LBB63_341
; %bb.340:
	scratch_load_dwordx4 v[2:5], off, s31
	v_mov_b32_e32 v6, 0
	v_mov_b32_e32 v7, v6
	;; [unrolled: 1-line block ×4, first 2 shown]
	v_accvgpr_read_b32 v0, a129
	scratch_store_dwordx4 off, v[6:9], off offset:560
	s_waitcnt vmcnt(1)
	ds_write_b128 v0, v[2:5]
.LBB63_341:
	s_or_b64 exec, exec, s[0:1]
	v_mov_b32_e32 v2, 0
	s_waitcnt lgkmcnt(0)
	; wave barrier
	ds_read_b128 v[16:19], v2 offset:1584
	ds_read_b128 v[12:15], v2 offset:1600
	;; [unrolled: 1-line block ×4, first 2 shown]
	scratch_load_dwordx4 v[20:23], off, off offset:576
	scratch_load_dwordx4 v[40:43], off, off offset:640
	;; [unrolled: 1-line block ×23, first 2 shown]
	v_cmp_lt_u32_e32 vcc, 33, v252
	scratch_load_dwordx4 v[48:51], off, off offset:656
	scratch_load_dwordx4 v[56:59], off, off offset:672
	;; [unrolled: 1-line block ×3, first 2 shown]
	s_waitcnt vmcnt(25) lgkmcnt(3)
	v_mul_f64 v[24:25], v[16:17], v[22:23]
	v_fmac_f64_e32 v[24:25], v[18:19], v[20:21]
	v_add_f64 v[28:29], v[24:25], 0
	scratch_load_dwordx4 v[24:27], off, off offset:592
	v_mul_f64 v[18:19], v[18:19], v[22:23]
	v_fma_f64 v[16:17], v[16:17], v[20:21], -v[18:19]
	v_add_f64 v[16:17], v[16:17], 0
	s_waitcnt vmcnt(0) lgkmcnt(2)
	v_mul_f64 v[30:31], v[12:13], v[26:27]
	v_fmac_f64_e32 v[30:31], v[14:15], v[24:25]
	v_add_f64 v[32:33], v[28:29], v[30:31]
	scratch_load_dwordx4 v[28:31], off, off offset:608
	v_mul_f64 v[14:15], v[14:15], v[26:27]
	v_fma_f64 v[12:13], v[12:13], v[24:25], -v[14:15]
	v_add_f64 v[12:13], v[16:17], v[12:13]
	;; [unrolled: 8-line block ×3, first 2 shown]
	s_waitcnt vmcnt(0) lgkmcnt(0)
	v_mul_f64 v[38:39], v[4:5], v[34:35]
	v_fmac_f64_e32 v[38:39], v[6:7], v[32:33]
	v_add_f64 v[44:45], v[36:37], v[38:39]
	ds_read_b128 v[36:39], v2 offset:1648
	v_mul_f64 v[6:7], v[6:7], v[34:35]
	v_fma_f64 v[4:5], v[4:5], v[32:33], -v[6:7]
	v_add_f64 v[4:5], v[8:9], v[4:5]
	s_waitcnt lgkmcnt(0)
	v_mul_f64 v[46:47], v[36:37], v[42:43]
	v_fmac_f64_e32 v[46:47], v[38:39], v[40:41]
	v_add_f64 v[52:53], v[44:45], v[46:47]
	ds_read_b128 v[44:47], v2 offset:1664
	v_mul_f64 v[6:7], v[38:39], v[42:43]
	v_fma_f64 v[6:7], v[36:37], v[40:41], -v[6:7]
	v_add_f64 v[4:5], v[4:5], v[6:7]
	s_waitcnt lgkmcnt(0)
	;; [unrolled: 8-line block ×25, first 2 shown]
	v_mul_f64 v[6:7], v[232:233], v[236:237]
	v_fma_f64 v[6:7], v[230:231], v[234:235], -v[6:7]
	v_add_f64 v[8:9], v[4:5], v[6:7]
	scratch_load_dwordx4 v[4:7], off, off offset:560
	v_mul_f64 v[238:239], v[230:231], v[236:237]
	v_fmac_f64_e32 v[238:239], v[232:233], v[234:235]
	v_add_f64 v[176:177], v[176:177], v[238:239]
	s_waitcnt vmcnt(0)
	v_add_f64 v[4:5], v[4:5], -v[8:9]
	v_add_f64 v[6:7], v[6:7], -v[176:177]
	scratch_store_dwordx4 off, v[4:7], off offset:560
	s_and_saveexec_b64 s[0:1], vcc
	s_cbranch_execz .LBB63_343
; %bb.342:
	scratch_load_dwordx4 v[6:9], off, s29
	v_mov_b32_e32 v3, v2
	v_mov_b32_e32 v4, v2
	;; [unrolled: 1-line block ×3, first 2 shown]
	v_accvgpr_read_b32 v0, a129
	scratch_store_dwordx4 off, v[2:5], off offset:544
	s_waitcnt vmcnt(1)
	ds_write_b128 v0, v[6:9]
.LBB63_343:
	s_or_b64 exec, exec, s[0:1]
	s_waitcnt lgkmcnt(0)
	; wave barrier
	ds_read_b128 v[16:19], v2 offset:1568
	ds_read_b128 v[12:15], v2 offset:1584
	;; [unrolled: 1-line block ×4, first 2 shown]
	scratch_load_dwordx4 v[20:23], off, off offset:560
	scratch_load_dwordx4 v[40:43], off, off offset:624
	scratch_load_dwordx4 v[72:75], off, off offset:688
	scratch_load_dwordx4 v[80:83], off, off offset:704
	scratch_load_dwordx4 v[88:91], off, off offset:720
	scratch_load_dwordx4 v[96:99], off, off offset:736
	scratch_load_dwordx4 v[104:107], off, off offset:752
	scratch_load_dwordx4 v[112:115], off, off offset:768
	scratch_load_dwordx4 v[120:123], off, off offset:784
	scratch_load_dwordx4 v[128:131], off, off offset:800
	scratch_load_dwordx4 v[136:139], off, off offset:816
	scratch_load_dwordx4 v[144:147], off, off offset:832
	scratch_load_dwordx4 v[152:155], off, off offset:848
	scratch_load_dwordx4 v[160:163], off, off offset:864
	scratch_load_dwordx4 v[168:171], off, off offset:880
	scratch_load_dwordx4 v[176:179], off, off offset:896
	scratch_load_dwordx4 v[186:189], off, off offset:912
	scratch_load_dwordx4 v[194:197], off, off offset:928
	scratch_load_dwordx4 v[202:205], off, off offset:944
	scratch_load_dwordx4 v[210:213], off, off offset:960
	scratch_load_dwordx4 v[218:221], off, off offset:976
	scratch_load_dwordx4 v[226:229], off, off offset:992
	scratch_load_dwordx4 v[234:237], off, off offset:1008
	scratch_load_dwordx4 v[242:245], off, off offset:1024
	v_cmp_lt_u32_e32 vcc, 32, v252
	scratch_load_dwordx4 v[48:51], off, off offset:640
	scratch_load_dwordx4 v[56:59], off, off offset:656
	;; [unrolled: 1-line block ×3, first 2 shown]
	s_waitcnt vmcnt(26) lgkmcnt(3)
	v_mul_f64 v[24:25], v[16:17], v[22:23]
	v_fmac_f64_e32 v[24:25], v[18:19], v[20:21]
	v_add_f64 v[28:29], v[24:25], 0
	scratch_load_dwordx4 v[24:27], off, off offset:576
	s_waitcnt vmcnt(0) lgkmcnt(2)
	v_mul_f64 v[30:31], v[12:13], v[26:27]
	v_fmac_f64_e32 v[30:31], v[14:15], v[24:25]
	v_add_f64 v[32:33], v[28:29], v[30:31]
	scratch_load_dwordx4 v[28:31], off, off offset:592
	v_mul_f64 v[14:15], v[14:15], v[26:27]
	v_fma_f64 v[12:13], v[12:13], v[24:25], -v[14:15]
	s_waitcnt vmcnt(0) lgkmcnt(1)
	v_mul_f64 v[34:35], v[8:9], v[30:31]
	v_fmac_f64_e32 v[34:35], v[10:11], v[28:29]
	v_add_f64 v[36:37], v[32:33], v[34:35]
	scratch_load_dwordx4 v[32:35], off, off offset:608
	v_mul_f64 v[10:11], v[10:11], v[30:31]
	v_fma_f64 v[8:9], v[8:9], v[28:29], -v[10:11]
	s_waitcnt vmcnt(0) lgkmcnt(0)
	v_mul_f64 v[38:39], v[4:5], v[34:35]
	v_fmac_f64_e32 v[38:39], v[6:7], v[32:33]
	v_add_f64 v[44:45], v[36:37], v[38:39]
	ds_read_b128 v[36:39], v2 offset:1632
	v_mul_f64 v[6:7], v[6:7], v[34:35]
	v_fma_f64 v[4:5], v[4:5], v[32:33], -v[6:7]
	s_waitcnt lgkmcnt(0)
	v_mul_f64 v[46:47], v[36:37], v[42:43]
	v_fmac_f64_e32 v[46:47], v[38:39], v[40:41]
	v_add_f64 v[52:53], v[44:45], v[46:47]
	ds_read_b128 v[44:47], v2 offset:1648
	s_waitcnt lgkmcnt(0)
	v_mul_f64 v[54:55], v[44:45], v[50:51]
	v_fmac_f64_e32 v[54:55], v[46:47], v[48:49]
	v_add_f64 v[60:61], v[52:53], v[54:55]
	ds_read_b128 v[52:55], v2 offset:1664
	;; [unrolled: 5-line block ×25, first 2 shown]
	s_waitcnt lgkmcnt(0)
	v_mul_f64 v[2:3], v[238:239], v[244:245]
	v_fmac_f64_e32 v[2:3], v[240:241], v[242:243]
	v_add_f64 v[184:185], v[184:185], v[2:3]
	v_mul_f64 v[2:3], v[18:19], v[22:23]
	v_fma_f64 v[2:3], v[16:17], v[20:21], -v[2:3]
	v_add_f64 v[2:3], v[2:3], 0
	v_add_f64 v[2:3], v[2:3], v[12:13]
	;; [unrolled: 1-line block ×4, first 2 shown]
	v_mul_f64 v[4:5], v[38:39], v[42:43]
	v_fma_f64 v[4:5], v[36:37], v[40:41], -v[4:5]
	v_add_f64 v[2:3], v[2:3], v[4:5]
	v_mul_f64 v[4:5], v[46:47], v[50:51]
	v_fma_f64 v[4:5], v[44:45], v[48:49], -v[4:5]
	v_add_f64 v[2:3], v[2:3], v[4:5]
	;; [unrolled: 3-line block ×26, first 2 shown]
	scratch_load_dwordx4 v[2:5], off, off offset:544
	s_waitcnt vmcnt(0)
	v_add_f64 v[2:3], v[2:3], -v[6:7]
	v_add_f64 v[4:5], v[4:5], -v[184:185]
	scratch_store_dwordx4 off, v[2:5], off offset:544
	s_and_saveexec_b64 s[0:1], vcc
	s_cbranch_execz .LBB63_345
; %bb.344:
	scratch_load_dwordx4 v[2:5], off, s30
	v_mov_b32_e32 v6, 0
	v_mov_b32_e32 v7, v6
	;; [unrolled: 1-line block ×4, first 2 shown]
	v_accvgpr_read_b32 v0, a129
	scratch_store_dwordx4 off, v[6:9], off offset:528
	s_waitcnt vmcnt(1)
	ds_write_b128 v0, v[2:5]
.LBB63_345:
	s_or_b64 exec, exec, s[0:1]
	s_waitcnt lgkmcnt(0)
	; wave barrier
	scratch_load_dwordx4 v[16:19], off, off offset:544
	scratch_load_dwordx4 v[12:15], off, off offset:560
	scratch_load_dwordx4 v[8:11], off, off offset:576
	scratch_load_dwordx4 v[4:7], off, off offset:592
	scratch_load_dwordx4 v[20:23], off, off offset:608
	scratch_load_dwordx4 v[24:27], off, off offset:624
	scratch_load_dwordx4 v[28:31], off, off offset:640
	scratch_load_dwordx4 v[32:35], off, off offset:656
	scratch_load_dwordx4 v[36:39], off, off offset:672
	scratch_load_dwordx4 v[40:43], off, off offset:688
	scratch_load_dwordx4 v[44:47], off, off offset:704
	scratch_load_dwordx4 v[48:51], off, off offset:720
	scratch_load_dwordx4 v[52:55], off, off offset:736
	scratch_load_dwordx4 v[56:59], off, off offset:752
	scratch_load_dwordx4 v[60:63], off, off offset:768
	scratch_load_dwordx4 v[64:67], off, off offset:784
	scratch_load_dwordx4 v[68:71], off, off offset:800
	scratch_load_dwordx4 v[72:75], off, off offset:816
	scratch_load_dwordx4 v[76:79], off, off offset:832
	scratch_load_dwordx4 v[80:83], off, off offset:848
	scratch_load_dwordx4 v[84:87], off, off offset:864
	scratch_load_dwordx4 v[88:91], off, off offset:880
	scratch_load_dwordx4 v[92:95], off, off offset:896
	scratch_load_dwordx4 v[96:99], off, off offset:912
	scratch_load_dwordx4 v[100:103], off, off offset:928
	scratch_load_dwordx4 v[104:107], off, off offset:944
	scratch_load_dwordx4 v[108:111], off, off offset:960
	scratch_load_dwordx4 v[112:115], off, off offset:976
	scratch_load_dwordx4 v[116:119], off, off offset:992
	scratch_load_dwordx4 v[120:123], off, off offset:1008
	scratch_load_dwordx4 v[124:127], off, off offset:1024
	scratch_load_dwordx4 v[128:131], off, off offset:528
	v_mov_b32_e32 v2, 0
	ds_read_b128 v[132:135], v2 offset:1552
	ds_read_b128 v[136:139], v2 offset:1568
	ds_read_b128 v[140:143], v2 offset:1584
	ds_read_b128 v[144:147], v2 offset:1600
	ds_read_b128 v[148:151], v2 offset:1616
	ds_read_b128 v[152:155], v2 offset:1632
	ds_read_b128 v[156:159], v2 offset:1648
	ds_read_b128 v[160:163], v2 offset:1664
	ds_read_b128 v[164:167], v2 offset:1680
	ds_read_b128 v[168:171], v2 offset:1696
	ds_read_b128 v[172:175], v2 offset:1712
	ds_read_b128 v[176:179], v2 offset:1728
	ds_read_b128 v[180:183], v2 offset:1744
	ds_read_b128 v[184:187], v2 offset:1760
	ds_read_b128 v[188:191], v2 offset:1776
	ds_read_b128 v[192:195], v2 offset:1792
	ds_read_b128 v[196:199], v2 offset:1808
	v_cmp_lt_u32_e32 vcc, 31, v252
	s_waitcnt vmcnt(31) lgkmcnt(14)
	v_mul_f64 v[200:201], v[132:133], v[18:19]
	s_waitcnt vmcnt(30)
	v_mul_f64 v[202:203], v[136:137], v[14:15]
	v_fmac_f64_e32 v[200:201], v[134:135], v[16:17]
	s_waitcnt vmcnt(29)
	v_mul_f64 v[204:205], v[140:141], v[10:11]
	v_fmac_f64_e32 v[202:203], v[138:139], v[12:13]
	v_add_f64 v[200:201], v[200:201], 0
	s_waitcnt vmcnt(28) lgkmcnt(13)
	v_mul_f64 v[206:207], v[144:145], v[6:7]
	v_fmac_f64_e32 v[204:205], v[142:143], v[8:9]
	v_add_f64 v[200:201], v[200:201], v[202:203]
	s_waitcnt vmcnt(27) lgkmcnt(12)
	;; [unrolled: 4-line block ×12, first 2 shown]
	v_mul_f64 v[228:229], v[188:189], v[62:63]
	v_fmac_f64_e32 v[226:227], v[186:187], v[56:57]
	v_add_f64 v[200:201], v[200:201], v[224:225]
	v_fmac_f64_e32 v[228:229], v[190:191], v[60:61]
	v_add_f64 v[200:201], v[200:201], v[226:227]
	s_waitcnt vmcnt(16) lgkmcnt(1)
	v_mul_f64 v[202:203], v[192:193], v[66:67]
	v_add_f64 v[200:201], v[200:201], v[228:229]
	v_fmac_f64_e32 v[202:203], v[194:195], v[64:65]
	s_waitcnt vmcnt(15) lgkmcnt(0)
	v_mul_f64 v[206:207], v[196:197], v[70:71]
	v_add_f64 v[204:205], v[200:201], v[202:203]
	ds_read_b128 v[200:203], v2 offset:1824
	v_fmac_f64_e32 v[206:207], v[198:199], v[68:69]
	v_add_f64 v[208:209], v[204:205], v[206:207]
	ds_read_b128 v[204:207], v2 offset:1840
	v_mul_f64 v[18:19], v[134:135], v[18:19]
	s_waitcnt vmcnt(14) lgkmcnt(1)
	v_mul_f64 v[210:211], v[200:201], v[74:75]
	v_fmac_f64_e32 v[210:211], v[202:203], v[72:73]
	v_add_f64 v[212:213], v[208:209], v[210:211]
	s_waitcnt vmcnt(13) lgkmcnt(0)
	v_mul_f64 v[214:215], v[204:205], v[78:79]
	ds_read_b128 v[208:211], v2 offset:1856
	v_fmac_f64_e32 v[214:215], v[206:207], v[76:77]
	v_add_f64 v[216:217], v[212:213], v[214:215]
	ds_read_b128 v[212:215], v2 offset:1872
	v_fma_f64 v[242:243], v[132:133], v[16:17], -v[18:19]
	s_waitcnt vmcnt(12) lgkmcnt(1)
	v_mul_f64 v[218:219], v[208:209], v[82:83]
	v_fmac_f64_e32 v[218:219], v[210:211], v[80:81]
	v_add_f64 v[220:221], v[216:217], v[218:219]
	s_waitcnt vmcnt(11) lgkmcnt(0)
	v_mul_f64 v[222:223], v[212:213], v[86:87]
	ds_read_b128 v[216:219], v2 offset:1888
	v_fmac_f64_e32 v[222:223], v[214:215], v[84:85]
	v_add_f64 v[224:225], v[220:221], v[222:223]
	ds_read_b128 v[220:223], v2 offset:1904
	ds_read_b128 v[16:19], v2 offset:1984
	s_waitcnt vmcnt(10) lgkmcnt(2)
	v_mul_f64 v[226:227], v[216:217], v[90:91]
	v_fmac_f64_e32 v[226:227], v[218:219], v[88:89]
	v_add_f64 v[228:229], v[224:225], v[226:227]
	s_waitcnt vmcnt(9) lgkmcnt(1)
	v_mul_f64 v[230:231], v[220:221], v[94:95]
	ds_read_b128 v[224:227], v2 offset:1920
	v_fmac_f64_e32 v[230:231], v[222:223], v[92:93]
	v_add_f64 v[232:233], v[228:229], v[230:231]
	ds_read_b128 v[228:231], v2 offset:1936
	v_mul_f64 v[14:15], v[138:139], v[14:15]
	s_waitcnt vmcnt(8) lgkmcnt(1)
	v_mul_f64 v[234:235], v[224:225], v[98:99]
	v_fmac_f64_e32 v[234:235], v[226:227], v[96:97]
	v_add_f64 v[236:237], v[232:233], v[234:235]
	s_waitcnt vmcnt(7) lgkmcnt(0)
	v_mul_f64 v[238:239], v[228:229], v[102:103]
	ds_read_b128 v[232:235], v2 offset:1952
	v_fmac_f64_e32 v[238:239], v[230:231], v[100:101]
	v_add_f64 v[240:241], v[236:237], v[238:239]
	ds_read_b128 v[236:239], v2 offset:1968
	v_fma_f64 v[136:137], v[136:137], v[12:13], -v[14:15]
	s_waitcnt vmcnt(6) lgkmcnt(1)
	v_mul_f64 v[132:133], v[232:233], v[106:107]
	v_fmac_f64_e32 v[132:133], v[234:235], v[104:105]
	v_add_f64 v[132:133], v[240:241], v[132:133]
	s_waitcnt vmcnt(5) lgkmcnt(0)
	v_mul_f64 v[134:135], v[236:237], v[110:111]
	v_fmac_f64_e32 v[134:135], v[238:239], v[108:109]
	v_add_f64 v[132:133], v[132:133], v[134:135]
	ds_read_b128 v[12:15], v2 offset:2000
	s_waitcnt vmcnt(4)
	v_mul_f64 v[134:135], v[16:17], v[114:115]
	v_fmac_f64_e32 v[134:135], v[18:19], v[112:113]
	v_add_f64 v[138:139], v[132:133], v[134:135]
	ds_read_b128 v[132:135], v2 offset:2016
	v_mul_f64 v[10:11], v[142:143], v[10:11]
	v_fma_f64 v[140:141], v[140:141], v[8:9], -v[10:11]
	ds_read_b128 v[8:11], v2 offset:2032
	s_waitcnt vmcnt(3) lgkmcnt(2)
	v_mul_f64 v[142:143], v[12:13], v[118:119]
	v_fmac_f64_e32 v[142:143], v[14:15], v[116:117]
	v_add_f64 v[138:139], v[138:139], v[142:143]
	s_waitcnt vmcnt(2) lgkmcnt(1)
	v_mul_f64 v[142:143], v[132:133], v[122:123]
	v_fmac_f64_e32 v[142:143], v[134:135], v[120:121]
	v_add_f64 v[138:139], v[138:139], v[142:143]
	;; [unrolled: 4-line block ×3, first 2 shown]
	v_add_f64 v[142:143], v[242:243], 0
	v_add_f64 v[136:137], v[142:143], v[136:137]
	v_mul_f64 v[6:7], v[146:147], v[6:7]
	v_add_f64 v[136:137], v[136:137], v[140:141]
	v_fma_f64 v[4:5], v[144:145], v[4:5], -v[6:7]
	v_mul_f64 v[6:7], v[150:151], v[22:23]
	v_add_f64 v[4:5], v[136:137], v[4:5]
	v_fma_f64 v[6:7], v[148:149], v[20:21], -v[6:7]
	v_add_f64 v[4:5], v[4:5], v[6:7]
	v_mul_f64 v[6:7], v[154:155], v[26:27]
	v_fma_f64 v[6:7], v[152:153], v[24:25], -v[6:7]
	v_add_f64 v[4:5], v[4:5], v[6:7]
	v_mul_f64 v[6:7], v[158:159], v[30:31]
	v_fma_f64 v[6:7], v[156:157], v[28:29], -v[6:7]
	v_add_f64 v[4:5], v[4:5], v[6:7]
	v_mul_f64 v[6:7], v[162:163], v[34:35]
	v_fma_f64 v[6:7], v[160:161], v[32:33], -v[6:7]
	v_add_f64 v[4:5], v[4:5], v[6:7]
	v_mul_f64 v[6:7], v[166:167], v[38:39]
	v_fma_f64 v[6:7], v[164:165], v[36:37], -v[6:7]
	v_add_f64 v[4:5], v[4:5], v[6:7]
	v_mul_f64 v[6:7], v[170:171], v[42:43]
	v_fma_f64 v[6:7], v[168:169], v[40:41], -v[6:7]
	v_add_f64 v[4:5], v[4:5], v[6:7]
	v_mul_f64 v[6:7], v[174:175], v[46:47]
	v_fma_f64 v[6:7], v[172:173], v[44:45], -v[6:7]
	v_add_f64 v[4:5], v[4:5], v[6:7]
	v_mul_f64 v[6:7], v[178:179], v[50:51]
	v_fma_f64 v[6:7], v[176:177], v[48:49], -v[6:7]
	v_add_f64 v[4:5], v[4:5], v[6:7]
	v_mul_f64 v[6:7], v[182:183], v[54:55]
	v_fma_f64 v[6:7], v[180:181], v[52:53], -v[6:7]
	v_add_f64 v[4:5], v[4:5], v[6:7]
	v_mul_f64 v[6:7], v[186:187], v[58:59]
	v_fma_f64 v[6:7], v[184:185], v[56:57], -v[6:7]
	v_add_f64 v[4:5], v[4:5], v[6:7]
	v_mul_f64 v[6:7], v[190:191], v[62:63]
	v_fma_f64 v[6:7], v[188:189], v[60:61], -v[6:7]
	v_add_f64 v[4:5], v[4:5], v[6:7]
	v_mul_f64 v[6:7], v[194:195], v[66:67]
	v_fma_f64 v[6:7], v[192:193], v[64:65], -v[6:7]
	v_add_f64 v[4:5], v[4:5], v[6:7]
	v_mul_f64 v[6:7], v[198:199], v[70:71]
	v_fma_f64 v[6:7], v[196:197], v[68:69], -v[6:7]
	v_add_f64 v[4:5], v[4:5], v[6:7]
	v_mul_f64 v[6:7], v[202:203], v[74:75]
	v_fma_f64 v[6:7], v[200:201], v[72:73], -v[6:7]
	v_add_f64 v[4:5], v[4:5], v[6:7]
	v_mul_f64 v[6:7], v[206:207], v[78:79]
	v_fma_f64 v[6:7], v[204:205], v[76:77], -v[6:7]
	v_add_f64 v[4:5], v[4:5], v[6:7]
	v_mul_f64 v[6:7], v[210:211], v[82:83]
	v_fma_f64 v[6:7], v[208:209], v[80:81], -v[6:7]
	v_add_f64 v[4:5], v[4:5], v[6:7]
	v_mul_f64 v[6:7], v[214:215], v[86:87]
	v_fma_f64 v[6:7], v[212:213], v[84:85], -v[6:7]
	v_add_f64 v[4:5], v[4:5], v[6:7]
	v_mul_f64 v[6:7], v[218:219], v[90:91]
	v_fma_f64 v[6:7], v[216:217], v[88:89], -v[6:7]
	v_add_f64 v[4:5], v[4:5], v[6:7]
	v_mul_f64 v[6:7], v[222:223], v[94:95]
	v_fma_f64 v[6:7], v[220:221], v[92:93], -v[6:7]
	v_add_f64 v[4:5], v[4:5], v[6:7]
	v_mul_f64 v[6:7], v[226:227], v[98:99]
	v_fma_f64 v[6:7], v[224:225], v[96:97], -v[6:7]
	v_add_f64 v[4:5], v[4:5], v[6:7]
	v_mul_f64 v[6:7], v[230:231], v[102:103]
	v_fma_f64 v[6:7], v[228:229], v[100:101], -v[6:7]
	v_add_f64 v[4:5], v[4:5], v[6:7]
	v_mul_f64 v[6:7], v[234:235], v[106:107]
	v_fma_f64 v[6:7], v[232:233], v[104:105], -v[6:7]
	v_add_f64 v[4:5], v[4:5], v[6:7]
	v_mul_f64 v[6:7], v[238:239], v[110:111]
	v_fma_f64 v[6:7], v[236:237], v[108:109], -v[6:7]
	v_add_f64 v[4:5], v[4:5], v[6:7]
	v_mul_f64 v[6:7], v[18:19], v[114:115]
	v_fma_f64 v[6:7], v[16:17], v[112:113], -v[6:7]
	v_add_f64 v[4:5], v[4:5], v[6:7]
	v_mul_f64 v[6:7], v[14:15], v[118:119]
	v_fma_f64 v[6:7], v[12:13], v[116:117], -v[6:7]
	v_add_f64 v[4:5], v[4:5], v[6:7]
	v_mul_f64 v[6:7], v[134:135], v[122:123]
	v_fma_f64 v[6:7], v[132:133], v[120:121], -v[6:7]
	v_add_f64 v[4:5], v[4:5], v[6:7]
	v_mul_f64 v[6:7], v[10:11], v[126:127]
	v_fma_f64 v[6:7], v[8:9], v[124:125], -v[6:7]
	v_add_f64 v[4:5], v[4:5], v[6:7]
	s_waitcnt vmcnt(0)
	v_add_f64 v[4:5], v[128:129], -v[4:5]
	v_add_f64 v[6:7], v[130:131], -v[138:139]
	scratch_store_dwordx4 off, v[4:7], off offset:528
	s_and_saveexec_b64 s[0:1], vcc
	s_cbranch_execz .LBB63_347
; %bb.346:
	scratch_load_dwordx4 v[6:9], off, s28
	v_mov_b32_e32 v3, v2
	v_mov_b32_e32 v4, v2
	;; [unrolled: 1-line block ×3, first 2 shown]
	v_accvgpr_read_b32 v0, a129
	scratch_store_dwordx4 off, v[2:5], off offset:512
	s_waitcnt vmcnt(1)
	ds_write_b128 v0, v[6:9]
.LBB63_347:
	s_or_b64 exec, exec, s[0:1]
	s_waitcnt lgkmcnt(0)
	; wave barrier
	scratch_load_dwordx4 v[140:143], off, off offset:528
	scratch_load_dwordx4 v[148:151], off, off offset:544
	;; [unrolled: 1-line block ×16, first 2 shown]
	ds_read_b128 v[188:191], v2 offset:1536
	ds_read_b128 v[184:187], v2 offset:1552
	scratch_load_dwordx4 v[56:59], off, off offset:784
	ds_read_b128 v[192:195], v2 offset:1568
	ds_read_b128 v[68:71], v2 offset:1584
	scratch_load_dwordx4 v[60:63], off, off offset:800
	ds_read_b128 v[88:91], v2 offset:1600
	ds_read_b128 v[84:87], v2 offset:1616
	;; [unrolled: 1-line block ×4, first 2 shown]
	scratch_load_dwordx4 v[64:67], off, off offset:816
	ds_read_b128 v[100:103], v2 offset:1664
	ds_read_b128 v[96:99], v2 offset:1680
	scratch_load_dwordx4 v[72:75], off, off offset:832
	ds_read_b128 v[116:119], v2 offset:1696
	ds_read_b128 v[112:115], v2 offset:1712
	;; [unrolled: 1-line block ×4, first 2 shown]
	scratch_load_dwordx4 v[92:95], off, off offset:848
	ds_read_b128 v[132:135], v2 offset:1760
	ds_read_b128 v[128:131], v2 offset:1776
	ds_read_b128 v[124:127], v2 offset:1792
	scratch_load_dwordx4 v[120:123], off, off offset:864
	scratch_load_dwordx4 v[136:139], off, off offset:880
	;; [unrolled: 1-line block ×11, first 2 shown]
	v_cmp_lt_u32_e32 vcc, 30, v252
	s_waitcnt vmcnt(31) lgkmcnt(14)
	v_mul_f64 v[200:201], v[188:189], v[142:143]
	s_waitcnt vmcnt(30)
	v_mul_f64 v[202:203], v[184:185], v[150:151]
	v_fmac_f64_e32 v[200:201], v[190:191], v[140:141]
	s_waitcnt vmcnt(29)
	v_mul_f64 v[204:205], v[192:193], v[154:155]
	v_fmac_f64_e32 v[202:203], v[186:187], v[148:149]
	v_add_f64 v[200:201], v[200:201], 0
	s_waitcnt vmcnt(28) lgkmcnt(13)
	v_mul_f64 v[206:207], v[68:69], v[6:7]
	v_fmac_f64_e32 v[204:205], v[194:195], v[152:153]
	v_add_f64 v[200:201], v[200:201], v[202:203]
	s_waitcnt vmcnt(27) lgkmcnt(12)
	;; [unrolled: 4-line block ×13, first 2 shown]
	v_mul_f64 v[230:231], v[128:129], v[54:55]
	v_fmac_f64_e32 v[228:229], v[134:135], v[48:49]
	v_add_f64 v[200:201], v[200:201], v[226:227]
	v_add_f64 v[200:201], v[200:201], v[228:229]
	v_fmac_f64_e32 v[230:231], v[130:131], v[52:53]
	v_add_f64 v[204:205], v[200:201], v[230:231]
	ds_read_b128 v[200:203], v2 offset:1808
	s_waitcnt vmcnt(15) lgkmcnt(1)
	v_mul_f64 v[206:207], v[124:125], v[58:59]
	v_fmac_f64_e32 v[206:207], v[126:127], v[56:57]
	v_add_f64 v[208:209], v[204:205], v[206:207]
	ds_read_b128 v[204:207], v2 offset:1824
	s_waitcnt vmcnt(14) lgkmcnt(1)
	v_mul_f64 v[210:211], v[200:201], v[62:63]
	;; [unrolled: 5-line block ×10, first 2 shown]
	v_fmac_f64_e32 v[242:243], v[234:235], v[160:161]
	v_mul_f64 v[142:143], v[190:191], v[142:143]
	v_add_f64 v[242:243], v[240:241], v[242:243]
	v_fma_f64 v[240:241], v[188:189], v[140:141], -v[142:143]
	ds_read_b128 v[140:143], v2 offset:1968
	s_waitcnt vmcnt(5) lgkmcnt(1)
	v_mul_f64 v[188:189], v[236:237], v[166:167]
	v_fmac_f64_e32 v[188:189], v[238:239], v[164:165]
	v_mul_f64 v[150:151], v[186:187], v[150:151]
	v_add_f64 v[188:189], v[242:243], v[188:189]
	v_fma_f64 v[242:243], v[184:185], v[148:149], -v[150:151]
	ds_read_b128 v[148:151], v2 offset:1984
	s_waitcnt vmcnt(4) lgkmcnt(1)
	v_mul_f64 v[184:185], v[140:141], v[170:171]
	v_fmac_f64_e32 v[184:185], v[142:143], v[168:169]
	v_add_f64 v[188:189], v[188:189], v[184:185]
	ds_read_b128 v[184:187], v2 offset:2000
	v_mul_f64 v[154:155], v[194:195], v[154:155]
	s_waitcnt vmcnt(3) lgkmcnt(1)
	v_mul_f64 v[190:191], v[148:149], v[174:175]
	v_fma_f64 v[246:247], v[192:193], v[152:153], -v[154:155]
	ds_read_b128 v[152:155], v2 offset:2016
	v_fmac_f64_e32 v[190:191], v[150:151], v[172:173]
	v_add_f64 v[244:245], v[188:189], v[190:191]
	ds_read_b128 v[188:191], v2 offset:2032
	s_waitcnt vmcnt(2) lgkmcnt(2)
	v_mul_f64 v[192:193], v[184:185], v[178:179]
	v_fmac_f64_e32 v[192:193], v[186:187], v[176:177]
	v_add_f64 v[2:3], v[244:245], v[192:193]
	s_waitcnt vmcnt(1) lgkmcnt(1)
	v_mul_f64 v[192:193], v[152:153], v[182:183]
	v_fmac_f64_e32 v[192:193], v[154:155], v[180:181]
	v_add_f64 v[2:3], v[2:3], v[192:193]
	;; [unrolled: 4-line block ×3, first 2 shown]
	scratch_load_dwordx4 v[192:195], off, off offset:512
	v_add_f64 v[240:241], v[240:241], 0
	v_add_f64 v[240:241], v[240:241], v[242:243]
	v_mul_f64 v[6:7], v[70:71], v[6:7]
	v_add_f64 v[240:241], v[240:241], v[246:247]
	v_fma_f64 v[4:5], v[68:69], v[4:5], -v[6:7]
	v_mul_f64 v[6:7], v[90:91], v[10:11]
	v_add_f64 v[4:5], v[240:241], v[4:5]
	v_fma_f64 v[6:7], v[88:89], v[8:9], -v[6:7]
	v_add_f64 v[4:5], v[4:5], v[6:7]
	v_mul_f64 v[6:7], v[86:87], v[14:15]
	v_fma_f64 v[6:7], v[84:85], v[12:13], -v[6:7]
	v_add_f64 v[4:5], v[4:5], v[6:7]
	v_mul_f64 v[6:7], v[82:83], v[18:19]
	v_fma_f64 v[6:7], v[80:81], v[16:17], -v[6:7]
	v_add_f64 v[4:5], v[4:5], v[6:7]
	v_mul_f64 v[6:7], v[78:79], v[22:23]
	v_fma_f64 v[6:7], v[76:77], v[20:21], -v[6:7]
	v_add_f64 v[4:5], v[4:5], v[6:7]
	v_mul_f64 v[6:7], v[102:103], v[26:27]
	v_fma_f64 v[6:7], v[100:101], v[24:25], -v[6:7]
	v_add_f64 v[4:5], v[4:5], v[6:7]
	v_mul_f64 v[6:7], v[98:99], v[30:31]
	v_fma_f64 v[6:7], v[96:97], v[28:29], -v[6:7]
	v_add_f64 v[4:5], v[4:5], v[6:7]
	v_mul_f64 v[6:7], v[118:119], v[34:35]
	v_fma_f64 v[6:7], v[116:117], v[32:33], -v[6:7]
	v_add_f64 v[4:5], v[4:5], v[6:7]
	v_mul_f64 v[6:7], v[114:115], v[38:39]
	v_fma_f64 v[6:7], v[112:113], v[36:37], -v[6:7]
	v_add_f64 v[4:5], v[4:5], v[6:7]
	v_mul_f64 v[6:7], v[110:111], v[42:43]
	v_fma_f64 v[6:7], v[108:109], v[40:41], -v[6:7]
	v_add_f64 v[4:5], v[4:5], v[6:7]
	v_mul_f64 v[6:7], v[106:107], v[46:47]
	v_fma_f64 v[6:7], v[104:105], v[44:45], -v[6:7]
	v_add_f64 v[4:5], v[4:5], v[6:7]
	v_mul_f64 v[6:7], v[134:135], v[50:51]
	v_fma_f64 v[6:7], v[132:133], v[48:49], -v[6:7]
	v_add_f64 v[4:5], v[4:5], v[6:7]
	v_mul_f64 v[6:7], v[130:131], v[54:55]
	v_fma_f64 v[6:7], v[128:129], v[52:53], -v[6:7]
	v_add_f64 v[4:5], v[4:5], v[6:7]
	v_mul_f64 v[6:7], v[126:127], v[58:59]
	v_fma_f64 v[6:7], v[124:125], v[56:57], -v[6:7]
	v_add_f64 v[4:5], v[4:5], v[6:7]
	v_mul_f64 v[6:7], v[202:203], v[62:63]
	v_fma_f64 v[6:7], v[200:201], v[60:61], -v[6:7]
	v_add_f64 v[4:5], v[4:5], v[6:7]
	v_mul_f64 v[6:7], v[206:207], v[66:67]
	v_fma_f64 v[6:7], v[204:205], v[64:65], -v[6:7]
	v_add_f64 v[4:5], v[4:5], v[6:7]
	v_mul_f64 v[6:7], v[210:211], v[74:75]
	v_fma_f64 v[6:7], v[208:209], v[72:73], -v[6:7]
	v_add_f64 v[4:5], v[4:5], v[6:7]
	v_mul_f64 v[6:7], v[214:215], v[94:95]
	v_fma_f64 v[6:7], v[212:213], v[92:93], -v[6:7]
	v_add_f64 v[4:5], v[4:5], v[6:7]
	v_mul_f64 v[6:7], v[218:219], v[122:123]
	v_fma_f64 v[6:7], v[216:217], v[120:121], -v[6:7]
	v_add_f64 v[4:5], v[4:5], v[6:7]
	v_mul_f64 v[6:7], v[222:223], v[138:139]
	v_fma_f64 v[6:7], v[220:221], v[136:137], -v[6:7]
	v_add_f64 v[4:5], v[4:5], v[6:7]
	v_mul_f64 v[6:7], v[226:227], v[146:147]
	v_fma_f64 v[6:7], v[224:225], v[144:145], -v[6:7]
	v_add_f64 v[4:5], v[4:5], v[6:7]
	v_mul_f64 v[6:7], v[230:231], v[158:159]
	v_fma_f64 v[6:7], v[228:229], v[156:157], -v[6:7]
	v_add_f64 v[4:5], v[4:5], v[6:7]
	v_mul_f64 v[6:7], v[234:235], v[162:163]
	v_fma_f64 v[6:7], v[232:233], v[160:161], -v[6:7]
	v_add_f64 v[4:5], v[4:5], v[6:7]
	v_mul_f64 v[6:7], v[238:239], v[166:167]
	v_fma_f64 v[6:7], v[236:237], v[164:165], -v[6:7]
	v_add_f64 v[4:5], v[4:5], v[6:7]
	v_mul_f64 v[6:7], v[142:143], v[170:171]
	v_fma_f64 v[6:7], v[140:141], v[168:169], -v[6:7]
	v_add_f64 v[4:5], v[4:5], v[6:7]
	v_mul_f64 v[6:7], v[150:151], v[174:175]
	v_fma_f64 v[6:7], v[148:149], v[172:173], -v[6:7]
	v_add_f64 v[4:5], v[4:5], v[6:7]
	v_mul_f64 v[6:7], v[186:187], v[178:179]
	v_fma_f64 v[6:7], v[184:185], v[176:177], -v[6:7]
	v_add_f64 v[4:5], v[4:5], v[6:7]
	v_mul_f64 v[6:7], v[154:155], v[182:183]
	v_fma_f64 v[6:7], v[152:153], v[180:181], -v[6:7]
	v_add_f64 v[4:5], v[4:5], v[6:7]
	v_mul_f64 v[6:7], v[190:191], v[198:199]
	v_fma_f64 v[6:7], v[188:189], v[196:197], -v[6:7]
	v_add_f64 v[4:5], v[4:5], v[6:7]
	s_waitcnt vmcnt(0)
	v_add_f64 v[4:5], v[192:193], -v[4:5]
	v_add_f64 v[6:7], v[194:195], -v[2:3]
	scratch_store_dwordx4 off, v[4:7], off offset:512
	s_and_saveexec_b64 s[0:1], vcc
	s_cbranch_execz .LBB63_349
; %bb.348:
	scratch_load_dwordx4 v[2:5], off, s27
	v_mov_b32_e32 v6, 0
	v_mov_b32_e32 v7, v6
	;; [unrolled: 1-line block ×4, first 2 shown]
	v_accvgpr_read_b32 v0, a129
	scratch_store_dwordx4 off, v[6:9], off offset:496
	s_waitcnt vmcnt(1)
	ds_write_b128 v0, v[2:5]
.LBB63_349:
	s_or_b64 exec, exec, s[0:1]
	s_waitcnt lgkmcnt(0)
	; wave barrier
	scratch_load_dwordx4 v[108:111], off, off offset:512
	scratch_load_dwordx4 v[116:119], off, off offset:528
	;; [unrolled: 1-line block ×33, first 2 shown]
	v_mov_b32_e32 v2, 0
	ds_read_b128 v[220:223], v2 offset:1520
	ds_read_b128 v[224:227], v2 offset:1536
	;; [unrolled: 1-line block ×16, first 2 shown]
	v_cmp_lt_u32_e32 vcc, 29, v252
	s_waitcnt vmcnt(32) lgkmcnt(14)
	v_mul_f64 v[180:181], v[220:221], v[110:111]
	s_waitcnt vmcnt(31)
	v_mul_f64 v[182:183], v[224:225], v[118:119]
	v_fmac_f64_e32 v[180:181], v[222:223], v[108:109]
	s_waitcnt vmcnt(30) lgkmcnt(13)
	v_mul_f64 v[184:185], v[234:235], v[122:123]
	v_fmac_f64_e32 v[182:183], v[226:227], v[116:117]
	v_add_f64 v[180:181], v[180:181], 0
	s_waitcnt vmcnt(29) lgkmcnt(12)
	v_mul_f64 v[186:187], v[238:239], v[126:127]
	v_fmac_f64_e32 v[184:185], v[236:237], v[120:121]
	v_add_f64 v[180:181], v[180:181], v[182:183]
	;; [unrolled: 4-line block ×13, first 2 shown]
	v_fmac_f64_e32 v[208:209], v[142:143], v[40:41]
	v_add_f64 v[180:181], v[180:181], v[206:207]
	v_add_f64 v[184:185], v[180:181], v[208:209]
	ds_read_b128 v[180:183], v2 offset:1776
	s_waitcnt vmcnt(17) lgkmcnt(1)
	v_mul_f64 v[186:187], v[136:137], v[46:47]
	v_fmac_f64_e32 v[186:187], v[138:139], v[44:45]
	v_add_f64 v[188:189], v[184:185], v[186:187]
	ds_read_b128 v[184:187], v2 offset:1792
	s_waitcnt vmcnt(16) lgkmcnt(1)
	v_mul_f64 v[190:191], v[180:181], v[50:51]
	v_fmac_f64_e32 v[190:191], v[182:183], v[48:49]
	;; [unrolled: 5-line block ×10, first 2 shown]
	v_mul_f64 v[110:111], v[222:223], v[110:111]
	v_add_f64 v[228:229], v[228:229], v[230:231]
	v_fma_f64 v[230:231], v[220:221], v[108:109], -v[110:111]
	ds_read_b128 v[108:111], v2 offset:1936
	s_waitcnt vmcnt(7) lgkmcnt(1)
	v_mul_f64 v[220:221], v[216:217], v[86:87]
	v_mul_f64 v[118:119], v[226:227], v[118:119]
	v_fmac_f64_e32 v[220:221], v[218:219], v[84:85]
	v_fma_f64 v[232:233], v[224:225], v[116:117], -v[118:119]
	ds_read_b128 v[116:119], v2 offset:1952
	s_waitcnt vmcnt(6) lgkmcnt(1)
	v_mul_f64 v[222:223], v[108:109], v[90:91]
	v_add_f64 v[220:221], v[228:229], v[220:221]
	v_fmac_f64_e32 v[222:223], v[110:111], v[88:89]
	v_add_f64 v[224:225], v[220:221], v[222:223]
	ds_read_b128 v[220:223], v2 offset:1968
	v_mul_f64 v[122:123], v[236:237], v[122:123]
	v_fma_f64 v[234:235], v[234:235], v[120:121], -v[122:123]
	ds_read_b128 v[120:123], v2 offset:1984
	s_waitcnt vmcnt(5) lgkmcnt(2)
	v_mul_f64 v[226:227], v[116:117], v[94:95]
	v_fmac_f64_e32 v[226:227], v[118:119], v[92:93]
	v_mul_f64 v[126:127], v[240:241], v[126:127]
	v_add_f64 v[224:225], v[224:225], v[226:227]
	s_waitcnt vmcnt(4) lgkmcnt(1)
	v_mul_f64 v[226:227], v[220:221], v[98:99]
	v_fma_f64 v[236:237], v[238:239], v[124:125], -v[126:127]
	ds_read_b128 v[124:127], v2 offset:2000
	v_fmac_f64_e32 v[226:227], v[222:223], v[96:97]
	v_add_f64 v[228:229], v[224:225], v[226:227]
	s_waitcnt vmcnt(3) lgkmcnt(1)
	v_mul_f64 v[238:239], v[120:121], v[102:103]
	ds_read_b128 v[224:227], v2 offset:2016
	v_fmac_f64_e32 v[238:239], v[122:123], v[100:101]
	v_mul_f64 v[130:131], v[244:245], v[130:131]
	v_add_f64 v[228:229], v[228:229], v[238:239]
	v_fma_f64 v[238:239], v[242:243], v[128:129], -v[130:131]
	ds_read_b128 v[128:131], v2 offset:2032
	s_waitcnt vmcnt(2) lgkmcnt(2)
	v_mul_f64 v[240:241], v[124:125], v[106:107]
	v_fmac_f64_e32 v[240:241], v[126:127], v[104:105]
	v_add_f64 v[228:229], v[228:229], v[240:241]
	s_waitcnt vmcnt(1) lgkmcnt(1)
	v_mul_f64 v[240:241], v[224:225], v[114:115]
	v_fmac_f64_e32 v[240:241], v[226:227], v[112:113]
	v_add_f64 v[228:229], v[228:229], v[240:241]
	;; [unrolled: 4-line block ×3, first 2 shown]
	scratch_load_dwordx4 v[240:243], off, off offset:496
	v_add_f64 v[230:231], v[230:231], 0
	v_add_f64 v[230:231], v[230:231], v[232:233]
	;; [unrolled: 1-line block ×4, first 2 shown]
	v_mul_f64 v[6:7], v[178:179], v[6:7]
	v_add_f64 v[230:231], v[230:231], v[238:239]
	v_fma_f64 v[4:5], v[176:177], v[4:5], -v[6:7]
	v_mul_f64 v[6:7], v[174:175], v[10:11]
	v_add_f64 v[4:5], v[230:231], v[4:5]
	v_fma_f64 v[6:7], v[172:173], v[8:9], -v[6:7]
	v_add_f64 v[4:5], v[4:5], v[6:7]
	v_mul_f64 v[6:7], v[170:171], v[14:15]
	v_fma_f64 v[6:7], v[168:169], v[12:13], -v[6:7]
	v_add_f64 v[4:5], v[4:5], v[6:7]
	v_mul_f64 v[6:7], v[166:167], v[18:19]
	;; [unrolled: 3-line block ×26, first 2 shown]
	v_fma_f64 v[6:7], v[128:129], v[132:133], -v[6:7]
	v_add_f64 v[4:5], v[4:5], v[6:7]
	s_waitcnt vmcnt(0)
	v_add_f64 v[4:5], v[240:241], -v[4:5]
	v_add_f64 v[6:7], v[242:243], -v[228:229]
	scratch_store_dwordx4 off, v[4:7], off offset:496
	s_and_saveexec_b64 s[0:1], vcc
	s_cbranch_execz .LBB63_351
; %bb.350:
	scratch_load_dwordx4 v[6:9], off, s26
	v_mov_b32_e32 v3, v2
	v_mov_b32_e32 v4, v2
	;; [unrolled: 1-line block ×3, first 2 shown]
	v_accvgpr_read_b32 v0, a129
	scratch_store_dwordx4 off, v[2:5], off offset:480
	s_waitcnt vmcnt(1)
	ds_write_b128 v0, v[6:9]
.LBB63_351:
	s_or_b64 exec, exec, s[0:1]
	s_waitcnt lgkmcnt(0)
	; wave barrier
	scratch_load_dwordx4 v[144:147], off, off offset:496
	scratch_load_dwordx4 v[152:155], off, off offset:512
	;; [unrolled: 1-line block ×16, first 2 shown]
	ds_read_b128 v[196:199], v2 offset:1504
	ds_read_b128 v[188:191], v2 offset:1520
	ds_read_b128 v[180:183], v2 offset:1536
	scratch_load_dwordx4 v[48:51], off, off offset:752
	ds_read_b128 v[192:195], v2 offset:1552
	ds_read_b128 v[184:187], v2 offset:1568
	ds_read_b128 v[64:67], v2 offset:1584
	scratch_load_dwordx4 v[52:55], off, off offset:768
	;; [unrolled: 4-line block ×5, first 2 shown]
	ds_read_b128 v[116:119], v2 offset:1744
	ds_read_b128 v[112:115], v2 offset:1760
	scratch_load_dwordx4 v[108:111], off, off offset:832
	scratch_load_dwordx4 v[120:123], off, off offset:848
	;; [unrolled: 1-line block ×12, first 2 shown]
	v_cmp_lt_u32_e32 vcc, 28, v252
	s_waitcnt vmcnt(32) lgkmcnt(14)
	v_mul_f64 v[204:205], v[196:197], v[146:147]
	s_waitcnt vmcnt(31)
	v_mul_f64 v[206:207], v[188:189], v[154:155]
	v_fmac_f64_e32 v[204:205], v[198:199], v[144:145]
	s_waitcnt vmcnt(30)
	v_mul_f64 v[208:209], v[180:181], v[158:159]
	v_fmac_f64_e32 v[206:207], v[190:191], v[152:153]
	v_add_f64 v[204:205], v[204:205], 0
	s_waitcnt vmcnt(29) lgkmcnt(13)
	v_mul_f64 v[210:211], v[192:193], v[162:163]
	v_fmac_f64_e32 v[208:209], v[182:183], v[156:157]
	v_add_f64 v[204:205], v[204:205], v[206:207]
	s_waitcnt vmcnt(28) lgkmcnt(12)
	;; [unrolled: 4-line block ×12, first 2 shown]
	v_mul_f64 v[232:233], v[96:97], v[42:43]
	v_fmac_f64_e32 v[230:231], v[102:103], v[36:37]
	v_add_f64 v[204:205], v[204:205], v[228:229]
	v_fmac_f64_e32 v[232:233], v[98:99], v[40:41]
	v_add_f64 v[204:205], v[204:205], v[230:231]
	s_waitcnt vmcnt(17) lgkmcnt(1)
	v_mul_f64 v[206:207], v[116:117], v[46:47]
	v_add_f64 v[204:205], v[204:205], v[232:233]
	v_fmac_f64_e32 v[206:207], v[118:119], v[44:45]
	s_waitcnt vmcnt(16) lgkmcnt(0)
	v_mul_f64 v[210:211], v[112:113], v[50:51]
	v_add_f64 v[208:209], v[204:205], v[206:207]
	ds_read_b128 v[204:207], v2 offset:1776
	v_fmac_f64_e32 v[210:211], v[114:115], v[48:49]
	v_add_f64 v[212:213], v[208:209], v[210:211]
	ds_read_b128 v[208:211], v2 offset:1792
	v_mul_f64 v[146:147], v[198:199], v[146:147]
	s_waitcnt vmcnt(15) lgkmcnt(1)
	v_mul_f64 v[214:215], v[204:205], v[54:55]
	v_fmac_f64_e32 v[214:215], v[206:207], v[52:53]
	v_add_f64 v[216:217], v[212:213], v[214:215]
	s_waitcnt vmcnt(14) lgkmcnt(0)
	v_mul_f64 v[218:219], v[208:209], v[58:59]
	ds_read_b128 v[212:215], v2 offset:1808
	v_fmac_f64_e32 v[218:219], v[210:211], v[56:57]
	v_add_f64 v[220:221], v[216:217], v[218:219]
	ds_read_b128 v[216:219], v2 offset:1824
	v_mul_f64 v[154:155], v[190:191], v[154:155]
	s_waitcnt vmcnt(13) lgkmcnt(1)
	v_mul_f64 v[222:223], v[212:213], v[62:63]
	v_fmac_f64_e32 v[222:223], v[214:215], v[60:61]
	v_add_f64 v[224:225], v[220:221], v[222:223]
	s_waitcnt vmcnt(12) lgkmcnt(0)
	v_mul_f64 v[226:227], v[216:217], v[94:95]
	ds_read_b128 v[220:223], v2 offset:1840
	v_fmac_f64_e32 v[226:227], v[218:219], v[92:93]
	v_add_f64 v[228:229], v[224:225], v[226:227]
	ds_read_b128 v[224:227], v2 offset:1856
	v_fma_f64 v[244:245], v[188:189], v[152:153], -v[154:155]
	s_waitcnt vmcnt(11) lgkmcnt(1)
	v_mul_f64 v[230:231], v[220:221], v[110:111]
	v_fmac_f64_e32 v[230:231], v[222:223], v[108:109]
	v_add_f64 v[232:233], v[228:229], v[230:231]
	s_waitcnt vmcnt(10) lgkmcnt(0)
	v_mul_f64 v[234:235], v[224:225], v[122:123]
	ds_read_b128 v[228:231], v2 offset:1872
	v_fmac_f64_e32 v[234:235], v[226:227], v[120:121]
	v_add_f64 v[236:237], v[232:233], v[234:235]
	ds_read_b128 v[232:235], v2 offset:1888
	ds_read_b128 v[152:155], v2 offset:1936
	s_waitcnt vmcnt(9) lgkmcnt(2)
	v_mul_f64 v[238:239], v[228:229], v[126:127]
	v_fmac_f64_e32 v[238:239], v[230:231], v[124:125]
	v_add_f64 v[240:241], v[236:237], v[238:239]
	s_waitcnt vmcnt(8) lgkmcnt(1)
	v_mul_f64 v[242:243], v[232:233], v[130:131]
	ds_read_b128 v[236:239], v2 offset:1904
	v_fmac_f64_e32 v[242:243], v[234:235], v[128:129]
	v_add_f64 v[240:241], v[240:241], v[242:243]
	v_fma_f64 v[242:243], v[196:197], v[144:145], -v[146:147]
	ds_read_b128 v[144:147], v2 offset:1920
	s_waitcnt vmcnt(7) lgkmcnt(1)
	v_mul_f64 v[196:197], v[236:237], v[134:135]
	v_fmac_f64_e32 v[196:197], v[238:239], v[132:133]
	v_add_f64 v[188:189], v[240:241], v[196:197]
	v_mul_f64 v[158:159], v[182:183], v[158:159]
	s_waitcnt vmcnt(6) lgkmcnt(0)
	v_mul_f64 v[190:191], v[144:145], v[138:139]
	v_fmac_f64_e32 v[190:191], v[146:147], v[136:137]
	v_add_f64 v[196:197], v[188:189], v[190:191]
	ds_read_b128 v[188:191], v2 offset:1952
	v_fma_f64 v[240:241], v[180:181], v[156:157], -v[158:159]
	ds_read_b128 v[156:159], v2 offset:1968
	s_waitcnt vmcnt(5)
	v_mul_f64 v[198:199], v[152:153], v[142:143]
	v_fmac_f64_e32 v[198:199], v[154:155], v[140:141]
	s_waitcnt vmcnt(4) lgkmcnt(1)
	v_mul_f64 v[180:181], v[188:189], v[150:151]
	v_add_f64 v[196:197], v[196:197], v[198:199]
	v_fmac_f64_e32 v[180:181], v[190:191], v[148:149]
	v_mul_f64 v[162:163], v[194:195], v[162:163]
	v_add_f64 v[198:199], v[196:197], v[180:181]
	v_fma_f64 v[196:197], v[192:193], v[160:161], -v[162:163]
	ds_read_b128 v[160:163], v2 offset:1984
	s_waitcnt vmcnt(3) lgkmcnt(1)
	v_mul_f64 v[192:193], v[156:157], v[166:167]
	ds_read_b128 v[180:183], v2 offset:2000
	v_fmac_f64_e32 v[192:193], v[158:159], v[164:165]
	v_mul_f64 v[170:171], v[186:187], v[170:171]
	v_add_f64 v[192:193], v[198:199], v[192:193]
	v_fma_f64 v[198:199], v[184:185], v[168:169], -v[170:171]
	ds_read_b128 v[168:171], v2 offset:2016
	s_waitcnt vmcnt(2) lgkmcnt(2)
	v_mul_f64 v[184:185], v[160:161], v[174:175]
	v_fmac_f64_e32 v[184:185], v[162:163], v[172:173]
	s_waitcnt vmcnt(1) lgkmcnt(1)
	v_mul_f64 v[186:187], v[180:181], v[178:179]
	v_add_f64 v[184:185], v[192:193], v[184:185]
	v_fmac_f64_e32 v[186:187], v[182:183], v[176:177]
	v_add_f64 v[184:185], v[184:185], v[186:187]
	s_waitcnt vmcnt(0) lgkmcnt(0)
	v_mul_f64 v[186:187], v[168:169], v[202:203]
	v_fmac_f64_e32 v[186:187], v[170:171], v[200:201]
	v_add_f64 v[246:247], v[184:185], v[186:187]
	scratch_load_dwordx4 v[184:187], off, off offset:1024
	v_add_f64 v[242:243], v[242:243], 0
	v_add_f64 v[242:243], v[242:243], v[244:245]
	;; [unrolled: 1-line block ×3, first 2 shown]
	scratch_load_dwordx4 v[242:245], off, off offset:480
	v_add_f64 v[196:197], v[240:241], v[196:197]
	v_mul_f64 v[6:7], v[66:67], v[6:7]
	v_add_f64 v[196:197], v[196:197], v[198:199]
	v_fma_f64 v[4:5], v[64:65], v[4:5], -v[6:7]
	v_mul_f64 v[6:7], v[78:79], v[10:11]
	v_add_f64 v[4:5], v[196:197], v[4:5]
	v_fma_f64 v[6:7], v[76:77], v[8:9], -v[6:7]
	v_add_f64 v[4:5], v[4:5], v[6:7]
	v_mul_f64 v[6:7], v[74:75], v[14:15]
	v_fma_f64 v[6:7], v[72:73], v[12:13], -v[6:7]
	v_add_f64 v[4:5], v[4:5], v[6:7]
	v_mul_f64 v[6:7], v[70:71], v[18:19]
	;; [unrolled: 3-line block ×24, first 2 shown]
	ds_read_b128 v[192:195], v2 offset:2032
	v_fma_f64 v[6:7], v[160:161], v[172:173], -v[6:7]
	v_add_f64 v[4:5], v[4:5], v[6:7]
	v_mul_f64 v[6:7], v[182:183], v[178:179]
	v_fma_f64 v[6:7], v[180:181], v[176:177], -v[6:7]
	v_add_f64 v[4:5], v[4:5], v[6:7]
	v_mul_f64 v[6:7], v[170:171], v[202:203]
	v_fma_f64 v[6:7], v[168:169], v[200:201], -v[6:7]
	s_waitcnt vmcnt(1) lgkmcnt(0)
	v_mul_f64 v[2:3], v[192:193], v[186:187]
	v_add_f64 v[4:5], v[4:5], v[6:7]
	v_mul_f64 v[6:7], v[194:195], v[186:187]
	v_fmac_f64_e32 v[2:3], v[194:195], v[184:185]
	v_fma_f64 v[6:7], v[192:193], v[184:185], -v[6:7]
	v_add_f64 v[2:3], v[246:247], v[2:3]
	v_add_f64 v[4:5], v[4:5], v[6:7]
	s_waitcnt vmcnt(0)
	v_add_f64 v[4:5], v[242:243], -v[4:5]
	v_add_f64 v[6:7], v[244:245], -v[2:3]
	scratch_store_dwordx4 off, v[4:7], off offset:480
	s_and_saveexec_b64 s[0:1], vcc
	s_cbranch_execz .LBB63_353
; %bb.352:
	scratch_load_dwordx4 v[2:5], off, s85
	v_mov_b32_e32 v6, 0
	v_mov_b32_e32 v7, v6
	;; [unrolled: 1-line block ×4, first 2 shown]
	v_accvgpr_read_b32 v0, a129
	scratch_store_dwordx4 off, v[6:9], off offset:464
	s_waitcnt vmcnt(1)
	ds_write_b128 v0, v[2:5]
.LBB63_353:
	s_or_b64 exec, exec, s[0:1]
	s_waitcnt lgkmcnt(0)
	; wave barrier
	scratch_load_dwordx4 v[184:187], off, off offset:480
	scratch_load_dwordx4 v[188:191], off, off offset:496
	;; [unrolled: 1-line block ×32, first 2 shown]
	v_mov_b32_e32 v2, 0
	ds_read_b128 v[192:195], v2 offset:1488
	ds_read_b128 v[204:207], v2 offset:1504
	;; [unrolled: 1-line block ×16, first 2 shown]
	v_cmp_lt_u32_e32 vcc, 27, v252
	s_waitcnt vmcnt(31) lgkmcnt(14)
	v_mul_f64 v[104:105], v[192:193], v[186:187]
	s_waitcnt vmcnt(30)
	v_mul_f64 v[106:107], v[204:205], v[190:191]
	v_fmac_f64_e32 v[104:105], v[194:195], v[184:185]
	s_waitcnt vmcnt(29) lgkmcnt(13)
	v_mul_f64 v[112:113], v[216:217], v[198:199]
	v_fmac_f64_e32 v[106:107], v[206:207], v[188:189]
	v_add_f64 v[104:105], v[104:105], 0
	s_waitcnt vmcnt(28) lgkmcnt(12)
	v_mul_f64 v[114:115], v[224:225], v[202:203]
	v_fmac_f64_e32 v[112:113], v[218:219], v[196:197]
	v_add_f64 v[104:105], v[104:105], v[106:107]
	;; [unrolled: 4-line block ×10, first 2 shown]
	ds_read_b128 v[152:155], v2 offset:1744
	ds_read_b128 v[156:159], v2 offset:1760
	s_waitcnt vmcnt(19) lgkmcnt(5)
	v_mul_f64 v[164:165], v[124:125], v[26:27]
	v_fmac_f64_e32 v[162:163], v[134:135], v[20:21]
	v_add_f64 v[104:105], v[104:105], v[160:161]
	s_waitcnt vmcnt(18) lgkmcnt(4)
	v_mul_f64 v[166:167], v[120:121], v[30:31]
	v_fmac_f64_e32 v[164:165], v[126:127], v[24:25]
	v_add_f64 v[104:105], v[104:105], v[162:163]
	;; [unrolled: 4-line block ×4, first 2 shown]
	v_add_f64 v[112:113], v[104:105], v[168:169]
	v_fmac_f64_e32 v[170:171], v[110:111], v[36:37]
	scratch_load_dwordx4 v[104:107], off, off offset:992
	s_waitcnt vmcnt(16) lgkmcnt(1)
	v_mul_f64 v[114:115], v[152:153], v[42:43]
	v_add_f64 v[112:113], v[112:113], v[170:171]
	v_fmac_f64_e32 v[114:115], v[154:155], v[40:41]
	v_add_f64 v[128:129], v[112:113], v[114:115]
	scratch_load_dwordx4 v[112:115], off, off offset:1008
	s_waitcnt vmcnt(16) lgkmcnt(0)
	v_mul_f64 v[130:131], v[156:157], v[46:47]
	v_fmac_f64_e32 v[130:131], v[158:159], v[44:45]
	v_add_f64 v[168:169], v[128:129], v[130:131]
	scratch_load_dwordx4 v[128:131], off, off offset:1024
	ds_read_b128 v[160:163], v2 offset:1776
	ds_read_b128 v[164:167], v2 offset:1792
	v_mul_f64 v[186:187], v[194:195], v[186:187]
	v_fma_f64 v[246:247], v[192:193], v[184:185], -v[186:187]
	ds_read_b128 v[184:187], v2 offset:1872
	s_waitcnt vmcnt(16) lgkmcnt(2)
	v_mul_f64 v[170:171], v[160:161], v[50:51]
	v_fmac_f64_e32 v[170:171], v[162:163], v[48:49]
	s_waitcnt vmcnt(15) lgkmcnt(1)
	v_mul_f64 v[174:175], v[164:165], v[54:55]
	v_add_f64 v[172:173], v[168:169], v[170:171]
	ds_read_b128 v[168:171], v2 offset:1808
	v_fmac_f64_e32 v[174:175], v[166:167], v[52:53]
	v_add_f64 v[176:177], v[172:173], v[174:175]
	ds_read_b128 v[172:175], v2 offset:1824
	v_mul_f64 v[190:191], v[206:207], v[190:191]
	s_waitcnt vmcnt(14) lgkmcnt(1)
	v_mul_f64 v[178:179], v[168:169], v[58:59]
	v_fmac_f64_e32 v[178:179], v[170:171], v[56:57]
	v_add_f64 v[180:181], v[176:177], v[178:179]
	s_waitcnt vmcnt(13) lgkmcnt(0)
	v_mul_f64 v[182:183], v[172:173], v[62:63]
	ds_read_b128 v[176:179], v2 offset:1840
	v_fmac_f64_e32 v[182:183], v[174:175], v[60:61]
	v_add_f64 v[232:233], v[180:181], v[182:183]
	ds_read_b128 v[180:183], v2 offset:1856
	v_fma_f64 v[248:249], v[204:205], v[188:189], -v[190:191]
	s_waitcnt vmcnt(12) lgkmcnt(1)
	v_mul_f64 v[234:235], v[176:177], v[66:67]
	v_fmac_f64_e32 v[234:235], v[178:179], v[64:65]
	v_add_f64 v[232:233], v[232:233], v[234:235]
	s_waitcnt vmcnt(11) lgkmcnt(0)
	v_mul_f64 v[192:193], v[180:181], v[70:71]
	v_fmac_f64_e32 v[192:193], v[182:183], v[68:69]
	ds_read_b128 v[188:191], v2 offset:1888
	s_waitcnt vmcnt(10)
	v_mul_f64 v[194:195], v[184:185], v[74:75]
	v_add_f64 v[192:193], v[232:233], v[192:193]
	v_fmac_f64_e32 v[194:195], v[186:187], v[72:73]
	v_add_f64 v[204:205], v[192:193], v[194:195]
	ds_read_b128 v[192:195], v2 offset:1904
	v_mul_f64 v[198:199], v[218:219], v[198:199]
	v_fma_f64 v[250:251], v[216:217], v[196:197], -v[198:199]
	ds_read_b128 v[196:199], v2 offset:1920
	s_waitcnt vmcnt(9) lgkmcnt(2)
	v_mul_f64 v[206:207], v[188:189], v[78:79]
	v_fmac_f64_e32 v[206:207], v[190:191], v[76:77]
	v_add_f64 v[204:205], v[204:205], v[206:207]
	s_waitcnt vmcnt(8) lgkmcnt(1)
	v_mul_f64 v[206:207], v[192:193], v[82:83]
	v_fmac_f64_e32 v[206:207], v[194:195], v[80:81]
	v_mul_f64 v[202:203], v[226:227], v[202:203]
	v_add_f64 v[204:205], v[204:205], v[206:207]
	v_fma_f64 v[234:235], v[224:225], v[200:201], -v[202:203]
	ds_read_b128 v[200:203], v2 offset:1936
	s_waitcnt vmcnt(7) lgkmcnt(1)
	v_mul_f64 v[206:207], v[196:197], v[86:87]
	v_fmac_f64_e32 v[206:207], v[198:199], v[84:85]
	v_add_f64 v[216:217], v[204:205], v[206:207]
	ds_read_b128 v[204:207], v2 offset:1952
	v_mul_f64 v[210:211], v[230:231], v[210:211]
	v_fma_f64 v[236:237], v[228:229], v[208:209], -v[210:211]
	ds_read_b128 v[208:211], v2 offset:1968
	s_waitcnt vmcnt(6) lgkmcnt(2)
	v_mul_f64 v[218:219], v[200:201], v[90:91]
	v_fmac_f64_e32 v[218:219], v[202:203], v[88:89]
	v_add_f64 v[216:217], v[216:217], v[218:219]
	s_waitcnt vmcnt(5) lgkmcnt(1)
	v_mul_f64 v[218:219], v[204:205], v[94:95]
	v_fmac_f64_e32 v[218:219], v[206:207], v[92:93]
	v_mul_f64 v[214:215], v[240:241], v[214:215]
	v_fma_f64 v[238:239], v[238:239], v[212:213], -v[214:215]
	ds_read_b128 v[212:215], v2 offset:1984
	v_add_f64 v[216:217], v[216:217], v[218:219]
	s_waitcnt vmcnt(4) lgkmcnt(1)
	v_mul_f64 v[218:219], v[208:209], v[102:103]
	v_fmac_f64_e32 v[218:219], v[210:211], v[100:101]
	v_add_f64 v[224:225], v[216:217], v[218:219]
	ds_read_b128 v[216:219], v2 offset:2000
	v_mul_f64 v[222:223], v[244:245], v[222:223]
	v_fma_f64 v[240:241], v[242:243], v[220:221], -v[222:223]
	ds_read_b128 v[220:223], v2 offset:2016
	s_waitcnt vmcnt(3) lgkmcnt(2)
	v_mul_f64 v[226:227], v[212:213], v[98:99]
	v_fmac_f64_e32 v[226:227], v[214:215], v[96:97]
	v_add_f64 v[224:225], v[224:225], v[226:227]
	s_waitcnt vmcnt(2) lgkmcnt(1)
	v_mul_f64 v[226:227], v[216:217], v[106:107]
	v_fmac_f64_e32 v[226:227], v[218:219], v[104:105]
	v_add_f64 v[224:225], v[224:225], v[226:227]
	;; [unrolled: 4-line block ×3, first 2 shown]
	ds_read_b128 v[224:227], v2 offset:2032
	v_mul_f64 v[6:7], v[150:151], v[6:7]
	v_fma_f64 v[4:5], v[148:149], v[4:5], -v[6:7]
	v_mul_f64 v[6:7], v[146:147], v[10:11]
	v_fma_f64 v[6:7], v[144:145], v[8:9], -v[6:7]
	s_waitcnt vmcnt(0) lgkmcnt(0)
	v_mul_f64 v[230:231], v[224:225], v[130:131]
	v_fmac_f64_e32 v[230:231], v[226:227], v[128:129]
	v_add_f64 v[232:233], v[228:229], v[230:231]
	v_add_f64 v[228:229], v[246:247], 0
	;; [unrolled: 1-line block ×4, first 2 shown]
	scratch_load_dwordx4 v[228:231], off, off offset:464
	v_add_f64 v[234:235], v[242:243], v[234:235]
	v_add_f64 v[234:235], v[234:235], v[236:237]
	;; [unrolled: 1-line block ×6, first 2 shown]
	v_mul_f64 v[6:7], v[142:143], v[14:15]
	v_fma_f64 v[6:7], v[140:141], v[12:13], -v[6:7]
	v_add_f64 v[4:5], v[4:5], v[6:7]
	v_mul_f64 v[6:7], v[138:139], v[18:19]
	v_fma_f64 v[6:7], v[136:137], v[16:17], -v[6:7]
	v_add_f64 v[4:5], v[4:5], v[6:7]
	;; [unrolled: 3-line block ×26, first 2 shown]
	s_waitcnt vmcnt(0)
	v_add_f64 v[4:5], v[228:229], -v[4:5]
	v_add_f64 v[6:7], v[230:231], -v[232:233]
	scratch_store_dwordx4 off, v[4:7], off offset:464
	s_and_saveexec_b64 s[0:1], vcc
	s_cbranch_execz .LBB63_355
; %bb.354:
	scratch_load_dwordx4 v[6:9], off, s84
	v_mov_b32_e32 v3, v2
	v_mov_b32_e32 v4, v2
	;; [unrolled: 1-line block ×3, first 2 shown]
	v_accvgpr_read_b32 v0, a129
	scratch_store_dwordx4 off, v[2:5], off offset:448
	s_waitcnt vmcnt(1)
	ds_write_b128 v0, v[6:9]
.LBB63_355:
	s_or_b64 exec, exec, s[0:1]
	s_waitcnt lgkmcnt(0)
	; wave barrier
	scratch_load_dwordx4 v[140:143], off, off offset:464
	scratch_load_dwordx4 v[144:147], off, off offset:480
	;; [unrolled: 1-line block ×16, first 2 shown]
	ds_read_b128 v[208:211], v2 offset:1472
	ds_read_b128 v[200:203], v2 offset:1488
	;; [unrolled: 1-line block ×3, first 2 shown]
	scratch_load_dwordx4 v[40:43], off, off offset:720
	ds_read_b128 v[204:207], v2 offset:1520
	ds_read_b128 v[192:195], v2 offset:1536
	;; [unrolled: 1-line block ×3, first 2 shown]
	scratch_load_dwordx4 v[44:47], off, off offset:736
	ds_read_b128 v[196:199], v2 offset:1568
	ds_read_b128 v[64:67], v2 offset:1584
	;; [unrolled: 1-line block ×4, first 2 shown]
	scratch_load_dwordx4 v[48:51], off, off offset:752
	ds_read_b128 v[72:75], v2 offset:1632
	ds_read_b128 v[68:71], v2 offset:1648
	scratch_load_dwordx4 v[56:59], off, off offset:768
	ds_read_b128 v[92:95], v2 offset:1664
	ds_read_b128 v[88:91], v2 offset:1680
	;; [unrolled: 1-line block ×4, first 2 shown]
	scratch_load_dwordx4 v[76:79], off, off offset:784
	scratch_load_dwordx4 v[96:99], off, off offset:800
	scratch_load_dwordx4 v[100:103], off, off offset:816
	scratch_load_dwordx4 v[104:107], off, off offset:832
	scratch_load_dwordx4 v[108:111], off, off offset:848
	scratch_load_dwordx4 v[112:115], off, off offset:864
	scratch_load_dwordx4 v[116:119], off, off offset:880
	scratch_load_dwordx4 v[120:123], off, off offset:896
	scratch_load_dwordx4 v[124:127], off, off offset:912
	scratch_load_dwordx4 v[128:131], off, off offset:928
	scratch_load_dwordx4 v[136:139], off, off offset:944
	scratch_load_dwordx4 v[132:135], off, off offset:960
	ds_read_b128 v[168:171], v2 offset:1728
	v_accvgpr_write_b32 a128, v252
	v_cmp_lt_u32_e32 vcc, 26, v252
	s_waitcnt vmcnt(31) lgkmcnt(14)
	v_mul_f64 v[172:173], v[208:209], v[142:143]
	s_waitcnt vmcnt(30)
	v_mul_f64 v[174:175], v[200:201], v[146:147]
	v_fmac_f64_e32 v[172:173], v[210:211], v[140:141]
	s_waitcnt vmcnt(29)
	v_mul_f64 v[176:177], v[188:189], v[150:151]
	v_fmac_f64_e32 v[174:175], v[202:203], v[144:145]
	v_add_f64 v[172:173], v[172:173], 0
	s_waitcnt vmcnt(28) lgkmcnt(13)
	v_mul_f64 v[178:179], v[204:205], v[154:155]
	v_fmac_f64_e32 v[176:177], v[190:191], v[148:149]
	v_add_f64 v[172:173], v[172:173], v[174:175]
	s_waitcnt vmcnt(27) lgkmcnt(12)
	;; [unrolled: 4-line block ×10, first 2 shown]
	v_mul_f64 v[224:225], v[92:93], v[26:27]
	v_fmac_f64_e32 v[222:223], v[70:71], v[20:21]
	v_add_f64 v[172:173], v[172:173], v[220:221]
	ds_read_b128 v[212:215], v2 offset:1744
	s_waitcnt vmcnt(18) lgkmcnt(4)
	v_mul_f64 v[226:227], v[88:89], v[30:31]
	v_fmac_f64_e32 v[224:225], v[94:95], v[24:25]
	v_add_f64 v[172:173], v[172:173], v[222:223]
	ds_read_b128 v[216:219], v2 offset:1760
	ds_read_b128 v[220:223], v2 offset:1776
	s_waitcnt vmcnt(17) lgkmcnt(5)
	v_mul_f64 v[228:229], v[84:85], v[34:35]
	v_fmac_f64_e32 v[226:227], v[90:91], v[28:29]
	v_add_f64 v[172:173], v[172:173], v[224:225]
	s_waitcnt vmcnt(16) lgkmcnt(4)
	v_mul_f64 v[230:231], v[80:81], v[38:39]
	v_fmac_f64_e32 v[228:229], v[86:87], v[32:33]
	v_add_f64 v[172:173], v[172:173], v[226:227]
	v_add_f64 v[176:177], v[172:173], v[228:229]
	v_fmac_f64_e32 v[230:231], v[82:83], v[36:37]
	s_waitcnt vmcnt(15) lgkmcnt(3)
	v_mul_f64 v[178:179], v[168:169], v[42:43]
	v_add_f64 v[176:177], v[176:177], v[230:231]
	v_fmac_f64_e32 v[178:179], v[170:171], v[40:41]
	s_waitcnt vmcnt(14) lgkmcnt(2)
	v_mul_f64 v[182:183], v[212:213], v[46:47]
	;; [unrolled: 4-line block ×3, first 2 shown]
	v_add_f64 v[224:225], v[180:181], v[182:183]
	v_fmac_f64_e32 v[226:227], v[218:219], v[48:49]
	v_add_f64 v[228:229], v[224:225], v[226:227]
	ds_read_b128 v[224:227], v2 offset:1792
	s_waitcnt vmcnt(12) lgkmcnt(1)
	v_mul_f64 v[230:231], v[220:221], v[58:59]
	v_fmac_f64_e32 v[230:231], v[222:223], v[56:57]
	v_add_f64 v[232:233], v[228:229], v[230:231]
	ds_read_b128 v[228:231], v2 offset:1808
	s_waitcnt vmcnt(11) lgkmcnt(1)
	v_mul_f64 v[234:235], v[224:225], v[78:79]
	;; [unrolled: 5-line block ×4, first 2 shown]
	v_fmac_f64_e32 v[242:243], v[234:235], v[100:101]
	v_mul_f64 v[142:143], v[210:211], v[142:143]
	v_add_f64 v[240:241], v[240:241], v[242:243]
	v_fma_f64 v[242:243], v[208:209], v[140:141], -v[142:143]
	ds_read_b128 v[140:143], v2 offset:1856
	s_waitcnt vmcnt(8) lgkmcnt(1)
	v_mul_f64 v[208:209], v[236:237], v[106:107]
	v_fmac_f64_e32 v[208:209], v[238:239], v[104:105]
	v_mul_f64 v[146:147], v[202:203], v[146:147]
	v_add_f64 v[208:209], v[240:241], v[208:209]
	v_fma_f64 v[240:241], v[200:201], v[144:145], -v[146:147]
	ds_read_b128 v[144:147], v2 offset:1872
	s_waitcnt vmcnt(7) lgkmcnt(1)
	v_mul_f64 v[200:201], v[140:141], v[110:111]
	scratch_load_dwordx4 v[172:175], off, off offset:976
	v_fmac_f64_e32 v[200:201], v[142:143], v[108:109]
	v_add_f64 v[208:209], v[208:209], v[200:201]
	ds_read_b128 v[200:203], v2 offset:1888
	v_mul_f64 v[150:151], v[190:191], v[150:151]
	scratch_load_dwordx4 v[176:179], off, off offset:992
	scratch_load_dwordx4 v[180:183], off, off offset:1008
	v_fma_f64 v[244:245], v[188:189], v[148:149], -v[150:151]
	ds_read_b128 v[148:151], v2 offset:1904
	s_waitcnt vmcnt(9) lgkmcnt(2)
	v_mul_f64 v[210:211], v[144:145], v[114:115]
	v_fmac_f64_e32 v[210:211], v[146:147], v[112:113]
	s_waitcnt vmcnt(8) lgkmcnt(1)
	v_mul_f64 v[188:189], v[200:201], v[118:119]
	v_add_f64 v[208:209], v[208:209], v[210:211]
	v_fmac_f64_e32 v[188:189], v[202:203], v[116:117]
	v_mul_f64 v[154:155], v[206:207], v[154:155]
	s_waitcnt vmcnt(7) lgkmcnt(0)
	v_mul_f64 v[190:191], v[148:149], v[122:123]
	v_add_f64 v[188:189], v[208:209], v[188:189]
	v_fma_f64 v[246:247], v[204:205], v[152:153], -v[154:155]
	ds_read_b128 v[152:155], v2 offset:1920
	v_fmac_f64_e32 v[190:191], v[150:151], v[120:121]
	v_add_f64 v[204:205], v[188:189], v[190:191]
	ds_read_b128 v[188:191], v2 offset:1936
	v_mul_f64 v[158:159], v[194:195], v[158:159]
	s_waitcnt vmcnt(6) lgkmcnt(1)
	v_mul_f64 v[206:207], v[152:153], v[126:127]
	v_fmac_f64_e32 v[206:207], v[154:155], v[124:125]
	v_fma_f64 v[248:249], v[192:193], v[156:157], -v[158:159]
	s_waitcnt vmcnt(5) lgkmcnt(0)
	v_mul_f64 v[192:193], v[188:189], v[130:131]
	v_add_f64 v[204:205], v[204:205], v[206:207]
	v_fmac_f64_e32 v[192:193], v[190:191], v[128:129]
	v_mul_f64 v[162:163], v[186:187], v[162:163]
	v_fma_f64 v[208:209], v[184:185], v[160:161], -v[162:163]
	v_add_f64 v[184:185], v[204:205], v[192:193]
	scratch_load_dwordx4 v[204:207], off, off offset:1024
	v_add_f64 v[242:243], v[242:243], 0
	v_add_f64 v[240:241], v[242:243], v[240:241]
	v_add_f64 v[240:241], v[240:241], v[244:245]
	scratch_load_dwordx4 v[242:245], off, off offset:448
	v_add_f64 v[240:241], v[240:241], v[246:247]
	v_mul_f64 v[166:167], v[198:199], v[166:167]
	v_add_f64 v[240:241], v[240:241], v[248:249]
	v_fma_f64 v[210:211], v[196:197], v[164:165], -v[166:167]
	v_add_f64 v[208:209], v[240:241], v[208:209]
	v_mul_f64 v[6:7], v[66:67], v[6:7]
	v_add_f64 v[208:209], v[208:209], v[210:211]
	v_fma_f64 v[4:5], v[64:65], v[4:5], -v[6:7]
	v_mul_f64 v[6:7], v[62:63], v[10:11]
	v_add_f64 v[4:5], v[208:209], v[4:5]
	v_fma_f64 v[6:7], v[60:61], v[8:9], -v[6:7]
	v_add_f64 v[4:5], v[4:5], v[6:7]
	v_mul_f64 v[6:7], v[54:55], v[14:15]
	v_fma_f64 v[6:7], v[52:53], v[12:13], -v[6:7]
	v_add_f64 v[4:5], v[4:5], v[6:7]
	v_mul_f64 v[6:7], v[74:75], v[18:19]
	v_fma_f64 v[6:7], v[72:73], v[16:17], -v[6:7]
	v_add_f64 v[4:5], v[4:5], v[6:7]
	v_mul_f64 v[6:7], v[70:71], v[22:23]
	v_fma_f64 v[6:7], v[68:69], v[20:21], -v[6:7]
	v_add_f64 v[4:5], v[4:5], v[6:7]
	v_mul_f64 v[6:7], v[94:95], v[26:27]
	v_fma_f64 v[6:7], v[92:93], v[24:25], -v[6:7]
	v_add_f64 v[4:5], v[4:5], v[6:7]
	v_mul_f64 v[6:7], v[90:91], v[30:31]
	v_fma_f64 v[6:7], v[88:89], v[28:29], -v[6:7]
	v_add_f64 v[4:5], v[4:5], v[6:7]
	v_mul_f64 v[6:7], v[86:87], v[34:35]
	v_fma_f64 v[6:7], v[84:85], v[32:33], -v[6:7]
	v_add_f64 v[4:5], v[4:5], v[6:7]
	v_mul_f64 v[6:7], v[82:83], v[38:39]
	v_fma_f64 v[6:7], v[80:81], v[36:37], -v[6:7]
	v_add_f64 v[4:5], v[4:5], v[6:7]
	v_mul_f64 v[6:7], v[170:171], v[42:43]
	v_fma_f64 v[6:7], v[168:169], v[40:41], -v[6:7]
	v_add_f64 v[4:5], v[4:5], v[6:7]
	v_mul_f64 v[6:7], v[214:215], v[46:47]
	v_fma_f64 v[6:7], v[212:213], v[44:45], -v[6:7]
	v_add_f64 v[4:5], v[4:5], v[6:7]
	v_mul_f64 v[6:7], v[218:219], v[50:51]
	v_fma_f64 v[6:7], v[216:217], v[48:49], -v[6:7]
	v_add_f64 v[4:5], v[4:5], v[6:7]
	v_mul_f64 v[6:7], v[222:223], v[58:59]
	v_fma_f64 v[6:7], v[220:221], v[56:57], -v[6:7]
	v_add_f64 v[4:5], v[4:5], v[6:7]
	v_mul_f64 v[6:7], v[226:227], v[78:79]
	v_fma_f64 v[6:7], v[224:225], v[76:77], -v[6:7]
	ds_read_b128 v[156:159], v2 offset:1952
	ds_read_b128 v[160:163], v2 offset:1968
	v_add_f64 v[4:5], v[4:5], v[6:7]
	v_mul_f64 v[6:7], v[230:231], v[98:99]
	v_fma_f64 v[6:7], v[228:229], v[96:97], -v[6:7]
	v_add_f64 v[4:5], v[4:5], v[6:7]
	v_mul_f64 v[6:7], v[234:235], v[102:103]
	v_fma_f64 v[6:7], v[232:233], v[100:101], -v[6:7]
	v_add_f64 v[4:5], v[4:5], v[6:7]
	v_mul_f64 v[6:7], v[238:239], v[106:107]
	s_waitcnt vmcnt(6) lgkmcnt(1)
	v_mul_f64 v[186:187], v[156:157], v[138:139]
	v_fma_f64 v[6:7], v[236:237], v[104:105], -v[6:7]
	v_fmac_f64_e32 v[186:187], v[158:159], v[136:137]
	v_add_f64 v[4:5], v[4:5], v[6:7]
	v_mul_f64 v[6:7], v[142:143], v[110:111]
	v_add_f64 v[192:193], v[184:185], v[186:187]
	ds_read_b128 v[184:187], v2 offset:1984
	ds_read_b128 v[164:167], v2 offset:2000
	v_fma_f64 v[6:7], v[140:141], v[108:109], -v[6:7]
	v_add_f64 v[4:5], v[4:5], v[6:7]
	v_mul_f64 v[6:7], v[146:147], v[114:115]
	v_fma_f64 v[6:7], v[144:145], v[112:113], -v[6:7]
	s_waitcnt vmcnt(5) lgkmcnt(2)
	v_mul_f64 v[194:195], v[160:161], v[134:135]
	v_add_f64 v[4:5], v[4:5], v[6:7]
	v_mul_f64 v[6:7], v[202:203], v[118:119]
	v_fmac_f64_e32 v[194:195], v[162:163], v[132:133]
	v_fma_f64 v[6:7], v[200:201], v[116:117], -v[6:7]
	v_add_f64 v[192:193], v[192:193], v[194:195]
	s_waitcnt vmcnt(4) lgkmcnt(1)
	v_mul_f64 v[194:195], v[184:185], v[174:175]
	v_add_f64 v[4:5], v[4:5], v[6:7]
	v_mul_f64 v[6:7], v[150:151], v[122:123]
	v_fmac_f64_e32 v[194:195], v[186:187], v[172:173]
	v_fma_f64 v[6:7], v[148:149], v[120:121], -v[6:7]
	v_add_f64 v[192:193], v[192:193], v[194:195]
	;; [unrolled: 7-line block ×3, first 2 shown]
	ds_read_b128 v[192:195], v2 offset:2016
	v_add_f64 v[4:5], v[4:5], v[6:7]
	v_mul_f64 v[6:7], v[190:191], v[130:131]
	v_fma_f64 v[6:7], v[188:189], v[128:129], -v[6:7]
	v_add_f64 v[4:5], v[4:5], v[6:7]
	v_mul_f64 v[6:7], v[158:159], v[138:139]
	v_fma_f64 v[6:7], v[156:157], v[136:137], -v[6:7]
	v_add_f64 v[4:5], v[4:5], v[6:7]
	v_mul_f64 v[6:7], v[162:163], v[134:135]
	s_waitcnt vmcnt(2) lgkmcnt(0)
	v_mul_f64 v[198:199], v[192:193], v[182:183]
	v_fma_f64 v[6:7], v[160:161], v[132:133], -v[6:7]
	v_fmac_f64_e32 v[198:199], v[194:195], v[180:181]
	v_add_f64 v[4:5], v[4:5], v[6:7]
	v_mul_f64 v[6:7], v[186:187], v[174:175]
	v_add_f64 v[250:251], v[196:197], v[198:199]
	ds_read_b128 v[196:199], v2 offset:2032
	v_fma_f64 v[6:7], v[184:185], v[172:173], -v[6:7]
	v_add_f64 v[4:5], v[4:5], v[6:7]
	v_mul_f64 v[6:7], v[166:167], v[178:179]
	v_fma_f64 v[6:7], v[164:165], v[176:177], -v[6:7]
	v_add_f64 v[4:5], v[4:5], v[6:7]
	v_mul_f64 v[6:7], v[194:195], v[182:183]
	v_fma_f64 v[6:7], v[192:193], v[180:181], -v[6:7]
	s_waitcnt vmcnt(1) lgkmcnt(0)
	v_mul_f64 v[2:3], v[196:197], v[206:207]
	v_add_f64 v[4:5], v[4:5], v[6:7]
	v_mul_f64 v[6:7], v[198:199], v[206:207]
	v_fmac_f64_e32 v[2:3], v[198:199], v[204:205]
	v_fma_f64 v[6:7], v[196:197], v[204:205], -v[6:7]
	v_add_f64 v[2:3], v[250:251], v[2:3]
	v_add_f64 v[4:5], v[4:5], v[6:7]
	s_waitcnt vmcnt(0)
	v_add_f64 v[4:5], v[242:243], -v[4:5]
	v_add_f64 v[6:7], v[244:245], -v[2:3]
	scratch_store_dwordx4 off, v[4:7], off offset:448
	s_and_saveexec_b64 s[0:1], vcc
	s_cbranch_execz .LBB63_357
; %bb.356:
	scratch_load_dwordx4 v[2:5], off, s83
	v_mov_b32_e32 v6, 0
	v_mov_b32_e32 v7, v6
	;; [unrolled: 1-line block ×4, first 2 shown]
	v_accvgpr_read_b32 v0, a129
	scratch_store_dwordx4 off, v[6:9], off offset:432
	s_waitcnt vmcnt(1)
	ds_write_b128 v0, v[2:5]
.LBB63_357:
	s_or_b64 exec, exec, s[0:1]
	s_waitcnt lgkmcnt(0)
	; wave barrier
	scratch_load_dwordx4 v[168:171], off, off offset:448
	scratch_load_dwordx4 v[172:175], off, off offset:464
	;; [unrolled: 1-line block ×32, first 2 shown]
	v_mov_b32_e32 v2, 0
	ds_read_b128 v[176:179], v2 offset:1456
	ds_read_b128 v[188:191], v2 offset:1472
	;; [unrolled: 1-line block ×17, first 2 shown]
	v_accvgpr_read_b32 v0, a128
	v_cmp_lt_u32_e32 vcc, 25, v0
	s_waitcnt vmcnt(31) lgkmcnt(14)
	v_mul_f64 v[104:105], v[176:177], v[170:171]
	s_waitcnt vmcnt(30)
	v_mul_f64 v[106:107], v[188:189], v[174:175]
	v_fmac_f64_e32 v[104:105], v[178:179], v[168:169]
	s_waitcnt vmcnt(29)
	v_mul_f64 v[108:109], v[200:201], v[182:183]
	v_fmac_f64_e32 v[106:107], v[190:191], v[172:173]
	v_add_f64 v[104:105], v[104:105], 0
	s_waitcnt vmcnt(28) lgkmcnt(13)
	v_mul_f64 v[110:111], v[212:213], v[186:187]
	v_fmac_f64_e32 v[108:109], v[202:203], v[180:181]
	v_add_f64 v[104:105], v[104:105], v[106:107]
	s_waitcnt vmcnt(27) lgkmcnt(12)
	;; [unrolled: 4-line block ×12, first 2 shown]
	v_mul_f64 v[156:157], v[112:113], v[26:27]
	v_fmac_f64_e32 v[154:155], v[118:119], v[20:21]
	v_add_f64 v[104:105], v[104:105], v[152:153]
	v_fmac_f64_e32 v[156:157], v[114:115], v[24:25]
	v_add_f64 v[104:105], v[104:105], v[154:155]
	s_waitcnt vmcnt(16) lgkmcnt(1)
	v_mul_f64 v[106:107], v[100:101], v[30:31]
	v_add_f64 v[104:105], v[104:105], v[156:157]
	v_fmac_f64_e32 v[106:107], v[102:103], v[28:29]
	v_add_f64 v[108:109], v[104:105], v[106:107]
	ds_read_b128 v[144:147], v2 offset:1728
	ds_read_b128 v[148:151], v2 offset:1744
	scratch_load_dwordx4 v[104:107], off, off offset:960
	s_waitcnt vmcnt(16) lgkmcnt(2)
	v_mul_f64 v[110:111], v[96:97], v[34:35]
	v_fmac_f64_e32 v[110:111], v[98:99], v[32:33]
	v_add_f64 v[120:121], v[108:109], v[110:111]
	scratch_load_dwordx4 v[108:111], off, off offset:976
	s_waitcnt vmcnt(16) lgkmcnt(1)
	v_mul_f64 v[122:123], v[144:145], v[38:39]
	v_fmac_f64_e32 v[122:123], v[146:147], v[36:37]
	v_add_f64 v[132:133], v[120:121], v[122:123]
	s_waitcnt vmcnt(15) lgkmcnt(0)
	v_mul_f64 v[134:135], v[148:149], v[42:43]
	scratch_load_dwordx4 v[120:123], off, off offset:992
	v_fmac_f64_e32 v[134:135], v[150:151], v[40:41]
	v_add_f64 v[160:161], v[132:133], v[134:135]
	scratch_load_dwordx4 v[132:135], off, off offset:1008
	ds_read_b128 v[152:155], v2 offset:1760
	ds_read_b128 v[156:159], v2 offset:1776
	v_mul_f64 v[170:171], v[178:179], v[170:171]
	v_fma_f64 v[246:247], v[176:177], v[168:169], -v[170:171]
	ds_read_b128 v[168:171], v2 offset:1824
	s_waitcnt vmcnt(16) lgkmcnt(2)
	v_mul_f64 v[162:163], v[152:153], v[46:47]
	v_fmac_f64_e32 v[162:163], v[154:155], v[44:45]
	s_waitcnt vmcnt(15) lgkmcnt(1)
	v_mul_f64 v[166:167], v[156:157], v[50:51]
	v_add_f64 v[164:165], v[160:161], v[162:163]
	ds_read_b128 v[160:163], v2 offset:1792
	v_fmac_f64_e32 v[166:167], v[158:159], v[48:49]
	v_add_f64 v[232:233], v[164:165], v[166:167]
	ds_read_b128 v[164:167], v2 offset:1808
	v_mul_f64 v[174:175], v[190:191], v[174:175]
	s_waitcnt vmcnt(14) lgkmcnt(1)
	v_mul_f64 v[234:235], v[160:161], v[54:55]
	v_fmac_f64_e32 v[234:235], v[162:163], v[52:53]
	v_add_f64 v[232:233], v[232:233], v[234:235]
	s_waitcnt vmcnt(13) lgkmcnt(0)
	v_mul_f64 v[176:177], v[164:165], v[58:59]
	v_fmac_f64_e32 v[176:177], v[166:167], v[56:57]
	v_fma_f64 v[248:249], v[188:189], v[172:173], -v[174:175]
	ds_read_b128 v[172:175], v2 offset:1840
	s_waitcnt vmcnt(12)
	v_mul_f64 v[178:179], v[168:169], v[62:63]
	v_add_f64 v[176:177], v[232:233], v[176:177]
	v_fmac_f64_e32 v[178:179], v[170:171], v[60:61]
	v_add_f64 v[188:189], v[176:177], v[178:179]
	ds_read_b128 v[176:179], v2 offset:1856
	v_mul_f64 v[182:183], v[202:203], v[182:183]
	v_fma_f64 v[250:251], v[200:201], v[180:181], -v[182:183]
	ds_read_b128 v[180:183], v2 offset:1872
	s_waitcnt vmcnt(11) lgkmcnt(2)
	v_mul_f64 v[190:191], v[172:173], v[66:67]
	v_fmac_f64_e32 v[190:191], v[174:175], v[64:65]
	v_add_f64 v[188:189], v[188:189], v[190:191]
	s_waitcnt vmcnt(10) lgkmcnt(1)
	v_mul_f64 v[190:191], v[176:177], v[70:71]
	v_fmac_f64_e32 v[190:191], v[178:179], v[68:69]
	v_mul_f64 v[186:187], v[214:215], v[186:187]
	v_fma_f64 v[252:253], v[212:213], v[184:185], -v[186:187]
	ds_read_b128 v[184:187], v2 offset:1888
	v_add_f64 v[188:189], v[188:189], v[190:191]
	s_waitcnt vmcnt(9) lgkmcnt(1)
	v_mul_f64 v[190:191], v[180:181], v[74:75]
	v_fmac_f64_e32 v[190:191], v[182:183], v[72:73]
	v_add_f64 v[200:201], v[188:189], v[190:191]
	ds_read_b128 v[188:191], v2 offset:1904
	v_mul_f64 v[194:195], v[222:223], v[194:195]
	v_fma_f64 v[254:255], v[220:221], v[192:193], -v[194:195]
	ds_read_b128 v[192:195], v2 offset:1920
	s_waitcnt vmcnt(8) lgkmcnt(2)
	v_mul_f64 v[202:203], v[184:185], v[78:79]
	v_fmac_f64_e32 v[202:203], v[186:187], v[76:77]
	v_add_f64 v[200:201], v[200:201], v[202:203]
	s_waitcnt vmcnt(7) lgkmcnt(1)
	v_mul_f64 v[202:203], v[188:189], v[82:83]
	v_fmac_f64_e32 v[202:203], v[190:191], v[80:81]
	v_mul_f64 v[198:199], v[226:227], v[198:199]
	v_add_f64 v[200:201], v[200:201], v[202:203]
	v_fma_f64 v[234:235], v[224:225], v[196:197], -v[198:199]
	ds_read_b128 v[196:199], v2 offset:1936
	s_waitcnt vmcnt(6) lgkmcnt(1)
	v_mul_f64 v[202:203], v[192:193], v[86:87]
	v_fmac_f64_e32 v[202:203], v[194:195], v[84:85]
	v_add_f64 v[212:213], v[200:201], v[202:203]
	ds_read_b128 v[200:203], v2 offset:1952
	v_mul_f64 v[206:207], v[230:231], v[206:207]
	v_fma_f64 v[236:237], v[228:229], v[204:205], -v[206:207]
	ds_read_b128 v[204:207], v2 offset:1968
	s_waitcnt vmcnt(5) lgkmcnt(2)
	v_mul_f64 v[214:215], v[196:197], v[94:95]
	v_fmac_f64_e32 v[214:215], v[198:199], v[92:93]
	v_add_f64 v[212:213], v[212:213], v[214:215]
	s_waitcnt vmcnt(4) lgkmcnt(1)
	v_mul_f64 v[214:215], v[200:201], v[90:91]
	v_fmac_f64_e32 v[214:215], v[202:203], v[88:89]
	v_mul_f64 v[210:211], v[240:241], v[210:211]
	v_fma_f64 v[238:239], v[238:239], v[208:209], -v[210:211]
	ds_read_b128 v[208:211], v2 offset:1984
	v_add_f64 v[212:213], v[212:213], v[214:215]
	s_waitcnt vmcnt(3) lgkmcnt(1)
	v_mul_f64 v[214:215], v[204:205], v[106:107]
	v_fmac_f64_e32 v[214:215], v[206:207], v[104:105]
	v_add_f64 v[220:221], v[212:213], v[214:215]
	ds_read_b128 v[212:215], v2 offset:2000
	v_mul_f64 v[218:219], v[244:245], v[218:219]
	v_fma_f64 v[240:241], v[242:243], v[216:217], -v[218:219]
	ds_read_b128 v[216:219], v2 offset:2016
	ds_read_b128 v[224:227], v2 offset:2032
	s_waitcnt vmcnt(2) lgkmcnt(3)
	v_mul_f64 v[222:223], v[208:209], v[110:111]
	v_fmac_f64_e32 v[222:223], v[210:211], v[108:109]
	v_add_f64 v[220:221], v[220:221], v[222:223]
	s_waitcnt vmcnt(1) lgkmcnt(2)
	v_mul_f64 v[222:223], v[212:213], v[122:123]
	v_fmac_f64_e32 v[222:223], v[214:215], v[120:121]
	v_add_f64 v[220:221], v[220:221], v[222:223]
	;; [unrolled: 4-line block ×3, first 2 shown]
	scratch_load_dwordx4 v[220:223], off, off offset:1024
	v_mul_f64 v[6:7], v[142:143], v[6:7]
	v_fma_f64 v[4:5], v[140:141], v[4:5], -v[6:7]
	v_mul_f64 v[6:7], v[138:139], v[10:11]
	v_fma_f64 v[6:7], v[136:137], v[8:9], -v[6:7]
	s_waitcnt vmcnt(0) lgkmcnt(0)
	v_mul_f64 v[230:231], v[224:225], v[222:223]
	v_fmac_f64_e32 v[230:231], v[226:227], v[220:221]
	v_add_f64 v[232:233], v[228:229], v[230:231]
	v_add_f64 v[228:229], v[246:247], 0
	;; [unrolled: 1-line block ×6, first 2 shown]
	scratch_load_dwordx4 v[228:231], off, off offset:432
	v_add_f64 v[234:235], v[242:243], v[234:235]
	v_add_f64 v[234:235], v[234:235], v[236:237]
	;; [unrolled: 1-line block ×6, first 2 shown]
	v_mul_f64 v[6:7], v[130:131], v[14:15]
	v_fma_f64 v[6:7], v[128:129], v[12:13], -v[6:7]
	v_add_f64 v[4:5], v[4:5], v[6:7]
	v_mul_f64 v[6:7], v[126:127], v[18:19]
	v_fma_f64 v[6:7], v[124:125], v[16:17], -v[6:7]
	v_add_f64 v[4:5], v[4:5], v[6:7]
	;; [unrolled: 3-line block ×26, first 2 shown]
	s_waitcnt vmcnt(0)
	v_add_f64 v[4:5], v[228:229], -v[4:5]
	v_add_f64 v[6:7], v[230:231], -v[232:233]
	scratch_store_dwordx4 off, v[4:7], off offset:432
	s_and_saveexec_b64 s[0:1], vcc
	s_cbranch_execz .LBB63_359
; %bb.358:
	scratch_load_dwordx4 v[6:9], off, s82
	v_mov_b32_e32 v3, v2
	v_mov_b32_e32 v4, v2
	;; [unrolled: 1-line block ×3, first 2 shown]
	v_accvgpr_read_b32 v0, a129
	scratch_store_dwordx4 off, v[2:5], off offset:416
	s_waitcnt vmcnt(1)
	ds_write_b128 v0, v[6:9]
.LBB63_359:
	s_or_b64 exec, exec, s[0:1]
	s_waitcnt lgkmcnt(0)
	; wave barrier
	scratch_load_dwordx4 v[168:171], off, off offset:432
	scratch_load_dwordx4 v[172:175], off, off offset:448
	;; [unrolled: 1-line block ×16, first 2 shown]
	ds_read_b128 v[232:235], v2 offset:1440
	ds_read_b128 v[176:179], v2 offset:1456
	scratch_load_dwordx4 v[32:35], off, off offset:688
	ds_read_b128 v[236:239], v2 offset:1472
	ds_read_b128 v[188:191], v2 offset:1488
	;; [unrolled: 1-line block ×5, first 2 shown]
	scratch_load_dwordx4 v[36:39], off, off offset:704
	ds_read_b128 v[224:227], v2 offset:1552
	ds_read_b128 v[220:223], v2 offset:1568
	;; [unrolled: 1-line block ×3, first 2 shown]
	scratch_load_dwordx4 v[40:43], off, off offset:720
	ds_read_b128 v[64:67], v2 offset:1600
	ds_read_b128 v[60:63], v2 offset:1616
	;; [unrolled: 1-line block ×4, first 2 shown]
	scratch_load_dwordx4 v[48:51], off, off offset:736
	ds_read_b128 v[80:83], v2 offset:1664
	ds_read_b128 v[72:75], v2 offset:1680
	;; [unrolled: 1-line block ×3, first 2 shown]
	scratch_load_dwordx4 v[76:79], off, off offset:752
	scratch_load_dwordx4 v[84:87], off, off offset:768
	;; [unrolled: 1-line block ×12, first 2 shown]
	v_accvgpr_read_b32 v0, a128
	v_cmp_lt_u32_e32 vcc, 24, v0
	s_waitcnt vmcnt(31) lgkmcnt(14)
	v_mul_f64 v[128:129], v[232:233], v[170:171]
	s_waitcnt vmcnt(30)
	v_mul_f64 v[130:131], v[176:177], v[174:175]
	v_fmac_f64_e32 v[128:129], v[234:235], v[168:169]
	s_waitcnt vmcnt(29)
	v_mul_f64 v[132:133], v[236:237], v[182:183]
	v_fmac_f64_e32 v[130:131], v[178:179], v[172:173]
	v_add_f64 v[128:129], v[128:129], 0
	s_waitcnt vmcnt(28) lgkmcnt(13)
	v_mul_f64 v[134:135], v[188:189], v[186:187]
	v_fmac_f64_e32 v[132:133], v[238:239], v[180:181]
	v_add_f64 v[128:129], v[128:129], v[130:131]
	s_waitcnt vmcnt(27) lgkmcnt(12)
	;; [unrolled: 4-line block ×13, first 2 shown]
	v_mul_f64 v[158:159], v[72:73], v[30:31]
	v_fmac_f64_e32 v[156:157], v[82:83], v[24:25]
	v_add_f64 v[128:129], v[128:129], v[154:155]
	v_add_f64 v[128:129], v[128:129], v[156:157]
	v_fmac_f64_e32 v[158:159], v[74:75], v[28:29]
	v_add_f64 v[132:133], v[128:129], v[158:159]
	ds_read_b128 v[144:147], v2 offset:1712
	ds_read_b128 v[148:151], v2 offset:1728
	scratch_load_dwordx4 v[128:131], off, off offset:944
	s_waitcnt vmcnt(16) lgkmcnt(2)
	v_mul_f64 v[134:135], v[68:69], v[34:35]
	v_fmac_f64_e32 v[134:135], v[70:71], v[32:33]
	s_waitcnt vmcnt(15) lgkmcnt(1)
	v_mul_f64 v[138:139], v[144:145], v[38:39]
	v_add_f64 v[136:137], v[132:133], v[134:135]
	scratch_load_dwordx4 v[132:135], off, off offset:960
	v_fmac_f64_e32 v[138:139], v[146:147], v[36:37]
	v_add_f64 v[140:141], v[136:137], v[138:139]
	s_waitcnt vmcnt(15) lgkmcnt(0)
	v_mul_f64 v[142:143], v[148:149], v[42:43]
	scratch_load_dwordx4 v[136:139], off, off offset:976
	v_fmac_f64_e32 v[142:143], v[150:151], v[40:41]
	v_add_f64 v[160:161], v[140:141], v[142:143]
	scratch_load_dwordx4 v[140:143], off, off offset:992
	ds_read_b128 v[152:155], v2 offset:1744
	ds_read_b128 v[156:159], v2 offset:1760
	v_mul_f64 v[170:171], v[234:235], v[170:171]
	v_fma_f64 v[244:245], v[232:233], v[168:169], -v[170:171]
	ds_read_b128 v[168:171], v2 offset:1808
	s_waitcnt vmcnt(16) lgkmcnt(2)
	v_mul_f64 v[162:163], v[152:153], v[50:51]
	v_fmac_f64_e32 v[162:163], v[154:155], v[48:49]
	s_waitcnt vmcnt(15) lgkmcnt(1)
	v_mul_f64 v[166:167], v[156:157], v[78:79]
	v_add_f64 v[164:165], v[160:161], v[162:163]
	ds_read_b128 v[160:163], v2 offset:1776
	v_fmac_f64_e32 v[166:167], v[158:159], v[76:77]
	v_add_f64 v[240:241], v[164:165], v[166:167]
	ds_read_b128 v[164:167], v2 offset:1792
	v_mul_f64 v[174:175], v[178:179], v[174:175]
	s_waitcnt vmcnt(14) lgkmcnt(1)
	v_mul_f64 v[242:243], v[160:161], v[86:87]
	v_fmac_f64_e32 v[242:243], v[162:163], v[84:85]
	v_add_f64 v[240:241], v[240:241], v[242:243]
	s_waitcnt vmcnt(13) lgkmcnt(0)
	v_mul_f64 v[232:233], v[164:165], v[90:91]
	v_fmac_f64_e32 v[232:233], v[166:167], v[88:89]
	v_fma_f64 v[246:247], v[176:177], v[172:173], -v[174:175]
	ds_read_b128 v[172:175], v2 offset:1824
	s_waitcnt vmcnt(12)
	v_mul_f64 v[176:177], v[168:169], v[94:95]
	v_add_f64 v[232:233], v[240:241], v[232:233]
	v_fmac_f64_e32 v[176:177], v[170:171], v[92:93]
	v_add_f64 v[232:233], v[232:233], v[176:177]
	ds_read_b128 v[176:179], v2 offset:1840
	v_mul_f64 v[182:183], v[238:239], v[182:183]
	v_fma_f64 v[236:237], v[236:237], v[180:181], -v[182:183]
	ds_read_b128 v[180:183], v2 offset:1856
	s_waitcnt vmcnt(11) lgkmcnt(2)
	v_mul_f64 v[234:235], v[172:173], v[98:99]
	v_fmac_f64_e32 v[234:235], v[174:175], v[96:97]
	v_add_f64 v[232:233], v[232:233], v[234:235]
	s_waitcnt vmcnt(10) lgkmcnt(1)
	v_mul_f64 v[234:235], v[176:177], v[102:103]
	v_fmac_f64_e32 v[234:235], v[178:179], v[100:101]
	v_mul_f64 v[186:187], v[190:191], v[186:187]
	s_waitcnt vmcnt(9) lgkmcnt(0)
	v_mul_f64 v[190:191], v[180:181], v[106:107]
	v_fma_f64 v[238:239], v[188:189], v[184:185], -v[186:187]
	ds_read_b128 v[184:187], v2 offset:1872
	v_add_f64 v[188:189], v[232:233], v[234:235]
	v_fmac_f64_e32 v[190:191], v[182:183], v[104:105]
	v_add_f64 v[232:233], v[188:189], v[190:191]
	ds_read_b128 v[188:191], v2 offset:1888
	v_mul_f64 v[194:195], v[230:231], v[194:195]
	v_fma_f64 v[248:249], v[228:229], v[192:193], -v[194:195]
	ds_read_b128 v[192:195], v2 offset:1904
	s_waitcnt vmcnt(8) lgkmcnt(2)
	v_mul_f64 v[234:235], v[184:185], v[110:111]
	v_fmac_f64_e32 v[234:235], v[186:187], v[108:109]
	s_waitcnt vmcnt(7) lgkmcnt(1)
	v_mul_f64 v[228:229], v[188:189], v[114:115]
	v_mul_f64 v[198:199], v[202:203], v[198:199]
	v_add_f64 v[232:233], v[232:233], v[234:235]
	v_fmac_f64_e32 v[228:229], v[190:191], v[112:113]
	v_fma_f64 v[250:251], v[200:201], v[196:197], -v[198:199]
	ds_read_b128 v[196:199], v2 offset:1920
	s_waitcnt vmcnt(6) lgkmcnt(1)
	v_mul_f64 v[200:201], v[192:193], v[118:119]
	v_add_f64 v[228:229], v[232:233], v[228:229]
	v_fmac_f64_e32 v[200:201], v[194:195], v[116:117]
	v_add_f64 v[228:229], v[228:229], v[200:201]
	ds_read_b128 v[200:203], v2 offset:1936
	v_mul_f64 v[206:207], v[214:215], v[206:207]
	v_add_f64 v[244:245], v[244:245], 0
	v_fma_f64 v[252:253], v[212:213], v[204:205], -v[206:207]
	ds_read_b128 v[204:207], v2 offset:1952
	v_add_f64 v[244:245], v[244:245], v[246:247]
	v_add_f64 v[236:237], v[244:245], v[236:237]
	;; [unrolled: 1-line block ×3, first 2 shown]
	s_waitcnt vmcnt(5) lgkmcnt(2)
	v_mul_f64 v[230:231], v[196:197], v[126:127]
	v_add_f64 v[236:237], v[236:237], v[248:249]
	v_fmac_f64_e32 v[230:231], v[198:199], v[124:125]
	s_waitcnt vmcnt(4) lgkmcnt(1)
	v_mul_f64 v[212:213], v[200:201], v[122:123]
	v_add_f64 v[236:237], v[236:237], v[250:251]
	v_add_f64 v[228:229], v[228:229], v[230:231]
	v_fmac_f64_e32 v[212:213], v[202:203], v[120:121]
	v_mul_f64 v[210:211], v[226:227], v[210:211]
	v_add_f64 v[244:245], v[236:237], v[252:253]
	scratch_load_dwordx4 v[236:239], off, off offset:416
	s_waitcnt vmcnt(4) lgkmcnt(0)
	v_mul_f64 v[214:215], v[204:205], v[130:131]
	v_fma_f64 v[240:241], v[224:225], v[208:209], -v[210:211]
	ds_read_b128 v[208:211], v2 offset:1968
	v_add_f64 v[212:213], v[228:229], v[212:213]
	v_fmac_f64_e32 v[214:215], v[206:207], v[128:129]
	v_add_f64 v[224:225], v[212:213], v[214:215]
	ds_read_b128 v[212:215], v2 offset:1984
	v_mul_f64 v[218:219], v[222:223], v[218:219]
	v_fma_f64 v[242:243], v[220:221], v[216:217], -v[218:219]
	ds_read_b128 v[216:219], v2 offset:2000
	s_waitcnt vmcnt(3) lgkmcnt(2)
	v_mul_f64 v[220:221], v[208:209], v[134:135]
	v_fmac_f64_e32 v[220:221], v[210:211], v[132:133]
	s_waitcnt vmcnt(2) lgkmcnt(1)
	v_mul_f64 v[222:223], v[212:213], v[138:139]
	v_add_f64 v[220:221], v[224:225], v[220:221]
	v_fmac_f64_e32 v[222:223], v[214:215], v[136:137]
	v_add_f64 v[220:221], v[220:221], v[222:223]
	ds_read_b128 v[224:227], v2 offset:2016
	scratch_load_dwordx4 v[232:235], off, off offset:1024
	s_waitcnt vmcnt(2) lgkmcnt(1)
	v_mul_f64 v[222:223], v[216:217], v[142:143]
	v_fmac_f64_e32 v[222:223], v[218:219], v[140:141]
	v_add_f64 v[228:229], v[220:221], v[222:223]
	scratch_load_dwordx4 v[220:223], off, off offset:1008
	v_add_f64 v[240:241], v[244:245], v[240:241]
	v_mul_f64 v[6:7], v[46:47], v[6:7]
	v_add_f64 v[240:241], v[240:241], v[242:243]
	v_fma_f64 v[4:5], v[44:45], v[4:5], -v[6:7]
	v_mul_f64 v[6:7], v[66:67], v[10:11]
	v_add_f64 v[4:5], v[240:241], v[4:5]
	v_fma_f64 v[6:7], v[64:65], v[8:9], -v[6:7]
	v_add_f64 v[4:5], v[4:5], v[6:7]
	v_mul_f64 v[6:7], v[62:63], v[14:15]
	v_fma_f64 v[6:7], v[60:61], v[12:13], -v[6:7]
	v_add_f64 v[4:5], v[4:5], v[6:7]
	v_mul_f64 v[6:7], v[58:59], v[18:19]
	;; [unrolled: 3-line block ×24, first 2 shown]
	v_fma_f64 v[6:7], v[212:213], v[136:137], -v[6:7]
	s_waitcnt vmcnt(0) lgkmcnt(0)
	v_mul_f64 v[230:231], v[224:225], v[222:223]
	v_fmac_f64_e32 v[230:231], v[226:227], v[220:221]
	v_add_f64 v[254:255], v[228:229], v[230:231]
	ds_read_b128 v[228:231], v2 offset:2032
	v_add_f64 v[4:5], v[4:5], v[6:7]
	v_mul_f64 v[6:7], v[218:219], v[142:143]
	v_fma_f64 v[6:7], v[216:217], v[140:141], -v[6:7]
	v_add_f64 v[4:5], v[4:5], v[6:7]
	v_mul_f64 v[6:7], v[226:227], v[222:223]
	v_fma_f64 v[6:7], v[224:225], v[220:221], -v[6:7]
	s_waitcnt lgkmcnt(0)
	v_mul_f64 v[2:3], v[228:229], v[234:235]
	v_add_f64 v[4:5], v[4:5], v[6:7]
	v_mul_f64 v[6:7], v[230:231], v[234:235]
	v_fmac_f64_e32 v[2:3], v[230:231], v[232:233]
	v_fma_f64 v[6:7], v[228:229], v[232:233], -v[6:7]
	v_add_f64 v[2:3], v[254:255], v[2:3]
	v_add_f64 v[4:5], v[4:5], v[6:7]
	v_add_f64 v[4:5], v[236:237], -v[4:5]
	v_add_f64 v[6:7], v[238:239], -v[2:3]
	scratch_store_dwordx4 off, v[4:7], off offset:416
	s_and_saveexec_b64 s[0:1], vcc
	s_cbranch_execz .LBB63_361
; %bb.360:
	scratch_load_dwordx4 v[2:5], off, s81
	v_mov_b32_e32 v6, 0
	v_mov_b32_e32 v7, v6
	;; [unrolled: 1-line block ×4, first 2 shown]
	v_accvgpr_read_b32 v0, a129
	scratch_store_dwordx4 off, v[6:9], off offset:400
	s_waitcnt vmcnt(1)
	ds_write_b128 v0, v[2:5]
.LBB63_361:
	s_or_b64 exec, exec, s[0:1]
	s_waitcnt lgkmcnt(0)
	; wave barrier
	scratch_load_dwordx4 v[80:83], off, off offset:416
	scratch_load_dwordx4 v[84:87], off, off offset:432
	;; [unrolled: 1-line block ×31, first 2 shown]
	v_mov_b32_e32 v2, 0
	ds_read_b128 v[196:199], v2 offset:1424
	ds_read_b128 v[200:203], v2 offset:1440
	;; [unrolled: 1-line block ×20, first 2 shown]
	s_waitcnt vmcnt(30) lgkmcnt(14)
	v_mul_f64 v[140:141], v[196:197], v[82:83]
	s_waitcnt vmcnt(29)
	v_mul_f64 v[142:143], v[200:201], v[86:87]
	v_fmac_f64_e32 v[140:141], v[198:199], v[80:81]
	s_waitcnt vmcnt(28)
	v_mul_f64 v[152:153], v[204:205], v[90:91]
	v_fmac_f64_e32 v[142:143], v[202:203], v[84:85]
	v_add_f64 v[140:141], v[140:141], 0
	s_waitcnt vmcnt(27)
	v_mul_f64 v[154:155], v[208:209], v[94:95]
	v_fmac_f64_e32 v[152:153], v[206:207], v[88:89]
	v_add_f64 v[140:141], v[140:141], v[142:143]
	;; [unrolled: 4-line block ×4, first 2 shown]
	s_waitcnt vmcnt(24) lgkmcnt(13)
	v_mul_f64 v[164:165], v[220:221], v[106:107]
	v_fmac_f64_e32 v[162:163], v[218:219], v[100:101]
	v_add_f64 v[140:141], v[140:141], v[160:161]
	s_waitcnt vmcnt(23) lgkmcnt(12)
	v_mul_f64 v[166:167], v[224:225], v[110:111]
	v_fmac_f64_e32 v[164:165], v[222:223], v[104:105]
	v_add_f64 v[140:141], v[140:141], v[162:163]
	;; [unrolled: 4-line block ×8, first 2 shown]
	v_fmac_f64_e32 v[178:179], v[146:147], v[12:13]
	v_add_f64 v[140:141], v[140:141], v[176:177]
	v_add_f64 v[140:141], v[140:141], v[178:179]
	ds_read_b128 v[176:179], v2 offset:1696
	s_waitcnt vmcnt(16) lgkmcnt(6)
	v_mul_f64 v[180:181], v[136:137], v[18:19]
	s_waitcnt vmcnt(15) lgkmcnt(5)
	v_mul_f64 v[182:183], v[132:133], v[22:23]
	v_fmac_f64_e32 v[180:181], v[138:139], v[16:17]
	v_add_f64 v[152:153], v[140:141], v[180:181]
	v_fmac_f64_e32 v[182:183], v[134:135], v[20:21]
	scratch_load_dwordx4 v[140:143], off, off offset:912
	s_waitcnt vmcnt(15) lgkmcnt(4)
	v_mul_f64 v[154:155], v[128:129], v[26:27]
	v_add_f64 v[152:153], v[152:153], v[182:183]
	v_fmac_f64_e32 v[154:155], v[130:131], v[24:25]
	v_add_f64 v[160:161], v[152:153], v[154:155]
	ds_read_b128 v[180:183], v2 offset:1712
	s_waitcnt vmcnt(14) lgkmcnt(1)
	v_mul_f64 v[162:163], v[176:177], v[30:31]
	scratch_load_dwordx4 v[152:155], off, off offset:928
	v_fmac_f64_e32 v[162:163], v[178:179], v[28:29]
	v_add_f64 v[164:165], v[160:161], v[162:163]
	scratch_load_dwordx4 v[160:163], off, off offset:944
	s_waitcnt vmcnt(15) lgkmcnt(0)
	v_mul_f64 v[166:167], v[180:181], v[34:35]
	v_fmac_f64_e32 v[166:167], v[182:183], v[32:33]
	v_add_f64 v[168:169], v[164:165], v[166:167]
	s_waitcnt vmcnt(14)
	v_mul_f64 v[170:171], v[184:185], v[38:39]
	scratch_load_dwordx4 v[164:167], off, off offset:960
	v_fmac_f64_e32 v[170:171], v[186:187], v[36:37]
	v_add_f64 v[168:169], v[168:169], v[170:171]
	s_waitcnt vmcnt(14)
	v_mul_f64 v[170:171], v[188:189], v[42:43]
	scratch_load_dwordx4 v[172:175], off, off offset:976
	v_fmac_f64_e32 v[170:171], v[190:191], v[40:41]
	v_add_f64 v[232:233], v[168:169], v[170:171]
	scratch_load_dwordx4 v[168:171], off, off offset:992
	v_mul_f64 v[82:83], v[198:199], v[82:83]
	v_fma_f64 v[246:247], v[196:197], v[80:81], -v[82:83]
	ds_read_b128 v[196:199], v2 offset:1776
	s_waitcnt vmcnt(15)
	v_mul_f64 v[80:81], v[192:193], v[46:47]
	v_fmac_f64_e32 v[80:81], v[194:195], v[44:45]
	v_add_f64 v[232:233], v[232:233], v[80:81]
	v_mul_f64 v[80:81], v[202:203], v[86:87]
	v_fma_f64 v[248:249], v[200:201], v[84:85], -v[80:81]
	scratch_load_dwordx4 v[80:83], off, off offset:1008
	ds_read_b128 v[84:87], v2 offset:1792
	v_mul_f64 v[90:91], v[206:207], v[90:91]
	v_fma_f64 v[250:251], v[204:205], v[88:89], -v[90:91]
	ds_read_b128 v[88:91], v2 offset:1808
	s_waitcnt vmcnt(15) lgkmcnt(2)
	v_mul_f64 v[200:201], v[196:197], v[50:51]
	v_fmac_f64_e32 v[200:201], v[198:199], v[48:49]
	s_waitcnt vmcnt(14) lgkmcnt(1)
	v_mul_f64 v[202:203], v[84:85], v[54:55]
	v_add_f64 v[200:201], v[232:233], v[200:201]
	v_fmac_f64_e32 v[202:203], v[86:87], v[52:53]
	v_mul_f64 v[94:95], v[210:211], v[94:95]
	v_fma_f64 v[252:253], v[208:209], v[92:93], -v[94:95]
	ds_read_b128 v[92:95], v2 offset:1824
	v_add_f64 v[200:201], v[200:201], v[202:203]
	s_waitcnt vmcnt(13) lgkmcnt(1)
	v_mul_f64 v[202:203], v[88:89], v[58:59]
	v_fmac_f64_e32 v[202:203], v[90:91], v[56:57]
	v_add_f64 v[204:205], v[200:201], v[202:203]
	ds_read_b128 v[200:203], v2 offset:1840
	v_mul_f64 v[98:99], v[214:215], v[98:99]
	v_fma_f64 v[254:255], v[212:213], v[96:97], -v[98:99]
	ds_read_b128 v[96:99], v2 offset:1856
	s_waitcnt vmcnt(12) lgkmcnt(2)
	v_mul_f64 v[206:207], v[92:93], v[62:63]
	v_fmac_f64_e32 v[206:207], v[94:95], v[60:61]
	v_add_f64 v[204:205], v[204:205], v[206:207]
	s_waitcnt vmcnt(11) lgkmcnt(1)
	v_mul_f64 v[206:207], v[200:201], v[66:67]
	v_fmac_f64_e32 v[206:207], v[202:203], v[64:65]
	v_mul_f64 v[102:103], v[218:219], v[102:103]
	v_add_f64 v[204:205], v[204:205], v[206:207]
	v_fma_f64 v[232:233], v[216:217], v[100:101], -v[102:103]
	ds_read_b128 v[100:103], v2 offset:1872
	s_waitcnt vmcnt(10) lgkmcnt(1)
	v_mul_f64 v[206:207], v[96:97], v[70:71]
	v_fmac_f64_e32 v[206:207], v[98:99], v[68:69]
	v_add_f64 v[208:209], v[204:205], v[206:207]
	ds_read_b128 v[204:207], v2 offset:1888
	v_mul_f64 v[106:107], v[222:223], v[106:107]
	v_fma_f64 v[0:1], v[220:221], v[104:105], -v[106:107]
	ds_read_b128 v[104:107], v2 offset:1904
	s_waitcnt vmcnt(9) lgkmcnt(2)
	v_mul_f64 v[210:211], v[100:101], v[74:75]
	v_fmac_f64_e32 v[210:211], v[102:103], v[72:73]
	v_add_f64 v[208:209], v[208:209], v[210:211]
	s_waitcnt vmcnt(8) lgkmcnt(1)
	v_mul_f64 v[210:211], v[204:205], v[78:79]
	v_fmac_f64_e32 v[210:211], v[206:207], v[76:77]
	v_mul_f64 v[110:111], v[226:227], v[110:111]
	v_fma_f64 v[234:235], v[224:225], v[108:109], -v[110:111]
	ds_read_b128 v[108:111], v2 offset:1920
	v_add_f64 v[208:209], v[208:209], v[210:211]
	s_waitcnt vmcnt(7) lgkmcnt(1)
	v_mul_f64 v[210:211], v[104:105], v[126:127]
	v_fmac_f64_e32 v[210:211], v[106:107], v[124:125]
	v_add_f64 v[212:213], v[208:209], v[210:211]
	ds_read_b128 v[208:211], v2 offset:1936
	v_mul_f64 v[114:115], v[230:231], v[114:115]
	v_fma_f64 v[236:237], v[228:229], v[112:113], -v[114:115]
	ds_read_b128 v[112:115], v2 offset:1952
	s_waitcnt vmcnt(6) lgkmcnt(2)
	v_mul_f64 v[214:215], v[108:109], v[142:143]
	v_fmac_f64_e32 v[214:215], v[110:111], v[140:141]
	v_add_f64 v[212:213], v[212:213], v[214:215]
	s_waitcnt vmcnt(5) lgkmcnt(1)
	v_mul_f64 v[214:215], v[208:209], v[154:155]
	v_fmac_f64_e32 v[214:215], v[210:211], v[152:153]
	v_mul_f64 v[118:119], v[240:241], v[118:119]
	v_add_f64 v[212:213], v[212:213], v[214:215]
	v_fma_f64 v[238:239], v[238:239], v[116:117], -v[118:119]
	ds_read_b128 v[116:119], v2 offset:1968
	s_waitcnt vmcnt(4) lgkmcnt(1)
	v_mul_f64 v[214:215], v[112:113], v[162:163]
	v_fmac_f64_e32 v[214:215], v[114:115], v[160:161]
	v_add_f64 v[216:217], v[212:213], v[214:215]
	ds_read_b128 v[212:215], v2 offset:1984
	v_mul_f64 v[122:123], v[244:245], v[122:123]
	v_fma_f64 v[240:241], v[242:243], v[120:121], -v[122:123]
	ds_read_b128 v[120:123], v2 offset:2000
	s_waitcnt vmcnt(3) lgkmcnt(2)
	v_mul_f64 v[218:219], v[116:117], v[166:167]
	v_fmac_f64_e32 v[218:219], v[118:119], v[164:165]
	v_add_f64 v[216:217], v[216:217], v[218:219]
	s_waitcnt vmcnt(2) lgkmcnt(1)
	v_mul_f64 v[218:219], v[212:213], v[174:175]
	v_fmac_f64_e32 v[218:219], v[214:215], v[172:173]
	v_add_f64 v[216:217], v[216:217], v[218:219]
	;; [unrolled: 4-line block ×3, first 2 shown]
	ds_read_b128 v[216:219], v2 offset:2016
	ds_read_b128 v[224:227], v2 offset:2032
	v_mul_f64 v[6:7], v[158:159], v[6:7]
	v_fma_f64 v[4:5], v[156:157], v[4:5], -v[6:7]
	s_waitcnt vmcnt(0) lgkmcnt(1)
	v_mul_f64 v[222:223], v[216:217], v[82:83]
	v_fmac_f64_e32 v[222:223], v[218:219], v[80:81]
	v_add_f64 v[228:229], v[220:221], v[222:223]
	scratch_load_dwordx4 v[220:223], off, off offset:1024
	s_waitcnt vmcnt(0) lgkmcnt(0)
	v_mul_f64 v[230:231], v[224:225], v[222:223]
	v_fmac_f64_e32 v[230:231], v[226:227], v[220:221]
	v_add_f64 v[244:245], v[228:229], v[230:231]
	v_add_f64 v[228:229], v[246:247], 0
	;; [unrolled: 1-line block ×8, first 2 shown]
	scratch_load_dwordx4 v[228:231], off, off offset:400
	v_add_f64 v[0:1], v[242:243], v[234:235]
	v_add_f64 v[0:1], v[0:1], v[236:237]
	;; [unrolled: 1-line block ×5, first 2 shown]
	v_mul_f64 v[4:5], v[150:151], v[10:11]
	v_fma_f64 v[4:5], v[148:149], v[8:9], -v[4:5]
	v_add_f64 v[0:1], v[0:1], v[4:5]
	v_mul_f64 v[4:5], v[146:147], v[14:15]
	v_fma_f64 v[4:5], v[144:145], v[12:13], -v[4:5]
	v_add_f64 v[0:1], v[0:1], v[4:5]
	;; [unrolled: 3-line block ×27, first 2 shown]
	s_waitcnt vmcnt(0)
	v_add_f64 v[4:5], v[228:229], -v[0:1]
	v_accvgpr_read_b32 v0, a128
	v_add_f64 v[6:7], v[230:231], -v[244:245]
	v_cmp_lt_u32_e32 vcc, 23, v0
	scratch_store_dwordx4 off, v[4:7], off offset:400
	s_and_saveexec_b64 s[0:1], vcc
	s_cbranch_execz .LBB63_363
; %bb.362:
	scratch_load_dwordx4 v[6:9], off, s80
	v_mov_b32_e32 v3, v2
	v_mov_b32_e32 v4, v2
	;; [unrolled: 1-line block ×3, first 2 shown]
	v_accvgpr_read_b32 v0, a129
	scratch_store_dwordx4 off, v[2:5], off offset:384
	s_waitcnt vmcnt(1)
	ds_write_b128 v0, v[6:9]
.LBB63_363:
	s_or_b64 exec, exec, s[0:1]
	s_waitcnt lgkmcnt(0)
	; wave barrier
	scratch_load_dwordx4 v[132:135], off, off offset:400
	scratch_load_dwordx4 v[160:163], off, off offset:416
	scratch_load_dwordx4 v[164:167], off, off offset:432
	scratch_load_dwordx4 v[168:171], off, off offset:448
	scratch_load_dwordx4 v[176:179], off, off offset:464
	scratch_load_dwordx4 v[180:183], off, off offset:480
	scratch_load_dwordx4 v[188:191], off, off offset:496
	scratch_load_dwordx4 v[192:195], off, off offset:512
	scratch_load_dwordx4 v[200:203], off, off offset:528
	scratch_load_dwordx4 v[204:207], off, off offset:544
	scratch_load_dwordx4 v[212:215], off, off offset:560
	scratch_load_dwordx4 v[4:7], off, off offset:576
	scratch_load_dwordx4 v[8:11], off, off offset:592
	scratch_load_dwordx4 v[12:15], off, off offset:608
	scratch_load_dwordx4 v[16:19], off, off offset:624
	scratch_load_dwordx4 v[20:23], off, off offset:640
	ds_read_b128 v[156:159], v2 offset:1408
	ds_read_b128 v[172:175], v2 offset:1424
	scratch_load_dwordx4 v[24:27], off, off offset:656
	ds_read_b128 v[232:235], v2 offset:1440
	ds_read_b128 v[228:231], v2 offset:1456
	scratch_load_dwordx4 v[28:31], off, off offset:672
	ds_read_b128 v[236:239], v2 offset:1472
	ds_read_b128 v[184:187], v2 offset:1488
	;; [unrolled: 1-line block ×5, first 2 shown]
	scratch_load_dwordx4 v[32:35], off, off offset:688
	ds_read_b128 v[220:223], v2 offset:1552
	ds_read_b128 v[216:219], v2 offset:1568
	;; [unrolled: 1-line block ×3, first 2 shown]
	scratch_load_dwordx4 v[36:39], off, off offset:704
	ds_read_b128 v[64:67], v2 offset:1600
	ds_read_b128 v[60:63], v2 offset:1616
	;; [unrolled: 1-line block ×5, first 2 shown]
	scratch_load_dwordx4 v[52:55], off, off offset:720
	scratch_load_dwordx4 v[68:71], off, off offset:736
	scratch_load_dwordx4 v[72:75], off, off offset:752
	scratch_load_dwordx4 v[76:79], off, off offset:768
	scratch_load_dwordx4 v[80:83], off, off offset:784
	scratch_load_dwordx4 v[84:87], off, off offset:800
	scratch_load_dwordx4 v[88:91], off, off offset:816
	scratch_load_dwordx4 v[92:95], off, off offset:832
	scratch_load_dwordx4 v[96:99], off, off offset:848
	scratch_load_dwordx4 v[100:103], off, off offset:864
	scratch_load_dwordx4 v[104:107], off, off offset:880
	ds_read_b128 v[144:147], v2 offset:1712
	ds_read_b128 v[148:151], v2 offset:1728
	;; [unrolled: 1-line block ×3, first 2 shown]
	s_waitcnt vmcnt(30) lgkmcnt(14)
	v_mul_f64 v[0:1], v[156:157], v[134:135]
	s_waitcnt vmcnt(29)
	v_mul_f64 v[108:109], v[172:173], v[162:163]
	v_fmac_f64_e32 v[0:1], v[158:159], v[132:133]
	s_waitcnt vmcnt(28)
	v_mul_f64 v[110:111], v[232:233], v[166:167]
	v_fmac_f64_e32 v[108:109], v[174:175], v[160:161]
	v_add_f64 v[0:1], v[0:1], 0
	s_waitcnt vmcnt(27)
	v_mul_f64 v[112:113], v[228:229], v[170:171]
	v_fmac_f64_e32 v[110:111], v[234:235], v[164:165]
	v_add_f64 v[0:1], v[0:1], v[108:109]
	s_waitcnt vmcnt(26)
	v_mul_f64 v[114:115], v[236:237], v[178:179]
	v_fmac_f64_e32 v[112:113], v[230:231], v[168:169]
	v_add_f64 v[0:1], v[0:1], v[110:111]
	s_waitcnt vmcnt(25)
	v_mul_f64 v[116:117], v[184:185], v[182:183]
	v_fmac_f64_e32 v[114:115], v[238:239], v[176:177]
	v_add_f64 v[0:1], v[0:1], v[112:113]
	s_waitcnt vmcnt(24) lgkmcnt(13)
	v_mul_f64 v[118:119], v[224:225], v[190:191]
	v_fmac_f64_e32 v[116:117], v[186:187], v[180:181]
	v_add_f64 v[0:1], v[0:1], v[114:115]
	s_waitcnt vmcnt(23) lgkmcnt(12)
	v_mul_f64 v[120:121], v[196:197], v[194:195]
	v_fmac_f64_e32 v[118:119], v[226:227], v[188:189]
	v_add_f64 v[0:1], v[0:1], v[116:117]
	;; [unrolled: 4-line block ×9, first 2 shown]
	v_fmac_f64_e32 v[138:139], v[58:59], v[16:17]
	v_add_f64 v[0:1], v[0:1], v[136:137]
	v_add_f64 v[0:1], v[0:1], v[138:139]
	ds_read_b128 v[136:139], v2 offset:1680
	s_waitcnt vmcnt(15) lgkmcnt(5)
	v_mul_f64 v[140:141], v[48:49], v[22:23]
	v_fmac_f64_e32 v[140:141], v[50:51], v[20:21]
	s_waitcnt vmcnt(14) lgkmcnt(4)
	v_mul_f64 v[112:113], v[44:45], v[26:27]
	scratch_load_dwordx4 v[108:111], off, off offset:896
	v_add_f64 v[0:1], v[0:1], v[140:141]
	v_fmac_f64_e32 v[112:113], v[46:47], v[24:25]
	v_add_f64 v[0:1], v[0:1], v[112:113]
	scratch_load_dwordx4 v[112:115], off, off offset:912
	ds_read_b128 v[140:143], v2 offset:1696
	s_waitcnt vmcnt(15) lgkmcnt(1)
	v_mul_f64 v[116:117], v[136:137], v[30:31]
	v_fmac_f64_e32 v[116:117], v[138:139], v[28:29]
	v_add_f64 v[0:1], v[0:1], v[116:117]
	scratch_load_dwordx4 v[116:119], off, off offset:928
	s_waitcnt vmcnt(15) lgkmcnt(0)
	v_mul_f64 v[120:121], v[140:141], v[34:35]
	v_fmac_f64_e32 v[120:121], v[142:143], v[32:33]
	s_waitcnt vmcnt(14)
	v_mul_f64 v[124:125], v[144:145], v[38:39]
	v_add_f64 v[0:1], v[0:1], v[120:121]
	scratch_load_dwordx4 v[120:123], off, off offset:944
	v_fmac_f64_e32 v[124:125], v[146:147], v[36:37]
	v_add_f64 v[0:1], v[0:1], v[124:125]
	s_waitcnt vmcnt(14)
	v_mul_f64 v[124:125], v[148:149], v[54:55]
	scratch_load_dwordx4 v[128:131], off, off offset:960
	v_fmac_f64_e32 v[124:125], v[150:151], v[52:53]
	v_add_f64 v[0:1], v[0:1], v[124:125]
	scratch_load_dwordx4 v[124:127], off, off offset:976
	v_mul_f64 v[134:135], v[158:159], v[134:135]
	v_fma_f64 v[244:245], v[156:157], v[132:133], -v[134:135]
	ds_read_b128 v[156:159], v2 offset:1760
	s_waitcnt vmcnt(15)
	v_mul_f64 v[132:133], v[152:153], v[70:71]
	v_fmac_f64_e32 v[132:133], v[154:155], v[68:69]
	v_add_f64 v[0:1], v[0:1], v[132:133]
	v_mul_f64 v[132:133], v[174:175], v[162:163]
	v_fma_f64 v[246:247], v[172:173], v[160:161], -v[132:133]
	scratch_load_dwordx4 v[132:135], off, off offset:992
	ds_read_b128 v[160:163], v2 offset:1776
	v_mul_f64 v[166:167], v[234:235], v[166:167]
	v_fma_f64 v[248:249], v[232:233], v[164:165], -v[166:167]
	ds_read_b128 v[164:167], v2 offset:1792
	s_waitcnt vmcnt(15) lgkmcnt(2)
	v_mul_f64 v[172:173], v[156:157], v[74:75]
	v_fmac_f64_e32 v[172:173], v[158:159], v[72:73]
	v_add_f64 v[0:1], v[0:1], v[172:173]
	s_waitcnt vmcnt(14) lgkmcnt(1)
	v_mul_f64 v[172:173], v[160:161], v[78:79]
	v_fmac_f64_e32 v[172:173], v[162:163], v[76:77]
	v_mul_f64 v[170:171], v[230:231], v[170:171]
	v_fma_f64 v[250:251], v[228:229], v[168:169], -v[170:171]
	ds_read_b128 v[168:171], v2 offset:1808
	v_add_f64 v[0:1], v[0:1], v[172:173]
	s_waitcnt vmcnt(13) lgkmcnt(1)
	v_mul_f64 v[172:173], v[164:165], v[82:83]
	v_fmac_f64_e32 v[172:173], v[166:167], v[80:81]
	v_add_f64 v[0:1], v[0:1], v[172:173]
	ds_read_b128 v[172:175], v2 offset:1824
	v_mul_f64 v[178:179], v[238:239], v[178:179]
	v_fma_f64 v[236:237], v[236:237], v[176:177], -v[178:179]
	ds_read_b128 v[176:179], v2 offset:1840
	s_waitcnt vmcnt(12) lgkmcnt(2)
	v_mul_f64 v[228:229], v[168:169], v[86:87]
	v_fmac_f64_e32 v[228:229], v[170:171], v[84:85]
	v_add_f64 v[0:1], v[0:1], v[228:229]
	s_waitcnt vmcnt(11) lgkmcnt(1)
	v_mul_f64 v[228:229], v[172:173], v[90:91]
	v_mul_f64 v[182:183], v[186:187], v[182:183]
	v_fmac_f64_e32 v[228:229], v[174:175], v[88:89]
	v_fma_f64 v[238:239], v[184:185], v[180:181], -v[182:183]
	ds_read_b128 v[180:183], v2 offset:1856
	s_waitcnt vmcnt(10) lgkmcnt(1)
	v_mul_f64 v[184:185], v[176:177], v[94:95]
	v_add_f64 v[0:1], v[0:1], v[228:229]
	v_fmac_f64_e32 v[184:185], v[178:179], v[92:93]
	v_add_f64 v[0:1], v[0:1], v[184:185]
	ds_read_b128 v[184:187], v2 offset:1872
	v_mul_f64 v[190:191], v[226:227], v[190:191]
	v_fma_f64 v[252:253], v[224:225], v[188:189], -v[190:191]
	ds_read_b128 v[188:191], v2 offset:1888
	s_waitcnt vmcnt(9) lgkmcnt(2)
	v_mul_f64 v[228:229], v[180:181], v[98:99]
	v_fmac_f64_e32 v[228:229], v[182:183], v[96:97]
	s_waitcnt vmcnt(8) lgkmcnt(1)
	v_mul_f64 v[224:225], v[184:185], v[102:103]
	v_mul_f64 v[194:195], v[198:199], v[194:195]
	v_add_f64 v[0:1], v[0:1], v[228:229]
	v_fmac_f64_e32 v[224:225], v[186:187], v[100:101]
	v_fma_f64 v[254:255], v[196:197], v[192:193], -v[194:195]
	s_waitcnt vmcnt(7) lgkmcnt(0)
	v_mul_f64 v[196:197], v[188:189], v[106:107]
	ds_read_b128 v[192:195], v2 offset:1904
	v_add_f64 v[0:1], v[0:1], v[224:225]
	v_fmac_f64_e32 v[196:197], v[190:191], v[104:105]
	v_add_f64 v[0:1], v[0:1], v[196:197]
	ds_read_b128 v[196:199], v2 offset:1920
	v_mul_f64 v[202:203], v[210:211], v[202:203]
	v_fma_f64 v[240:241], v[208:209], v[200:201], -v[202:203]
	ds_read_b128 v[200:203], v2 offset:1936
	s_waitcnt vmcnt(6) lgkmcnt(2)
	v_mul_f64 v[224:225], v[192:193], v[110:111]
	v_fmac_f64_e32 v[224:225], v[194:195], v[108:109]
	s_waitcnt vmcnt(5) lgkmcnt(1)
	v_mul_f64 v[208:209], v[196:197], v[114:115]
	v_add_f64 v[0:1], v[0:1], v[224:225]
	v_fmac_f64_e32 v[208:209], v[198:199], v[112:113]
	v_add_f64 v[208:209], v[0:1], v[208:209]
	v_mul_f64 v[0:1], v[222:223], v[206:207]
	v_fma_f64 v[0:1], v[220:221], v[204:205], -v[0:1]
	ds_read_b128 v[204:207], v2 offset:1952
	s_waitcnt vmcnt(4) lgkmcnt(1)
	v_mul_f64 v[210:211], v[200:201], v[118:119]
	v_fmac_f64_e32 v[210:211], v[202:203], v[116:117]
	v_add_f64 v[220:221], v[208:209], v[210:211]
	ds_read_b128 v[208:211], v2 offset:1968
	v_mul_f64 v[214:215], v[218:219], v[214:215]
	v_fma_f64 v[242:243], v[216:217], v[212:213], -v[214:215]
	ds_read_b128 v[212:215], v2 offset:1984
	s_waitcnt vmcnt(3) lgkmcnt(2)
	v_mul_f64 v[216:217], v[204:205], v[122:123]
	v_fmac_f64_e32 v[216:217], v[206:207], v[120:121]
	s_waitcnt vmcnt(2) lgkmcnt(1)
	v_mul_f64 v[218:219], v[208:209], v[130:131]
	v_add_f64 v[216:217], v[220:221], v[216:217]
	v_fmac_f64_e32 v[218:219], v[210:211], v[128:129]
	v_add_f64 v[216:217], v[216:217], v[218:219]
	s_waitcnt vmcnt(1) lgkmcnt(0)
	v_mul_f64 v[218:219], v[212:213], v[126:127]
	v_fmac_f64_e32 v[218:219], v[214:215], v[124:125]
	v_add_f64 v[220:221], v[216:217], v[218:219]
	ds_read_b128 v[216:219], v2 offset:2000
	ds_read_b128 v[224:227], v2 offset:2016
	scratch_load_dwordx4 v[232:235], off, off offset:1024
	v_accvgpr_write_b32 a131, v1
	v_accvgpr_write_b32 a130, v0
	s_waitcnt vmcnt(1) lgkmcnt(1)
	v_mul_f64 v[222:223], v[216:217], v[134:135]
	v_fmac_f64_e32 v[222:223], v[218:219], v[132:133]
	v_add_f64 v[228:229], v[220:221], v[222:223]
	scratch_load_dwordx4 v[220:223], off, off offset:1008
	v_mul_f64 v[6:7], v[42:43], v[6:7]
	v_fma_f64 v[4:5], v[40:41], v[4:5], -v[6:7]
	s_waitcnt vmcnt(0) lgkmcnt(0)
	v_mul_f64 v[230:231], v[224:225], v[222:223]
	v_fmac_f64_e32 v[230:231], v[226:227], v[220:221]
	v_add_f64 v[0:1], v[228:229], v[230:231]
	ds_read_b128 v[228:231], v2 offset:2032
	s_waitcnt lgkmcnt(0)
	v_mul_f64 v[2:3], v[228:229], v[234:235]
	v_fmac_f64_e32 v[2:3], v[230:231], v[232:233]
	v_add_f64 v[2:3], v[0:1], v[2:3]
	v_add_f64 v[0:1], v[244:245], 0
	;; [unrolled: 1-line block ×7, first 2 shown]
	scratch_load_dwordx4 v[236:239], off, off offset:384
	v_add_f64 v[0:1], v[0:1], v[252:253]
	v_add_f64 v[0:1], v[0:1], v[254:255]
	;; [unrolled: 1-line block ×3, first 2 shown]
	v_accvgpr_read_b32 v0, a130
	v_accvgpr_read_b32 v1, a131
	v_add_f64 v[0:1], v[244:245], v[0:1]
	v_add_f64 v[0:1], v[0:1], v[242:243]
	v_add_f64 v[0:1], v[0:1], v[4:5]
	v_mul_f64 v[4:5], v[66:67], v[10:11]
	v_fma_f64 v[4:5], v[64:65], v[8:9], -v[4:5]
	v_add_f64 v[0:1], v[0:1], v[4:5]
	v_mul_f64 v[4:5], v[62:63], v[14:15]
	v_fma_f64 v[4:5], v[60:61], v[12:13], -v[4:5]
	v_add_f64 v[0:1], v[0:1], v[4:5]
	;; [unrolled: 3-line block ×28, first 2 shown]
	s_waitcnt vmcnt(0)
	v_add_f64 v[4:5], v[236:237], -v[0:1]
	v_accvgpr_read_b32 v0, a128
	v_add_f64 v[6:7], v[238:239], -v[2:3]
	v_cmp_lt_u32_e32 vcc, 22, v0
	scratch_store_dwordx4 off, v[4:7], off offset:384
	s_and_saveexec_b64 s[0:1], vcc
	s_cbranch_execz .LBB63_365
; %bb.364:
	scratch_load_dwordx4 v[2:5], off, s79
	v_mov_b32_e32 v6, 0
	v_mov_b32_e32 v7, v6
	;; [unrolled: 1-line block ×4, first 2 shown]
	v_accvgpr_read_b32 v0, a129
	scratch_store_dwordx4 off, v[6:9], off offset:368
	s_waitcnt vmcnt(1)
	ds_write_b128 v0, v[2:5]
.LBB63_365:
	s_or_b64 exec, exec, s[0:1]
	s_waitcnt lgkmcnt(0)
	; wave barrier
	scratch_load_dwordx4 v[112:115], off, off offset:384
	scratch_load_dwordx4 v[116:119], off, off offset:400
	;; [unrolled: 1-line block ×30, first 2 shown]
	v_mov_b32_e32 v2, 0
	ds_read_b128 v[144:147], v2 offset:1392
	ds_read_b128 v[156:159], v2 offset:1408
	;; [unrolled: 1-line block ×20, first 2 shown]
	s_waitcnt vmcnt(29) lgkmcnt(14)
	v_mul_f64 v[0:1], v[144:145], v[114:115]
	s_waitcnt vmcnt(28)
	v_mul_f64 v[88:89], v[156:157], v[118:119]
	v_fmac_f64_e32 v[0:1], v[146:147], v[112:113]
	s_waitcnt vmcnt(27)
	v_mul_f64 v[90:91], v[168:169], v[122:123]
	v_fmac_f64_e32 v[88:89], v[158:159], v[116:117]
	v_add_f64 v[0:1], v[0:1], 0
	s_waitcnt vmcnt(26)
	v_mul_f64 v[92:93], v[180:181], v[154:155]
	v_fmac_f64_e32 v[90:91], v[170:171], v[120:121]
	v_add_f64 v[0:1], v[0:1], v[88:89]
	;; [unrolled: 4-line block ×4, first 2 shown]
	s_waitcnt vmcnt(23) lgkmcnt(13)
	v_mul_f64 v[98:99], v[212:213], v[174:175]
	v_fmac_f64_e32 v[96:97], v[206:207], v[164:165]
	v_add_f64 v[0:1], v[0:1], v[94:95]
	s_waitcnt vmcnt(22) lgkmcnt(12)
	v_mul_f64 v[100:101], v[216:217], v[178:179]
	v_fmac_f64_e32 v[98:99], v[214:215], v[172:173]
	v_add_f64 v[0:1], v[0:1], v[96:97]
	;; [unrolled: 4-line block ×9, first 2 shown]
	v_fmac_f64_e32 v[126:127], v[82:83], v[234:235]
	v_add_f64 v[0:1], v[0:1], v[124:125]
	scratch_load_dwordx4 v[88:91], off, off offset:864
	s_waitcnt vmcnt(15) lgkmcnt(4)
	v_mul_f64 v[128:129], v[76:77], v[14:15]
	v_add_f64 v[0:1], v[0:1], v[126:127]
	ds_read_b128 v[124:127], v2 offset:1664
	v_fmac_f64_e32 v[128:129], v[78:79], v[12:13]
	v_add_f64 v[0:1], v[0:1], v[128:129]
	ds_read_b128 v[128:131], v2 offset:1680
	s_waitcnt vmcnt(14) lgkmcnt(5)
	v_mul_f64 v[92:93], v[72:73], v[18:19]
	v_fmac_f64_e32 v[92:93], v[74:75], v[16:17]
	v_add_f64 v[0:1], v[0:1], v[92:93]
	s_waitcnt vmcnt(13) lgkmcnt(1)
	v_mul_f64 v[96:97], v[124:125], v[22:23]
	scratch_load_dwordx4 v[92:95], off, off offset:880
	v_fmac_f64_e32 v[96:97], v[126:127], v[20:21]
	v_add_f64 v[0:1], v[0:1], v[96:97]
	s_waitcnt vmcnt(13) lgkmcnt(0)
	v_mul_f64 v[100:101], v[128:129], v[26:27]
	scratch_load_dwordx4 v[96:99], off, off offset:896
	v_fmac_f64_e32 v[100:101], v[130:131], v[24:25]
	v_add_f64 v[0:1], v[0:1], v[100:101]
	scratch_load_dwordx4 v[100:103], off, off offset:912
	s_waitcnt vmcnt(14)
	v_mul_f64 v[104:105], v[132:133], v[30:31]
	v_fmac_f64_e32 v[104:105], v[134:135], v[28:29]
	v_add_f64 v[0:1], v[0:1], v[104:105]
	s_waitcnt vmcnt(13)
	v_mul_f64 v[104:105], v[136:137], v[34:35]
	v_fmac_f64_e32 v[104:105], v[138:139], v[32:33]
	v_add_f64 v[0:1], v[0:1], v[104:105]
	scratch_load_dwordx4 v[104:107], off, off offset:928
	s_waitcnt vmcnt(13)
	v_mul_f64 v[108:109], v[140:141], v[38:39]
	v_fmac_f64_e32 v[108:109], v[142:143], v[36:37]
	v_add_f64 v[0:1], v[0:1], v[108:109]
	scratch_load_dwordx4 v[108:111], off, off offset:944
	v_mul_f64 v[114:115], v[146:147], v[114:115]
	v_fma_f64 v[246:247], v[144:145], v[112:113], -v[114:115]
	v_mul_f64 v[112:113], v[158:159], v[118:119]
	ds_read_b128 v[148:151], v2 offset:1744
	ds_read_b128 v[144:147], v2 offset:1760
	v_fma_f64 v[248:249], v[156:157], v[116:117], -v[112:113]
	scratch_load_dwordx4 v[116:119], off, off offset:960
	scratch_load_dwordx4 v[112:115], off, off offset:976
	v_mul_f64 v[122:123], v[170:171], v[122:123]
	v_fma_f64 v[250:251], v[168:169], v[120:121], -v[122:123]
	scratch_load_dwordx4 v[120:123], off, off offset:992
	s_waitcnt vmcnt(16) lgkmcnt(1)
	v_mul_f64 v[156:157], v[148:149], v[42:43]
	v_fmac_f64_e32 v[156:157], v[150:151], v[40:41]
	v_mul_f64 v[154:155], v[182:183], v[154:155]
	v_add_f64 v[0:1], v[0:1], v[156:157]
	v_fma_f64 v[252:253], v[180:181], v[152:153], -v[154:155]
	ds_read_b128 v[152:155], v2 offset:1776
	s_waitcnt vmcnt(15) lgkmcnt(1)
	v_mul_f64 v[156:157], v[144:145], v[46:47]
	v_fmac_f64_e32 v[156:157], v[146:147], v[44:45]
	v_add_f64 v[0:1], v[0:1], v[156:157]
	ds_read_b128 v[156:159], v2 offset:1792
	v_mul_f64 v[162:163], v[194:195], v[162:163]
	v_fma_f64 v[254:255], v[192:193], v[160:161], -v[162:163]
	ds_read_b128 v[160:163], v2 offset:1808
	s_waitcnt vmcnt(14) lgkmcnt(2)
	v_mul_f64 v[168:169], v[152:153], v[50:51]
	v_fmac_f64_e32 v[168:169], v[154:155], v[48:49]
	v_add_f64 v[0:1], v[0:1], v[168:169]
	s_waitcnt vmcnt(13) lgkmcnt(1)
	v_mul_f64 v[168:169], v[156:157], v[54:55]
	v_fmac_f64_e32 v[168:169], v[158:159], v[52:53]
	v_mul_f64 v[166:167], v[206:207], v[166:167]
	v_add_f64 v[0:1], v[0:1], v[168:169]
	v_fma_f64 v[232:233], v[204:205], v[164:165], -v[166:167]
	ds_read_b128 v[164:167], v2 offset:1824
	s_waitcnt vmcnt(12) lgkmcnt(1)
	v_mul_f64 v[168:169], v[160:161], v[58:59]
	v_fmac_f64_e32 v[168:169], v[162:163], v[56:57]
	v_add_f64 v[0:1], v[0:1], v[168:169]
	ds_read_b128 v[168:171], v2 offset:1840
	v_accvgpr_write_b32 a133, v7
	v_accvgpr_write_b32 a132, v6
	v_accvgpr_write_b32 a131, v5
	v_accvgpr_write_b32 a130, v4
	s_waitcnt vmcnt(11) lgkmcnt(1)
	v_mul_f64 v[6:7], v[164:165], v[62:63]
	v_mul_f64 v[174:175], v[214:215], v[174:175]
	v_fmac_f64_e32 v[6:7], v[166:167], v[60:61]
	v_fma_f64 v[8:9], v[212:213], v[172:173], -v[174:175]
	ds_read_b128 v[172:175], v2 offset:1856
	v_add_f64 v[0:1], v[0:1], v[6:7]
	s_waitcnt vmcnt(10) lgkmcnt(1)
	v_mul_f64 v[6:7], v[168:169], v[66:67]
	v_fmac_f64_e32 v[6:7], v[170:171], v[64:65]
	v_add_f64 v[0:1], v[0:1], v[6:7]
	v_mul_f64 v[6:7], v[218:219], v[178:179]
	v_fma_f64 v[4:5], v[216:217], v[176:177], -v[6:7]
	ds_read_b128 v[176:179], v2 offset:1872
	ds_read_b128 v[180:183], v2 offset:1888
	s_waitcnt vmcnt(9) lgkmcnt(2)
	v_mul_f64 v[6:7], v[172:173], v[70:71]
	v_fmac_f64_e32 v[6:7], v[174:175], v[68:69]
	v_add_f64 v[0:1], v[0:1], v[6:7]
	s_waitcnt vmcnt(8) lgkmcnt(1)
	v_mul_f64 v[6:7], v[176:177], v[90:91]
	v_fmac_f64_e32 v[6:7], v[178:179], v[88:89]
	v_add_f64 v[0:1], v[0:1], v[6:7]
	v_mul_f64 v[6:7], v[222:223], v[186:187]
	v_fma_f64 v[10:11], v[220:221], v[184:185], -v[6:7]
	ds_read_b128 v[184:187], v2 offset:1904
	v_mul_f64 v[6:7], v[226:227], v[190:191]
	v_fma_f64 v[6:7], v[224:225], v[188:189], -v[6:7]
	ds_read_b128 v[188:191], v2 offset:1920
	s_waitcnt vmcnt(7) lgkmcnt(2)
	v_mul_f64 v[192:193], v[180:181], v[94:95]
	v_fmac_f64_e32 v[192:193], v[182:183], v[92:93]
	v_add_f64 v[0:1], v[0:1], v[192:193]
	s_waitcnt vmcnt(6) lgkmcnt(1)
	v_mul_f64 v[192:193], v[184:185], v[98:99]
	v_fmac_f64_e32 v[192:193], v[186:187], v[96:97]
	v_add_f64 v[0:1], v[0:1], v[192:193]
	s_waitcnt vmcnt(5) lgkmcnt(0)
	v_mul_f64 v[204:205], v[188:189], v[102:103]
	ds_read_b128 v[192:195], v2 offset:1936
	v_fmac_f64_e32 v[204:205], v[190:191], v[100:101]
	v_add_f64 v[204:205], v[0:1], v[204:205]
	v_mul_f64 v[0:1], v[230:231], v[198:199]
	v_fma_f64 v[0:1], v[228:229], v[196:197], -v[0:1]
	ds_read_b128 v[196:199], v2 offset:1952
	v_mul_f64 v[202:203], v[240:241], v[202:203]
	s_waitcnt vmcnt(4) lgkmcnt(1)
	v_mul_f64 v[206:207], v[192:193], v[106:107]
	v_fma_f64 v[238:239], v[238:239], v[200:201], -v[202:203]
	ds_read_b128 v[200:203], v2 offset:1968
	v_fmac_f64_e32 v[206:207], v[194:195], v[104:105]
	v_add_f64 v[212:213], v[204:205], v[206:207]
	ds_read_b128 v[204:207], v2 offset:1984
	s_waitcnt vmcnt(3) lgkmcnt(2)
	v_mul_f64 v[214:215], v[196:197], v[110:111]
	v_mul_f64 v[210:211], v[244:245], v[210:211]
	v_fmac_f64_e32 v[214:215], v[198:199], v[108:109]
	v_fma_f64 v[240:241], v[242:243], v[208:209], -v[210:211]
	ds_read_b128 v[208:211], v2 offset:2000
	ds_read_b128 v[216:219], v2 offset:2016
	v_add_f64 v[212:213], v[212:213], v[214:215]
	s_waitcnt vmcnt(2) lgkmcnt(3)
	v_mul_f64 v[214:215], v[200:201], v[118:119]
	v_fmac_f64_e32 v[214:215], v[202:203], v[116:117]
	v_add_f64 v[212:213], v[212:213], v[214:215]
	s_waitcnt vmcnt(1) lgkmcnt(2)
	v_mul_f64 v[214:215], v[204:205], v[114:115]
	v_fmac_f64_e32 v[214:215], v[206:207], v[112:113]
	;; [unrolled: 4-line block ×3, first 2 shown]
	v_add_f64 v[220:221], v[212:213], v[214:215]
	scratch_load_dwordx4 v[212:215], off, off offset:1008
	ds_read_b128 v[224:227], v2 offset:2032
	s_waitcnt vmcnt(0) lgkmcnt(1)
	v_mul_f64 v[222:223], v[216:217], v[214:215]
	v_fmac_f64_e32 v[222:223], v[218:219], v[212:213]
	v_add_f64 v[228:229], v[220:221], v[222:223]
	scratch_load_dwordx4 v[220:223], off, off offset:1024
	s_waitcnt vmcnt(0) lgkmcnt(0)
	v_mul_f64 v[230:231], v[224:225], v[222:223]
	v_fmac_f64_e32 v[230:231], v[226:227], v[220:221]
	v_add_f64 v[244:245], v[228:229], v[230:231]
	v_add_f64 v[228:229], v[246:247], 0
	;; [unrolled: 1-line block ×8, first 2 shown]
	scratch_load_dwordx4 v[228:231], off, off offset:368
	v_add_f64 v[4:5], v[8:9], v[4:5]
	v_add_f64 v[242:243], v[4:5], v[10:11]
	;; [unrolled: 1-line block ×3, first 2 shown]
	v_accvgpr_read_b32 v6, a130
	v_add_f64 v[0:1], v[4:5], v[0:1]
	v_accvgpr_read_b32 v8, a132
	v_accvgpr_read_b32 v9, a133
	v_add_f64 v[0:1], v[0:1], v[238:239]
	v_accvgpr_read_b32 v7, a131
	v_mul_f64 v[4:5], v[86:87], v[8:9]
	v_add_f64 v[0:1], v[0:1], v[240:241]
	v_fma_f64 v[4:5], v[84:85], v[6:7], -v[4:5]
	v_add_f64 v[0:1], v[0:1], v[4:5]
	v_mul_f64 v[4:5], v[82:83], v[236:237]
	v_fma_f64 v[4:5], v[80:81], v[234:235], -v[4:5]
	v_add_f64 v[0:1], v[0:1], v[4:5]
	v_mul_f64 v[4:5], v[78:79], v[14:15]
	;; [unrolled: 3-line block ×27, first 2 shown]
	v_fma_f64 v[4:5], v[224:225], v[220:221], -v[4:5]
	v_add_f64 v[0:1], v[0:1], v[4:5]
	s_waitcnt vmcnt(0)
	v_add_f64 v[4:5], v[228:229], -v[0:1]
	v_accvgpr_read_b32 v0, a128
	v_add_f64 v[6:7], v[230:231], -v[244:245]
	v_cmp_lt_u32_e32 vcc, 21, v0
	scratch_store_dwordx4 off, v[4:7], off offset:368
	s_and_saveexec_b64 s[0:1], vcc
	s_cbranch_execz .LBB63_367
; %bb.366:
	scratch_load_dwordx4 v[6:9], off, s78
	v_mov_b32_e32 v3, v2
	v_mov_b32_e32 v4, v2
	;; [unrolled: 1-line block ×3, first 2 shown]
	v_accvgpr_read_b32 v0, a129
	scratch_store_dwordx4 off, v[2:5], off offset:352
	s_waitcnt vmcnt(1)
	ds_write_b128 v0, v[6:9]
.LBB63_367:
	s_or_b64 exec, exec, s[0:1]
	s_waitcnt lgkmcnt(0)
	; wave barrier
	scratch_load_dwordx4 v[88:91], off, off offset:368
	scratch_load_dwordx4 v[92:95], off, off offset:384
	;; [unrolled: 1-line block ×17, first 2 shown]
	ds_read_b128 v[212:215], v2 offset:1376
	ds_read_b128 v[204:207], v2 offset:1392
	;; [unrolled: 1-line block ×3, first 2 shown]
	scratch_load_dwordx4 v[20:23], off, off offset:640
	ds_read_b128 v[216:219], v2 offset:1424
	ds_read_b128 v[208:211], v2 offset:1440
	;; [unrolled: 1-line block ×5, first 2 shown]
	scratch_load_dwordx4 v[24:27], off, off offset:656
	ds_read_b128 v[180:183], v2 offset:1504
	ds_read_b128 v[160:163], v2 offset:1520
	;; [unrolled: 1-line block ×3, first 2 shown]
	scratch_load_dwordx4 v[28:31], off, off offset:672
	ds_read_b128 v[172:175], v2 offset:1552
	ds_read_b128 v[148:151], v2 offset:1568
	;; [unrolled: 1-line block ×5, first 2 shown]
	scratch_load_dwordx4 v[36:39], off, off offset:688
	ds_read_b128 v[48:51], v2 offset:1632
	scratch_load_dwordx4 v[52:55], off, off offset:704
	scratch_load_dwordx4 v[56:59], off, off offset:720
	;; [unrolled: 1-line block ×9, first 2 shown]
	ds_read_b128 v[140:143], v2 offset:1648
	ds_read_b128 v[232:235], v2 offset:1712
	;; [unrolled: 1-line block ×3, first 2 shown]
	s_waitcnt vmcnt(29) lgkmcnt(14)
	v_mul_f64 v[0:1], v[212:213], v[90:91]
	s_waitcnt vmcnt(28)
	v_mul_f64 v[152:153], v[204:205], v[94:95]
	v_fmac_f64_e32 v[0:1], v[214:215], v[88:89]
	s_waitcnt vmcnt(27)
	v_mul_f64 v[154:155], v[196:197], v[98:99]
	v_fmac_f64_e32 v[152:153], v[206:207], v[92:93]
	v_add_f64 v[0:1], v[0:1], 0
	s_waitcnt vmcnt(26)
	v_mul_f64 v[164:165], v[216:217], v[102:103]
	v_fmac_f64_e32 v[154:155], v[198:199], v[96:97]
	v_add_f64 v[0:1], v[0:1], v[152:153]
	;; [unrolled: 4-line block ×4, first 2 shown]
	s_waitcnt vmcnt(23) lgkmcnt(13)
	v_mul_f64 v[170:171], v[184:185], v[114:115]
	v_fmac_f64_e32 v[168:169], v[202:203], v[108:109]
	v_add_f64 v[0:1], v[0:1], v[166:167]
	s_waitcnt vmcnt(22) lgkmcnt(12)
	v_mul_f64 v[176:177], v[156:157], v[118:119]
	v_fmac_f64_e32 v[170:171], v[186:187], v[112:113]
	v_add_f64 v[0:1], v[0:1], v[168:169]
	;; [unrolled: 4-line block ×10, first 2 shown]
	v_fmac_f64_e32 v[224:225], v[34:35], v[12:13]
	v_add_f64 v[0:1], v[0:1], v[222:223]
	ds_read_b128 v[220:223], v2 offset:1664
	v_add_f64 v[0:1], v[0:1], v[224:225]
	ds_read_b128 v[224:227], v2 offset:1680
	s_waitcnt vmcnt(13) lgkmcnt(5)
	v_mul_f64 v[164:165], v[48:49], v[18:19]
	scratch_load_dwordx4 v[152:155], off, off offset:848
	v_fmac_f64_e32 v[164:165], v[50:51], v[16:17]
	s_waitcnt vmcnt(13) lgkmcnt(4)
	v_mul_f64 v[168:169], v[140:141], v[22:23]
	v_add_f64 v[0:1], v[0:1], v[164:165]
	v_fmac_f64_e32 v[168:169], v[142:143], v[20:21]
	scratch_load_dwordx4 v[164:167], off, off offset:864
	v_add_f64 v[0:1], v[0:1], v[168:169]
	s_waitcnt vmcnt(13) lgkmcnt(1)
	v_mul_f64 v[176:177], v[220:221], v[26:27]
	scratch_load_dwordx4 v[168:171], off, off offset:880
	v_fmac_f64_e32 v[176:177], v[222:223], v[24:25]
	s_waitcnt vmcnt(13) lgkmcnt(0)
	v_mul_f64 v[188:189], v[224:225], v[30:31]
	v_add_f64 v[0:1], v[0:1], v[176:177]
	scratch_load_dwordx4 v[176:179], off, off offset:896
	v_fmac_f64_e32 v[188:189], v[226:227], v[28:29]
	v_add_f64 v[0:1], v[0:1], v[188:189]
	s_waitcnt vmcnt(13)
	v_mul_f64 v[188:189], v[228:229], v[38:39]
	v_fmac_f64_e32 v[188:189], v[230:231], v[36:37]
	v_add_f64 v[0:1], v[0:1], v[188:189]
	scratch_load_dwordx4 v[188:191], off, off offset:912
	s_waitcnt vmcnt(13)
	v_mul_f64 v[192:193], v[232:233], v[54:55]
	v_fmac_f64_e32 v[192:193], v[234:235], v[52:53]
	v_mul_f64 v[90:91], v[214:215], v[90:91]
	v_add_f64 v[0:1], v[0:1], v[192:193]
	scratch_load_dwordx4 v[192:195], off, off offset:928
	v_fma_f64 v[244:245], v[212:213], v[88:89], -v[90:91]
	v_mul_f64 v[88:89], v[206:207], v[94:95]
	ds_read_b128 v[236:239], v2 offset:1728
	ds_read_b128 v[212:215], v2 offset:1744
	v_fma_f64 v[246:247], v[204:205], v[92:93], -v[88:89]
	scratch_load_dwordx4 v[92:95], off, off offset:944
	scratch_load_dwordx4 v[88:91], off, off offset:960
	v_mul_f64 v[98:99], v[198:199], v[98:99]
	v_fma_f64 v[248:249], v[196:197], v[96:97], -v[98:99]
	scratch_load_dwordx4 v[96:99], off, off offset:976
	s_waitcnt vmcnt(16) lgkmcnt(1)
	v_mul_f64 v[204:205], v[236:237], v[58:59]
	v_mul_f64 v[102:103], v[218:219], v[102:103]
	v_fmac_f64_e32 v[204:205], v[238:239], v[56:57]
	v_fma_f64 v[216:217], v[216:217], v[100:101], -v[102:103]
	ds_read_b128 v[100:103], v2 offset:1760
	s_waitcnt vmcnt(15) lgkmcnt(1)
	v_mul_f64 v[196:197], v[212:213], v[62:63]
	v_add_f64 v[0:1], v[0:1], v[204:205]
	v_fmac_f64_e32 v[196:197], v[214:215], v[60:61]
	v_add_f64 v[0:1], v[0:1], v[196:197]
	ds_read_b128 v[196:199], v2 offset:1776
	v_mul_f64 v[106:107], v[210:211], v[106:107]
	v_fma_f64 v[218:219], v[208:209], v[104:105], -v[106:107]
	ds_read_b128 v[104:107], v2 offset:1792
	s_waitcnt vmcnt(14) lgkmcnt(2)
	v_mul_f64 v[204:205], v[100:101], v[66:67]
	v_fmac_f64_e32 v[204:205], v[102:103], v[64:65]
	v_add_f64 v[0:1], v[0:1], v[204:205]
	s_waitcnt vmcnt(13) lgkmcnt(1)
	v_mul_f64 v[204:205], v[196:197], v[70:71]
	v_mul_f64 v[110:111], v[202:203], v[110:111]
	v_fmac_f64_e32 v[204:205], v[198:199], v[68:69]
	v_fma_f64 v[250:251], v[200:201], v[108:109], -v[110:111]
	ds_read_b128 v[108:111], v2 offset:1808
	s_waitcnt vmcnt(12) lgkmcnt(1)
	v_mul_f64 v[200:201], v[104:105], v[74:75]
	v_add_f64 v[0:1], v[0:1], v[204:205]
	v_fmac_f64_e32 v[200:201], v[106:107], v[72:73]
	v_add_f64 v[0:1], v[0:1], v[200:201]
	ds_read_b128 v[200:203], v2 offset:1824
	v_mul_f64 v[114:115], v[186:187], v[114:115]
	v_fma_f64 v[252:253], v[184:185], v[112:113], -v[114:115]
	ds_read_b128 v[112:115], v2 offset:1840
	s_waitcnt vmcnt(11) lgkmcnt(2)
	v_mul_f64 v[184:185], v[108:109], v[78:79]
	v_fmac_f64_e32 v[184:185], v[110:111], v[76:77]
	v_add_f64 v[0:1], v[0:1], v[184:185]
	s_waitcnt vmcnt(10) lgkmcnt(1)
	v_mul_f64 v[184:185], v[200:201], v[82:83]
	v_mul_f64 v[118:119], v[158:159], v[118:119]
	v_fmac_f64_e32 v[184:185], v[202:203], v[80:81]
	v_fma_f64 v[254:255], v[156:157], v[116:117], -v[118:119]
	s_waitcnt vmcnt(9) lgkmcnt(0)
	v_mul_f64 v[156:157], v[112:113], v[86:87]
	v_add_f64 v[0:1], v[0:1], v[184:185]
	ds_read_b128 v[116:119], v2 offset:1856
	v_fmac_f64_e32 v[156:157], v[114:115], v[84:85]
	v_add_f64 v[0:1], v[0:1], v[156:157]
	ds_read_b128 v[156:159], v2 offset:1872
	v_mul_f64 v[122:123], v[182:183], v[122:123]
	v_fma_f64 v[240:241], v[180:181], v[120:121], -v[122:123]
	ds_read_b128 v[120:123], v2 offset:1888
	v_accvgpr_write_b32 a133, v7
	v_mul_f64 v[126:127], v[162:163], v[126:127]
	v_accvgpr_write_b32 a132, v6
	v_accvgpr_write_b32 a131, v5
	;; [unrolled: 1-line block ×3, first 2 shown]
	v_fma_f64 v[4:5], v[160:161], v[124:125], -v[126:127]
	ds_read_b128 v[124:127], v2 offset:1904
	s_waitcnt vmcnt(8) lgkmcnt(3)
	v_mul_f64 v[184:185], v[116:117], v[154:155]
	v_fmac_f64_e32 v[184:185], v[118:119], v[152:153]
	s_waitcnt vmcnt(7) lgkmcnt(2)
	v_mul_f64 v[180:181], v[156:157], v[166:167]
	v_add_f64 v[0:1], v[0:1], v[184:185]
	v_fmac_f64_e32 v[180:181], v[158:159], v[164:165]
	s_waitcnt vmcnt(6) lgkmcnt(1)
	v_mul_f64 v[6:7], v[120:121], v[170:171]
	ds_read_b128 v[160:163], v2 offset:1920
	v_add_f64 v[0:1], v[0:1], v[180:181]
	v_fmac_f64_e32 v[6:7], v[122:123], v[168:169]
	v_add_f64 v[0:1], v[0:1], v[6:7]
	s_waitcnt vmcnt(5) lgkmcnt(1)
	v_mul_f64 v[6:7], v[124:125], v[178:179]
	v_fmac_f64_e32 v[6:7], v[126:127], v[176:177]
	v_add_f64 v[0:1], v[0:1], v[6:7]
	v_mul_f64 v[6:7], v[146:147], v[130:131]
	v_fma_f64 v[6:7], v[144:145], v[128:129], -v[6:7]
	ds_read_b128 v[128:131], v2 offset:1936
	s_waitcnt vmcnt(4) lgkmcnt(1)
	v_mul_f64 v[144:145], v[160:161], v[190:191]
	v_fmac_f64_e32 v[144:145], v[162:163], v[188:189]
	v_add_f64 v[180:181], v[0:1], v[144:145]
	v_mul_f64 v[0:1], v[174:175], v[134:135]
	v_fma_f64 v[0:1], v[172:173], v[132:133], -v[0:1]
	ds_read_b128 v[132:135], v2 offset:1952
	ds_read_b128 v[144:147], v2 offset:1968
	v_mul_f64 v[138:139], v[150:151], v[138:139]
	v_fma_f64 v[242:243], v[148:149], v[136:137], -v[138:139]
	ds_read_b128 v[136:139], v2 offset:1984
	s_waitcnt vmcnt(3) lgkmcnt(3)
	v_mul_f64 v[172:173], v[128:129], v[194:195]
	v_fmac_f64_e32 v[172:173], v[130:131], v[192:193]
	s_waitcnt vmcnt(2) lgkmcnt(2)
	v_mul_f64 v[148:149], v[132:133], v[94:95]
	v_add_f64 v[172:173], v[180:181], v[172:173]
	v_fmac_f64_e32 v[148:149], v[134:135], v[92:93]
	s_waitcnt vmcnt(1) lgkmcnt(1)
	v_mul_f64 v[150:151], v[144:145], v[90:91]
	v_add_f64 v[148:149], v[172:173], v[148:149]
	v_fmac_f64_e32 v[150:151], v[146:147], v[88:89]
	v_add_f64 v[148:149], v[148:149], v[150:151]
	ds_read_b128 v[172:175], v2 offset:2000
	scratch_load_dwordx4 v[208:211], off, off offset:1024
	s_waitcnt vmcnt(1) lgkmcnt(1)
	v_mul_f64 v[150:151], v[136:137], v[98:99]
	v_fmac_f64_e32 v[150:151], v[138:139], v[96:97]
	v_add_f64 v[180:181], v[148:149], v[150:151]
	scratch_load_dwordx4 v[148:151], off, off offset:992
	ds_read_b128 v[184:187], v2 offset:2016
	v_accvgpr_write_b32 a135, v1
	v_accvgpr_write_b32 a134, v0
	s_waitcnt vmcnt(0) lgkmcnt(1)
	v_mul_f64 v[182:183], v[172:173], v[150:151]
	v_fmac_f64_e32 v[182:183], v[174:175], v[148:149]
	v_add_f64 v[204:205], v[180:181], v[182:183]
	scratch_load_dwordx4 v[180:183], off, off offset:1008
	s_waitcnt vmcnt(0) lgkmcnt(0)
	v_mul_f64 v[206:207], v[184:185], v[182:183]
	v_fmac_f64_e32 v[206:207], v[186:187], v[180:181]
	v_add_f64 v[0:1], v[204:205], v[206:207]
	ds_read_b128 v[204:207], v2 offset:2032
	s_waitcnt lgkmcnt(0)
	v_mul_f64 v[2:3], v[204:205], v[210:211]
	v_fmac_f64_e32 v[2:3], v[206:207], v[208:209]
	v_add_f64 v[2:3], v[0:1], v[2:3]
	v_add_f64 v[0:1], v[244:245], 0
	v_add_f64 v[0:1], v[0:1], v[246:247]
	v_add_f64 v[0:1], v[0:1], v[248:249]
	v_add_f64 v[0:1], v[0:1], v[216:217]
	v_add_f64 v[0:1], v[0:1], v[218:219]
	scratch_load_dwordx4 v[216:219], off, off offset:352
	v_add_f64 v[0:1], v[0:1], v[250:251]
	v_add_f64 v[0:1], v[0:1], v[252:253]
	;; [unrolled: 1-line block ×6, first 2 shown]
	v_accvgpr_read_b32 v0, a134
	v_accvgpr_read_b32 v1, a135
	v_add_f64 v[0:1], v[244:245], v[0:1]
	v_add_f64 v[0:1], v[0:1], v[242:243]
	v_accvgpr_read_b32 v243, a133
	v_accvgpr_read_b32 v242, a132
	;; [unrolled: 1-line block ×4, first 2 shown]
	v_mul_f64 v[4:5], v[46:47], v[242:243]
	v_fma_f64 v[4:5], v[44:45], v[240:241], -v[4:5]
	v_add_f64 v[0:1], v[0:1], v[4:5]
	v_mul_f64 v[4:5], v[42:43], v[10:11]
	v_fma_f64 v[4:5], v[40:41], v[8:9], -v[4:5]
	v_add_f64 v[0:1], v[0:1], v[4:5]
	;; [unrolled: 3-line block ×29, first 2 shown]
	s_waitcnt vmcnt(0)
	v_add_f64 v[4:5], v[216:217], -v[0:1]
	v_accvgpr_read_b32 v0, a128
	v_add_f64 v[6:7], v[218:219], -v[2:3]
	v_cmp_lt_u32_e32 vcc, 20, v0
	scratch_store_dwordx4 off, v[4:7], off offset:352
	s_and_saveexec_b64 s[0:1], vcc
	s_cbranch_execz .LBB63_369
; %bb.368:
	scratch_load_dwordx4 v[2:5], off, s77
	v_mov_b32_e32 v6, 0
	v_mov_b32_e32 v7, v6
	;; [unrolled: 1-line block ×4, first 2 shown]
	v_accvgpr_read_b32 v0, a129
	scratch_store_dwordx4 off, v[6:9], off offset:336
	s_waitcnt vmcnt(1)
	ds_write_b128 v0, v[2:5]
.LBB63_369:
	s_or_b64 exec, exec, s[0:1]
	s_waitcnt lgkmcnt(0)
	; wave barrier
	scratch_load_dwordx4 v[96:99], off, off offset:352
	scratch_load_dwordx4 v[100:103], off, off offset:368
	;; [unrolled: 1-line block ×30, first 2 shown]
	v_mov_b32_e32 v2, 0
	ds_read_b128 v[136:139], v2 offset:1360
	ds_read_b128 v[144:147], v2 offset:1376
	ds_read_b128 v[148:151], v2 offset:1392
	ds_read_b128 v[164:167], v2 offset:1408
	ds_read_b128 v[176:179], v2 offset:1424
	ds_read_b128 v[188:191], v2 offset:1440
	ds_read_b128 v[200:203], v2 offset:1456
	ds_read_b128 v[208:211], v2 offset:1472
	ds_read_b128 v[212:215], v2 offset:1488
	ds_read_b128 v[216:219], v2 offset:1504
	ds_read_b128 v[220:223], v2 offset:1520
	ds_read_b128 v[224:227], v2 offset:1536
	ds_read_b128 v[228:231], v2 offset:1552
	ds_read_b128 v[238:241], v2 offset:1568
	ds_read_b128 v[242:245], v2 offset:1584
	ds_read_b128 v[68:71], v2 offset:1600
	ds_read_b128 v[64:67], v2 offset:1616
	ds_read_b128 v[124:127], v2 offset:1664
	ds_read_b128 v[128:131], v2 offset:1680
	ds_read_b128 v[132:135], v2 offset:1696
	s_waitcnt vmcnt(29) lgkmcnt(14)
	v_mul_f64 v[0:1], v[136:137], v[98:99]
	s_waitcnt vmcnt(28)
	v_mul_f64 v[72:73], v[144:145], v[102:103]
	v_fmac_f64_e32 v[0:1], v[138:139], v[96:97]
	s_waitcnt vmcnt(27)
	v_mul_f64 v[74:75], v[148:149], v[106:107]
	v_fmac_f64_e32 v[72:73], v[146:147], v[100:101]
	v_add_f64 v[0:1], v[0:1], 0
	s_waitcnt vmcnt(26)
	v_mul_f64 v[76:77], v[164:165], v[110:111]
	v_fmac_f64_e32 v[74:75], v[150:151], v[104:105]
	v_add_f64 v[0:1], v[0:1], v[72:73]
	;; [unrolled: 4-line block ×4, first 2 shown]
	s_waitcnt vmcnt(23) lgkmcnt(13)
	v_mul_f64 v[82:83], v[200:201], v[158:159]
	v_fmac_f64_e32 v[80:81], v[190:191], v[152:153]
	v_add_f64 v[0:1], v[0:1], v[78:79]
	s_waitcnt vmcnt(22) lgkmcnt(12)
	v_mul_f64 v[84:85], v[208:209], v[162:163]
	v_fmac_f64_e32 v[82:83], v[202:203], v[156:157]
	v_add_f64 v[0:1], v[0:1], v[80:81]
	;; [unrolled: 4-line block ×9, first 2 shown]
	s_waitcnt vmcnt(14) lgkmcnt(4)
	v_mul_f64 v[120:121], v[68:69], v[6:7]
	v_fmac_f64_e32 v[118:119], v[244:245], v[204:205]
	v_accvgpr_write_b32 a133, v7
	v_add_f64 v[0:1], v[0:1], v[116:117]
	v_fmac_f64_e32 v[120:121], v[70:71], v[4:5]
	v_accvgpr_write_b32 a132, v6
	v_accvgpr_write_b32 a131, v5
	;; [unrolled: 1-line block ×3, first 2 shown]
	v_add_f64 v[0:1], v[0:1], v[118:119]
	ds_read_b128 v[116:119], v2 offset:1632
	s_waitcnt vmcnt(13)
	v_mov_b64_e32 v[4:5], v[8:9]
	v_mov_b64_e32 v[6:7], v[10:11]
	s_waitcnt lgkmcnt(4)
	v_mul_f64 v[76:77], v[64:65], v[6:7]
	scratch_load_dwordx4 v[72:75], off, off offset:832
	v_add_f64 v[0:1], v[0:1], v[120:121]
	v_fmac_f64_e32 v[76:77], v[66:67], v[4:5]
	v_add_f64 v[0:1], v[0:1], v[76:77]
	scratch_load_dwordx4 v[76:79], off, off offset:848
	ds_read_b128 v[120:123], v2 offset:1648
	s_waitcnt vmcnt(14) lgkmcnt(1)
	v_mul_f64 v[80:81], v[116:117], v[236:237]
	v_fmac_f64_e32 v[80:81], v[118:119], v[234:235]
	v_add_f64 v[0:1], v[0:1], v[80:81]
	scratch_load_dwordx4 v[80:83], off, off offset:864
	s_waitcnt vmcnt(14) lgkmcnt(0)
	v_mul_f64 v[84:85], v[120:121], v[18:19]
	v_fmac_f64_e32 v[84:85], v[122:123], v[16:17]
	s_waitcnt vmcnt(13)
	v_mul_f64 v[88:89], v[124:125], v[22:23]
	v_add_f64 v[0:1], v[0:1], v[84:85]
	v_fmac_f64_e32 v[88:89], v[126:127], v[20:21]
	scratch_load_dwordx4 v[84:87], off, off offset:880
	v_add_f64 v[0:1], v[0:1], v[88:89]
	s_waitcnt vmcnt(13)
	v_mul_f64 v[88:89], v[128:129], v[26:27]
	v_fmac_f64_e32 v[88:89], v[130:131], v[24:25]
	v_add_f64 v[0:1], v[0:1], v[88:89]
	scratch_load_dwordx4 v[88:91], off, off offset:896
	s_waitcnt vmcnt(13)
	v_mul_f64 v[92:93], v[132:133], v[30:31]
	v_fmac_f64_e32 v[92:93], v[134:135], v[28:29]
	v_add_f64 v[0:1], v[0:1], v[92:93]
	scratch_load_dwordx4 v[92:95], off, off offset:912
	v_mul_f64 v[98:99], v[138:139], v[98:99]
	v_fma_f64 v[246:247], v[136:137], v[96:97], -v[98:99]
	v_mul_f64 v[96:97], v[146:147], v[102:103]
	ds_read_b128 v[140:143], v2 offset:1712
	ds_read_b128 v[136:139], v2 offset:1728
	v_fma_f64 v[248:249], v[144:145], v[100:101], -v[96:97]
	scratch_load_dwordx4 v[100:103], off, off offset:928
	scratch_load_dwordx4 v[96:99], off, off offset:944
	s_waitcnt vmcnt(15) lgkmcnt(1)
	v_mul_f64 v[144:145], v[140:141], v[34:35]
	v_fmac_f64_e32 v[144:145], v[142:143], v[32:33]
	v_mul_f64 v[106:107], v[150:151], v[106:107]
	v_add_f64 v[0:1], v[0:1], v[144:145]
	s_waitcnt vmcnt(14) lgkmcnt(0)
	v_mul_f64 v[144:145], v[136:137], v[38:39]
	v_fma_f64 v[250:251], v[148:149], v[104:105], -v[106:107]
	v_mul_f64 v[104:105], v[166:167], v[110:111]
	v_fmac_f64_e32 v[144:145], v[138:139], v[36:37]
	v_fma_f64 v[252:253], v[164:165], v[108:109], -v[104:105]
	scratch_load_dwordx4 v[104:107], off, off offset:960
	v_add_f64 v[0:1], v[0:1], v[144:145]
	ds_read_b128 v[144:147], v2 offset:1744
	ds_read_b128 v[148:151], v2 offset:1760
	v_mul_f64 v[108:109], v[178:179], v[114:115]
	v_fma_f64 v[254:255], v[176:177], v[112:113], -v[108:109]
	scratch_load_dwordx4 v[108:111], off, off offset:976
	s_waitcnt vmcnt(15) lgkmcnt(1)
	v_mul_f64 v[112:113], v[144:145], v[42:43]
	v_fmac_f64_e32 v[112:113], v[146:147], v[40:41]
	v_add_f64 v[0:1], v[0:1], v[112:113]
	v_mul_f64 v[112:113], v[190:191], v[154:155]
	v_fma_f64 v[232:233], v[188:189], v[152:153], -v[112:113]
	scratch_load_dwordx4 v[112:115], off, off offset:992
	ds_read_b128 v[152:155], v2 offset:1776
	s_waitcnt vmcnt(15) lgkmcnt(1)
	v_mul_f64 v[164:165], v[148:149], v[46:47]
	v_mul_f64 v[158:159], v[202:203], v[158:159]
	v_fmac_f64_e32 v[164:165], v[150:151], v[44:45]
	v_fma_f64 v[12:13], v[200:201], v[156:157], -v[158:159]
	ds_read_b128 v[156:159], v2 offset:1792
	s_waitcnt vmcnt(14) lgkmcnt(1)
	v_mul_f64 v[6:7], v[152:153], v[50:51]
	v_add_f64 v[0:1], v[0:1], v[164:165]
	v_fmac_f64_e32 v[6:7], v[154:155], v[48:49]
	v_accvgpr_write_b32 a137, v11
	v_add_f64 v[0:1], v[0:1], v[6:7]
	v_mul_f64 v[6:7], v[210:211], v[162:163]
	v_accvgpr_write_b32 a136, v10
	v_accvgpr_write_b32 a135, v9
	;; [unrolled: 1-line block ×3, first 2 shown]
	v_fma_f64 v[8:9], v[208:209], v[160:161], -v[6:7]
	ds_read_b128 v[160:163], v2 offset:1808
	ds_read_b128 v[164:167], v2 offset:1824
	s_waitcnt vmcnt(13) lgkmcnt(2)
	v_mul_f64 v[6:7], v[156:157], v[54:55]
	v_fmac_f64_e32 v[6:7], v[158:159], v[52:53]
	v_add_f64 v[0:1], v[0:1], v[6:7]
	s_waitcnt vmcnt(12) lgkmcnt(1)
	v_mul_f64 v[6:7], v[160:161], v[62:63]
	v_fmac_f64_e32 v[6:7], v[162:163], v[60:61]
	v_add_f64 v[0:1], v[0:1], v[6:7]
	v_mul_f64 v[6:7], v[214:215], v[170:171]
	v_fma_f64 v[10:11], v[212:213], v[168:169], -v[6:7]
	s_waitcnt vmcnt(11) lgkmcnt(0)
	v_mul_f64 v[6:7], v[164:165], v[58:59]
	v_fmac_f64_e32 v[6:7], v[166:167], v[56:57]
	ds_read_b128 v[168:171], v2 offset:1840
	v_add_f64 v[0:1], v[0:1], v[6:7]
	v_mul_f64 v[6:7], v[218:219], v[174:175]
	v_fma_f64 v[4:5], v[216:217], v[172:173], -v[6:7]
	ds_read_b128 v[172:175], v2 offset:1856
	s_waitcnt vmcnt(10) lgkmcnt(1)
	v_mul_f64 v[6:7], v[168:169], v[74:75]
	ds_read_b128 v[176:179], v2 offset:1872
	v_fmac_f64_e32 v[6:7], v[170:171], v[72:73]
	v_add_f64 v[0:1], v[0:1], v[6:7]
	s_waitcnt vmcnt(9) lgkmcnt(1)
	v_mul_f64 v[6:7], v[172:173], v[78:79]
	v_fmac_f64_e32 v[6:7], v[174:175], v[76:77]
	v_add_f64 v[0:1], v[0:1], v[6:7]
	v_mul_f64 v[6:7], v[222:223], v[182:183]
	v_fma_f64 v[14:15], v[220:221], v[180:181], -v[6:7]
	ds_read_b128 v[180:183], v2 offset:1888
	s_waitcnt vmcnt(8) lgkmcnt(1)
	v_mul_f64 v[6:7], v[176:177], v[82:83]
	v_fmac_f64_e32 v[6:7], v[178:179], v[80:81]
	v_add_f64 v[0:1], v[0:1], v[6:7]
	v_mul_f64 v[6:7], v[226:227], v[186:187]
	v_fma_f64 v[6:7], v[224:225], v[184:185], -v[6:7]
	ds_read_b128 v[184:187], v2 offset:1904
	s_waitcnt vmcnt(7) lgkmcnt(1)
	v_mul_f64 v[188:189], v[180:181], v[86:87]
	v_fmac_f64_e32 v[188:189], v[182:183], v[84:85]
	v_add_f64 v[0:1], v[0:1], v[188:189]
	ds_read_b128 v[188:191], v2 offset:1920
	s_waitcnt vmcnt(6) lgkmcnt(1)
	v_mul_f64 v[200:201], v[184:185], v[90:91]
	v_fmac_f64_e32 v[200:201], v[186:187], v[88:89]
	v_add_f64 v[200:201], v[0:1], v[200:201]
	v_mul_f64 v[0:1], v[230:231], v[194:195]
	v_fma_f64 v[0:1], v[228:229], v[192:193], -v[0:1]
	ds_read_b128 v[192:195], v2 offset:1936
	s_waitcnt vmcnt(5) lgkmcnt(1)
	v_mul_f64 v[202:203], v[188:189], v[94:95]
	v_fmac_f64_e32 v[202:203], v[190:191], v[92:93]
	v_mul_f64 v[198:199], v[240:241], v[198:199]
	v_fma_f64 v[238:239], v[238:239], v[196:197], -v[198:199]
	ds_read_b128 v[196:199], v2 offset:1952
	v_add_f64 v[200:201], v[200:201], v[202:203]
	s_waitcnt vmcnt(4) lgkmcnt(1)
	v_mul_f64 v[202:203], v[192:193], v[102:103]
	v_fmac_f64_e32 v[202:203], v[194:195], v[100:101]
	v_add_f64 v[208:209], v[200:201], v[202:203]
	ds_read_b128 v[200:203], v2 offset:1968
	v_mul_f64 v[206:207], v[244:245], v[206:207]
	v_fma_f64 v[240:241], v[242:243], v[204:205], -v[206:207]
	ds_read_b128 v[204:207], v2 offset:1984
	s_waitcnt vmcnt(3) lgkmcnt(2)
	v_mul_f64 v[210:211], v[196:197], v[98:99]
	v_fmac_f64_e32 v[210:211], v[198:199], v[96:97]
	v_add_f64 v[208:209], v[208:209], v[210:211]
	s_waitcnt vmcnt(2) lgkmcnt(1)
	v_mul_f64 v[210:211], v[200:201], v[106:107]
	v_fmac_f64_e32 v[210:211], v[202:203], v[104:105]
	v_add_f64 v[208:209], v[208:209], v[210:211]
	;; [unrolled: 4-line block ×3, first 2 shown]
	ds_read_b128 v[208:211], v2 offset:2000
	ds_read_b128 v[216:219], v2 offset:2016
	;; [unrolled: 1-line block ×3, first 2 shown]
	s_waitcnt vmcnt(0) lgkmcnt(2)
	v_mul_f64 v[214:215], v[208:209], v[114:115]
	v_fmac_f64_e32 v[214:215], v[210:211], v[112:113]
	v_add_f64 v[220:221], v[212:213], v[214:215]
	scratch_load_dwordx4 v[212:215], off, off offset:1008
	s_waitcnt vmcnt(0) lgkmcnt(1)
	v_mul_f64 v[222:223], v[216:217], v[214:215]
	v_fmac_f64_e32 v[222:223], v[218:219], v[212:213]
	v_add_f64 v[228:229], v[220:221], v[222:223]
	scratch_load_dwordx4 v[220:223], off, off offset:1024
	s_waitcnt vmcnt(0) lgkmcnt(0)
	v_mul_f64 v[230:231], v[224:225], v[222:223]
	v_fmac_f64_e32 v[230:231], v[226:227], v[220:221]
	v_add_f64 v[244:245], v[228:229], v[230:231]
	v_add_f64 v[228:229], v[246:247], 0
	;; [unrolled: 1-line block ×8, first 2 shown]
	scratch_load_dwordx4 v[228:231], off, off offset:336
	v_add_f64 v[8:9], v[12:13], v[8:9]
	v_add_f64 v[8:9], v[8:9], v[10:11]
	v_add_f64 v[4:5], v[8:9], v[4:5]
	v_add_f64 v[242:243], v[4:5], v[14:15]
	v_add_f64 v[4:5], v[242:243], v[6:7]
	v_accvgpr_read_b32 v6, a130
	v_accvgpr_read_b32 v8, a132
	;; [unrolled: 1-line block ×3, first 2 shown]
	v_add_f64 v[0:1], v[4:5], v[0:1]
	v_accvgpr_read_b32 v7, a131
	v_mul_f64 v[4:5], v[70:71], v[8:9]
	v_add_f64 v[0:1], v[0:1], v[238:239]
	v_fma_f64 v[4:5], v[68:69], v[6:7], -v[4:5]
	v_accvgpr_read_b32 v6, a134
	v_add_f64 v[0:1], v[0:1], v[240:241]
	v_accvgpr_read_b32 v8, a136
	v_accvgpr_read_b32 v9, a137
	v_add_f64 v[0:1], v[0:1], v[4:5]
	v_accvgpr_read_b32 v7, a135
	v_mul_f64 v[4:5], v[66:67], v[8:9]
	v_fma_f64 v[4:5], v[64:65], v[6:7], -v[4:5]
	v_add_f64 v[0:1], v[0:1], v[4:5]
	v_mul_f64 v[4:5], v[118:119], v[236:237]
	v_fma_f64 v[4:5], v[116:117], v[234:235], -v[4:5]
	v_add_f64 v[0:1], v[0:1], v[4:5]
	;; [unrolled: 3-line block ×27, first 2 shown]
	s_waitcnt vmcnt(0)
	v_add_f64 v[4:5], v[228:229], -v[0:1]
	v_accvgpr_read_b32 v0, a128
	v_add_f64 v[6:7], v[230:231], -v[244:245]
	v_cmp_lt_u32_e32 vcc, 19, v0
	scratch_store_dwordx4 off, v[4:7], off offset:336
	s_and_saveexec_b64 s[0:1], vcc
	s_cbranch_execz .LBB63_371
; %bb.370:
	scratch_load_dwordx4 v[6:9], off, s76
	v_mov_b32_e32 v3, v2
	v_mov_b32_e32 v4, v2
	v_mov_b32_e32 v5, v2
	v_accvgpr_read_b32 v0, a129
	scratch_store_dwordx4 off, v[2:5], off offset:320
	s_waitcnt vmcnt(1)
	ds_write_b128 v0, v[6:9]
.LBB63_371:
	s_or_b64 exec, exec, s[0:1]
	s_waitcnt lgkmcnt(0)
	; wave barrier
	scratch_load_dwordx4 v[72:75], off, off offset:336
	scratch_load_dwordx4 v[76:79], off, off offset:352
	;; [unrolled: 1-line block ×17, first 2 shown]
	ds_read_b128 v[176:179], v2 offset:1344
	ds_read_b128 v[192:195], v2 offset:1360
	;; [unrolled: 1-line block ×3, first 2 shown]
	scratch_load_dwordx4 v[20:23], off, off offset:608
	ds_read_b128 v[236:239], v2 offset:1392
	ds_read_b128 v[232:235], v2 offset:1408
	;; [unrolled: 1-line block ×5, first 2 shown]
	scratch_load_dwordx4 v[168:171], off, off offset:624
	ds_read_b128 v[224:227], v2 offset:1472
	ds_read_b128 v[212:215], v2 offset:1488
	;; [unrolled: 1-line block ×3, first 2 shown]
	scratch_load_dwordx4 v[12:15], off, off offset:640
	ds_read_b128 v[216:219], v2 offset:1520
	ds_read_b128 v[204:207], v2 offset:1536
	;; [unrolled: 1-line block ×5, first 2 shown]
	scratch_load_dwordx4 v[28:31], off, off offset:656
	ds_read_b128 v[32:35], v2 offset:1600
	scratch_load_dwordx4 v[36:39], off, off offset:672
	scratch_load_dwordx4 v[40:43], off, off offset:688
	;; [unrolled: 1-line block ×9, first 2 shown]
	ds_read_b128 v[132:135], v2 offset:1616
	s_waitcnt lgkmcnt(2)
	v_accvgpr_write_b32 a137, v19
	v_accvgpr_write_b32 a136, v18
	v_accvgpr_write_b32 a135, v17
	v_accvgpr_write_b32 a134, v16
	ds_read_b128 v[172:175], v2 offset:1680
	s_waitcnt vmcnt(29)
	v_mul_f64 v[0:1], v[176:177], v[74:75]
	s_waitcnt vmcnt(28)
	v_mul_f64 v[136:137], v[192:193], v[78:79]
	v_fmac_f64_e32 v[0:1], v[178:179], v[72:73]
	s_waitcnt vmcnt(27)
	v_mul_f64 v[138:139], v[188:189], v[82:83]
	v_fmac_f64_e32 v[136:137], v[194:195], v[76:77]
	v_add_f64 v[0:1], v[0:1], 0
	s_waitcnt vmcnt(26)
	v_mul_f64 v[140:141], v[236:237], v[86:87]
	v_fmac_f64_e32 v[138:139], v[190:191], v[80:81]
	v_add_f64 v[0:1], v[0:1], v[136:137]
	;; [unrolled: 4-line block ×14, first 2 shown]
	v_fmac_f64_e32 v[164:165], v[18:19], v[4:5]
	v_add_f64 v[0:1], v[0:1], v[162:163]
	s_waitcnt vmcnt(13) lgkmcnt(2)
	v_mul_f64 v[140:141], v[32:33], v[26:27]
	scratch_load_dwordx4 v[136:139], off, off offset:816
	v_add_f64 v[0:1], v[0:1], v[164:165]
	v_fmac_f64_e32 v[140:141], v[34:35], v[24:25]
	v_add_f64 v[0:1], v[0:1], v[140:141]
	ds_read_b128 v[160:163], v2 offset:1632
	scratch_load_dwordx4 v[140:143], off, off offset:832
	ds_read_b128 v[164:167], v2 offset:1648
	s_waitcnt vmcnt(13)
	v_mov_b64_e32 v[16:17], v[168:169]
	v_mov_b64_e32 v[18:19], v[170:171]
	ds_read_b128 v[168:171], v2 offset:1664
	s_waitcnt lgkmcnt(4)
	v_mul_f64 v[144:145], v[132:133], v[22:23]
	v_fmac_f64_e32 v[144:145], v[134:135], v[20:21]
	s_waitcnt lgkmcnt(2)
	v_mul_f64 v[148:149], v[160:161], v[18:19]
	v_add_f64 v[0:1], v[0:1], v[144:145]
	v_fmac_f64_e32 v[148:149], v[162:163], v[16:17]
	s_waitcnt vmcnt(12) lgkmcnt(1)
	v_mul_f64 v[152:153], v[164:165], v[14:15]
	scratch_load_dwordx4 v[144:147], off, off offset:848
	v_add_f64 v[0:1], v[0:1], v[148:149]
	v_fmac_f64_e32 v[152:153], v[166:167], v[12:13]
	scratch_load_dwordx4 v[148:151], off, off offset:864
	v_add_f64 v[0:1], v[0:1], v[152:153]
	s_waitcnt vmcnt(13) lgkmcnt(0)
	v_mul_f64 v[152:153], v[168:169], v[30:31]
	v_fmac_f64_e32 v[152:153], v[170:171], v[28:29]
	v_add_f64 v[0:1], v[0:1], v[152:153]
	scratch_load_dwordx4 v[152:155], off, off offset:880
	s_waitcnt vmcnt(13)
	v_mul_f64 v[156:157], v[172:173], v[38:39]
	v_fmac_f64_e32 v[156:157], v[174:175], v[36:37]
	v_mul_f64 v[74:75], v[178:179], v[74:75]
	v_add_f64 v[0:1], v[0:1], v[156:157]
	scratch_load_dwordx4 v[156:159], off, off offset:896
	v_fma_f64 v[244:245], v[176:177], v[72:73], -v[74:75]
	v_mul_f64 v[72:73], v[194:195], v[78:79]
	ds_read_b128 v[180:183], v2 offset:1696
	ds_read_b128 v[176:179], v2 offset:1712
	v_fma_f64 v[246:247], v[192:193], v[76:77], -v[72:73]
	scratch_load_dwordx4 v[76:79], off, off offset:912
	scratch_load_dwordx4 v[72:75], off, off offset:928
	v_mul_f64 v[82:83], v[190:191], v[82:83]
	v_fma_f64 v[248:249], v[188:189], v[80:81], -v[82:83]
	v_mul_f64 v[80:81], v[238:239], v[86:87]
	v_fma_f64 v[236:237], v[236:237], v[84:85], -v[80:81]
	scratch_load_dwordx4 v[80:83], off, off offset:944
	ds_read_b128 v[188:191], v2 offset:1728
	v_mul_f64 v[84:85], v[234:235], v[90:91]
	s_waitcnt vmcnt(16) lgkmcnt(2)
	v_mul_f64 v[192:193], v[180:181], v[42:43]
	v_fma_f64 v[238:239], v[232:233], v[88:89], -v[84:85]
	scratch_load_dwordx4 v[84:87], off, off offset:960
	v_fmac_f64_e32 v[192:193], v[182:183], v[40:41]
	v_add_f64 v[0:1], v[0:1], v[192:193]
	s_waitcnt vmcnt(16) lgkmcnt(1)
	v_mul_f64 v[192:193], v[176:177], v[46:47]
	v_fmac_f64_e32 v[192:193], v[178:179], v[44:45]
	v_add_f64 v[0:1], v[0:1], v[192:193]
	ds_read_b128 v[192:195], v2 offset:1744
	s_waitcnt vmcnt(15) lgkmcnt(1)
	v_mul_f64 v[88:89], v[188:189], v[50:51]
	v_fmac_f64_e32 v[88:89], v[190:191], v[48:49]
	v_add_f64 v[0:1], v[0:1], v[88:89]
	v_mul_f64 v[88:89], v[230:231], v[94:95]
	v_fma_f64 v[250:251], v[228:229], v[92:93], -v[88:89]
	scratch_load_dwordx4 v[88:91], off, off offset:976
	scratch_load_dwordx4 v[232:235], off, off offset:1024
	ds_read_b128 v[92:95], v2 offset:1760
	v_mul_f64 v[98:99], v[222:223], v[98:99]
	v_fma_f64 v[252:253], v[220:221], v[96:97], -v[98:99]
	ds_read_b128 v[96:99], v2 offset:1776
	v_mul_f64 v[102:103], v[210:211], v[102:103]
	s_waitcnt vmcnt(16) lgkmcnt(2)
	v_mul_f64 v[228:229], v[192:193], v[54:55]
	v_fma_f64 v[254:255], v[208:209], v[100:101], -v[102:103]
	ds_read_b128 v[100:103], v2 offset:1792
	ds_read_b128 v[208:211], v2 offset:1808
	v_fmac_f64_e32 v[228:229], v[194:195], v[52:53]
	s_waitcnt vmcnt(15) lgkmcnt(3)
	v_mul_f64 v[220:221], v[92:93], v[58:59]
	v_add_f64 v[0:1], v[0:1], v[228:229]
	v_fmac_f64_e32 v[220:221], v[94:95], v[56:57]
	v_mul_f64 v[106:107], v[226:227], v[106:107]
	v_add_f64 v[0:1], v[0:1], v[220:221]
	s_waitcnt vmcnt(14) lgkmcnt(2)
	v_mul_f64 v[220:221], v[96:97], v[62:63]
	v_fma_f64 v[240:241], v[224:225], v[104:105], -v[106:107]
	ds_read_b128 v[104:107], v2 offset:1824
	v_fmac_f64_e32 v[220:221], v[98:99], v[60:61]
	v_mul_f64 v[110:111], v[214:215], v[110:111]
	v_add_f64 v[0:1], v[0:1], v[220:221]
	s_waitcnt vmcnt(13) lgkmcnt(2)
	v_mul_f64 v[220:221], v[100:101], v[70:71]
	v_fma_f64 v[8:9], v[212:213], v[108:109], -v[110:111]
	ds_read_b128 v[108:111], v2 offset:1840
	v_fmac_f64_e32 v[220:221], v[102:103], v[68:69]
	v_accvgpr_write_b32 a133, v7
	v_add_f64 v[0:1], v[0:1], v[220:221]
	s_waitcnt vmcnt(12) lgkmcnt(2)
	v_mul_f64 v[220:221], v[208:209], v[66:67]
	v_accvgpr_write_b32 a132, v6
	v_accvgpr_write_b32 a131, v5
	;; [unrolled: 1-line block ×3, first 2 shown]
	v_fmac_f64_e32 v[220:221], v[210:211], v[64:65]
	s_waitcnt vmcnt(11) lgkmcnt(1)
	v_mul_f64 v[6:7], v[104:105], v[138:139]
	v_add_f64 v[0:1], v[0:1], v[220:221]
	v_fmac_f64_e32 v[6:7], v[106:107], v[136:137]
	v_add_f64 v[0:1], v[0:1], v[6:7]
	s_waitcnt vmcnt(10) lgkmcnt(0)
	v_mul_f64 v[6:7], v[108:109], v[142:143]
	v_fmac_f64_e32 v[6:7], v[110:111], v[140:141]
	ds_read_b128 v[212:215], v2 offset:1856
	v_add_f64 v[0:1], v[0:1], v[6:7]
	v_mul_f64 v[6:7], v[202:203], v[114:115]
	v_fma_f64 v[6:7], v[200:201], v[112:113], -v[6:7]
	ds_read_b128 v[112:115], v2 offset:1872
	v_mul_f64 v[118:119], v[218:219], v[118:119]
	v_fma_f64 v[4:5], v[216:217], v[116:117], -v[118:119]
	ds_read_b128 v[116:119], v2 offset:1888
	s_waitcnt vmcnt(9) lgkmcnt(2)
	v_mul_f64 v[200:201], v[212:213], v[146:147]
	v_fmac_f64_e32 v[200:201], v[214:215], v[144:145]
	s_waitcnt vmcnt(8) lgkmcnt(1)
	v_mul_f64 v[10:11], v[112:113], v[150:151]
	v_add_f64 v[0:1], v[0:1], v[200:201]
	v_fmac_f64_e32 v[10:11], v[114:115], v[148:149]
	v_add_f64 v[0:1], v[0:1], v[10:11]
	ds_read_b128 v[200:203], v2 offset:1904
	s_waitcnt vmcnt(7) lgkmcnt(1)
	v_mul_f64 v[10:11], v[116:117], v[154:155]
	v_fmac_f64_e32 v[10:11], v[118:119], v[152:153]
	v_add_f64 v[10:11], v[0:1], v[10:11]
	v_mul_f64 v[0:1], v[206:207], v[122:123]
	v_fma_f64 v[0:1], v[204:205], v[120:121], -v[0:1]
	ds_read_b128 v[120:123], v2 offset:1920
	v_mul_f64 v[126:127], v[198:199], v[126:127]
	v_fma_f64 v[124:125], v[196:197], v[124:125], -v[126:127]
	s_waitcnt vmcnt(6) lgkmcnt(1)
	v_mul_f64 v[204:205], v[200:201], v[158:159]
	v_accvgpr_write_b32 a139, v125
	v_fmac_f64_e32 v[204:205], v[202:203], v[156:157]
	v_accvgpr_write_b32 a138, v124
	ds_read_b128 v[124:127], v2 offset:1936
	s_waitcnt vmcnt(5) lgkmcnt(1)
	v_mul_f64 v[196:197], v[120:121], v[78:79]
	v_add_f64 v[10:11], v[10:11], v[204:205]
	v_fmac_f64_e32 v[196:197], v[122:123], v[76:77]
	v_add_f64 v[10:11], v[10:11], v[196:197]
	ds_read_b128 v[196:199], v2 offset:1952
	v_mul_f64 v[130:131], v[186:187], v[130:131]
	v_fma_f64 v[242:243], v[184:185], v[128:129], -v[130:131]
	ds_read_b128 v[128:131], v2 offset:1968
	s_waitcnt vmcnt(4) lgkmcnt(2)
	v_mul_f64 v[184:185], v[124:125], v[74:75]
	v_fmac_f64_e32 v[184:185], v[126:127], v[72:73]
	v_add_f64 v[10:11], v[10:11], v[184:185]
	s_waitcnt vmcnt(3) lgkmcnt(1)
	v_mul_f64 v[184:185], v[196:197], v[82:83]
	v_fmac_f64_e32 v[184:185], v[198:199], v[80:81]
	v_add_f64 v[10:11], v[10:11], v[184:185]
	;; [unrolled: 4-line block ×3, first 2 shown]
	ds_read_b128 v[184:187], v2 offset:1984
	ds_read_b128 v[216:219], v2 offset:2000
	;; [unrolled: 1-line block ×3, first 2 shown]
	s_waitcnt vmcnt(1) lgkmcnt(2)
	v_mul_f64 v[204:205], v[184:185], v[90:91]
	v_fmac_f64_e32 v[204:205], v[186:187], v[88:89]
	v_add_f64 v[10:11], v[10:11], v[204:205]
	scratch_load_dwordx4 v[204:207], off, off offset:992
	s_waitcnt vmcnt(0) lgkmcnt(1)
	v_mul_f64 v[220:221], v[216:217], v[206:207]
	v_fmac_f64_e32 v[220:221], v[218:219], v[204:205]
	v_add_f64 v[10:11], v[10:11], v[220:221]
	scratch_load_dwordx4 v[220:223], off, off offset:1008
	s_waitcnt vmcnt(0) lgkmcnt(0)
	v_mul_f64 v[228:229], v[224:225], v[222:223]
	v_fmac_f64_e32 v[228:229], v[226:227], v[220:221]
	v_add_f64 v[10:11], v[10:11], v[228:229]
	ds_read_b128 v[228:231], v2 offset:2032
	s_waitcnt lgkmcnt(0)
	v_mul_f64 v[2:3], v[228:229], v[234:235]
	v_fmac_f64_e32 v[2:3], v[230:231], v[232:233]
	v_add_f64 v[2:3], v[10:11], v[2:3]
	v_add_f64 v[10:11], v[244:245], 0
	;; [unrolled: 1-line block ×6, first 2 shown]
	scratch_load_dwordx4 v[236:239], off, off offset:320
	v_add_f64 v[10:11], v[10:11], v[250:251]
	v_add_f64 v[10:11], v[10:11], v[252:253]
	;; [unrolled: 1-line block ×8, first 2 shown]
	v_accvgpr_read_b32 v0, a138
	v_accvgpr_read_b32 v1, a139
	v_add_f64 v[0:1], v[244:245], v[0:1]
	v_add_f64 v[0:1], v[0:1], v[242:243]
	v_accvgpr_read_b32 v6, a130
	v_accvgpr_read_b32 v243, a137
	;; [unrolled: 1-line block ×8, first 2 shown]
	v_mul_f64 v[4:5], v[242:243], v[8:9]
	v_fma_f64 v[4:5], v[240:241], v[6:7], -v[4:5]
	v_add_f64 v[0:1], v[0:1], v[4:5]
	v_mul_f64 v[4:5], v[34:35], v[26:27]
	v_fma_f64 v[4:5], v[32:33], v[24:25], -v[4:5]
	v_add_f64 v[0:1], v[0:1], v[4:5]
	;; [unrolled: 3-line block ×29, first 2 shown]
	s_waitcnt vmcnt(0)
	v_add_f64 v[4:5], v[236:237], -v[0:1]
	v_accvgpr_read_b32 v0, a128
	v_add_f64 v[6:7], v[238:239], -v[2:3]
	v_cmp_lt_u32_e32 vcc, 18, v0
	scratch_store_dwordx4 off, v[4:7], off offset:320
	s_and_saveexec_b64 s[0:1], vcc
	s_cbranch_execz .LBB63_373
; %bb.372:
	scratch_load_dwordx4 v[2:5], off, s75
	v_mov_b32_e32 v6, 0
	v_mov_b32_e32 v7, v6
	;; [unrolled: 1-line block ×4, first 2 shown]
	v_accvgpr_read_b32 v0, a129
	scratch_store_dwordx4 off, v[6:9], off offset:304
	s_waitcnt vmcnt(1)
	ds_write_b128 v0, v[2:5]
.LBB63_373:
	s_or_b64 exec, exec, s[0:1]
	s_waitcnt lgkmcnt(0)
	; wave barrier
	scratch_load_dwordx4 v[80:83], off, off offset:320
	scratch_load_dwordx4 v[84:87], off, off offset:336
	;; [unrolled: 1-line block ×29, first 2 shown]
	v_mov_b32_e32 v2, 0
	ds_read_b128 v[132:135], v2 offset:1328
	ds_read_b128 v[136:139], v2 offset:1344
	;; [unrolled: 1-line block ×22, first 2 shown]
	s_waitcnt vmcnt(28) lgkmcnt(14)
	v_mul_f64 v[0:1], v[132:133], v[82:83]
	s_waitcnt vmcnt(27)
	v_mul_f64 v[56:57], v[136:137], v[86:87]
	v_fmac_f64_e32 v[0:1], v[134:135], v[80:81]
	s_waitcnt vmcnt(26)
	v_mul_f64 v[58:59], v[140:141], v[90:91]
	v_fmac_f64_e32 v[56:57], v[138:139], v[84:85]
	v_add_f64 v[0:1], v[0:1], 0
	s_waitcnt vmcnt(25)
	v_mul_f64 v[60:61], v[148:149], v[94:95]
	v_fmac_f64_e32 v[58:59], v[142:143], v[88:89]
	v_add_f64 v[0:1], v[0:1], v[56:57]
	;; [unrolled: 4-line block ×6, first 2 shown]
	s_waitcnt vmcnt(20) lgkmcnt(13)
	v_mul_f64 v[70:71], v[204:205], v[154:155]
	v_fmac_f64_e32 v[68:69], v[198:199], v[144:145]
	v_add_f64 v[0:1], v[0:1], v[66:67]
	s_waitcnt vmcnt(19) lgkmcnt(12)
	v_mul_f64 v[72:73], v[208:209], v[158:159]
	v_fmac_f64_e32 v[70:71], v[206:207], v[152:153]
	v_add_f64 v[0:1], v[0:1], v[68:69]
	;; [unrolled: 4-line block ×8, first 2 shown]
	v_fmac_f64_e32 v[112:113], v[240:241], v[192:193]
	v_add_f64 v[0:1], v[0:1], v[110:111]
	s_waitcnt vmcnt(12) lgkmcnt(5)
	v_mul_f64 v[60:61], v[242:243], v[202:203]
	scratch_load_dwordx4 v[56:59], off, off offset:784
	ds_read_b128 v[108:111], v2 offset:1616
	v_add_f64 v[0:1], v[0:1], v[112:113]
	v_fmac_f64_e32 v[60:61], v[244:245], v[200:201]
	v_add_f64 v[0:1], v[0:1], v[60:61]
	s_waitcnt vmcnt(12) lgkmcnt(5)
	v_mul_f64 v[64:65], v[52:53], v[6:7]
	scratch_load_dwordx4 v[60:63], off, off offset:800
	v_accvgpr_write_b32 a133, v7
	v_fmac_f64_e32 v[64:65], v[54:55], v[4:5]
	v_accvgpr_write_b32 a132, v6
	v_accvgpr_write_b32 a131, v5
	;; [unrolled: 1-line block ×3, first 2 shown]
	ds_read_b128 v[112:115], v2 offset:1632
	s_waitcnt vmcnt(12)
	v_mov_b64_e32 v[4:5], v[8:9]
	v_mov_b64_e32 v[6:7], v[10:11]
	s_waitcnt lgkmcnt(1)
	v_mul_f64 v[68:69], v[108:109], v[6:7]
	v_fmac_f64_e32 v[68:69], v[110:111], v[4:5]
	s_waitcnt vmcnt(11)
	v_mov_b64_e32 v[4:5], v[12:13]
	v_add_f64 v[0:1], v[0:1], v[64:65]
	v_mov_b64_e32 v[6:7], v[14:15]
	scratch_load_dwordx4 v[64:67], off, off offset:816
	v_add_f64 v[0:1], v[0:1], v[68:69]
	s_waitcnt lgkmcnt(0)
	v_mul_f64 v[68:69], v[112:113], v[6:7]
	v_fmac_f64_e32 v[68:69], v[114:115], v[4:5]
	v_add_f64 v[0:1], v[0:1], v[68:69]
	scratch_load_dwordx4 v[68:71], off, off offset:832
	s_waitcnt vmcnt(12)
	v_mul_f64 v[76:77], v[116:117], v[236:237]
	scratch_load_dwordx4 v[72:75], off, off offset:848
	v_fmac_f64_e32 v[76:77], v[118:119], v[234:235]
	v_add_f64 v[0:1], v[0:1], v[76:77]
	s_waitcnt vmcnt(12)
	v_mul_f64 v[76:77], v[120:121], v[22:23]
	v_fmac_f64_e32 v[76:77], v[122:123], v[20:21]
	v_add_f64 v[0:1], v[0:1], v[76:77]
	scratch_load_dwordx4 v[76:79], off, off offset:864
	v_mul_f64 v[82:83], v[134:135], v[82:83]
	v_fma_f64 v[246:247], v[132:133], v[80:81], -v[82:83]
	scratch_load_dwordx4 v[80:83], off, off offset:880
	v_mul_f64 v[86:87], v[138:139], v[86:87]
	v_fma_f64 v[248:249], v[136:137], v[84:85], -v[86:87]
	scratch_load_dwordx4 v[84:87], off, off offset:896
	v_mul_f64 v[90:91], v[142:143], v[90:91]
	s_waitcnt vmcnt(14)
	v_mul_f64 v[132:133], v[124:125], v[26:27]
	v_fma_f64 v[250:251], v[140:141], v[88:89], -v[90:91]
	scratch_load_dwordx4 v[88:91], off, off offset:912
	v_fmac_f64_e32 v[132:133], v[126:127], v[24:25]
	s_waitcnt vmcnt(14)
	v_mul_f64 v[136:137], v[128:129], v[30:31]
	v_mul_f64 v[94:95], v[150:151], v[94:95]
	v_add_f64 v[0:1], v[0:1], v[132:133]
	v_fmac_f64_e32 v[136:137], v[130:131], v[28:29]
	v_fma_f64 v[252:253], v[148:149], v[92:93], -v[94:95]
	v_mul_f64 v[92:93], v[162:163], v[98:99]
	ds_read_b128 v[132:135], v2 offset:1712
	v_add_f64 v[0:1], v[0:1], v[136:137]
	ds_read_b128 v[136:139], v2 offset:1728
	v_fma_f64 v[254:255], v[160:161], v[96:97], -v[92:93]
	scratch_load_dwordx4 v[96:99], off, off offset:928
	scratch_load_dwordx4 v[92:95], off, off offset:944
	v_mul_f64 v[102:103], v[174:175], v[102:103]
	v_fma_f64 v[232:233], v[172:173], v[100:101], -v[102:103]
	scratch_load_dwordx4 v[100:103], off, off offset:960
	v_mul_f64 v[106:107], v[186:187], v[106:107]
	v_fma_f64 v[16:17], v[184:185], v[104:105], -v[106:107]
	scratch_load_dwordx4 v[104:107], off, off offset:976
	s_waitcnt vmcnt(17) lgkmcnt(1)
	v_mul_f64 v[140:141], v[132:133], v[34:35]
	v_fmac_f64_e32 v[140:141], v[134:135], v[32:33]
	v_add_f64 v[0:1], v[0:1], v[140:141]
	ds_read_b128 v[140:143], v2 offset:1744
	v_accvgpr_write_b32 a141, v15
	v_mul_f64 v[6:7], v[198:199], v[146:147]
	v_accvgpr_write_b32 a140, v14
	v_accvgpr_write_b32 a139, v13
	;; [unrolled: 1-line block ×3, first 2 shown]
	v_fma_f64 v[12:13], v[196:197], v[144:145], -v[6:7]
	ds_read_b128 v[144:147], v2 offset:1760
	s_waitcnt vmcnt(16) lgkmcnt(2)
	v_mul_f64 v[148:149], v[136:137], v[38:39]
	v_fmac_f64_e32 v[148:149], v[138:139], v[36:37]
	v_add_f64 v[0:1], v[0:1], v[148:149]
	s_waitcnt vmcnt(15) lgkmcnt(1)
	v_mul_f64 v[6:7], v[140:141], v[42:43]
	ds_read_b128 v[148:151], v2 offset:1776
	v_fmac_f64_e32 v[6:7], v[142:143], v[40:41]
	v_add_f64 v[0:1], v[0:1], v[6:7]
	s_waitcnt vmcnt(14) lgkmcnt(1)
	v_mul_f64 v[6:7], v[144:145], v[46:47]
	v_fmac_f64_e32 v[6:7], v[146:147], v[44:45]
	v_accvgpr_write_b32 a137, v11
	v_add_f64 v[0:1], v[0:1], v[6:7]
	v_mul_f64 v[6:7], v[206:207], v[154:155]
	v_accvgpr_write_b32 a136, v10
	v_accvgpr_write_b32 a135, v9
	;; [unrolled: 1-line block ×3, first 2 shown]
	v_fma_f64 v[10:11], v[204:205], v[152:153], -v[6:7]
	ds_read_b128 v[152:155], v2 offset:1792
	s_waitcnt vmcnt(13) lgkmcnt(1)
	v_mul_f64 v[6:7], v[148:149], v[50:51]
	v_fmac_f64_e32 v[6:7], v[150:151], v[48:49]
	v_add_f64 v[0:1], v[0:1], v[6:7]
	v_mul_f64 v[6:7], v[210:211], v[158:159]
	v_fma_f64 v[8:9], v[208:209], v[156:157], -v[6:7]
	ds_read_b128 v[156:159], v2 offset:1808
	ds_read_b128 v[160:163], v2 offset:1824
	s_waitcnt vmcnt(12) lgkmcnt(2)
	v_mul_f64 v[6:7], v[152:153], v[58:59]
	v_fmac_f64_e32 v[6:7], v[154:155], v[56:57]
	v_add_f64 v[0:1], v[0:1], v[6:7]
	s_waitcnt vmcnt(11) lgkmcnt(1)
	v_mul_f64 v[6:7], v[156:157], v[62:63]
	v_fmac_f64_e32 v[6:7], v[158:159], v[60:61]
	v_add_f64 v[0:1], v[0:1], v[6:7]
	v_mul_f64 v[6:7], v[214:215], v[166:167]
	v_fma_f64 v[14:15], v[212:213], v[164:165], -v[6:7]
	ds_read_b128 v[164:167], v2 offset:1840
	v_mul_f64 v[170:171], v[218:219], v[170:171]
	v_fma_f64 v[4:5], v[216:217], v[168:169], -v[170:171]
	ds_read_b128 v[168:171], v2 offset:1856
	s_waitcnt vmcnt(10) lgkmcnt(2)
	v_mul_f64 v[6:7], v[160:161], v[66:67]
	v_fmac_f64_e32 v[6:7], v[162:163], v[64:65]
	v_add_f64 v[0:1], v[0:1], v[6:7]
	s_waitcnt vmcnt(9) lgkmcnt(1)
	v_mul_f64 v[6:7], v[164:165], v[70:71]
	ds_read_b128 v[172:175], v2 offset:1872
	v_fmac_f64_e32 v[6:7], v[166:167], v[68:69]
	v_add_f64 v[0:1], v[0:1], v[6:7]
	s_waitcnt vmcnt(8) lgkmcnt(1)
	v_mul_f64 v[6:7], v[168:169], v[74:75]
	v_fmac_f64_e32 v[6:7], v[170:171], v[72:73]
	v_add_f64 v[0:1], v[0:1], v[6:7]
	v_mul_f64 v[6:7], v[222:223], v[178:179]
	v_fma_f64 v[18:19], v[220:221], v[176:177], -v[6:7]
	ds_read_b128 v[176:179], v2 offset:1888
	s_waitcnt vmcnt(7) lgkmcnt(1)
	v_mul_f64 v[6:7], v[172:173], v[78:79]
	v_fmac_f64_e32 v[6:7], v[174:175], v[76:77]
	v_add_f64 v[0:1], v[0:1], v[6:7]
	v_mul_f64 v[6:7], v[226:227], v[182:183]
	v_fma_f64 v[6:7], v[224:225], v[180:181], -v[6:7]
	ds_read_b128 v[180:183], v2 offset:1904
	s_waitcnt vmcnt(6) lgkmcnt(1)
	v_mul_f64 v[184:185], v[176:177], v[82:83]
	v_fmac_f64_e32 v[184:185], v[178:179], v[80:81]
	v_add_f64 v[0:1], v[0:1], v[184:185]
	ds_read_b128 v[184:187], v2 offset:1920
	s_waitcnt vmcnt(5) lgkmcnt(1)
	v_mul_f64 v[196:197], v[180:181], v[86:87]
	v_fmac_f64_e32 v[196:197], v[182:183], v[84:85]
	v_add_f64 v[196:197], v[0:1], v[196:197]
	v_mul_f64 v[0:1], v[230:231], v[190:191]
	v_fma_f64 v[0:1], v[228:229], v[188:189], -v[0:1]
	ds_read_b128 v[188:191], v2 offset:1936
	s_waitcnt vmcnt(4) lgkmcnt(1)
	v_mul_f64 v[198:199], v[184:185], v[90:91]
	v_fmac_f64_e32 v[198:199], v[186:187], v[88:89]
	v_mul_f64 v[194:195], v[240:241], v[194:195]
	v_fma_f64 v[238:239], v[238:239], v[192:193], -v[194:195]
	ds_read_b128 v[192:195], v2 offset:1952
	v_add_f64 v[196:197], v[196:197], v[198:199]
	s_waitcnt vmcnt(3) lgkmcnt(1)
	v_mul_f64 v[198:199], v[188:189], v[98:99]
	v_fmac_f64_e32 v[198:199], v[190:191], v[96:97]
	v_add_f64 v[204:205], v[196:197], v[198:199]
	ds_read_b128 v[196:199], v2 offset:1968
	v_mul_f64 v[202:203], v[244:245], v[202:203]
	v_fma_f64 v[240:241], v[242:243], v[200:201], -v[202:203]
	ds_read_b128 v[200:203], v2 offset:1984
	s_waitcnt vmcnt(2) lgkmcnt(2)
	v_mul_f64 v[206:207], v[192:193], v[94:95]
	v_fmac_f64_e32 v[206:207], v[194:195], v[92:93]
	v_add_f64 v[204:205], v[204:205], v[206:207]
	s_waitcnt vmcnt(1) lgkmcnt(1)
	v_mul_f64 v[206:207], v[196:197], v[102:103]
	v_fmac_f64_e32 v[206:207], v[198:199], v[100:101]
	v_add_f64 v[204:205], v[204:205], v[206:207]
	;; [unrolled: 4-line block ×3, first 2 shown]
	scratch_load_dwordx4 v[204:207], off, off offset:992
	ds_read_b128 v[208:211], v2 offset:2000
	ds_read_b128 v[216:219], v2 offset:2016
	;; [unrolled: 1-line block ×3, first 2 shown]
	s_waitcnt vmcnt(0) lgkmcnt(2)
	v_mul_f64 v[214:215], v[208:209], v[206:207]
	v_fmac_f64_e32 v[214:215], v[210:211], v[204:205]
	v_add_f64 v[220:221], v[212:213], v[214:215]
	scratch_load_dwordx4 v[212:215], off, off offset:1008
	s_waitcnt vmcnt(0) lgkmcnt(1)
	v_mul_f64 v[222:223], v[216:217], v[214:215]
	v_fmac_f64_e32 v[222:223], v[218:219], v[212:213]
	v_add_f64 v[228:229], v[220:221], v[222:223]
	scratch_load_dwordx4 v[220:223], off, off offset:1024
	s_waitcnt vmcnt(0) lgkmcnt(0)
	v_mul_f64 v[230:231], v[224:225], v[222:223]
	v_fmac_f64_e32 v[230:231], v[226:227], v[220:221]
	v_add_f64 v[244:245], v[228:229], v[230:231]
	v_add_f64 v[228:229], v[246:247], 0
	;; [unrolled: 1-line block ×8, first 2 shown]
	scratch_load_dwordx4 v[228:231], off, off offset:304
	v_add_f64 v[12:13], v[16:17], v[12:13]
	v_add_f64 v[10:11], v[12:13], v[10:11]
	;; [unrolled: 1-line block ×7, first 2 shown]
	v_accvgpr_read_b32 v6, a130
	v_accvgpr_read_b32 v8, a132
	;; [unrolled: 1-line block ×3, first 2 shown]
	v_add_f64 v[0:1], v[4:5], v[0:1]
	v_accvgpr_read_b32 v7, a131
	v_mul_f64 v[4:5], v[54:55], v[8:9]
	v_add_f64 v[0:1], v[0:1], v[238:239]
	v_fma_f64 v[4:5], v[52:53], v[6:7], -v[4:5]
	v_accvgpr_read_b32 v6, a134
	v_add_f64 v[0:1], v[0:1], v[240:241]
	v_accvgpr_read_b32 v8, a136
	v_accvgpr_read_b32 v9, a137
	v_add_f64 v[0:1], v[0:1], v[4:5]
	v_accvgpr_read_b32 v7, a135
	v_mul_f64 v[4:5], v[110:111], v[8:9]
	v_fma_f64 v[4:5], v[108:109], v[6:7], -v[4:5]
	v_accvgpr_read_b32 v6, a138
	v_accvgpr_read_b32 v8, a140
	;; [unrolled: 1-line block ×3, first 2 shown]
	v_add_f64 v[0:1], v[0:1], v[4:5]
	v_accvgpr_read_b32 v7, a139
	v_mul_f64 v[4:5], v[114:115], v[8:9]
	v_fma_f64 v[4:5], v[112:113], v[6:7], -v[4:5]
	v_add_f64 v[0:1], v[0:1], v[4:5]
	v_mul_f64 v[4:5], v[118:119], v[236:237]
	v_fma_f64 v[4:5], v[116:117], v[234:235], -v[4:5]
	v_add_f64 v[0:1], v[0:1], v[4:5]
	;; [unrolled: 3-line block ×26, first 2 shown]
	s_waitcnt vmcnt(0)
	v_add_f64 v[4:5], v[228:229], -v[0:1]
	v_accvgpr_read_b32 v0, a128
	v_add_f64 v[6:7], v[230:231], -v[244:245]
	v_cmp_lt_u32_e32 vcc, 17, v0
	scratch_store_dwordx4 off, v[4:7], off offset:304
	s_and_saveexec_b64 s[0:1], vcc
	s_cbranch_execz .LBB63_375
; %bb.374:
	scratch_load_dwordx4 v[6:9], off, s74
	v_mov_b32_e32 v3, v2
	v_mov_b32_e32 v4, v2
	;; [unrolled: 1-line block ×3, first 2 shown]
	v_accvgpr_read_b32 v0, a129
	scratch_store_dwordx4 off, v[2:5], off offset:288
	s_waitcnt vmcnt(1)
	ds_write_b128 v0, v[6:9]
.LBB63_375:
	s_or_b64 exec, exec, s[0:1]
	s_waitcnt lgkmcnt(0)
	; wave barrier
	scratch_load_dwordx4 v[80:83], off, off offset:304
	scratch_load_dwordx4 v[84:87], off, off offset:320
	;; [unrolled: 1-line block ×17, first 2 shown]
	ds_read_b128 v[136:139], v2 offset:1312
	ds_read_b128 v[132:135], v2 offset:1328
	scratch_load_dwordx4 v[4:7], off, off offset:576
	ds_read_b128 v[236:239], v2 offset:1344
	ds_read_b128 v[228:231], v2 offset:1360
	;; [unrolled: 1-line block ×5, first 2 shown]
	scratch_load_dwordx4 v[8:11], off, off offset:592
	ds_read_b128 v[232:235], v2 offset:1424
	ds_read_b128 v[216:219], v2 offset:1440
	ds_read_b128 v[160:163], v2 offset:1456
	scratch_load_dwordx4 v[12:15], off, off offset:608
	ds_read_b128 v[220:223], v2 offset:1472
	ds_read_b128 v[172:175], v2 offset:1488
	;; [unrolled: 1-line block ×5, first 2 shown]
	scratch_load_dwordx4 v[16:19], off, off offset:624
	ds_read_b128 v[208:211], v2 offset:1552
	ds_read_b128 v[204:207], v2 offset:1568
	;; [unrolled: 1-line block ×3, first 2 shown]
	scratch_load_dwordx4 v[24:27], off, off offset:640
	scratch_load_dwordx4 v[28:31], off, off offset:656
	scratch_load_dwordx4 v[32:35], off, off offset:672
	scratch_load_dwordx4 v[36:39], off, off offset:688
	scratch_load_dwordx4 v[40:43], off, off offset:704
	scratch_load_dwordx4 v[44:47], off, off offset:720
	scratch_load_dwordx4 v[48:51], off, off offset:736
	scratch_load_dwordx4 v[52:55], off, off offset:752
	ds_read_b128 v[116:119], v2 offset:1632
	ds_read_b128 v[120:123], v2 offset:1648
	;; [unrolled: 1-line block ×4, first 2 shown]
	s_waitcnt vmcnt(28) lgkmcnt(14)
	v_mul_f64 v[0:1], v[136:137], v[82:83]
	s_waitcnt vmcnt(27)
	v_mul_f64 v[56:57], v[132:133], v[86:87]
	v_fmac_f64_e32 v[0:1], v[138:139], v[80:81]
	s_waitcnt vmcnt(26)
	v_mul_f64 v[58:59], v[236:237], v[90:91]
	v_fmac_f64_e32 v[56:57], v[134:135], v[84:85]
	v_add_f64 v[0:1], v[0:1], 0
	s_waitcnt vmcnt(25)
	v_mul_f64 v[60:61], v[228:229], v[94:95]
	v_fmac_f64_e32 v[58:59], v[238:239], v[88:89]
	v_add_f64 v[0:1], v[0:1], v[56:57]
	;; [unrolled: 4-line block ×6, first 2 shown]
	s_waitcnt vmcnt(20) lgkmcnt(13)
	v_mul_f64 v[70:71], v[216:217], v[154:155]
	v_fmac_f64_e32 v[68:69], v[234:235], v[144:145]
	v_add_f64 v[0:1], v[0:1], v[66:67]
	s_waitcnt vmcnt(19) lgkmcnt(12)
	v_mul_f64 v[72:73], v[160:161], v[158:159]
	v_fmac_f64_e32 v[70:71], v[218:219], v[152:153]
	v_add_f64 v[0:1], v[0:1], v[68:69]
	;; [unrolled: 4-line block ×7, first 2 shown]
	v_fmac_f64_e32 v[110:111], v[198:199], v[188:189]
	v_add_f64 v[0:1], v[0:1], v[108:109]
	s_waitcnt vmcnt(13) lgkmcnt(6)
	v_mul_f64 v[112:113], v[208:209], v[194:195]
	v_add_f64 v[0:1], v[0:1], v[110:111]
	scratch_load_dwordx4 v[56:59], off, off offset:768
	scratch_load_dwordx4 v[60:63], off, off offset:784
	ds_read_b128 v[108:111], v2 offset:1600
	s_waitcnt vmcnt(14) lgkmcnt(6)
	v_mul_f64 v[114:115], v[204:205], v[202:203]
	v_fmac_f64_e32 v[112:113], v[210:211], v[192:193]
	v_add_f64 v[0:1], v[0:1], v[112:113]
	v_fmac_f64_e32 v[114:115], v[206:207], v[200:201]
	s_waitcnt vmcnt(13) lgkmcnt(5)
	v_mul_f64 v[64:65], v[20:21], v[6:7]
	v_accvgpr_write_b32 a133, v7
	v_add_f64 v[0:1], v[0:1], v[114:115]
	v_fmac_f64_e32 v[64:65], v[22:23], v[4:5]
	v_accvgpr_write_b32 a132, v6
	v_accvgpr_write_b32 a131, v5
	;; [unrolled: 1-line block ×3, first 2 shown]
	ds_read_b128 v[112:115], v2 offset:1616
	s_waitcnt vmcnt(12)
	v_mov_b64_e32 v[4:5], v[8:9]
	v_mov_b64_e32 v[6:7], v[10:11]
	s_waitcnt lgkmcnt(1)
	v_mul_f64 v[68:69], v[108:109], v[6:7]
	v_fmac_f64_e32 v[68:69], v[110:111], v[4:5]
	s_waitcnt vmcnt(11)
	v_mov_b64_e32 v[4:5], v[12:13]
	v_add_f64 v[0:1], v[0:1], v[64:65]
	v_mov_b64_e32 v[6:7], v[14:15]
	v_add_f64 v[0:1], v[0:1], v[68:69]
	s_waitcnt lgkmcnt(0)
	v_mul_f64 v[68:69], v[112:113], v[6:7]
	scratch_load_dwordx4 v[64:67], off, off offset:800
	v_fmac_f64_e32 v[68:69], v[114:115], v[4:5]
	v_add_f64 v[0:1], v[0:1], v[68:69]
	scratch_load_dwordx4 v[68:71], off, off offset:816
	scratch_load_dwordx4 v[72:75], off, off offset:832
	s_waitcnt vmcnt(13)
	v_mul_f64 v[76:77], v[116:117], v[18:19]
	v_fmac_f64_e32 v[76:77], v[118:119], v[16:17]
	v_add_f64 v[0:1], v[0:1], v[76:77]
	s_waitcnt vmcnt(12)
	v_mul_f64 v[76:77], v[120:121], v[26:27]
	v_fmac_f64_e32 v[76:77], v[122:123], v[24:25]
	v_add_f64 v[0:1], v[0:1], v[76:77]
	scratch_load_dwordx4 v[76:79], off, off offset:848
	v_mul_f64 v[82:83], v[138:139], v[82:83]
	v_fma_f64 v[244:245], v[136:137], v[80:81], -v[82:83]
	scratch_load_dwordx4 v[80:83], off, off offset:864
	v_mul_f64 v[86:87], v[134:135], v[86:87]
	v_fma_f64 v[246:247], v[132:133], v[84:85], -v[86:87]
	scratch_load_dwordx4 v[84:87], off, off offset:880
	s_waitcnt vmcnt(14)
	v_mul_f64 v[136:137], v[124:125], v[30:31]
	v_mul_f64 v[90:91], v[238:239], v[90:91]
	v_fmac_f64_e32 v[136:137], v[126:127], v[28:29]
	v_fma_f64 v[236:237], v[236:237], v[88:89], -v[90:91]
	scratch_load_dwordx4 v[88:91], off, off offset:896
	v_add_f64 v[0:1], v[0:1], v[136:137]
	s_waitcnt vmcnt(14)
	v_mul_f64 v[136:137], v[128:129], v[34:35]
	v_mul_f64 v[94:95], v[230:231], v[94:95]
	v_fmac_f64_e32 v[136:137], v[130:131], v[32:33]
	v_fma_f64 v[238:239], v[228:229], v[92:93], -v[94:95]
	v_mul_f64 v[92:93], v[226:227], v[98:99]
	ds_read_b128 v[132:135], v2 offset:1696
	v_add_f64 v[0:1], v[0:1], v[136:137]
	ds_read_b128 v[136:139], v2 offset:1712
	v_fma_f64 v[248:249], v[224:225], v[96:97], -v[92:93]
	scratch_load_dwordx4 v[96:99], off, off offset:912
	scratch_load_dwordx4 v[92:95], off, off offset:928
	v_mul_f64 v[102:103], v[150:151], v[102:103]
	v_fma_f64 v[250:251], v[148:149], v[100:101], -v[102:103]
	scratch_load_dwordx4 v[100:103], off, off offset:944
	v_mul_f64 v[106:107], v[142:143], v[106:107]
	v_fma_f64 v[252:253], v[140:141], v[104:105], -v[106:107]
	v_mul_f64 v[104:105], v[234:235], v[146:147]
	v_fma_f64 v[254:255], v[232:233], v[144:145], -v[104:105]
	scratch_load_dwordx4 v[104:107], off, off offset:960
	ds_read_b128 v[140:143], v2 offset:1728
	ds_read_b128 v[144:147], v2 offset:1744
	s_waitcnt vmcnt(17) lgkmcnt(3)
	v_mul_f64 v[228:229], v[132:133], v[38:39]
	v_fmac_f64_e32 v[228:229], v[134:135], v[36:37]
	s_waitcnt vmcnt(16) lgkmcnt(2)
	v_mul_f64 v[224:225], v[136:137], v[42:43]
	v_add_f64 v[0:1], v[0:1], v[228:229]
	v_fmac_f64_e32 v[224:225], v[138:139], v[40:41]
	s_waitcnt vmcnt(15) lgkmcnt(1)
	v_mul_f64 v[148:149], v[140:141], v[46:47]
	v_add_f64 v[0:1], v[0:1], v[224:225]
	v_fmac_f64_e32 v[148:149], v[142:143], v[44:45]
	v_add_f64 v[0:1], v[0:1], v[148:149]
	ds_read_b128 v[148:151], v2 offset:1760
	v_mul_f64 v[154:155], v[218:219], v[154:155]
	v_fma_f64 v[240:241], v[216:217], v[152:153], -v[154:155]
	ds_read_b128 v[152:155], v2 offset:1776
	v_accvgpr_write_b32 a141, v15
	v_mul_f64 v[158:159], v[162:163], v[158:159]
	v_accvgpr_write_b32 a140, v14
	v_accvgpr_write_b32 a139, v13
	;; [unrolled: 1-line block ×3, first 2 shown]
	v_fma_f64 v[12:13], v[160:161], v[156:157], -v[158:159]
	ds_read_b128 v[156:159], v2 offset:1792
	ds_read_b128 v[160:163], v2 offset:1808
	s_waitcnt vmcnt(14) lgkmcnt(4)
	v_mul_f64 v[224:225], v[144:145], v[50:51]
	v_fmac_f64_e32 v[224:225], v[146:147], v[48:49]
	s_waitcnt vmcnt(13) lgkmcnt(3)
	v_mul_f64 v[216:217], v[148:149], v[54:55]
	v_add_f64 v[0:1], v[0:1], v[224:225]
	v_fmac_f64_e32 v[216:217], v[150:151], v[52:53]
	s_waitcnt vmcnt(12) lgkmcnt(2)
	v_mul_f64 v[6:7], v[152:153], v[58:59]
	v_add_f64 v[0:1], v[0:1], v[216:217]
	v_fmac_f64_e32 v[6:7], v[154:155], v[56:57]
	v_add_f64 v[0:1], v[0:1], v[6:7]
	s_waitcnt vmcnt(11) lgkmcnt(1)
	v_mul_f64 v[6:7], v[156:157], v[62:63]
	v_fmac_f64_e32 v[6:7], v[158:159], v[60:61]
	v_accvgpr_write_b32 a137, v11
	v_add_f64 v[0:1], v[0:1], v[6:7]
	v_mul_f64 v[6:7], v[222:223], v[166:167]
	v_accvgpr_write_b32 a136, v10
	v_accvgpr_write_b32 a135, v9
	;; [unrolled: 1-line block ×3, first 2 shown]
	v_fma_f64 v[8:9], v[220:221], v[164:165], -v[6:7]
	ds_read_b128 v[164:167], v2 offset:1824
	v_mul_f64 v[170:171], v[174:175], v[170:171]
	v_fma_f64 v[6:7], v[172:173], v[168:169], -v[170:171]
	ds_read_b128 v[168:171], v2 offset:1840
	s_waitcnt vmcnt(10) lgkmcnt(2)
	v_mul_f64 v[216:217], v[160:161], v[66:67]
	v_fmac_f64_e32 v[216:217], v[162:163], v[64:65]
	s_waitcnt vmcnt(9) lgkmcnt(1)
	v_mul_f64 v[10:11], v[164:165], v[70:71]
	v_add_f64 v[0:1], v[0:1], v[216:217]
	v_fmac_f64_e32 v[10:11], v[166:167], v[68:69]
	v_add_f64 v[0:1], v[0:1], v[10:11]
	s_waitcnt vmcnt(8) lgkmcnt(0)
	v_mul_f64 v[10:11], v[168:169], v[74:75]
	v_fmac_f64_e32 v[10:11], v[170:171], v[72:73]
	ds_read_b128 v[172:175], v2 offset:1856
	v_add_f64 v[0:1], v[0:1], v[10:11]
	v_mul_f64 v[10:11], v[214:215], v[178:179]
	v_fma_f64 v[10:11], v[212:213], v[176:177], -v[10:11]
	ds_read_b128 v[176:179], v2 offset:1872
	v_mul_f64 v[182:183], v[186:187], v[182:183]
	v_fma_f64 v[4:5], v[184:185], v[180:181], -v[182:183]
	ds_read_b128 v[180:183], v2 offset:1888
	ds_read_b128 v[184:187], v2 offset:1904
	s_waitcnt vmcnt(7) lgkmcnt(3)
	v_mul_f64 v[212:213], v[172:173], v[78:79]
	v_fmac_f64_e32 v[212:213], v[174:175], v[76:77]
	s_waitcnt vmcnt(6) lgkmcnt(2)
	v_mul_f64 v[14:15], v[176:177], v[82:83]
	v_add_f64 v[0:1], v[0:1], v[212:213]
	v_fmac_f64_e32 v[14:15], v[178:179], v[80:81]
	v_add_f64 v[0:1], v[0:1], v[14:15]
	s_waitcnt vmcnt(5) lgkmcnt(1)
	v_mul_f64 v[14:15], v[180:181], v[86:87]
	v_fmac_f64_e32 v[14:15], v[182:183], v[84:85]
	v_add_f64 v[14:15], v[0:1], v[14:15]
	v_mul_f64 v[0:1], v[198:199], v[190:191]
	v_fma_f64 v[0:1], v[196:197], v[188:189], -v[0:1]
	ds_read_b128 v[188:191], v2 offset:1920
	v_mul_f64 v[194:195], v[210:211], v[194:195]
	s_waitcnt vmcnt(4) lgkmcnt(1)
	v_mul_f64 v[196:197], v[184:185], v[90:91]
	v_fma_f64 v[192:193], v[208:209], v[192:193], -v[194:195]
	v_fmac_f64_e32 v[196:197], v[186:187], v[88:89]
	v_accvgpr_write_b32 a142, v192
	v_accvgpr_write_b32 a143, v193
	ds_read_b128 v[192:195], v2 offset:1936
	v_add_f64 v[14:15], v[14:15], v[196:197]
	s_waitcnt vmcnt(3) lgkmcnt(1)
	v_mul_f64 v[196:197], v[188:189], v[98:99]
	v_fmac_f64_e32 v[196:197], v[190:191], v[96:97]
	v_add_f64 v[14:15], v[14:15], v[196:197]
	ds_read_b128 v[196:199], v2 offset:1952
	v_mul_f64 v[202:203], v[206:207], v[202:203]
	v_fma_f64 v[242:243], v[204:205], v[200:201], -v[202:203]
	ds_read_b128 v[200:203], v2 offset:1968
	s_waitcnt vmcnt(2) lgkmcnt(2)
	v_mul_f64 v[204:205], v[192:193], v[94:95]
	v_fmac_f64_e32 v[204:205], v[194:195], v[92:93]
	v_add_f64 v[14:15], v[14:15], v[204:205]
	s_waitcnt vmcnt(1) lgkmcnt(1)
	v_mul_f64 v[204:205], v[196:197], v[102:103]
	v_fmac_f64_e32 v[204:205], v[198:199], v[100:101]
	v_add_f64 v[14:15], v[14:15], v[204:205]
	s_waitcnt vmcnt(0) lgkmcnt(0)
	v_mul_f64 v[204:205], v[200:201], v[106:107]
	v_fmac_f64_e32 v[204:205], v[202:203], v[104:105]
	v_add_f64 v[14:15], v[14:15], v[204:205]
	scratch_load_dwordx4 v[204:207], off, off offset:976
	scratch_load_dwordx4 v[232:235], off, off offset:1024
	ds_read_b128 v[208:211], v2 offset:1984
	ds_read_b128 v[216:219], v2 offset:2000
	;; [unrolled: 1-line block ×3, first 2 shown]
	s_waitcnt vmcnt(1) lgkmcnt(2)
	v_mul_f64 v[212:213], v[208:209], v[206:207]
	v_fmac_f64_e32 v[212:213], v[210:211], v[204:205]
	v_add_f64 v[14:15], v[14:15], v[212:213]
	scratch_load_dwordx4 v[212:215], off, off offset:992
	s_waitcnt vmcnt(0) lgkmcnt(1)
	v_mul_f64 v[220:221], v[216:217], v[214:215]
	v_fmac_f64_e32 v[220:221], v[218:219], v[212:213]
	v_add_f64 v[14:15], v[14:15], v[220:221]
	scratch_load_dwordx4 v[220:223], off, off offset:1008
	s_waitcnt vmcnt(0) lgkmcnt(0)
	v_mul_f64 v[228:229], v[224:225], v[222:223]
	v_fmac_f64_e32 v[228:229], v[226:227], v[220:221]
	v_add_f64 v[14:15], v[14:15], v[228:229]
	ds_read_b128 v[228:231], v2 offset:2032
	s_waitcnt lgkmcnt(0)
	v_mul_f64 v[2:3], v[228:229], v[234:235]
	v_fmac_f64_e32 v[2:3], v[230:231], v[232:233]
	v_add_f64 v[2:3], v[14:15], v[2:3]
	v_add_f64 v[14:15], v[244:245], 0
	;; [unrolled: 1-line block ×5, first 2 shown]
	scratch_load_dwordx4 v[236:239], off, off offset:288
	v_add_f64 v[14:15], v[14:15], v[248:249]
	v_add_f64 v[14:15], v[14:15], v[250:251]
	;; [unrolled: 1-line block ×10, first 2 shown]
	v_accvgpr_read_b32 v6, a130
	v_add_f64 v[244:245], v[4:5], v[0:1]
	v_accvgpr_read_b32 v0, a142
	v_accvgpr_read_b32 v8, a132
	;; [unrolled: 1-line block ×5, first 2 shown]
	v_mul_f64 v[4:5], v[22:23], v[8:9]
	v_add_f64 v[0:1], v[244:245], v[0:1]
	v_fma_f64 v[4:5], v[20:21], v[6:7], -v[4:5]
	v_accvgpr_read_b32 v6, a134
	v_add_f64 v[0:1], v[0:1], v[242:243]
	v_accvgpr_read_b32 v8, a136
	v_accvgpr_read_b32 v9, a137
	v_add_f64 v[0:1], v[0:1], v[4:5]
	v_accvgpr_read_b32 v7, a135
	v_mul_f64 v[4:5], v[110:111], v[8:9]
	v_fma_f64 v[4:5], v[108:109], v[6:7], -v[4:5]
	v_accvgpr_read_b32 v6, a138
	v_accvgpr_read_b32 v8, a140
	;; [unrolled: 1-line block ×3, first 2 shown]
	v_add_f64 v[0:1], v[0:1], v[4:5]
	v_accvgpr_read_b32 v7, a139
	v_mul_f64 v[4:5], v[114:115], v[8:9]
	v_fma_f64 v[4:5], v[112:113], v[6:7], -v[4:5]
	v_add_f64 v[0:1], v[0:1], v[4:5]
	v_mul_f64 v[4:5], v[118:119], v[18:19]
	v_fma_f64 v[4:5], v[116:117], v[16:17], -v[4:5]
	v_add_f64 v[0:1], v[0:1], v[4:5]
	;; [unrolled: 3-line block ×27, first 2 shown]
	s_waitcnt vmcnt(0)
	v_add_f64 v[4:5], v[236:237], -v[0:1]
	v_accvgpr_read_b32 v0, a128
	v_add_f64 v[6:7], v[238:239], -v[2:3]
	v_cmp_lt_u32_e32 vcc, 16, v0
	scratch_store_dwordx4 off, v[4:7], off offset:288
	s_and_saveexec_b64 s[0:1], vcc
	s_cbranch_execz .LBB63_377
; %bb.376:
	scratch_load_dwordx4 v[2:5], off, s73
	v_mov_b32_e32 v6, 0
	v_mov_b32_e32 v7, v6
	;; [unrolled: 1-line block ×4, first 2 shown]
	v_accvgpr_read_b32 v0, a129
	scratch_store_dwordx4 off, v[6:9], off offset:272
	s_waitcnt vmcnt(1)
	ds_write_b128 v0, v[2:5]
.LBB63_377:
	s_or_b64 exec, exec, s[0:1]
	s_waitcnt lgkmcnt(0)
	; wave barrier
	scratch_load_dwordx4 v[68:71], off, off offset:288
	scratch_load_dwordx4 v[72:75], off, off offset:304
	;; [unrolled: 1-line block ×28, first 2 shown]
	v_mov_b32_e32 v2, 0
	ds_read_b128 v[124:127], v2 offset:1296
	ds_read_b128 v[128:131], v2 offset:1312
	;; [unrolled: 1-line block ×23, first 2 shown]
	s_waitcnt vmcnt(27) lgkmcnt(14)
	v_mul_f64 v[0:1], v[124:125], v[70:71]
	s_waitcnt vmcnt(26)
	v_mul_f64 v[40:41], v[128:129], v[74:75]
	v_fmac_f64_e32 v[0:1], v[126:127], v[68:69]
	s_waitcnt vmcnt(25)
	v_mul_f64 v[42:43], v[132:133], v[78:79]
	v_fmac_f64_e32 v[40:41], v[130:131], v[72:73]
	v_add_f64 v[0:1], v[0:1], 0
	s_waitcnt vmcnt(24)
	v_mul_f64 v[44:45], v[136:137], v[82:83]
	v_fmac_f64_e32 v[42:43], v[134:135], v[76:77]
	v_add_f64 v[0:1], v[0:1], v[40:41]
	;; [unrolled: 4-line block ×7, first 2 shown]
	s_waitcnt vmcnt(18) lgkmcnt(13)
	v_mul_f64 v[56:57], v[200:201], v[146:147]
	v_fmac_f64_e32 v[54:55], v[194:195], v[112:113]
	v_add_f64 v[0:1], v[0:1], v[52:53]
	s_waitcnt vmcnt(17) lgkmcnt(12)
	v_mul_f64 v[58:59], v[204:205], v[150:151]
	v_fmac_f64_e32 v[56:57], v[202:203], v[144:145]
	v_add_f64 v[0:1], v[0:1], v[54:55]
	s_waitcnt vmcnt(16) lgkmcnt(11)
	v_mul_f64 v[60:61], v[208:209], v[154:155]
	v_fmac_f64_e32 v[58:59], v[206:207], v[148:149]
	v_add_f64 v[0:1], v[0:1], v[56:57]
	s_waitcnt vmcnt(15) lgkmcnt(10)
	v_mul_f64 v[62:63], v[212:213], v[162:163]
	v_fmac_f64_e32 v[60:61], v[210:211], v[152:153]
	v_add_f64 v[0:1], v[0:1], v[58:59]
	s_waitcnt vmcnt(14) lgkmcnt(9)
	v_mul_f64 v[64:65], v[216:217], v[166:167]
	v_fmac_f64_e32 v[62:63], v[214:215], v[160:161]
	v_add_f64 v[0:1], v[0:1], v[60:61]
	s_waitcnt vmcnt(13) lgkmcnt(8)
	v_mul_f64 v[66:67], v[220:221], v[174:175]
	v_fmac_f64_e32 v[64:65], v[218:219], v[164:165]
	v_add_f64 v[0:1], v[0:1], v[62:63]
	s_waitcnt vmcnt(12) lgkmcnt(7)
	v_mul_f64 v[100:101], v[224:225], v[178:179]
	v_fmac_f64_e32 v[66:67], v[222:223], v[172:173]
	v_add_f64 v[0:1], v[0:1], v[64:65]
	scratch_load_dwordx4 v[40:43], off, off offset:736
	scratch_load_dwordx4 v[44:47], off, off offset:752
	s_waitcnt vmcnt(13) lgkmcnt(6)
	v_mul_f64 v[102:103], v[228:229], v[186:187]
	v_fmac_f64_e32 v[100:101], v[226:227], v[176:177]
	v_add_f64 v[0:1], v[0:1], v[66:67]
	v_add_f64 v[0:1], v[0:1], v[100:101]
	v_fmac_f64_e32 v[102:103], v[230:231], v[184:185]
	v_add_f64 v[0:1], v[0:1], v[102:103]
	ds_read_b128 v[100:103], v2 offset:1600
	s_waitcnt vmcnt(12) lgkmcnt(6)
	v_mul_f64 v[48:49], v[238:239], v[190:191]
	v_fmac_f64_e32 v[48:49], v[240:241], v[188:189]
	v_add_f64 v[0:1], v[0:1], v[48:49]
	s_waitcnt vmcnt(11) lgkmcnt(5)
	v_mul_f64 v[48:49], v[242:243], v[198:199]
	v_fmac_f64_e32 v[48:49], v[244:245], v[196:197]
	v_add_f64 v[0:1], v[0:1], v[48:49]
	scratch_load_dwordx4 v[48:51], off, off offset:768
	scratch_load_dwordx4 v[52:55], off, off offset:784
	s_waitcnt vmcnt(12) lgkmcnt(0)
	v_mul_f64 v[56:57], v[100:101], v[6:7]
	v_accvgpr_write_b32 a133, v7
	v_fmac_f64_e32 v[56:57], v[102:103], v[4:5]
	v_accvgpr_write_b32 a132, v6
	v_accvgpr_write_b32 a131, v5
	;; [unrolled: 1-line block ×3, first 2 shown]
	s_waitcnt vmcnt(11)
	v_mov_b64_e32 v[4:5], v[8:9]
	v_mov_b64_e32 v[6:7], v[10:11]
	v_add_f64 v[0:1], v[0:1], v[56:57]
	v_mul_f64 v[56:57], v[104:105], v[6:7]
	v_fmac_f64_e32 v[56:57], v[106:107], v[4:5]
	v_add_f64 v[0:1], v[0:1], v[56:57]
	scratch_load_dwordx4 v[56:59], off, off offset:800
	s_waitcnt vmcnt(11)
	v_mov_b64_e32 v[4:5], v[12:13]
	v_mov_b64_e32 v[6:7], v[14:15]
	v_mul_f64 v[60:61], v[108:109], v[6:7]
	v_fmac_f64_e32 v[60:61], v[110:111], v[4:5]
	s_waitcnt vmcnt(10)
	v_mov_b64_e32 v[4:5], v[16:17]
	v_mov_b64_e32 v[6:7], v[18:19]
	v_add_f64 v[0:1], v[0:1], v[60:61]
	scratch_load_dwordx4 v[60:63], off, off offset:816
	v_mul_f64 v[64:65], v[116:117], v[6:7]
	v_fmac_f64_e32 v[64:65], v[118:119], v[4:5]
	v_add_f64 v[0:1], v[0:1], v[64:65]
	scratch_load_dwordx4 v[64:67], off, off offset:832
	v_mul_f64 v[70:71], v[126:127], v[70:71]
	v_fma_f64 v[246:247], v[124:125], v[68:69], -v[70:71]
	s_waitcnt vmcnt(11)
	v_mul_f64 v[124:125], v[120:121], v[236:237]
	scratch_load_dwordx4 v[68:71], off, off offset:848
	v_fmac_f64_e32 v[124:125], v[122:123], v[234:235]
	v_mul_f64 v[74:75], v[130:131], v[74:75]
	v_mul_f64 v[78:79], v[134:135], v[78:79]
	v_add_f64 v[0:1], v[0:1], v[124:125]
	v_fma_f64 v[248:249], v[128:129], v[72:73], -v[74:75]
	ds_read_b128 v[124:127], v2 offset:1680
	ds_read_b128 v[128:131], v2 offset:1696
	scratch_load_dwordx4 v[72:75], off, off offset:864
	v_fma_f64 v[250:251], v[132:133], v[76:77], -v[78:79]
	v_mul_f64 v[76:77], v[138:139], v[82:83]
	v_fma_f64 v[252:253], v[136:137], v[80:81], -v[76:77]
	scratch_load_dwordx4 v[76:79], off, off offset:880
	s_waitcnt vmcnt(13) lgkmcnt(1)
	v_mul_f64 v[132:133], v[124:125], v[26:27]
	v_fmac_f64_e32 v[132:133], v[126:127], v[24:25]
	v_add_f64 v[0:1], v[0:1], v[132:133]
	s_waitcnt vmcnt(12) lgkmcnt(0)
	v_mul_f64 v[132:133], v[128:129], v[30:31]
	scratch_load_dwordx4 v[80:83], off, off offset:896
	v_fmac_f64_e32 v[132:133], v[130:131], v[28:29]
	v_mul_f64 v[86:87], v[142:143], v[86:87]
	v_add_f64 v[0:1], v[0:1], v[132:133]
	v_fma_f64 v[254:255], v[140:141], v[84:85], -v[86:87]
	ds_read_b128 v[132:135], v2 offset:1712
	v_mul_f64 v[84:85], v[158:159], v[90:91]
	v_fma_f64 v[232:233], v[156:157], v[88:89], -v[84:85]
	scratch_load_dwordx4 v[88:91], off, off offset:912
	scratch_load_dwordx4 v[84:87], off, off offset:928
	v_accvgpr_write_b32 a145, v19
	s_waitcnt vmcnt(14) lgkmcnt(0)
	v_mul_f64 v[6:7], v[132:133], v[34:35]
	v_fmac_f64_e32 v[6:7], v[134:135], v[32:33]
	v_mul_f64 v[94:95], v[170:171], v[94:95]
	v_add_f64 v[0:1], v[0:1], v[6:7]
	v_mul_f64 v[6:7], v[182:183], v[98:99]
	v_accvgpr_write_b32 a144, v18
	v_accvgpr_write_b32 a143, v17
	;; [unrolled: 1-line block ×3, first 2 shown]
	v_fma_f64 v[20:21], v[168:169], v[92:93], -v[94:95]
	ds_read_b128 v[136:139], v2 offset:1728
	v_fma_f64 v[16:17], v[180:181], v[96:97], -v[6:7]
	scratch_load_dwordx4 v[96:99], off, off offset:944
	scratch_load_dwordx4 v[92:95], off, off offset:960
	v_accvgpr_write_b32 a141, v15
	v_mul_f64 v[6:7], v[194:195], v[114:115]
	v_accvgpr_write_b32 a140, v14
	v_accvgpr_write_b32 a139, v13
	;; [unrolled: 1-line block ×3, first 2 shown]
	v_fma_f64 v[12:13], v[192:193], v[112:113], -v[6:7]
	scratch_load_dwordx4 v[112:115], off, off offset:976
	ds_read_b128 v[140:143], v2 offset:1744
	s_waitcnt vmcnt(16) lgkmcnt(1)
	v_mul_f64 v[6:7], v[136:137], v[38:39]
	v_fmac_f64_e32 v[6:7], v[138:139], v[36:37]
	v_accvgpr_write_b32 a137, v11
	v_add_f64 v[0:1], v[0:1], v[6:7]
	v_mul_f64 v[6:7], v[202:203], v[146:147]
	v_accvgpr_write_b32 a136, v10
	v_accvgpr_write_b32 a135, v9
	;; [unrolled: 1-line block ×3, first 2 shown]
	v_fma_f64 v[10:11], v[200:201], v[144:145], -v[6:7]
	ds_read_b128 v[144:147], v2 offset:1760
	s_waitcnt vmcnt(15) lgkmcnt(1)
	v_mul_f64 v[6:7], v[140:141], v[42:43]
	v_fmac_f64_e32 v[6:7], v[142:143], v[40:41]
	v_add_f64 v[0:1], v[0:1], v[6:7]
	v_mul_f64 v[6:7], v[206:207], v[150:151]
	v_fma_f64 v[14:15], v[204:205], v[148:149], -v[6:7]
	ds_read_b128 v[148:151], v2 offset:1776
	v_mul_f64 v[154:155], v[210:211], v[154:155]
	v_fma_f64 v[8:9], v[208:209], v[152:153], -v[154:155]
	ds_read_b128 v[152:155], v2 offset:1792
	s_waitcnt vmcnt(14) lgkmcnt(2)
	v_mul_f64 v[6:7], v[144:145], v[46:47]
	v_fmac_f64_e32 v[6:7], v[146:147], v[44:45]
	v_add_f64 v[0:1], v[0:1], v[6:7]
	s_waitcnt vmcnt(13) lgkmcnt(1)
	v_mul_f64 v[6:7], v[148:149], v[50:51]
	ds_read_b128 v[156:159], v2 offset:1808
	v_fmac_f64_e32 v[6:7], v[150:151], v[48:49]
	v_add_f64 v[0:1], v[0:1], v[6:7]
	s_waitcnt vmcnt(12) lgkmcnt(1)
	v_mul_f64 v[6:7], v[152:153], v[54:55]
	v_fmac_f64_e32 v[6:7], v[154:155], v[52:53]
	v_add_f64 v[0:1], v[0:1], v[6:7]
	v_mul_f64 v[6:7], v[214:215], v[162:163]
	v_fma_f64 v[18:19], v[212:213], v[160:161], -v[6:7]
	ds_read_b128 v[160:163], v2 offset:1824
	s_waitcnt vmcnt(11) lgkmcnt(1)
	v_mul_f64 v[6:7], v[156:157], v[58:59]
	v_fmac_f64_e32 v[6:7], v[158:159], v[56:57]
	v_add_f64 v[0:1], v[0:1], v[6:7]
	v_mul_f64 v[6:7], v[218:219], v[166:167]
	v_fma_f64 v[4:5], v[216:217], v[164:165], -v[6:7]
	ds_read_b128 v[164:167], v2 offset:1840
	ds_read_b128 v[168:171], v2 offset:1856
	s_waitcnt vmcnt(10) lgkmcnt(2)
	v_mul_f64 v[6:7], v[160:161], v[62:63]
	v_fmac_f64_e32 v[6:7], v[162:163], v[60:61]
	v_add_f64 v[0:1], v[0:1], v[6:7]
	s_waitcnt vmcnt(9) lgkmcnt(1)
	v_mul_f64 v[6:7], v[164:165], v[66:67]
	v_fmac_f64_e32 v[6:7], v[166:167], v[64:65]
	v_add_f64 v[0:1], v[0:1], v[6:7]
	v_mul_f64 v[6:7], v[222:223], v[174:175]
	v_fma_f64 v[22:23], v[220:221], v[172:173], -v[6:7]
	ds_read_b128 v[172:175], v2 offset:1872
	v_mul_f64 v[6:7], v[226:227], v[178:179]
	v_fma_f64 v[6:7], v[224:225], v[176:177], -v[6:7]
	ds_read_b128 v[176:179], v2 offset:1888
	s_waitcnt vmcnt(8) lgkmcnt(2)
	v_mul_f64 v[180:181], v[168:169], v[70:71]
	v_fmac_f64_e32 v[180:181], v[170:171], v[68:69]
	v_add_f64 v[0:1], v[0:1], v[180:181]
	s_waitcnt vmcnt(7) lgkmcnt(1)
	v_mul_f64 v[180:181], v[172:173], v[74:75]
	v_fmac_f64_e32 v[180:181], v[174:175], v[72:73]
	s_waitcnt vmcnt(6) lgkmcnt(0)
	v_mul_f64 v[192:193], v[176:177], v[78:79]
	v_add_f64 v[0:1], v[0:1], v[180:181]
	v_fmac_f64_e32 v[192:193], v[178:179], v[76:77]
	ds_read_b128 v[180:183], v2 offset:1904
	v_add_f64 v[192:193], v[0:1], v[192:193]
	v_mul_f64 v[0:1], v[230:231], v[186:187]
	v_fma_f64 v[0:1], v[228:229], v[184:185], -v[0:1]
	ds_read_b128 v[184:187], v2 offset:1920
	s_waitcnt vmcnt(5) lgkmcnt(1)
	v_mul_f64 v[194:195], v[180:181], v[82:83]
	v_fmac_f64_e32 v[194:195], v[182:183], v[80:81]
	v_mul_f64 v[190:191], v[240:241], v[190:191]
	v_add_f64 v[192:193], v[192:193], v[194:195]
	v_fma_f64 v[238:239], v[238:239], v[188:189], -v[190:191]
	ds_read_b128 v[188:191], v2 offset:1936
	s_waitcnt vmcnt(4) lgkmcnt(1)
	v_mul_f64 v[194:195], v[184:185], v[90:91]
	v_fmac_f64_e32 v[194:195], v[186:187], v[88:89]
	v_add_f64 v[200:201], v[192:193], v[194:195]
	ds_read_b128 v[192:195], v2 offset:1952
	v_mul_f64 v[198:199], v[244:245], v[198:199]
	v_fma_f64 v[240:241], v[242:243], v[196:197], -v[198:199]
	ds_read_b128 v[196:199], v2 offset:1968
	ds_read_b128 v[208:211], v2 offset:2000
	s_waitcnt vmcnt(3) lgkmcnt(3)
	v_mul_f64 v[202:203], v[188:189], v[86:87]
	v_fmac_f64_e32 v[202:203], v[190:191], v[84:85]
	v_add_f64 v[200:201], v[200:201], v[202:203]
	s_waitcnt vmcnt(2) lgkmcnt(2)
	v_mul_f64 v[202:203], v[192:193], v[98:99]
	v_fmac_f64_e32 v[202:203], v[194:195], v[96:97]
	v_add_f64 v[200:201], v[200:201], v[202:203]
	s_waitcnt vmcnt(1) lgkmcnt(1)
	v_mul_f64 v[202:203], v[196:197], v[94:95]
	v_fmac_f64_e32 v[202:203], v[198:199], v[92:93]
	v_add_f64 v[204:205], v[200:201], v[202:203]
	ds_read_b128 v[200:203], v2 offset:1984
	ds_read_b128 v[216:219], v2 offset:2016
	;; [unrolled: 1-line block ×3, first 2 shown]
	s_waitcnt vmcnt(0) lgkmcnt(2)
	v_mul_f64 v[206:207], v[200:201], v[114:115]
	v_fmac_f64_e32 v[206:207], v[202:203], v[112:113]
	v_add_f64 v[212:213], v[204:205], v[206:207]
	scratch_load_dwordx4 v[204:207], off, off offset:992
	s_waitcnt vmcnt(0)
	v_mul_f64 v[214:215], v[208:209], v[206:207]
	v_fmac_f64_e32 v[214:215], v[210:211], v[204:205]
	v_add_f64 v[220:221], v[212:213], v[214:215]
	scratch_load_dwordx4 v[212:215], off, off offset:1008
	s_waitcnt vmcnt(0) lgkmcnt(1)
	v_mul_f64 v[222:223], v[216:217], v[214:215]
	v_fmac_f64_e32 v[222:223], v[218:219], v[212:213]
	v_add_f64 v[228:229], v[220:221], v[222:223]
	scratch_load_dwordx4 v[220:223], off, off offset:1024
	s_waitcnt vmcnt(0) lgkmcnt(0)
	v_mul_f64 v[230:231], v[224:225], v[222:223]
	v_fmac_f64_e32 v[230:231], v[226:227], v[220:221]
	v_add_f64 v[244:245], v[228:229], v[230:231]
	v_add_f64 v[228:229], v[246:247], 0
	;; [unrolled: 1-line block ×8, first 2 shown]
	scratch_load_dwordx4 v[228:231], off, off offset:272
	v_add_f64 v[16:17], v[20:21], v[16:17]
	v_add_f64 v[12:13], v[16:17], v[12:13]
	;; [unrolled: 1-line block ×9, first 2 shown]
	v_accvgpr_read_b32 v6, a130
	v_accvgpr_read_b32 v8, a132
	;; [unrolled: 1-line block ×3, first 2 shown]
	v_add_f64 v[0:1], v[4:5], v[0:1]
	v_accvgpr_read_b32 v7, a131
	v_mul_f64 v[4:5], v[102:103], v[8:9]
	v_add_f64 v[0:1], v[0:1], v[238:239]
	v_fma_f64 v[4:5], v[100:101], v[6:7], -v[4:5]
	v_accvgpr_read_b32 v6, a134
	v_add_f64 v[0:1], v[0:1], v[240:241]
	v_accvgpr_read_b32 v8, a136
	v_accvgpr_read_b32 v9, a137
	v_add_f64 v[0:1], v[0:1], v[4:5]
	v_accvgpr_read_b32 v7, a135
	v_mul_f64 v[4:5], v[106:107], v[8:9]
	v_fma_f64 v[4:5], v[104:105], v[6:7], -v[4:5]
	v_accvgpr_read_b32 v6, a138
	v_accvgpr_read_b32 v8, a140
	;; [unrolled: 1-line block ×3, first 2 shown]
	v_add_f64 v[0:1], v[0:1], v[4:5]
	v_accvgpr_read_b32 v7, a139
	v_mul_f64 v[4:5], v[110:111], v[8:9]
	v_fma_f64 v[4:5], v[108:109], v[6:7], -v[4:5]
	v_accvgpr_read_b32 v6, a142
	v_accvgpr_read_b32 v8, a144
	;; [unrolled: 1-line block ×3, first 2 shown]
	v_add_f64 v[0:1], v[0:1], v[4:5]
	v_accvgpr_read_b32 v7, a143
	v_mul_f64 v[4:5], v[118:119], v[8:9]
	v_fma_f64 v[4:5], v[116:117], v[6:7], -v[4:5]
	v_add_f64 v[0:1], v[0:1], v[4:5]
	v_mul_f64 v[4:5], v[122:123], v[236:237]
	v_fma_f64 v[4:5], v[120:121], v[234:235], -v[4:5]
	v_add_f64 v[0:1], v[0:1], v[4:5]
	;; [unrolled: 3-line block ×25, first 2 shown]
	s_waitcnt vmcnt(0)
	v_add_f64 v[4:5], v[228:229], -v[0:1]
	v_accvgpr_read_b32 v0, a128
	v_add_f64 v[6:7], v[230:231], -v[244:245]
	v_cmp_lt_u32_e32 vcc, 15, v0
	scratch_store_dwordx4 off, v[4:7], off offset:272
	s_and_saveexec_b64 s[0:1], vcc
	s_cbranch_execz .LBB63_379
; %bb.378:
	scratch_load_dwordx4 v[6:9], off, s72
	v_mov_b32_e32 v3, v2
	v_mov_b32_e32 v4, v2
	;; [unrolled: 1-line block ×3, first 2 shown]
	v_accvgpr_read_b32 v0, a129
	scratch_store_dwordx4 off, v[2:5], off offset:256
	s_waitcnt vmcnt(1)
	ds_write_b128 v0, v[6:9]
.LBB63_379:
	s_or_b64 exec, exec, s[0:1]
	s_waitcnt lgkmcnt(0)
	; wave barrier
	scratch_load_dwordx4 v[40:43], off, off offset:272
	scratch_load_dwordx4 v[44:47], off, off offset:288
	;; [unrolled: 1-line block ×18, first 2 shown]
	ds_read_b128 v[164:167], v2 offset:1280
	ds_read_b128 v[232:235], v2 offset:1296
	;; [unrolled: 1-line block ×6, first 2 shown]
	scratch_load_dwordx4 v[140:143], off, off offset:560
	ds_read_b128 v[224:227], v2 offset:1376
	ds_read_b128 v[212:215], v2 offset:1392
	;; [unrolled: 1-line block ×3, first 2 shown]
	scratch_load_dwordx4 v[4:7], off, off offset:576
	ds_read_b128 v[228:231], v2 offset:1424
	ds_read_b128 v[216:219], v2 offset:1440
	ds_read_b128 v[188:191], v2 offset:1456
	ds_read_b128 v[204:207], v2 offset:1472
	ds_read_b128 v[192:195], v2 offset:1488
	scratch_load_dwordx4 v[8:11], off, off offset:592
	ds_read_b128 v[208:211], v2 offset:1504
	ds_read_b128 v[196:199], v2 offset:1520
	;; [unrolled: 1-line block ×3, first 2 shown]
	scratch_load_dwordx4 v[12:15], off, off offset:608
	ds_read_b128 v[200:203], v2 offset:1552
	scratch_load_dwordx4 v[16:19], off, off offset:624
	scratch_load_dwordx4 v[20:23], off, off offset:640
	;; [unrolled: 1-line block ×7, first 2 shown]
	ds_read_b128 v[236:239], v2 offset:1568
	ds_read_b128 v[156:159], v2 offset:1632
	;; [unrolled: 1-line block ×4, first 2 shown]
	s_waitcnt vmcnt(28) lgkmcnt(14)
	v_mul_f64 v[0:1], v[164:165], v[42:43]
	s_waitcnt vmcnt(27)
	v_mul_f64 v[108:109], v[232:233], v[46:47]
	v_fmac_f64_e32 v[0:1], v[166:167], v[40:41]
	s_waitcnt vmcnt(26)
	v_mul_f64 v[110:111], v[168:169], v[50:51]
	v_fmac_f64_e32 v[108:109], v[234:235], v[44:45]
	v_add_f64 v[0:1], v[0:1], 0
	s_waitcnt vmcnt(25)
	v_mul_f64 v[116:117], v[220:221], v[54:55]
	v_fmac_f64_e32 v[110:111], v[170:171], v[48:49]
	v_add_f64 v[0:1], v[0:1], v[108:109]
	;; [unrolled: 4-line block ×6, first 2 shown]
	s_waitcnt vmcnt(20) lgkmcnt(13)
	v_mul_f64 v[126:127], v[180:181], v[78:79]
	v_fmac_f64_e32 v[124:125], v[214:215], v[68:69]
	v_add_f64 v[0:1], v[0:1], v[122:123]
	s_waitcnt vmcnt(19) lgkmcnt(12)
	v_mul_f64 v[128:129], v[228:229], v[82:83]
	v_fmac_f64_e32 v[126:127], v[182:183], v[76:77]
	v_add_f64 v[0:1], v[0:1], v[124:125]
	;; [unrolled: 4-line block ×9, first 2 shown]
	v_add_f64 v[0:1], v[0:1], v[148:149]
	v_fmac_f64_e32 v[150:151], v[186:187], v[112:113]
	s_waitcnt vmcnt(11) lgkmcnt(4)
	v_mul_f64 v[116:117], v[200:201], v[138:139]
	v_add_f64 v[0:1], v[0:1], v[150:151]
	v_fmac_f64_e32 v[116:117], v[202:203], v[136:137]
	v_add_f64 v[0:1], v[0:1], v[116:117]
	ds_read_b128 v[144:147], v2 offset:1584
	s_waitcnt vmcnt(10) lgkmcnt(4)
	v_mul_f64 v[116:117], v[236:237], v[142:143]
	scratch_load_dwordx4 v[108:111], off, off offset:736
	v_fmac_f64_e32 v[116:117], v[238:239], v[140:141]
	v_add_f64 v[0:1], v[0:1], v[116:117]
	scratch_load_dwordx4 v[116:119], off, off offset:752
	ds_read_b128 v[148:151], v2 offset:1600
	scratch_load_dwordx4 v[120:123], off, off offset:768
	s_waitcnt vmcnt(12) lgkmcnt(1)
	v_mul_f64 v[124:125], v[144:145], v[6:7]
	v_fmac_f64_e32 v[124:125], v[146:147], v[4:5]
	v_add_f64 v[0:1], v[0:1], v[124:125]
	s_waitcnt vmcnt(11) lgkmcnt(0)
	v_mul_f64 v[124:125], v[148:149], v[10:11]
	v_fmac_f64_e32 v[124:125], v[150:151], v[8:9]
	s_waitcnt vmcnt(10)
	v_mul_f64 v[128:129], v[152:153], v[14:15]
	v_add_f64 v[0:1], v[0:1], v[124:125]
	scratch_load_dwordx4 v[124:127], off, off offset:784
	v_fmac_f64_e32 v[128:129], v[154:155], v[12:13]
	v_add_f64 v[0:1], v[0:1], v[128:129]
	scratch_load_dwordx4 v[128:131], off, off offset:800
	s_waitcnt vmcnt(11)
	v_mul_f64 v[132:133], v[156:157], v[18:19]
	v_fmac_f64_e32 v[132:133], v[158:159], v[16:17]
	v_add_f64 v[0:1], v[0:1], v[132:133]
	scratch_load_dwordx4 v[132:135], off, off offset:816
	v_mul_f64 v[42:43], v[166:167], v[42:43]
	v_fma_f64 v[244:245], v[164:165], v[40:41], -v[42:43]
	scratch_load_dwordx4 v[40:43], off, off offset:832
	v_mul_f64 v[46:47], v[234:235], v[46:47]
	v_fma_f64 v[246:247], v[232:233], v[44:45], -v[46:47]
	scratch_load_dwordx4 v[44:47], off, off offset:848
	v_mul_f64 v[50:51], v[170:171], v[50:51]
	v_fma_f64 v[248:249], v[168:169], v[48:49], -v[50:51]
	v_mul_f64 v[48:49], v[222:223], v[54:55]
	v_fma_f64 v[250:251], v[220:221], v[52:53], -v[48:49]
	scratch_load_dwordx4 v[48:51], off, off offset:864
	scratch_load_dwordx4 v[52:55], off, off offset:880
	s_waitcnt vmcnt(15)
	v_mul_f64 v[164:165], v[160:161], v[22:23]
	v_fmac_f64_e32 v[164:165], v[162:163], v[20:21]
	v_add_f64 v[0:1], v[0:1], v[164:165]
	ds_read_b128 v[164:167], v2 offset:1664
	ds_read_b128 v[168:171], v2 offset:1680
	v_mul_f64 v[58:59], v[174:175], v[58:59]
	v_fma_f64 v[252:253], v[172:173], v[56:57], -v[58:59]
	ds_read_b128 v[172:175], v2 offset:1696
	v_mul_f64 v[56:57], v[178:179], v[62:63]
	v_fma_f64 v[254:255], v[176:177], v[60:61], -v[56:57]
	scratch_load_dwordx4 v[60:63], off, off offset:896
	scratch_load_dwordx4 v[56:59], off, off offset:912
	s_waitcnt vmcnt(16) lgkmcnt(2)
	v_mul_f64 v[232:233], v[164:165], v[34:35]
	v_fmac_f64_e32 v[232:233], v[166:167], v[32:33]
	s_waitcnt vmcnt(15) lgkmcnt(1)
	v_mul_f64 v[220:221], v[168:169], v[38:39]
	v_mul_f64 v[66:67], v[226:227], v[66:67]
	v_add_f64 v[0:1], v[0:1], v[232:233]
	v_fmac_f64_e32 v[220:221], v[170:171], v[36:37]
	v_fma_f64 v[240:241], v[224:225], v[64:65], -v[66:67]
	s_waitcnt vmcnt(14) lgkmcnt(0)
	v_mul_f64 v[64:65], v[172:173], v[30:31]
	v_add_f64 v[0:1], v[0:1], v[220:221]
	v_fmac_f64_e32 v[64:65], v[174:175], v[28:29]
	v_accvgpr_write_b32 a157, v23
	v_add_f64 v[0:1], v[0:1], v[64:65]
	v_mul_f64 v[64:65], v[214:215], v[70:71]
	v_accvgpr_write_b32 a156, v22
	v_accvgpr_write_b32 a155, v21
	;; [unrolled: 1-line block ×3, first 2 shown]
	ds_read_b128 v[176:179], v2 offset:1712
	v_fma_f64 v[20:21], v[212:213], v[68:69], -v[64:65]
	scratch_load_dwordx4 v[68:71], off, off offset:928
	scratch_load_dwordx4 v[64:67], off, off offset:944
	v_accvgpr_write_b32 a141, v7
	v_accvgpr_write_b32 a140, v6
	;; [unrolled: 1-line block ×5, first 2 shown]
	v_mul_f64 v[6:7], v[182:183], v[78:79]
	v_accvgpr_write_b32 a152, v18
	v_accvgpr_write_b32 a151, v17
	;; [unrolled: 1-line block ×3, first 2 shown]
	v_fma_f64 v[16:17], v[180:181], v[76:77], -v[6:7]
	s_waitcnt vmcnt(15) lgkmcnt(0)
	v_mul_f64 v[76:77], v[176:177], v[26:27]
	v_fmac_f64_e32 v[76:77], v[178:179], v[24:25]
	v_accvgpr_write_b32 a149, v15
	v_add_f64 v[0:1], v[0:1], v[76:77]
	v_mul_f64 v[76:77], v[230:231], v[82:83]
	v_accvgpr_write_b32 a148, v14
	v_accvgpr_write_b32 a147, v13
	v_accvgpr_write_b32 a146, v12
	v_fma_f64 v[12:13], v[228:229], v[80:81], -v[76:77]
	scratch_load_dwordx4 v[76:79], off, off offset:960
	scratch_load_dwordx4 v[232:235], off, off offset:1024
	ds_read_b128 v[180:183], v2 offset:1728
	ds_read_b128 v[80:83], v2 offset:1744
	v_accvgpr_write_b32 a145, v11
	v_accvgpr_write_b32 a144, v10
	;; [unrolled: 1-line block ×4, first 2 shown]
	s_waitcnt vmcnt(16) lgkmcnt(1)
	v_mul_f64 v[10:11], v[180:181], v[74:75]
	v_fmac_f64_e32 v[10:11], v[182:183], v[72:73]
	v_add_f64 v[0:1], v[0:1], v[10:11]
	v_mul_f64 v[10:11], v[218:219], v[86:87]
	v_fma_f64 v[10:11], v[216:217], v[84:85], -v[10:11]
	ds_read_b128 v[84:87], v2 offset:1760
	v_mul_f64 v[90:91], v[190:191], v[90:91]
	v_fma_f64 v[8:9], v[188:189], v[88:89], -v[90:91]
	ds_read_b128 v[88:91], v2 offset:1776
	s_waitcnt vmcnt(15) lgkmcnt(2)
	v_mul_f64 v[212:213], v[80:81], v[110:111]
	v_fmac_f64_e32 v[212:213], v[82:83], v[108:109]
	s_waitcnt vmcnt(14) lgkmcnt(1)
	v_mul_f64 v[14:15], v[84:85], v[118:119]
	v_add_f64 v[0:1], v[0:1], v[212:213]
	v_fmac_f64_e32 v[14:15], v[86:87], v[116:117]
	v_add_f64 v[0:1], v[0:1], v[14:15]
	s_waitcnt vmcnt(13) lgkmcnt(0)
	v_mul_f64 v[14:15], v[88:89], v[122:123]
	v_fmac_f64_e32 v[14:15], v[90:91], v[120:121]
	ds_read_b128 v[188:191], v2 offset:1792
	v_add_f64 v[0:1], v[0:1], v[14:15]
	v_mul_f64 v[14:15], v[206:207], v[94:95]
	v_fma_f64 v[14:15], v[204:205], v[92:93], -v[14:15]
	ds_read_b128 v[92:95], v2 offset:1808
	v_mul_f64 v[98:99], v[194:195], v[98:99]
	v_fma_f64 v[6:7], v[192:193], v[96:97], -v[98:99]
	ds_read_b128 v[96:99], v2 offset:1824
	ds_read_b128 v[192:195], v2 offset:1840
	s_waitcnt vmcnt(12) lgkmcnt(3)
	v_mul_f64 v[204:205], v[188:189], v[126:127]
	v_fmac_f64_e32 v[204:205], v[190:191], v[124:125]
	s_waitcnt vmcnt(11) lgkmcnt(2)
	v_mul_f64 v[18:19], v[92:93], v[130:131]
	v_add_f64 v[0:1], v[0:1], v[204:205]
	v_fmac_f64_e32 v[18:19], v[94:95], v[128:129]
	v_add_f64 v[0:1], v[0:1], v[18:19]
	s_waitcnt vmcnt(10) lgkmcnt(1)
	v_mul_f64 v[18:19], v[96:97], v[134:135]
	v_fmac_f64_e32 v[18:19], v[98:99], v[132:133]
	v_add_f64 v[0:1], v[0:1], v[18:19]
	v_mul_f64 v[18:19], v[210:211], v[102:103]
	v_fma_f64 v[18:19], v[208:209], v[100:101], -v[18:19]
	ds_read_b128 v[100:103], v2 offset:1856
	v_mul_f64 v[106:107], v[198:199], v[106:107]
	v_fma_f64 v[4:5], v[196:197], v[104:105], -v[106:107]
	ds_read_b128 v[104:107], v2 offset:1872
	s_waitcnt vmcnt(9) lgkmcnt(2)
	v_mul_f64 v[204:205], v[192:193], v[42:43]
	v_fmac_f64_e32 v[204:205], v[194:195], v[40:41]
	s_waitcnt vmcnt(8) lgkmcnt(1)
	v_mul_f64 v[22:23], v[100:101], v[46:47]
	v_add_f64 v[0:1], v[0:1], v[204:205]
	v_fmac_f64_e32 v[22:23], v[102:103], v[44:45]
	v_add_f64 v[0:1], v[0:1], v[22:23]
	s_waitcnt vmcnt(7) lgkmcnt(0)
	v_mul_f64 v[22:23], v[104:105], v[50:51]
	ds_read_b128 v[196:199], v2 offset:1888
	v_fmac_f64_e32 v[22:23], v[106:107], v[48:49]
	v_add_f64 v[0:1], v[0:1], v[22:23]
	v_mul_f64 v[22:23], v[186:187], v[114:115]
	v_fma_f64 v[22:23], v[184:185], v[112:113], -v[22:23]
	ds_read_b128 v[112:115], v2 offset:1904
	s_waitcnt vmcnt(6) lgkmcnt(1)
	v_mul_f64 v[184:185], v[196:197], v[54:55]
	v_fmac_f64_e32 v[184:185], v[198:199], v[52:53]
	v_add_f64 v[184:185], v[0:1], v[184:185]
	v_mul_f64 v[0:1], v[202:203], v[138:139]
	v_fma_f64 v[0:1], v[200:201], v[136:137], -v[0:1]
	ds_read_b128 v[136:139], v2 offset:1920
	s_waitcnt vmcnt(5) lgkmcnt(1)
	v_mul_f64 v[186:187], v[112:113], v[62:63]
	v_fmac_f64_e32 v[186:187], v[114:115], v[60:61]
	v_add_f64 v[200:201], v[184:185], v[186:187]
	ds_read_b128 v[184:187], v2 offset:1936
	v_mul_f64 v[142:143], v[238:239], v[142:143]
	v_fma_f64 v[242:243], v[236:237], v[140:141], -v[142:143]
	ds_read_b128 v[140:143], v2 offset:1952
	ds_read_b128 v[208:211], v2 offset:1984
	s_waitcnt vmcnt(4) lgkmcnt(3)
	v_mul_f64 v[202:203], v[136:137], v[58:59]
	v_fmac_f64_e32 v[202:203], v[138:139], v[56:57]
	v_add_f64 v[200:201], v[200:201], v[202:203]
	s_waitcnt vmcnt(3) lgkmcnt(2)
	v_mul_f64 v[202:203], v[184:185], v[70:71]
	v_fmac_f64_e32 v[202:203], v[186:187], v[68:69]
	v_add_f64 v[200:201], v[200:201], v[202:203]
	;; [unrolled: 4-line block ×3, first 2 shown]
	ds_read_b128 v[200:203], v2 offset:1968
	ds_read_b128 v[216:219], v2 offset:2000
	;; [unrolled: 1-line block ×3, first 2 shown]
	s_waitcnt vmcnt(1) lgkmcnt(2)
	v_mul_f64 v[206:207], v[200:201], v[78:79]
	v_fmac_f64_e32 v[206:207], v[202:203], v[76:77]
	v_add_f64 v[212:213], v[204:205], v[206:207]
	scratch_load_dwordx4 v[204:207], off, off offset:976
	s_waitcnt vmcnt(0)
	v_mul_f64 v[214:215], v[208:209], v[206:207]
	v_fmac_f64_e32 v[214:215], v[210:211], v[204:205]
	v_add_f64 v[220:221], v[212:213], v[214:215]
	scratch_load_dwordx4 v[212:215], off, off offset:992
	s_waitcnt vmcnt(0) lgkmcnt(1)
	v_mul_f64 v[222:223], v[216:217], v[214:215]
	v_fmac_f64_e32 v[222:223], v[218:219], v[212:213]
	v_add_f64 v[228:229], v[220:221], v[222:223]
	scratch_load_dwordx4 v[220:223], off, off offset:1008
	s_waitcnt vmcnt(0) lgkmcnt(0)
	v_mul_f64 v[230:231], v[224:225], v[222:223]
	v_fmac_f64_e32 v[230:231], v[226:227], v[220:221]
	v_add_f64 v[236:237], v[228:229], v[230:231]
	ds_read_b128 v[228:231], v2 offset:2032
	s_waitcnt lgkmcnt(0)
	v_mul_f64 v[2:3], v[228:229], v[234:235]
	v_fmac_f64_e32 v[2:3], v[230:231], v[232:233]
	v_add_f64 v[2:3], v[236:237], v[2:3]
	v_add_f64 v[236:237], v[244:245], 0
	v_add_f64 v[236:237], v[236:237], v[246:247]
	v_add_f64 v[236:237], v[236:237], v[248:249]
	v_add_f64 v[236:237], v[236:237], v[250:251]
	v_add_f64 v[236:237], v[236:237], v[252:253]
	v_add_f64 v[236:237], v[236:237], v[254:255]
	v_add_f64 v[236:237], v[236:237], v[240:241]
	v_add_f64 v[20:21], v[236:237], v[20:21]
	scratch_load_dwordx4 v[236:239], off, off offset:256
	v_add_f64 v[16:17], v[20:21], v[16:17]
	v_add_f64 v[12:13], v[16:17], v[12:13]
	;; [unrolled: 1-line block ×8, first 2 shown]
	v_accvgpr_read_b32 v6, a138
	v_accvgpr_read_b32 v8, a140
	;; [unrolled: 1-line block ×3, first 2 shown]
	v_add_f64 v[244:245], v[4:5], v[22:23]
	v_accvgpr_read_b32 v7, a139
	v_mul_f64 v[4:5], v[146:147], v[8:9]
	v_add_f64 v[0:1], v[244:245], v[0:1]
	v_fma_f64 v[4:5], v[144:145], v[6:7], -v[4:5]
	v_accvgpr_read_b32 v6, a142
	v_add_f64 v[0:1], v[0:1], v[242:243]
	v_accvgpr_read_b32 v8, a144
	v_accvgpr_read_b32 v9, a145
	v_add_f64 v[0:1], v[0:1], v[4:5]
	v_accvgpr_read_b32 v7, a143
	v_mul_f64 v[4:5], v[150:151], v[8:9]
	v_fma_f64 v[4:5], v[148:149], v[6:7], -v[4:5]
	v_accvgpr_read_b32 v6, a146
	v_accvgpr_read_b32 v8, a148
	v_accvgpr_read_b32 v9, a149
	v_add_f64 v[0:1], v[0:1], v[4:5]
	v_accvgpr_read_b32 v7, a147
	v_mul_f64 v[4:5], v[154:155], v[8:9]
	v_fma_f64 v[4:5], v[152:153], v[6:7], -v[4:5]
	v_accvgpr_read_b32 v6, a150
	;; [unrolled: 7-line block ×3, first 2 shown]
	v_accvgpr_read_b32 v8, a156
	v_accvgpr_read_b32 v9, a157
	v_add_f64 v[0:1], v[0:1], v[4:5]
	v_accvgpr_read_b32 v7, a155
	v_mul_f64 v[4:5], v[162:163], v[8:9]
	v_fma_f64 v[4:5], v[160:161], v[6:7], -v[4:5]
	v_add_f64 v[0:1], v[0:1], v[4:5]
	v_mul_f64 v[4:5], v[166:167], v[34:35]
	v_fma_f64 v[4:5], v[164:165], v[32:33], -v[4:5]
	v_add_f64 v[0:1], v[0:1], v[4:5]
	;; [unrolled: 3-line block ×25, first 2 shown]
	s_waitcnt vmcnt(0)
	v_add_f64 v[4:5], v[236:237], -v[0:1]
	v_accvgpr_read_b32 v0, a128
	v_add_f64 v[6:7], v[238:239], -v[2:3]
	v_cmp_lt_u32_e32 vcc, 14, v0
	scratch_store_dwordx4 off, v[4:7], off offset:256
	s_and_saveexec_b64 s[0:1], vcc
	s_cbranch_execz .LBB63_381
; %bb.380:
	scratch_load_dwordx4 v[2:5], off, s71
	v_mov_b32_e32 v6, 0
	v_mov_b32_e32 v7, v6
	;; [unrolled: 1-line block ×4, first 2 shown]
	v_accvgpr_read_b32 v0, a129
	scratch_store_dwordx4 off, v[6:9], off offset:240
	s_waitcnt vmcnt(1)
	ds_write_b128 v0, v[2:5]
.LBB63_381:
	s_or_b64 exec, exec, s[0:1]
	s_waitcnt lgkmcnt(0)
	; wave barrier
	scratch_load_dwordx4 v[56:59], off, off offset:256
	scratch_load_dwordx4 v[60:63], off, off offset:272
	;; [unrolled: 1-line block ×28, first 2 shown]
	v_mov_b32_e32 v2, 0
	ds_read_b128 v[116:119], v2 offset:1264
	ds_read_b128 v[120:123], v2 offset:1280
	;; [unrolled: 1-line block ×22, first 2 shown]
	s_waitcnt vmcnt(27) lgkmcnt(14)
	v_mul_f64 v[0:1], v[116:117], v[58:59]
	s_waitcnt vmcnt(26)
	v_mul_f64 v[32:33], v[120:121], v[62:63]
	v_fmac_f64_e32 v[0:1], v[118:119], v[56:57]
	s_waitcnt vmcnt(25)
	v_mul_f64 v[34:35], v[124:125], v[66:67]
	v_fmac_f64_e32 v[32:33], v[122:123], v[60:61]
	v_add_f64 v[0:1], v[0:1], 0
	v_fmac_f64_e32 v[34:35], v[126:127], v[64:65]
	v_add_f64 v[0:1], v[0:1], v[32:33]
	v_add_f64 v[0:1], v[0:1], v[34:35]
	scratch_load_dwordx4 v[32:35], off, off offset:704
	s_waitcnt vmcnt(25)
	v_mul_f64 v[36:37], v[128:129], v[70:71]
	s_waitcnt vmcnt(24)
	v_mul_f64 v[38:39], v[132:133], v[74:75]
	v_fmac_f64_e32 v[36:37], v[130:131], v[68:69]
	s_waitcnt vmcnt(23)
	v_mul_f64 v[40:41], v[140:141], v[78:79]
	v_fmac_f64_e32 v[38:39], v[134:135], v[72:73]
	v_add_f64 v[0:1], v[0:1], v[36:37]
	s_waitcnt vmcnt(22)
	v_mul_f64 v[42:43], v[152:153], v[82:83]
	v_fmac_f64_e32 v[40:41], v[142:143], v[76:77]
	v_add_f64 v[0:1], v[0:1], v[38:39]
	s_waitcnt vmcnt(21)
	v_mul_f64 v[44:45], v[164:165], v[86:87]
	v_fmac_f64_e32 v[42:43], v[154:155], v[80:81]
	v_add_f64 v[0:1], v[0:1], v[40:41]
	s_waitcnt vmcnt(20) lgkmcnt(13)
	v_mul_f64 v[46:47], v[176:177], v[94:95]
	v_fmac_f64_e32 v[44:45], v[166:167], v[84:85]
	v_add_f64 v[0:1], v[0:1], v[42:43]
	s_waitcnt vmcnt(19) lgkmcnt(12)
	v_mul_f64 v[48:49], v[188:189], v[98:99]
	v_fmac_f64_e32 v[46:47], v[178:179], v[92:93]
	v_add_f64 v[0:1], v[0:1], v[44:45]
	;; [unrolled: 4-line block ×9, first 2 shown]
	v_add_f64 v[0:1], v[0:1], v[104:105]
	v_fmac_f64_e32 v[106:107], v[222:223], v[168:169]
	s_waitcnt vmcnt(11) lgkmcnt(4)
	v_mul_f64 v[40:41], v[224:225], v[174:175]
	v_add_f64 v[0:1], v[0:1], v[106:107]
	v_fmac_f64_e32 v[40:41], v[226:227], v[172:173]
	scratch_load_dwordx4 v[36:39], off, off offset:720
	v_add_f64 v[0:1], v[0:1], v[40:41]
	s_waitcnt vmcnt(11) lgkmcnt(3)
	v_mul_f64 v[40:41], v[228:229], v[182:183]
	v_fmac_f64_e32 v[40:41], v[230:231], v[180:181]
	s_waitcnt vmcnt(10) lgkmcnt(2)
	v_mul_f64 v[44:45], v[238:239], v[186:187]
	v_add_f64 v[0:1], v[0:1], v[40:41]
	v_fmac_f64_e32 v[44:45], v[240:241], v[184:185]
	scratch_load_dwordx4 v[40:43], off, off offset:736
	ds_read_b128 v[88:91], v2 offset:1600
	v_add_f64 v[0:1], v[0:1], v[44:45]
	s_waitcnt vmcnt(10) lgkmcnt(2)
	v_mul_f64 v[44:45], v[242:243], v[194:195]
	v_fmac_f64_e32 v[44:45], v[244:245], v[192:193]
	v_add_f64 v[0:1], v[0:1], v[44:45]
	scratch_load_dwordx4 v[44:47], off, off offset:752
	ds_read_b128 v[104:107], v2 offset:1616
	s_waitcnt vmcnt(10) lgkmcnt(1)
	v_mul_f64 v[48:49], v[88:89], v[6:7]
	v_accvgpr_write_b32 a133, v7
	v_fmac_f64_e32 v[48:49], v[90:91], v[4:5]
	v_accvgpr_write_b32 a132, v6
	v_accvgpr_write_b32 a131, v5
	;; [unrolled: 1-line block ×3, first 2 shown]
	s_waitcnt vmcnt(9)
	v_mov_b64_e32 v[4:5], v[8:9]
	v_add_f64 v[0:1], v[0:1], v[48:49]
	scratch_load_dwordx4 v[48:51], off, off offset:768
	v_mov_b64_e32 v[6:7], v[10:11]
	s_waitcnt lgkmcnt(0)
	v_mul_f64 v[52:53], v[104:105], v[6:7]
	v_fmac_f64_e32 v[52:53], v[106:107], v[4:5]
	v_add_f64 v[0:1], v[0:1], v[52:53]
	scratch_load_dwordx4 v[52:55], off, off offset:784
	v_mul_f64 v[58:59], v[118:119], v[58:59]
	v_fma_f64 v[246:247], v[116:117], v[56:57], -v[58:59]
	scratch_load_dwordx4 v[56:59], off, off offset:800
	s_waitcnt vmcnt(11)
	v_mov_b64_e32 v[4:5], v[12:13]
	v_mov_b64_e32 v[6:7], v[14:15]
	v_mul_f64 v[112:113], v[108:109], v[6:7]
	v_fmac_f64_e32 v[112:113], v[110:111], v[4:5]
	v_mul_f64 v[62:63], v[122:123], v[62:63]
	v_add_f64 v[0:1], v[0:1], v[112:113]
	ds_read_b128 v[112:115], v2 offset:1648
	ds_read_b128 v[116:119], v2 offset:1664
	v_fma_f64 v[248:249], v[120:121], v[60:61], -v[62:63]
	scratch_load_dwordx4 v[60:63], off, off offset:816
	v_mul_f64 v[66:67], v[126:127], v[66:67]
	v_fma_f64 v[250:251], v[124:125], v[64:65], -v[66:67]
	scratch_load_dwordx4 v[64:67], off, off offset:832
	s_waitcnt vmcnt(12)
	v_mov_b64_e32 v[4:5], v[16:17]
	v_mov_b64_e32 v[6:7], v[18:19]
	s_waitcnt lgkmcnt(1)
	v_mul_f64 v[120:121], v[112:113], v[6:7]
	v_fmac_f64_e32 v[120:121], v[114:115], v[4:5]
	s_waitcnt vmcnt(11)
	v_mov_b64_e32 v[4:5], v[20:21]
	v_mov_b64_e32 v[6:7], v[22:23]
	v_mul_f64 v[70:71], v[130:131], v[70:71]
	v_add_f64 v[0:1], v[0:1], v[120:121]
	s_waitcnt lgkmcnt(0)
	v_mul_f64 v[120:121], v[116:117], v[6:7]
	v_fma_f64 v[252:253], v[128:129], v[68:69], -v[70:71]
	scratch_load_dwordx4 v[68:71], off, off offset:848
	v_fmac_f64_e32 v[120:121], v[118:119], v[4:5]
	v_mul_f64 v[74:75], v[134:135], v[74:75]
	v_add_f64 v[0:1], v[0:1], v[120:121]
	ds_read_b128 v[120:123], v2 offset:1680
	ds_read_b128 v[124:127], v2 offset:1696
	v_fma_f64 v[254:255], v[132:133], v[72:73], -v[74:75]
	scratch_load_dwordx4 v[72:75], off, off offset:864
	v_mul_f64 v[78:79], v[142:143], v[78:79]
	v_fma_f64 v[232:233], v[140:141], v[76:77], -v[78:79]
	scratch_load_dwordx4 v[76:79], off, off offset:880
	s_waitcnt vmcnt(13) lgkmcnt(1)
	v_mul_f64 v[128:129], v[120:121], v[236:237]
	v_fmac_f64_e32 v[128:129], v[122:123], v[234:235]
	v_mul_f64 v[82:83], v[154:155], v[82:83]
	s_waitcnt vmcnt(12) lgkmcnt(0)
	v_mul_f64 v[6:7], v[124:125], v[30:31]
	v_add_f64 v[0:1], v[0:1], v[128:129]
	v_fma_f64 v[24:25], v[152:153], v[80:81], -v[82:83]
	v_fmac_f64_e32 v[6:7], v[126:127], v[28:29]
	scratch_load_dwordx4 v[80:83], off, off offset:896
	v_accvgpr_write_b32 a149, v23
	v_add_f64 v[0:1], v[0:1], v[6:7]
	v_mul_f64 v[6:7], v[166:167], v[86:87]
	v_accvgpr_write_b32 a148, v22
	v_accvgpr_write_b32 a147, v21
	;; [unrolled: 1-line block ×3, first 2 shown]
	v_fma_f64 v[20:21], v[164:165], v[84:85], -v[6:7]
	scratch_load_dwordx4 v[84:87], off, off offset:912
	ds_read_b128 v[132:135], v2 offset:1712
	ds_read_b128 v[128:131], v2 offset:1728
	v_accvgpr_write_b32 a145, v19
	v_mul_f64 v[6:7], v[178:179], v[94:95]
	v_accvgpr_write_b32 a141, v15
	v_accvgpr_write_b32 a144, v18
	;; [unrolled: 1-line block ×4, first 2 shown]
	v_fma_f64 v[16:17], v[176:177], v[92:93], -v[6:7]
	v_mul_f64 v[6:7], v[190:191], v[98:99]
	v_accvgpr_write_b32 a140, v14
	v_accvgpr_write_b32 a139, v13
	;; [unrolled: 1-line block ×3, first 2 shown]
	v_fma_f64 v[12:13], v[188:189], v[96:97], -v[6:7]
	scratch_load_dwordx4 v[96:99], off, off offset:928
	scratch_load_dwordx4 v[92:95], off, off offset:944
	s_waitcnt vmcnt(15) lgkmcnt(1)
	v_mul_f64 v[6:7], v[132:133], v[34:35]
	v_fmac_f64_e32 v[6:7], v[134:135], v[32:33]
	v_add_f64 v[0:1], v[0:1], v[6:7]
	v_mul_f64 v[6:7], v[198:199], v[102:103]
	v_fma_f64 v[14:15], v[196:197], v[100:101], -v[6:7]
	scratch_load_dwordx4 v[100:103], off, off offset:960
	v_accvgpr_write_b32 a137, v11
	v_mul_f64 v[6:7], v[202:203], v[138:139]
	v_accvgpr_write_b32 a136, v10
	v_accvgpr_write_b32 a135, v9
	;; [unrolled: 1-line block ×3, first 2 shown]
	v_fma_f64 v[10:11], v[200:201], v[136:137], -v[6:7]
	ds_read_b128 v[136:139], v2 offset:1744
	ds_read_b128 v[140:143], v2 offset:1760
	s_waitcnt vmcnt(15) lgkmcnt(2)
	v_mul_f64 v[6:7], v[128:129], v[38:39]
	v_fmac_f64_e32 v[6:7], v[130:131], v[36:37]
	v_add_f64 v[0:1], v[0:1], v[6:7]
	s_waitcnt vmcnt(14) lgkmcnt(1)
	v_mul_f64 v[6:7], v[136:137], v[42:43]
	v_fmac_f64_e32 v[6:7], v[138:139], v[40:41]
	v_add_f64 v[0:1], v[0:1], v[6:7]
	v_mul_f64 v[6:7], v[206:207], v[146:147]
	v_fma_f64 v[18:19], v[204:205], v[144:145], -v[6:7]
	ds_read_b128 v[144:147], v2 offset:1776
	s_waitcnt vmcnt(13) lgkmcnt(1)
	v_mul_f64 v[6:7], v[140:141], v[46:47]
	v_fmac_f64_e32 v[6:7], v[142:143], v[44:45]
	v_add_f64 v[0:1], v[0:1], v[6:7]
	v_mul_f64 v[6:7], v[210:211], v[150:151]
	v_fma_f64 v[8:9], v[208:209], v[148:149], -v[6:7]
	ds_read_b128 v[148:151], v2 offset:1792
	s_waitcnt vmcnt(12) lgkmcnt(1)
	v_mul_f64 v[6:7], v[144:145], v[50:51]
	ds_read_b128 v[152:155], v2 offset:1808
	v_fmac_f64_e32 v[6:7], v[146:147], v[48:49]
	v_add_f64 v[0:1], v[0:1], v[6:7]
	v_mul_f64 v[6:7], v[214:215], v[158:159]
	v_fma_f64 v[22:23], v[212:213], v[156:157], -v[6:7]
	s_waitcnt vmcnt(11) lgkmcnt(1)
	v_mul_f64 v[6:7], v[148:149], v[54:55]
	v_fmac_f64_e32 v[6:7], v[150:151], v[52:53]
	ds_read_b128 v[156:159], v2 offset:1824
	v_add_f64 v[0:1], v[0:1], v[6:7]
	s_waitcnt vmcnt(10) lgkmcnt(1)
	v_mul_f64 v[6:7], v[152:153], v[58:59]
	v_fmac_f64_e32 v[6:7], v[154:155], v[56:57]
	v_add_f64 v[0:1], v[0:1], v[6:7]
	v_mul_f64 v[6:7], v[218:219], v[162:163]
	v_fma_f64 v[4:5], v[216:217], v[160:161], -v[6:7]
	ds_read_b128 v[160:163], v2 offset:1840
	ds_read_b128 v[164:167], v2 offset:1856
	s_waitcnt vmcnt(9) lgkmcnt(2)
	v_mul_f64 v[6:7], v[156:157], v[62:63]
	v_fmac_f64_e32 v[6:7], v[158:159], v[60:61]
	v_add_f64 v[0:1], v[0:1], v[6:7]
	s_waitcnt vmcnt(8) lgkmcnt(1)
	v_mul_f64 v[6:7], v[160:161], v[66:67]
	v_fmac_f64_e32 v[6:7], v[162:163], v[64:65]
	v_add_f64 v[0:1], v[0:1], v[6:7]
	v_mul_f64 v[6:7], v[222:223], v[170:171]
	v_fma_f64 v[26:27], v[220:221], v[168:169], -v[6:7]
	ds_read_b128 v[168:171], v2 offset:1872
	v_mul_f64 v[6:7], v[226:227], v[174:175]
	v_fma_f64 v[6:7], v[224:225], v[172:173], -v[6:7]
	ds_read_b128 v[172:175], v2 offset:1888
	s_waitcnt vmcnt(7) lgkmcnt(2)
	v_mul_f64 v[176:177], v[164:165], v[70:71]
	v_fmac_f64_e32 v[176:177], v[166:167], v[68:69]
	v_add_f64 v[0:1], v[0:1], v[176:177]
	s_waitcnt vmcnt(6) lgkmcnt(1)
	v_mul_f64 v[176:177], v[168:169], v[74:75]
	v_fmac_f64_e32 v[176:177], v[170:171], v[72:73]
	v_add_f64 v[0:1], v[0:1], v[176:177]
	s_waitcnt vmcnt(5) lgkmcnt(0)
	v_mul_f64 v[188:189], v[172:173], v[78:79]
	ds_read_b128 v[176:179], v2 offset:1904
	v_fmac_f64_e32 v[188:189], v[174:175], v[76:77]
	v_add_f64 v[188:189], v[0:1], v[188:189]
	v_mul_f64 v[0:1], v[230:231], v[182:183]
	v_fma_f64 v[0:1], v[228:229], v[180:181], -v[0:1]
	ds_read_b128 v[180:183], v2 offset:1920
	v_mul_f64 v[186:187], v[240:241], v[186:187]
	s_waitcnt vmcnt(4) lgkmcnt(1)
	v_mul_f64 v[190:191], v[176:177], v[82:83]
	v_fma_f64 v[238:239], v[238:239], v[184:185], -v[186:187]
	ds_read_b128 v[184:187], v2 offset:1936
	v_fmac_f64_e32 v[190:191], v[178:179], v[80:81]
	v_add_f64 v[196:197], v[188:189], v[190:191]
	ds_read_b128 v[188:191], v2 offset:1952
	s_waitcnt vmcnt(3) lgkmcnt(2)
	v_mul_f64 v[198:199], v[180:181], v[86:87]
	v_mul_f64 v[194:195], v[244:245], v[194:195]
	v_fmac_f64_e32 v[198:199], v[182:183], v[84:85]
	v_fma_f64 v[240:241], v[242:243], v[192:193], -v[194:195]
	ds_read_b128 v[192:195], v2 offset:1968
	ds_read_b128 v[200:203], v2 offset:1984
	v_add_f64 v[196:197], v[196:197], v[198:199]
	s_waitcnt vmcnt(2) lgkmcnt(3)
	v_mul_f64 v[198:199], v[184:185], v[98:99]
	v_fmac_f64_e32 v[198:199], v[186:187], v[96:97]
	v_add_f64 v[196:197], v[196:197], v[198:199]
	s_waitcnt vmcnt(1) lgkmcnt(2)
	v_mul_f64 v[198:199], v[188:189], v[94:95]
	v_fmac_f64_e32 v[198:199], v[190:191], v[92:93]
	;; [unrolled: 4-line block ×3, first 2 shown]
	v_add_f64 v[204:205], v[196:197], v[198:199]
	scratch_load_dwordx4 v[196:199], off, off offset:976
	ds_read_b128 v[208:211], v2 offset:2000
	ds_read_b128 v[216:219], v2 offset:2016
	;; [unrolled: 1-line block ×3, first 2 shown]
	s_waitcnt vmcnt(0) lgkmcnt(3)
	v_mul_f64 v[206:207], v[200:201], v[198:199]
	v_fmac_f64_e32 v[206:207], v[202:203], v[196:197]
	v_add_f64 v[212:213], v[204:205], v[206:207]
	scratch_load_dwordx4 v[204:207], off, off offset:992
	s_waitcnt vmcnt(0) lgkmcnt(2)
	v_mul_f64 v[214:215], v[208:209], v[206:207]
	v_fmac_f64_e32 v[214:215], v[210:211], v[204:205]
	v_add_f64 v[220:221], v[212:213], v[214:215]
	scratch_load_dwordx4 v[212:215], off, off offset:1008
	;; [unrolled: 5-line block ×3, first 2 shown]
	s_waitcnt vmcnt(0) lgkmcnt(0)
	v_mul_f64 v[230:231], v[224:225], v[222:223]
	v_fmac_f64_e32 v[230:231], v[226:227], v[220:221]
	v_add_f64 v[244:245], v[228:229], v[230:231]
	v_add_f64 v[228:229], v[246:247], 0
	;; [unrolled: 1-line block ×8, first 2 shown]
	scratch_load_dwordx4 v[228:231], off, off offset:240
	v_add_f64 v[20:21], v[24:25], v[20:21]
	v_add_f64 v[16:17], v[20:21], v[16:17]
	;; [unrolled: 1-line block ×11, first 2 shown]
	v_accvgpr_read_b32 v6, a130
	v_accvgpr_read_b32 v8, a132
	;; [unrolled: 1-line block ×3, first 2 shown]
	v_add_f64 v[0:1], v[4:5], v[0:1]
	v_accvgpr_read_b32 v7, a131
	v_mul_f64 v[4:5], v[90:91], v[8:9]
	v_add_f64 v[0:1], v[0:1], v[238:239]
	v_fma_f64 v[4:5], v[88:89], v[6:7], -v[4:5]
	v_accvgpr_read_b32 v6, a134
	v_add_f64 v[0:1], v[0:1], v[240:241]
	v_accvgpr_read_b32 v8, a136
	v_accvgpr_read_b32 v9, a137
	v_add_f64 v[0:1], v[0:1], v[4:5]
	v_accvgpr_read_b32 v7, a135
	v_mul_f64 v[4:5], v[106:107], v[8:9]
	v_fma_f64 v[4:5], v[104:105], v[6:7], -v[4:5]
	v_accvgpr_read_b32 v6, a138
	v_accvgpr_read_b32 v8, a140
	v_accvgpr_read_b32 v9, a141
	v_add_f64 v[0:1], v[0:1], v[4:5]
	v_accvgpr_read_b32 v7, a139
	v_mul_f64 v[4:5], v[110:111], v[8:9]
	v_fma_f64 v[4:5], v[108:109], v[6:7], -v[4:5]
	v_accvgpr_read_b32 v6, a142
	;; [unrolled: 7-line block ×3, first 2 shown]
	v_accvgpr_read_b32 v8, a148
	v_accvgpr_read_b32 v9, a149
	v_add_f64 v[0:1], v[0:1], v[4:5]
	v_accvgpr_read_b32 v7, a147
	v_mul_f64 v[4:5], v[118:119], v[8:9]
	v_fma_f64 v[4:5], v[116:117], v[6:7], -v[4:5]
	v_add_f64 v[0:1], v[0:1], v[4:5]
	v_mul_f64 v[4:5], v[122:123], v[236:237]
	v_fma_f64 v[4:5], v[120:121], v[234:235], -v[4:5]
	v_add_f64 v[0:1], v[0:1], v[4:5]
	;; [unrolled: 3-line block ×24, first 2 shown]
	s_waitcnt vmcnt(0)
	v_add_f64 v[4:5], v[228:229], -v[0:1]
	v_accvgpr_read_b32 v0, a128
	v_add_f64 v[6:7], v[230:231], -v[244:245]
	v_cmp_lt_u32_e32 vcc, 13, v0
	scratch_store_dwordx4 off, v[4:7], off offset:240
	s_and_saveexec_b64 s[0:1], vcc
	s_cbranch_execz .LBB63_383
; %bb.382:
	scratch_load_dwordx4 v[6:9], off, s70
	v_mov_b32_e32 v3, v2
	v_mov_b32_e32 v4, v2
	v_mov_b32_e32 v5, v2
	v_accvgpr_read_b32 v0, a129
	scratch_store_dwordx4 off, v[2:5], off offset:224
	s_waitcnt vmcnt(1)
	ds_write_b128 v0, v[6:9]
.LBB63_383:
	s_or_b64 exec, exec, s[0:1]
	s_waitcnt lgkmcnt(0)
	; wave barrier
	scratch_load_dwordx4 v[56:59], off, off offset:240
	scratch_load_dwordx4 v[60:63], off, off offset:256
	;; [unrolled: 1-line block ×18, first 2 shown]
	ds_read_b128 v[116:119], v2 offset:1248
	ds_read_b128 v[220:223], v2 offset:1264
	;; [unrolled: 1-line block ×6, first 2 shown]
	scratch_load_dwordx4 v[180:183], off, off offset:528
	ds_read_b128 v[204:207], v2 offset:1344
	ds_read_b128 v[132:135], v2 offset:1360
	scratch_load_dwordx4 v[184:187], off, off offset:544
	ds_read_b128 v[224:227], v2 offset:1376
	ds_read_b128 v[216:219], v2 offset:1392
	;; [unrolled: 1-line block ×5, first 2 shown]
	scratch_load_dwordx4 v[192:195], off, off offset:560
	ds_read_b128 v[200:203], v2 offset:1456
	ds_read_b128 v[164:167], v2 offset:1472
	scratch_load_dwordx4 v[4:7], off, off offset:576
	ds_read_b128 v[212:215], v2 offset:1488
	ds_read_b128 v[188:191], v2 offset:1504
	;; [unrolled: 1-line block ×3, first 2 shown]
	scratch_load_dwordx4 v[8:11], off, off offset:592
	scratch_load_dwordx4 v[12:15], off, off offset:608
	;; [unrolled: 1-line block ×6, first 2 shown]
	ds_read_b128 v[228:231], v2 offset:1536
	ds_read_b128 v[232:235], v2 offset:1552
	;; [unrolled: 1-line block ×4, first 2 shown]
	s_waitcnt vmcnt(27) lgkmcnt(14)
	v_mul_f64 v[0:1], v[116:117], v[58:59]
	s_waitcnt vmcnt(26)
	v_mul_f64 v[32:33], v[220:221], v[62:63]
	v_fmac_f64_e32 v[0:1], v[118:119], v[56:57]
	s_waitcnt vmcnt(25)
	v_mul_f64 v[34:35], v[208:209], v[66:67]
	v_fmac_f64_e32 v[32:33], v[222:223], v[60:61]
	v_add_f64 v[0:1], v[0:1], 0
	v_fmac_f64_e32 v[34:35], v[210:211], v[64:65]
	v_add_f64 v[0:1], v[0:1], v[32:33]
	v_add_f64 v[0:1], v[0:1], v[34:35]
	scratch_load_dwordx4 v[32:35], off, off offset:688
	s_waitcnt vmcnt(25)
	v_mul_f64 v[36:37], v[120:121], v[70:71]
	s_waitcnt vmcnt(24)
	v_mul_f64 v[38:39], v[128:129], v[74:75]
	v_fmac_f64_e32 v[36:37], v[122:123], v[68:69]
	s_waitcnt vmcnt(23)
	v_mul_f64 v[40:41], v[124:125], v[78:79]
	v_fmac_f64_e32 v[38:39], v[130:131], v[72:73]
	v_add_f64 v[0:1], v[0:1], v[36:37]
	s_waitcnt vmcnt(22)
	v_mul_f64 v[42:43], v[204:205], v[82:83]
	v_fmac_f64_e32 v[40:41], v[126:127], v[76:77]
	v_add_f64 v[0:1], v[0:1], v[38:39]
	;; [unrolled: 4-line block ×3, first 2 shown]
	s_waitcnt vmcnt(20) lgkmcnt(13)
	v_mul_f64 v[46:47], v[224:225], v[94:95]
	v_fmac_f64_e32 v[44:45], v[134:135], v[84:85]
	v_add_f64 v[0:1], v[0:1], v[42:43]
	s_waitcnt vmcnt(19) lgkmcnt(12)
	v_mul_f64 v[48:49], v[216:217], v[98:99]
	v_fmac_f64_e32 v[46:47], v[226:227], v[92:93]
	v_add_f64 v[0:1], v[0:1], v[44:45]
	;; [unrolled: 4-line block ×9, first 2 shown]
	v_fmac_f64_e32 v[106:107], v[190:191], v[168:169]
	v_add_f64 v[0:1], v[0:1], v[104:105]
	s_waitcnt vmcnt(11) lgkmcnt(4)
	v_mul_f64 v[40:41], v[176:177], v[174:175]
	v_add_f64 v[0:1], v[0:1], v[106:107]
	v_fmac_f64_e32 v[40:41], v[178:179], v[172:173]
	scratch_load_dwordx4 v[36:39], off, off offset:704
	v_add_f64 v[0:1], v[0:1], v[40:41]
	s_waitcnt vmcnt(11) lgkmcnt(3)
	v_mul_f64 v[40:41], v[228:229], v[182:183]
	v_fmac_f64_e32 v[40:41], v[230:231], v[180:181]
	v_add_f64 v[0:1], v[0:1], v[40:41]
	scratch_load_dwordx4 v[40:43], off, off offset:720
	ds_read_b128 v[88:91], v2 offset:1584
	s_waitcnt vmcnt(11) lgkmcnt(3)
	v_mul_f64 v[44:45], v[232:233], v[186:187]
	v_fmac_f64_e32 v[44:45], v[234:235], v[184:185]
	v_add_f64 v[0:1], v[0:1], v[44:45]
	s_waitcnt vmcnt(10) lgkmcnt(2)
	v_mul_f64 v[44:45], v[236:237], v[194:195]
	v_fmac_f64_e32 v[44:45], v[238:239], v[192:193]
	s_waitcnt vmcnt(9) lgkmcnt(0)
	v_mul_f64 v[48:49], v[88:89], v[6:7]
	ds_read_b128 v[104:107], v2 offset:1600
	v_add_f64 v[0:1], v[0:1], v[44:45]
	scratch_load_dwordx4 v[44:47], off, off offset:736
	v_fmac_f64_e32 v[48:49], v[90:91], v[4:5]
	v_accvgpr_write_b32 a133, v7
	v_add_f64 v[0:1], v[0:1], v[48:49]
	scratch_load_dwordx4 v[48:51], off, off offset:752
	v_accvgpr_write_b32 a132, v6
	v_accvgpr_write_b32 a131, v5
	;; [unrolled: 1-line block ×3, first 2 shown]
	s_waitcnt vmcnt(10)
	v_mov_b64_e32 v[4:5], v[8:9]
	v_mov_b64_e32 v[6:7], v[10:11]
	s_waitcnt lgkmcnt(0)
	v_mul_f64 v[52:53], v[104:105], v[6:7]
	v_fmac_f64_e32 v[52:53], v[106:107], v[4:5]
	v_add_f64 v[0:1], v[0:1], v[52:53]
	scratch_load_dwordx4 v[52:55], off, off offset:768
	v_mul_f64 v[58:59], v[118:119], v[58:59]
	v_fma_f64 v[244:245], v[116:117], v[56:57], -v[58:59]
	scratch_load_dwordx4 v[56:59], off, off offset:784
	v_mul_f64 v[62:63], v[222:223], v[62:63]
	v_fma_f64 v[246:247], v[220:221], v[60:61], -v[62:63]
	scratch_load_dwordx4 v[60:63], off, off offset:800
	s_waitcnt vmcnt(12)
	v_mov_b64_e32 v[4:5], v[12:13]
	v_mul_f64 v[66:67], v[210:211], v[66:67]
	v_mov_b64_e32 v[6:7], v[14:15]
	v_fma_f64 v[248:249], v[208:209], v[64:65], -v[66:67]
	scratch_load_dwordx4 v[64:67], off, off offset:816
	v_mul_f64 v[112:113], v[108:109], v[6:7]
	v_fmac_f64_e32 v[112:113], v[110:111], v[4:5]
	v_add_f64 v[0:1], v[0:1], v[112:113]
	ds_read_b128 v[112:115], v2 offset:1632
	ds_read_b128 v[116:119], v2 offset:1648
	s_waitcnt vmcnt(12)
	v_mov_b64_e32 v[4:5], v[16:17]
	v_mul_f64 v[70:71], v[122:123], v[70:71]
	v_mov_b64_e32 v[6:7], v[18:19]
	v_fma_f64 v[250:251], v[120:121], v[68:69], -v[70:71]
	scratch_load_dwordx4 v[68:71], off, off offset:832
	v_mul_f64 v[74:75], v[130:131], v[74:75]
	s_waitcnt lgkmcnt(1)
	v_mul_f64 v[220:221], v[112:113], v[6:7]
	v_fma_f64 v[252:253], v[128:129], v[72:73], -v[74:75]
	scratch_load_dwordx4 v[72:75], off, off offset:848
	v_fmac_f64_e32 v[220:221], v[114:115], v[4:5]
	s_waitcnt vmcnt(13)
	v_mov_b64_e32 v[4:5], v[20:21]
	ds_read_b128 v[120:123], v2 offset:1664
	v_mul_f64 v[78:79], v[126:127], v[78:79]
	v_mov_b64_e32 v[6:7], v[22:23]
	v_fma_f64 v[254:255], v[124:125], v[76:77], -v[78:79]
	scratch_load_dwordx4 v[76:79], off, off offset:864
	s_waitcnt lgkmcnt(1)
	v_mul_f64 v[208:209], v[116:117], v[6:7]
	ds_read_b128 v[124:127], v2 offset:1680
	v_fmac_f64_e32 v[208:209], v[118:119], v[4:5]
	s_waitcnt vmcnt(13)
	v_mov_b64_e32 v[4:5], v[24:25]
	v_mul_f64 v[82:83], v[206:207], v[82:83]
	v_mov_b64_e32 v[6:7], v[26:27]
	v_fma_f64 v[240:241], v[204:205], v[80:81], -v[82:83]
	scratch_load_dwordx4 v[80:83], off, off offset:880
	v_add_f64 v[0:1], v[0:1], v[220:221]
	s_waitcnt lgkmcnt(1)
	v_mul_f64 v[128:129], v[120:121], v[6:7]
	v_add_f64 v[0:1], v[0:1], v[208:209]
	v_fmac_f64_e32 v[128:129], v[122:123], v[4:5]
	v_add_f64 v[0:1], v[0:1], v[128:129]
	s_waitcnt vmcnt(13) lgkmcnt(0)
	v_mul_f64 v[128:129], v[124:125], v[30:31]
	v_accvgpr_write_b32 a153, v27
	v_fmac_f64_e32 v[128:129], v[126:127], v[28:29]
	v_mul_f64 v[86:87], v[134:135], v[86:87]
	v_accvgpr_write_b32 a152, v26
	v_accvgpr_write_b32 a151, v25
	;; [unrolled: 1-line block ×3, first 2 shown]
	v_add_f64 v[0:1], v[0:1], v[128:129]
	v_fma_f64 v[24:25], v[132:133], v[84:85], -v[86:87]
	scratch_load_dwordx4 v[84:87], off, off offset:896
	ds_read_b128 v[132:135], v2 offset:1696
	ds_read_b128 v[128:131], v2 offset:1712
	v_accvgpr_write_b32 a149, v23
	v_mul_f64 v[6:7], v[226:227], v[94:95]
	v_accvgpr_write_b32 a145, v19
	v_accvgpr_write_b32 a148, v22
	;; [unrolled: 1-line block ×4, first 2 shown]
	v_fma_f64 v[20:21], v[224:225], v[92:93], -v[6:7]
	v_mul_f64 v[92:93], v[218:219], v[98:99]
	v_accvgpr_write_b32 a137, v11
	v_accvgpr_write_b32 a144, v18
	;; [unrolled: 1-line block ×4, first 2 shown]
	v_fma_f64 v[16:17], v[216:217], v[96:97], -v[92:93]
	scratch_load_dwordx4 v[96:99], off, off offset:912
	scratch_load_dwordx4 v[92:95], off, off offset:928
	v_accvgpr_write_b32 a136, v10
	v_accvgpr_write_b32 a135, v9
	;; [unrolled: 1-line block ×3, first 2 shown]
	s_waitcnt vmcnt(15) lgkmcnt(1)
	v_mul_f64 v[10:11], v[132:133], v[34:35]
	v_fmac_f64_e32 v[10:11], v[134:135], v[32:33]
	v_accvgpr_write_b32 a141, v15
	v_add_f64 v[0:1], v[0:1], v[10:11]
	v_mul_f64 v[10:11], v[198:199], v[102:103]
	v_accvgpr_write_b32 a140, v14
	v_accvgpr_write_b32 a139, v13
	;; [unrolled: 1-line block ×3, first 2 shown]
	v_fma_f64 v[12:13], v[196:197], v[100:101], -v[10:11]
	scratch_load_dwordx4 v[100:103], off, off offset:944
	v_mul_f64 v[138:139], v[142:143], v[138:139]
	v_fma_f64 v[10:11], v[140:141], v[136:137], -v[138:139]
	ds_read_b128 v[136:139], v2 offset:1728
	ds_read_b128 v[140:143], v2 offset:1744
	s_waitcnt vmcnt(15) lgkmcnt(2)
	v_mul_f64 v[14:15], v[128:129], v[38:39]
	v_fmac_f64_e32 v[14:15], v[130:131], v[36:37]
	v_add_f64 v[0:1], v[0:1], v[14:15]
	s_waitcnt vmcnt(14) lgkmcnt(1)
	v_mul_f64 v[14:15], v[136:137], v[42:43]
	v_fmac_f64_e32 v[14:15], v[138:139], v[40:41]
	v_add_f64 v[0:1], v[0:1], v[14:15]
	v_mul_f64 v[14:15], v[154:155], v[146:147]
	v_fma_f64 v[14:15], v[152:153], v[144:145], -v[14:15]
	ds_read_b128 v[144:147], v2 offset:1760
	s_waitcnt vmcnt(13) lgkmcnt(1)
	v_mul_f64 v[152:153], v[140:141], v[46:47]
	v_mul_f64 v[150:151], v[202:203], v[150:151]
	v_fmac_f64_e32 v[152:153], v[142:143], v[44:45]
	v_fma_f64 v[8:9], v[200:201], v[148:149], -v[150:151]
	ds_read_b128 v[148:151], v2 offset:1776
	s_waitcnt vmcnt(12) lgkmcnt(1)
	v_mul_f64 v[18:19], v[144:145], v[50:51]
	v_add_f64 v[0:1], v[0:1], v[152:153]
	v_fmac_f64_e32 v[18:19], v[146:147], v[48:49]
	v_add_f64 v[0:1], v[0:1], v[18:19]
	ds_read_b128 v[152:155], v2 offset:1792
	v_mul_f64 v[18:19], v[166:167], v[158:159]
	v_fma_f64 v[18:19], v[164:165], v[156:157], -v[18:19]
	ds_read_b128 v[156:159], v2 offset:1808
	v_mul_f64 v[162:163], v[214:215], v[162:163]
	s_waitcnt vmcnt(11) lgkmcnt(2)
	v_mul_f64 v[164:165], v[148:149], v[54:55]
	v_fma_f64 v[6:7], v[212:213], v[160:161], -v[162:163]
	ds_read_b128 v[160:163], v2 offset:1824
	v_fmac_f64_e32 v[164:165], v[150:151], v[52:53]
	v_add_f64 v[0:1], v[0:1], v[164:165]
	s_waitcnt vmcnt(10) lgkmcnt(2)
	v_mul_f64 v[164:165], v[152:153], v[58:59]
	v_fmac_f64_e32 v[164:165], v[154:155], v[56:57]
	s_waitcnt vmcnt(9) lgkmcnt(1)
	v_mul_f64 v[22:23], v[156:157], v[62:63]
	v_add_f64 v[0:1], v[0:1], v[164:165]
	v_fmac_f64_e32 v[22:23], v[158:159], v[60:61]
	v_add_f64 v[0:1], v[0:1], v[22:23]
	ds_read_b128 v[164:167], v2 offset:1840
	s_waitcnt vmcnt(8) lgkmcnt(1)
	v_mul_f64 v[22:23], v[160:161], v[66:67]
	v_fmac_f64_e32 v[22:23], v[162:163], v[64:65]
	v_add_f64 v[0:1], v[0:1], v[22:23]
	v_mul_f64 v[22:23], v[190:191], v[170:171]
	v_fma_f64 v[22:23], v[188:189], v[168:169], -v[22:23]
	ds_read_b128 v[168:171], v2 offset:1856
	v_mul_f64 v[174:175], v[178:179], v[174:175]
	v_fma_f64 v[4:5], v[176:177], v[172:173], -v[174:175]
	ds_read_b128 v[172:175], v2 offset:1872
	s_waitcnt vmcnt(7) lgkmcnt(2)
	v_mul_f64 v[188:189], v[164:165], v[70:71]
	v_fmac_f64_e32 v[188:189], v[166:167], v[68:69]
	s_waitcnt vmcnt(6) lgkmcnt(1)
	v_mul_f64 v[26:27], v[168:169], v[74:75]
	ds_read_b128 v[176:179], v2 offset:1888
	v_add_f64 v[0:1], v[0:1], v[188:189]
	v_fmac_f64_e32 v[26:27], v[170:171], v[72:73]
	v_add_f64 v[0:1], v[0:1], v[26:27]
	s_waitcnt vmcnt(5) lgkmcnt(1)
	v_mul_f64 v[26:27], v[172:173], v[78:79]
	v_fmac_f64_e32 v[26:27], v[174:175], v[76:77]
	v_add_f64 v[0:1], v[0:1], v[26:27]
	v_mul_f64 v[26:27], v[230:231], v[182:183]
	v_fma_f64 v[26:27], v[228:229], v[180:181], -v[26:27]
	ds_read_b128 v[180:183], v2 offset:1904
	s_waitcnt vmcnt(4) lgkmcnt(1)
	v_mul_f64 v[188:189], v[176:177], v[82:83]
	v_fmac_f64_e32 v[188:189], v[178:179], v[80:81]
	v_add_f64 v[196:197], v[0:1], v[188:189]
	v_mul_f64 v[0:1], v[234:235], v[186:187]
	v_fma_f64 v[0:1], v[232:233], v[184:185], -v[0:1]
	ds_read_b128 v[184:187], v2 offset:1920
	ds_read_b128 v[188:191], v2 offset:1936
	s_waitcnt vmcnt(3) lgkmcnt(2)
	v_mul_f64 v[198:199], v[180:181], v[86:87]
	v_mul_f64 v[194:195], v[238:239], v[194:195]
	v_fmac_f64_e32 v[198:199], v[182:183], v[84:85]
	v_fma_f64 v[242:243], v[236:237], v[192:193], -v[194:195]
	ds_read_b128 v[192:195], v2 offset:1952
	ds_read_b128 v[200:203], v2 offset:1968
	v_add_f64 v[196:197], v[196:197], v[198:199]
	s_waitcnt vmcnt(2) lgkmcnt(3)
	v_mul_f64 v[198:199], v[184:185], v[98:99]
	v_fmac_f64_e32 v[198:199], v[186:187], v[96:97]
	v_add_f64 v[196:197], v[196:197], v[198:199]
	s_waitcnt vmcnt(1) lgkmcnt(2)
	v_mul_f64 v[198:199], v[188:189], v[94:95]
	v_fmac_f64_e32 v[198:199], v[190:191], v[92:93]
	v_add_f64 v[196:197], v[196:197], v[198:199]
	scratch_load_dwordx4 v[232:235], off, off offset:1024
	s_waitcnt vmcnt(1) lgkmcnt(1)
	v_mul_f64 v[198:199], v[192:193], v[102:103]
	v_fmac_f64_e32 v[198:199], v[194:195], v[100:101]
	v_add_f64 v[204:205], v[196:197], v[198:199]
	scratch_load_dwordx4 v[196:199], off, off offset:960
	ds_read_b128 v[208:211], v2 offset:1984
	ds_read_b128 v[216:219], v2 offset:2000
	;; [unrolled: 1-line block ×3, first 2 shown]
	s_waitcnt vmcnt(0) lgkmcnt(3)
	v_mul_f64 v[206:207], v[200:201], v[198:199]
	v_fmac_f64_e32 v[206:207], v[202:203], v[196:197]
	v_add_f64 v[212:213], v[204:205], v[206:207]
	scratch_load_dwordx4 v[204:207], off, off offset:976
	s_waitcnt vmcnt(0) lgkmcnt(2)
	v_mul_f64 v[214:215], v[208:209], v[206:207]
	v_fmac_f64_e32 v[214:215], v[210:211], v[204:205]
	v_add_f64 v[220:221], v[212:213], v[214:215]
	scratch_load_dwordx4 v[212:215], off, off offset:992
	;; [unrolled: 5-line block ×3, first 2 shown]
	s_waitcnt vmcnt(0) lgkmcnt(0)
	v_mul_f64 v[230:231], v[224:225], v[222:223]
	v_fmac_f64_e32 v[230:231], v[226:227], v[220:221]
	v_add_f64 v[236:237], v[228:229], v[230:231]
	ds_read_b128 v[228:231], v2 offset:2032
	s_waitcnt lgkmcnt(0)
	v_mul_f64 v[2:3], v[228:229], v[234:235]
	v_fmac_f64_e32 v[2:3], v[230:231], v[232:233]
	v_add_f64 v[2:3], v[236:237], v[2:3]
	v_add_f64 v[236:237], v[244:245], 0
	;; [unrolled: 1-line block ×9, first 2 shown]
	scratch_load_dwordx4 v[236:239], off, off offset:224
	v_add_f64 v[20:21], v[24:25], v[20:21]
	v_add_f64 v[16:17], v[20:21], v[16:17]
	;; [unrolled: 1-line block ×10, first 2 shown]
	v_accvgpr_read_b32 v6, a130
	v_accvgpr_read_b32 v8, a132
	;; [unrolled: 1-line block ×3, first 2 shown]
	v_add_f64 v[244:245], v[4:5], v[26:27]
	v_accvgpr_read_b32 v7, a131
	v_mul_f64 v[4:5], v[90:91], v[8:9]
	v_add_f64 v[0:1], v[244:245], v[0:1]
	v_fma_f64 v[4:5], v[88:89], v[6:7], -v[4:5]
	v_accvgpr_read_b32 v6, a134
	v_add_f64 v[0:1], v[0:1], v[242:243]
	v_accvgpr_read_b32 v8, a136
	v_accvgpr_read_b32 v9, a137
	v_add_f64 v[0:1], v[0:1], v[4:5]
	v_accvgpr_read_b32 v7, a135
	v_mul_f64 v[4:5], v[106:107], v[8:9]
	v_fma_f64 v[4:5], v[104:105], v[6:7], -v[4:5]
	v_accvgpr_read_b32 v6, a138
	v_accvgpr_read_b32 v8, a140
	v_accvgpr_read_b32 v9, a141
	v_add_f64 v[0:1], v[0:1], v[4:5]
	v_accvgpr_read_b32 v7, a139
	v_mul_f64 v[4:5], v[110:111], v[8:9]
	v_fma_f64 v[4:5], v[108:109], v[6:7], -v[4:5]
	v_accvgpr_read_b32 v6, a142
	;; [unrolled: 7-line block ×4, first 2 shown]
	v_accvgpr_read_b32 v8, a152
	v_accvgpr_read_b32 v9, a153
	v_add_f64 v[0:1], v[0:1], v[4:5]
	v_accvgpr_read_b32 v7, a151
	v_mul_f64 v[4:5], v[122:123], v[8:9]
	v_fma_f64 v[4:5], v[120:121], v[6:7], -v[4:5]
	v_add_f64 v[0:1], v[0:1], v[4:5]
	v_mul_f64 v[4:5], v[126:127], v[30:31]
	v_fma_f64 v[4:5], v[124:125], v[28:29], -v[4:5]
	v_add_f64 v[0:1], v[0:1], v[4:5]
	;; [unrolled: 3-line block ×24, first 2 shown]
	s_waitcnt vmcnt(0)
	v_add_f64 v[4:5], v[236:237], -v[0:1]
	v_accvgpr_read_b32 v0, a128
	v_add_f64 v[6:7], v[238:239], -v[2:3]
	v_cmp_lt_u32_e32 vcc, 12, v0
	scratch_store_dwordx4 off, v[4:7], off offset:224
	s_and_saveexec_b64 s[0:1], vcc
	s_cbranch_execz .LBB63_385
; %bb.384:
	scratch_load_dwordx4 v[2:5], off, s69
	v_mov_b32_e32 v6, 0
	v_mov_b32_e32 v7, v6
	;; [unrolled: 1-line block ×4, first 2 shown]
	v_accvgpr_read_b32 v0, a129
	scratch_store_dwordx4 off, v[6:9], off offset:208
	s_waitcnt vmcnt(1)
	ds_write_b128 v0, v[2:5]
.LBB63_385:
	s_or_b64 exec, exec, s[0:1]
	s_waitcnt lgkmcnt(0)
	; wave barrier
	scratch_load_dwordx4 v[48:51], off, off offset:224
	scratch_load_dwordx4 v[52:55], off, off offset:240
	;; [unrolled: 1-line block ×28, first 2 shown]
	v_mov_b32_e32 v2, 0
	ds_read_b128 v[104:107], v2 offset:1232
	ds_read_b128 v[112:115], v2 offset:1248
	;; [unrolled: 1-line block ×18, first 2 shown]
	scratch_load_dwordx4 a[130:133], off, off offset:672
	scratch_load_dwordx4 v[234:237], off, off offset:688
	ds_read_b128 v[220:223], v2 offset:1520
	ds_read_b128 v[224:227], v2 offset:1536
	;; [unrolled: 1-line block ×5, first 2 shown]
	s_waitcnt vmcnt(29) lgkmcnt(14)
	v_mul_f64 v[0:1], v[104:105], v[50:51]
	s_waitcnt vmcnt(28)
	v_mul_f64 v[24:25], v[112:113], v[54:55]
	v_fmac_f64_e32 v[0:1], v[106:107], v[48:49]
	s_waitcnt vmcnt(27)
	v_mul_f64 v[26:27], v[116:117], v[58:59]
	v_fmac_f64_e32 v[24:25], v[114:115], v[52:53]
	v_add_f64 v[0:1], v[0:1], 0
	s_waitcnt vmcnt(26)
	v_mul_f64 v[28:29], v[120:121], v[62:63]
	v_fmac_f64_e32 v[26:27], v[118:119], v[56:57]
	v_add_f64 v[0:1], v[0:1], v[24:25]
	;; [unrolled: 4-line block ×7, first 2 shown]
	s_waitcnt vmcnt(20) lgkmcnt(13)
	v_mul_f64 v[40:41], v[172:173], v[86:87]
	v_fmac_f64_e32 v[38:39], v[162:163], v[80:81]
	v_add_f64 v[0:1], v[0:1], v[36:37]
	s_waitcnt vmcnt(19) lgkmcnt(12)
	v_mul_f64 v[42:43], v[184:185], v[94:95]
	v_fmac_f64_e32 v[40:41], v[174:175], v[84:85]
	v_add_f64 v[0:1], v[0:1], v[38:39]
	;; [unrolled: 4-line block ×8, first 2 shown]
	v_add_f64 v[0:1], v[0:1], v[96:97]
	v_fmac_f64_e32 v[98:99], v[214:215], v[152:153]
	s_waitcnt vmcnt(12) lgkmcnt(5)
	v_mul_f64 v[32:33], v[216:217], v[158:159]
	v_add_f64 v[0:1], v[0:1], v[98:99]
	v_fmac_f64_e32 v[32:33], v[218:219], v[156:157]
	v_add_f64 v[0:1], v[0:1], v[32:33]
	s_waitcnt vmcnt(11) lgkmcnt(4)
	v_mul_f64 v[32:33], v[220:221], v[166:167]
	v_fmac_f64_e32 v[32:33], v[222:223], v[164:165]
	v_add_f64 v[0:1], v[0:1], v[32:33]
	scratch_load_dwordx4 v[32:35], off, off offset:704
	s_waitcnt vmcnt(11) lgkmcnt(3)
	v_mul_f64 v[36:37], v[224:225], v[170:171]
	v_fmac_f64_e32 v[36:37], v[226:227], v[168:169]
	v_add_f64 v[0:1], v[0:1], v[36:37]
	s_waitcnt vmcnt(10) lgkmcnt(2)
	v_mul_f64 v[36:37], v[228:229], v[178:179]
	v_fmac_f64_e32 v[36:37], v[230:231], v[176:177]
	v_add_f64 v[0:1], v[0:1], v[36:37]
	scratch_load_dwordx4 v[36:39], off, off offset:720
	s_waitcnt vmcnt(10) lgkmcnt(1)
	v_mul_f64 v[40:41], v[238:239], v[182:183]
	v_fmac_f64_e32 v[40:41], v[240:241], v[180:181]
	v_add_f64 v[0:1], v[0:1], v[40:41]
	scratch_load_dwordx4 v[40:43], off, off offset:736
	ds_read_b128 v[88:91], v2 offset:1600
	s_waitcnt vmcnt(10) lgkmcnt(1)
	v_mul_f64 v[44:45], v[242:243], v[190:191]
	v_fmac_f64_e32 v[44:45], v[244:245], v[188:189]
	v_add_f64 v[0:1], v[0:1], v[44:45]
	scratch_load_dwordx4 v[44:47], off, off offset:752
	v_mul_f64 v[50:51], v[106:107], v[50:51]
	v_fma_f64 v[246:247], v[104:105], v[48:49], -v[50:51]
	scratch_load_dwordx4 v[48:51], off, off offset:768
	v_mul_f64 v[54:55], v[114:115], v[54:55]
	v_fma_f64 v[248:249], v[112:113], v[52:53], -v[54:55]
	scratch_load_dwordx4 v[52:55], off, off offset:784
	s_waitcnt vmcnt(12) lgkmcnt(0)
	v_mul_f64 v[96:97], v[88:89], v[6:7]
	v_fmac_f64_e32 v[96:97], v[90:91], v[4:5]
	v_mul_f64 v[58:59], v[118:119], v[58:59]
	v_add_f64 v[0:1], v[0:1], v[96:97]
	ds_read_b128 v[96:99], v2 offset:1616
	ds_read_b128 v[104:107], v2 offset:1632
	v_fma_f64 v[250:251], v[116:117], v[56:57], -v[58:59]
	scratch_load_dwordx4 v[56:59], off, off offset:800
	v_mul_f64 v[62:63], v[122:123], v[62:63]
	v_accvgpr_write_b32 a137, v7
	v_fma_f64 v[252:253], v[120:121], v[60:61], -v[62:63]
	scratch_load_dwordx4 v[60:63], off, off offset:816
	v_accvgpr_write_b32 a136, v6
	v_accvgpr_write_b32 a135, v5
	;; [unrolled: 1-line block ×3, first 2 shown]
	s_waitcnt vmcnt(13)
	v_mov_b64_e32 v[4:5], v[8:9]
	v_mov_b64_e32 v[6:7], v[10:11]
	v_mul_f64 v[66:67], v[126:127], v[66:67]
	s_waitcnt lgkmcnt(1)
	v_mul_f64 v[112:113], v[96:97], v[6:7]
	v_fma_f64 v[254:255], v[124:125], v[64:65], -v[66:67]
	scratch_load_dwordx4 v[64:67], off, off offset:832
	v_fmac_f64_e32 v[112:113], v[98:99], v[4:5]
	s_waitcnt vmcnt(13)
	v_mov_b64_e32 v[4:5], v[12:13]
	v_mov_b64_e32 v[6:7], v[14:15]
	v_add_f64 v[0:1], v[0:1], v[112:113]
	s_waitcnt lgkmcnt(0)
	v_mul_f64 v[112:113], v[104:105], v[6:7]
	v_fmac_f64_e32 v[112:113], v[106:107], v[4:5]
	v_add_f64 v[0:1], v[0:1], v[112:113]
	ds_read_b128 v[112:115], v2 offset:1648
	ds_read_b128 v[116:119], v2 offset:1664
	v_mul_f64 v[70:71], v[130:131], v[70:71]
	v_fma_f64 v[232:233], v[128:129], v[68:69], -v[70:71]
	scratch_load_dwordx4 v[68:71], off, off offset:848
	v_mul_f64 v[74:75], v[134:135], v[74:75]
	v_accvgpr_write_b32 a141, v11
	s_waitcnt vmcnt(13)
	v_mov_b64_e32 v[4:5], v[16:17]
	v_fma_f64 v[28:29], v[132:133], v[72:73], -v[74:75]
	scratch_load_dwordx4 v[72:75], off, off offset:864
	v_accvgpr_write_b32 a140, v10
	v_accvgpr_write_b32 a139, v9
	;; [unrolled: 1-line block ×3, first 2 shown]
	v_mov_b64_e32 v[6:7], v[18:19]
	s_waitcnt vmcnt(13)
	v_mov_b64_e32 v[8:9], v[20:21]
	s_waitcnt lgkmcnt(1)
	v_mul_f64 v[120:121], v[112:113], v[6:7]
	v_mov_b64_e32 v[10:11], v[22:23]
	v_fmac_f64_e32 v[120:121], v[114:115], v[4:5]
	s_waitcnt lgkmcnt(0)
	v_mul_f64 v[6:7], v[116:117], v[10:11]
	v_add_f64 v[0:1], v[0:1], v[120:121]
	v_fmac_f64_e32 v[6:7], v[118:119], v[8:9]
	v_add_f64 v[0:1], v[0:1], v[6:7]
	v_mul_f64 v[6:7], v[150:151], v[78:79]
	v_accvgpr_write_b32 a153, v23
	v_fma_f64 v[24:25], v[148:149], v[76:77], -v[6:7]
	scratch_load_dwordx4 v[76:79], off, off offset:880
	v_mul_f64 v[6:7], v[162:163], v[82:83]
	ds_read_b128 v[124:127], v2 offset:1680
	ds_read_b128 v[120:123], v2 offset:1696
	v_accvgpr_write_b32 a149, v19
	v_accvgpr_write_b32 a152, v22
	v_accvgpr_write_b32 a151, v21
	v_accvgpr_write_b32 a150, v20
	v_fma_f64 v[20:21], v[160:161], v[80:81], -v[6:7]
	v_mul_f64 v[6:7], v[174:175], v[86:87]
	v_accvgpr_write_b32 a148, v18
	v_accvgpr_write_b32 a147, v17
	v_accvgpr_write_b32 a146, v16
	v_fma_f64 v[16:17], v[172:173], v[84:85], -v[6:7]
	scratch_load_dwordx4 v[84:87], off, off offset:896
	scratch_load_dwordx4 v[80:83], off, off offset:912
	s_waitcnt vmcnt(15)
	v_accvgpr_read_b32 v8, a130
	v_accvgpr_read_b32 v10, a132
	;; [unrolled: 1-line block ×4, first 2 shown]
	s_waitcnt lgkmcnt(1)
	v_mul_f64 v[6:7], v[124:125], v[10:11]
	v_fmac_f64_e32 v[6:7], v[126:127], v[8:9]
	v_add_f64 v[0:1], v[0:1], v[6:7]
	s_waitcnt vmcnt(14) lgkmcnt(0)
	v_mul_f64 v[6:7], v[120:121], v[236:237]
	v_fmac_f64_e32 v[6:7], v[122:123], v[234:235]
	v_accvgpr_write_b32 a145, v15
	v_add_f64 v[0:1], v[0:1], v[6:7]
	v_mul_f64 v[6:7], v[186:187], v[94:95]
	v_accvgpr_write_b32 a144, v14
	v_accvgpr_write_b32 a143, v13
	;; [unrolled: 1-line block ×3, first 2 shown]
	v_fma_f64 v[14:15], v[184:185], v[92:93], -v[6:7]
	scratch_load_dwordx4 v[92:95], off, off offset:928
	v_mul_f64 v[6:7], v[194:195], v[102:103]
	v_fma_f64 v[12:13], v[192:193], v[100:101], -v[6:7]
	scratch_load_dwordx4 v[100:103], off, off offset:944
	v_mul_f64 v[6:7], v[198:199], v[110:111]
	v_fma_f64 v[18:19], v[196:197], v[108:109], -v[6:7]
	scratch_load_dwordx4 v[108:111], off, off offset:960
	ds_read_b128 v[128:131], v2 offset:1712
	ds_read_b128 v[132:135], v2 offset:1728
	;; [unrolled: 1-line block ×4, first 2 shown]
	v_mul_f64 v[182:183], v[240:241], v[182:183]
	s_waitcnt vmcnt(16) lgkmcnt(3)
	v_mul_f64 v[6:7], v[128:129], v[34:35]
	v_fmac_f64_e32 v[6:7], v[130:131], v[32:33]
	v_add_f64 v[0:1], v[0:1], v[6:7]
	v_mul_f64 v[6:7], v[202:203], v[138:139]
	v_fma_f64 v[10:11], v[200:201], v[136:137], -v[6:7]
	ds_read_b128 v[136:139], v2 offset:1744
	s_waitcnt vmcnt(15) lgkmcnt(3)
	v_mul_f64 v[6:7], v[132:133], v[38:39]
	v_fmac_f64_e32 v[6:7], v[134:135], v[36:37]
	v_add_f64 v[0:1], v[0:1], v[6:7]
	v_mul_f64 v[6:7], v[206:207], v[142:143]
	v_fma_f64 v[22:23], v[204:205], v[140:141], -v[6:7]
	ds_read_b128 v[140:143], v2 offset:1760
	;; [unrolled: 7-line block ×3, first 2 shown]
	s_waitcnt vmcnt(13) lgkmcnt(1)
	v_mul_f64 v[6:7], v[140:141], v[46:47]
	v_fmac_f64_e32 v[6:7], v[142:143], v[44:45]
	v_add_f64 v[0:1], v[0:1], v[6:7]
	v_fma_f64 v[238:239], v[238:239], v[180:181], -v[182:183]
	s_waitcnt vmcnt(12) lgkmcnt(0)
	v_mul_f64 v[6:7], v[144:145], v[50:51]
	v_fmac_f64_e32 v[6:7], v[146:147], v[48:49]
	v_add_f64 v[0:1], v[0:1], v[6:7]
	v_mul_f64 v[6:7], v[214:215], v[154:155]
	v_fma_f64 v[26:27], v[212:213], v[152:153], -v[6:7]
	s_waitcnt vmcnt(11)
	v_mul_f64 v[6:7], v[148:149], v[54:55]
	v_fmac_f64_e32 v[6:7], v[150:151], v[52:53]
	ds_read_b128 v[152:155], v2 offset:1808
	v_add_f64 v[0:1], v[0:1], v[6:7]
	v_mul_f64 v[6:7], v[218:219], v[158:159]
	v_fma_f64 v[4:5], v[216:217], v[156:157], -v[6:7]
	ds_read_b128 v[156:159], v2 offset:1824
	s_waitcnt vmcnt(10) lgkmcnt(1)
	v_mul_f64 v[6:7], v[152:153], v[58:59]
	v_fmac_f64_e32 v[6:7], v[154:155], v[56:57]
	v_add_f64 v[0:1], v[0:1], v[6:7]
	ds_read_b128 v[180:183], v2 offset:1920
	s_waitcnt vmcnt(9) lgkmcnt(1)
	v_mul_f64 v[6:7], v[156:157], v[62:63]
	v_fmac_f64_e32 v[6:7], v[158:159], v[60:61]
	v_add_f64 v[0:1], v[0:1], v[6:7]
	v_mul_f64 v[6:7], v[222:223], v[166:167]
	v_fma_f64 v[30:31], v[220:221], v[164:165], -v[6:7]
	ds_read_b128 v[164:167], v2 offset:1856
	s_waitcnt vmcnt(8)
	v_mul_f64 v[6:7], v[160:161], v[66:67]
	v_fmac_f64_e32 v[6:7], v[162:163], v[64:65]
	v_add_f64 v[0:1], v[0:1], v[6:7]
	v_mul_f64 v[6:7], v[226:227], v[170:171]
	v_fma_f64 v[6:7], v[224:225], v[168:169], -v[6:7]
	ds_read_b128 v[168:171], v2 offset:1872
	s_waitcnt vmcnt(7) lgkmcnt(1)
	v_mul_f64 v[172:173], v[164:165], v[70:71]
	v_fmac_f64_e32 v[172:173], v[166:167], v[68:69]
	v_add_f64 v[0:1], v[0:1], v[172:173]
	ds_read_b128 v[172:175], v2 offset:1888
	s_waitcnt vmcnt(6) lgkmcnt(1)
	v_mul_f64 v[184:185], v[168:169], v[74:75]
	v_fmac_f64_e32 v[184:185], v[170:171], v[72:73]
	v_add_f64 v[184:185], v[0:1], v[184:185]
	v_mul_f64 v[0:1], v[230:231], v[178:179]
	v_fma_f64 v[0:1], v[228:229], v[176:177], -v[0:1]
	ds_read_b128 v[176:179], v2 offset:1904
	s_waitcnt vmcnt(5) lgkmcnt(1)
	v_mul_f64 v[186:187], v[172:173], v[78:79]
	v_fmac_f64_e32 v[186:187], v[174:175], v[76:77]
	v_add_f64 v[184:185], v[184:185], v[186:187]
	v_mul_f64 v[190:191], v[244:245], v[190:191]
	s_waitcnt vmcnt(4) lgkmcnt(0)
	v_mul_f64 v[186:187], v[176:177], v[86:87]
	v_fmac_f64_e32 v[186:187], v[178:179], v[84:85]
	v_add_f64 v[192:193], v[184:185], v[186:187]
	ds_read_b128 v[184:187], v2 offset:1936
	v_fma_f64 v[240:241], v[242:243], v[188:189], -v[190:191]
	ds_read_b128 v[188:191], v2 offset:1952
	s_waitcnt vmcnt(3)
	v_mul_f64 v[194:195], v[180:181], v[82:83]
	v_fmac_f64_e32 v[194:195], v[182:183], v[80:81]
	v_add_f64 v[192:193], v[192:193], v[194:195]
	s_waitcnt vmcnt(2) lgkmcnt(1)
	v_mul_f64 v[194:195], v[184:185], v[94:95]
	v_fmac_f64_e32 v[194:195], v[186:187], v[92:93]
	v_add_f64 v[192:193], v[192:193], v[194:195]
	s_waitcnt vmcnt(1) lgkmcnt(0)
	v_mul_f64 v[194:195], v[188:189], v[102:103]
	v_fmac_f64_e32 v[194:195], v[190:191], v[100:101]
	v_add_f64 v[196:197], v[192:193], v[194:195]
	ds_read_b128 v[192:195], v2 offset:1968
	ds_read_b128 v[200:203], v2 offset:1984
	;; [unrolled: 1-line block ×5, first 2 shown]
	s_waitcnt vmcnt(0) lgkmcnt(4)
	v_mul_f64 v[198:199], v[192:193], v[110:111]
	v_fmac_f64_e32 v[198:199], v[194:195], v[108:109]
	v_add_f64 v[204:205], v[196:197], v[198:199]
	scratch_load_dwordx4 v[196:199], off, off offset:976
	s_waitcnt vmcnt(0) lgkmcnt(3)
	v_mul_f64 v[206:207], v[200:201], v[198:199]
	v_fmac_f64_e32 v[206:207], v[202:203], v[196:197]
	v_add_f64 v[212:213], v[204:205], v[206:207]
	scratch_load_dwordx4 v[204:207], off, off offset:992
	;; [unrolled: 5-line block ×4, first 2 shown]
	s_waitcnt vmcnt(0) lgkmcnt(0)
	v_mul_f64 v[230:231], v[224:225], v[222:223]
	v_fmac_f64_e32 v[230:231], v[226:227], v[220:221]
	v_add_f64 v[244:245], v[228:229], v[230:231]
	v_add_f64 v[228:229], v[246:247], 0
	;; [unrolled: 1-line block ×8, first 2 shown]
	scratch_load_dwordx4 v[228:231], off, off offset:208
	v_add_f64 v[24:25], v[28:29], v[24:25]
	v_add_f64 v[20:21], v[24:25], v[20:21]
	;; [unrolled: 1-line block ×13, first 2 shown]
	v_accvgpr_read_b32 v6, a134
	v_accvgpr_read_b32 v8, a136
	;; [unrolled: 1-line block ×3, first 2 shown]
	v_add_f64 v[0:1], v[4:5], v[0:1]
	v_accvgpr_read_b32 v7, a135
	v_mul_f64 v[4:5], v[90:91], v[8:9]
	v_add_f64 v[0:1], v[0:1], v[238:239]
	v_fma_f64 v[4:5], v[88:89], v[6:7], -v[4:5]
	v_accvgpr_read_b32 v6, a138
	v_add_f64 v[0:1], v[0:1], v[240:241]
	v_accvgpr_read_b32 v8, a140
	v_accvgpr_read_b32 v9, a141
	v_add_f64 v[0:1], v[0:1], v[4:5]
	v_accvgpr_read_b32 v7, a139
	v_mul_f64 v[4:5], v[98:99], v[8:9]
	v_fma_f64 v[4:5], v[96:97], v[6:7], -v[4:5]
	v_accvgpr_read_b32 v6, a142
	v_accvgpr_read_b32 v8, a144
	v_accvgpr_read_b32 v9, a145
	v_add_f64 v[0:1], v[0:1], v[4:5]
	v_accvgpr_read_b32 v7, a143
	v_mul_f64 v[4:5], v[106:107], v[8:9]
	v_fma_f64 v[4:5], v[104:105], v[6:7], -v[4:5]
	v_accvgpr_read_b32 v6, a146
	;; [unrolled: 7-line block ×4, first 2 shown]
	v_accvgpr_read_b32 v8, a132
	v_accvgpr_read_b32 v9, a133
	v_add_f64 v[0:1], v[0:1], v[4:5]
	v_accvgpr_read_b32 v7, a131
	v_mul_f64 v[4:5], v[126:127], v[8:9]
	v_fma_f64 v[4:5], v[124:125], v[6:7], -v[4:5]
	v_add_f64 v[0:1], v[0:1], v[4:5]
	v_mul_f64 v[4:5], v[122:123], v[236:237]
	v_fma_f64 v[4:5], v[120:121], v[234:235], -v[4:5]
	v_add_f64 v[0:1], v[0:1], v[4:5]
	;; [unrolled: 3-line block ×23, first 2 shown]
	s_waitcnt vmcnt(0)
	v_add_f64 v[4:5], v[228:229], -v[0:1]
	v_accvgpr_read_b32 v0, a128
	v_add_f64 v[6:7], v[230:231], -v[244:245]
	v_cmp_lt_u32_e32 vcc, 11, v0
	scratch_store_dwordx4 off, v[4:7], off offset:208
	s_and_saveexec_b64 s[0:1], vcc
	s_cbranch_execz .LBB63_387
; %bb.386:
	scratch_load_dwordx4 v[6:9], off, s68
	v_mov_b32_e32 v3, v2
	v_mov_b32_e32 v4, v2
	;; [unrolled: 1-line block ×3, first 2 shown]
	v_accvgpr_read_b32 v0, a129
	scratch_store_dwordx4 off, v[2:5], off offset:192
	s_waitcnt vmcnt(1)
	ds_write_b128 v0, v[6:9]
.LBB63_387:
	s_or_b64 exec, exec, s[0:1]
	s_waitcnt lgkmcnt(0)
	; wave barrier
	scratch_load_dwordx4 v[48:51], off, off offset:208
	scratch_load_dwordx4 v[52:55], off, off offset:224
	;; [unrolled: 1-line block ×18, first 2 shown]
	ds_read_b128 v[104:107], v2 offset:1216
	ds_read_b128 v[208:211], v2 offset:1232
	;; [unrolled: 1-line block ×6, first 2 shown]
	scratch_load_dwordx4 v[164:167], off, off offset:496
	ds_read_b128 v[192:195], v2 offset:1312
	ds_read_b128 v[124:127], v2 offset:1328
	scratch_load_dwordx4 v[168:171], off, off offset:512
	ds_read_b128 v[212:215], v2 offset:1344
	ds_read_b128 v[204:207], v2 offset:1360
	;; [unrolled: 1-line block ×5, first 2 shown]
	scratch_load_dwordx4 v[176:179], off, off offset:528
	ds_read_b128 v[200:203], v2 offset:1424
	ds_read_b128 v[172:175], v2 offset:1440
	scratch_load_dwordx4 v[180:183], off, off offset:544
	ds_read_b128 v[216:219], v2 offset:1456
	ds_read_b128 v[184:187], v2 offset:1472
	;; [unrolled: 1-line block ×3, first 2 shown]
	scratch_load_dwordx4 v[188:191], off, off offset:560
	scratch_load_dwordx4 v[4:7], off, off offset:576
	scratch_load_dwordx4 v[8:11], off, off offset:592
	scratch_load_dwordx4 v[12:15], off, off offset:608
	scratch_load_dwordx4 v[16:19], off, off offset:624
	scratch_load_dwordx4 v[20:23], off, off offset:640
	scratch_load_dwordx4 a[130:133], off, off offset:656
	scratch_load_dwordx4 a[134:137], off, off offset:672
	ds_read_b128 v[220:223], v2 offset:1504
	ds_read_b128 v[224:227], v2 offset:1520
	;; [unrolled: 1-line block ×5, first 2 shown]
	s_waitcnt vmcnt(29) lgkmcnt(14)
	v_mul_f64 v[0:1], v[104:105], v[50:51]
	s_waitcnt vmcnt(28)
	v_mul_f64 v[24:25], v[208:209], v[54:55]
	v_fmac_f64_e32 v[0:1], v[106:107], v[48:49]
	s_waitcnt vmcnt(27)
	v_mul_f64 v[26:27], v[196:197], v[58:59]
	v_fmac_f64_e32 v[24:25], v[210:211], v[52:53]
	v_add_f64 v[0:1], v[0:1], 0
	s_waitcnt vmcnt(26)
	v_mul_f64 v[28:29], v[112:113], v[62:63]
	v_fmac_f64_e32 v[26:27], v[198:199], v[56:57]
	v_add_f64 v[0:1], v[0:1], v[24:25]
	;; [unrolled: 4-line block ×7, first 2 shown]
	s_waitcnt vmcnt(20) lgkmcnt(13)
	v_mul_f64 v[40:41], v[204:205], v[86:87]
	v_fmac_f64_e32 v[38:39], v[214:215], v[80:81]
	v_add_f64 v[0:1], v[0:1], v[36:37]
	s_waitcnt vmcnt(19) lgkmcnt(12)
	v_mul_f64 v[42:43], v[128:129], v[94:95]
	v_fmac_f64_e32 v[40:41], v[206:207], v[84:85]
	v_add_f64 v[0:1], v[0:1], v[38:39]
	;; [unrolled: 4-line block ×8, first 2 shown]
	v_fmac_f64_e32 v[98:99], v[186:187], v[152:153]
	v_add_f64 v[0:1], v[0:1], v[96:97]
	s_waitcnt vmcnt(12) lgkmcnt(5)
	v_mul_f64 v[32:33], v[160:161], v[158:159]
	v_add_f64 v[0:1], v[0:1], v[98:99]
	v_fmac_f64_e32 v[32:33], v[162:163], v[156:157]
	v_add_f64 v[0:1], v[0:1], v[32:33]
	s_waitcnt vmcnt(11) lgkmcnt(4)
	v_mul_f64 v[32:33], v[220:221], v[166:167]
	v_fmac_f64_e32 v[32:33], v[222:223], v[164:165]
	v_add_f64 v[0:1], v[0:1], v[32:33]
	scratch_load_dwordx4 v[32:35], off, off offset:688
	s_waitcnt vmcnt(11) lgkmcnt(3)
	v_mul_f64 v[36:37], v[224:225], v[170:171]
	v_fmac_f64_e32 v[36:37], v[226:227], v[168:169]
	v_add_f64 v[0:1], v[0:1], v[36:37]
	s_waitcnt vmcnt(10) lgkmcnt(2)
	v_mul_f64 v[36:37], v[228:229], v[178:179]
	v_fmac_f64_e32 v[36:37], v[230:231], v[176:177]
	v_add_f64 v[0:1], v[0:1], v[36:37]
	scratch_load_dwordx4 v[36:39], off, off offset:704
	s_waitcnt vmcnt(10) lgkmcnt(1)
	v_mul_f64 v[40:41], v[232:233], v[182:183]
	v_fmac_f64_e32 v[40:41], v[234:235], v[180:181]
	ds_read_b128 v[88:91], v2 offset:1584
	s_waitcnt vmcnt(9) lgkmcnt(1)
	v_mul_f64 v[44:45], v[236:237], v[190:191]
	v_add_f64 v[0:1], v[0:1], v[40:41]
	scratch_load_dwordx4 v[40:43], off, off offset:720
	v_fmac_f64_e32 v[44:45], v[238:239], v[188:189]
	v_add_f64 v[0:1], v[0:1], v[44:45]
	scratch_load_dwordx4 v[44:47], off, off offset:736
	v_mul_f64 v[50:51], v[106:107], v[50:51]
	v_fma_f64 v[244:245], v[104:105], v[48:49], -v[50:51]
	scratch_load_dwordx4 v[48:51], off, off offset:752
	s_waitcnt vmcnt(11) lgkmcnt(0)
	v_mul_f64 v[96:97], v[88:89], v[6:7]
	v_mul_f64 v[54:55], v[210:211], v[54:55]
	v_fmac_f64_e32 v[96:97], v[90:91], v[4:5]
	v_fma_f64 v[246:247], v[208:209], v[52:53], -v[54:55]
	scratch_load_dwordx4 v[52:55], off, off offset:768
	v_mul_f64 v[58:59], v[198:199], v[58:59]
	v_add_f64 v[0:1], v[0:1], v[96:97]
	ds_read_b128 v[96:99], v2 offset:1600
	ds_read_b128 v[104:107], v2 offset:1616
	v_fma_f64 v[248:249], v[196:197], v[56:57], -v[58:59]
	scratch_load_dwordx4 v[56:59], off, off offset:784
	v_mul_f64 v[62:63], v[114:115], v[62:63]
	v_accvgpr_write_b32 a141, v7
	v_fma_f64 v[250:251], v[112:113], v[60:61], -v[62:63]
	scratch_load_dwordx4 v[60:63], off, off offset:800
	v_accvgpr_write_b32 a140, v6
	v_accvgpr_write_b32 a139, v5
	;; [unrolled: 1-line block ×3, first 2 shown]
	s_waitcnt vmcnt(13)
	v_mov_b64_e32 v[4:5], v[8:9]
	v_mov_b64_e32 v[6:7], v[10:11]
	s_waitcnt lgkmcnt(1)
	v_mul_f64 v[208:209], v[96:97], v[6:7]
	v_fmac_f64_e32 v[208:209], v[98:99], v[4:5]
	s_waitcnt vmcnt(12)
	v_mov_b64_e32 v[4:5], v[12:13]
	ds_read_b128 v[112:115], v2 offset:1632
	v_mov_b64_e32 v[6:7], v[14:15]
	s_waitcnt lgkmcnt(1)
	v_mul_f64 v[196:197], v[104:105], v[6:7]
	v_mul_f64 v[66:67], v[122:123], v[66:67]
	;; [unrolled: 1-line block ×3, first 2 shown]
	v_fmac_f64_e32 v[196:197], v[106:107], v[4:5]
	v_fma_f64 v[252:253], v[120:121], v[64:65], -v[66:67]
	scratch_load_dwordx4 v[64:67], off, off offset:816
	v_fma_f64 v[254:255], v[116:117], v[68:69], -v[70:71]
	ds_read_b128 v[116:119], v2 offset:1648
	s_waitcnt vmcnt(12)
	v_mov_b64_e32 v[4:5], v[16:17]
	v_mov_b64_e32 v[6:7], v[18:19]
	scratch_load_dwordx4 v[68:71], off, off offset:832
	s_waitcnt lgkmcnt(1)
	v_mul_f64 v[120:121], v[112:113], v[6:7]
	v_mul_f64 v[74:75], v[194:195], v[74:75]
	v_add_f64 v[0:1], v[0:1], v[208:209]
	v_fmac_f64_e32 v[120:121], v[114:115], v[4:5]
	v_fma_f64 v[240:241], v[192:193], v[72:73], -v[74:75]
	s_waitcnt vmcnt(12)
	v_mov_b64_e32 v[4:5], v[20:21]
	scratch_load_dwordx4 v[72:75], off, off offset:848
	v_add_f64 v[0:1], v[0:1], v[196:197]
	v_mov_b64_e32 v[6:7], v[22:23]
	v_add_f64 v[0:1], v[0:1], v[120:121]
	s_waitcnt lgkmcnt(0)
	v_mul_f64 v[120:121], v[116:117], v[6:7]
	v_fmac_f64_e32 v[120:121], v[118:119], v[4:5]
	v_mul_f64 v[78:79], v[126:127], v[78:79]
	v_add_f64 v[0:1], v[0:1], v[120:121]
	v_fma_f64 v[28:29], v[124:125], v[76:77], -v[78:79]
	scratch_load_dwordx4 v[76:79], off, off offset:864
	ds_read_b128 v[124:127], v2 offset:1664
	ds_read_b128 v[120:123], v2 offset:1680
	v_mul_f64 v[6:7], v[214:215], v[82:83]
	v_fma_f64 v[24:25], v[212:213], v[80:81], -v[6:7]
	s_waitcnt vmcnt(13)
	v_accvgpr_read_b32 v4, a130
	v_accvgpr_write_b32 a145, v11
	v_accvgpr_write_b32 a157, v23
	v_mul_f64 v[80:81], v[206:207], v[86:87]
	v_accvgpr_read_b32 v6, a132
	v_accvgpr_read_b32 v7, a133
	v_accvgpr_write_b32 a144, v10
	v_accvgpr_write_b32 a143, v9
	;; [unrolled: 1-line block ×6, first 2 shown]
	v_fma_f64 v[20:21], v[204:205], v[84:85], -v[80:81]
	scratch_load_dwordx4 v[84:87], off, off offset:880
	v_accvgpr_read_b32 v5, a131
	s_waitcnt lgkmcnt(1)
	v_mul_f64 v[10:11], v[124:125], v[6:7]
	v_fmac_f64_e32 v[10:11], v[126:127], v[4:5]
	s_waitcnt vmcnt(13)
	v_accvgpr_read_b32 v4, a134
	v_accvgpr_read_b32 v6, a136
	;; [unrolled: 1-line block ×3, first 2 shown]
	v_add_f64 v[0:1], v[0:1], v[10:11]
	v_accvgpr_read_b32 v5, a135
	s_waitcnt lgkmcnt(0)
	v_mul_f64 v[10:11], v[120:121], v[6:7]
	v_fmac_f64_e32 v[10:11], v[122:123], v[4:5]
	v_accvgpr_write_b32 a153, v19
	scratch_load_dwordx4 v[80:83], off, off offset:896
	v_add_f64 v[0:1], v[0:1], v[10:11]
	v_mul_f64 v[10:11], v[130:131], v[94:95]
	v_accvgpr_write_b32 a149, v15
	v_accvgpr_write_b32 a152, v18
	;; [unrolled: 1-line block ×4, first 2 shown]
	v_fma_f64 v[16:17], v[128:129], v[92:93], -v[10:11]
	v_mul_f64 v[92:93], v[134:135], v[102:103]
	v_accvgpr_write_b32 a148, v14
	v_accvgpr_write_b32 a147, v13
	;; [unrolled: 1-line block ×3, first 2 shown]
	v_fma_f64 v[12:13], v[132:133], v[100:101], -v[92:93]
	scratch_load_dwordx4 v[92:95], off, off offset:912
	ds_read_b128 v[128:131], v2 offset:1696
	ds_read_b128 v[132:135], v2 offset:1712
	scratch_load_dwordx4 v[100:103], off, off offset:928
	v_mul_f64 v[14:15], v[150:151], v[110:111]
	v_fma_f64 v[14:15], v[148:149], v[108:109], -v[14:15]
	s_waitcnt vmcnt(15) lgkmcnt(1)
	v_mul_f64 v[108:109], v[128:129], v[34:35]
	v_fmac_f64_e32 v[108:109], v[130:131], v[32:33]
	v_add_f64 v[0:1], v[0:1], v[108:109]
	v_mul_f64 v[108:109], v[202:203], v[138:139]
	v_fma_f64 v[10:11], v[200:201], v[136:137], -v[108:109]
	scratch_load_dwordx4 v[108:111], off, off offset:944
	s_waitcnt vmcnt(15) lgkmcnt(0)
	v_mul_f64 v[18:19], v[132:133], v[38:39]
	v_fmac_f64_e32 v[18:19], v[134:135], v[36:37]
	ds_read_b128 v[136:139], v2 offset:1728
	v_add_f64 v[0:1], v[0:1], v[18:19]
	v_mul_f64 v[18:19], v[174:175], v[142:143]
	v_fma_f64 v[18:19], v[172:173], v[140:141], -v[18:19]
	ds_read_b128 v[140:143], v2 offset:1744
	v_mul_f64 v[146:147], v[218:219], v[146:147]
	v_fma_f64 v[8:9], v[216:217], v[144:145], -v[146:147]
	ds_read_b128 v[144:147], v2 offset:1760
	s_waitcnt vmcnt(14) lgkmcnt(2)
	v_mul_f64 v[148:149], v[136:137], v[42:43]
	v_fmac_f64_e32 v[148:149], v[138:139], v[40:41]
	s_waitcnt vmcnt(13) lgkmcnt(1)
	v_mul_f64 v[22:23], v[140:141], v[46:47]
	v_add_f64 v[0:1], v[0:1], v[148:149]
	v_fmac_f64_e32 v[22:23], v[142:143], v[44:45]
	ds_read_b128 v[148:151], v2 offset:1776
	v_add_f64 v[0:1], v[0:1], v[22:23]
	s_waitcnt vmcnt(12) lgkmcnt(1)
	v_mul_f64 v[22:23], v[144:145], v[50:51]
	v_fmac_f64_e32 v[22:23], v[146:147], v[48:49]
	v_add_f64 v[0:1], v[0:1], v[22:23]
	v_mul_f64 v[22:23], v[186:187], v[154:155]
	v_fma_f64 v[22:23], v[184:185], v[152:153], -v[22:23]
	ds_read_b128 v[152:155], v2 offset:1792
	v_mul_f64 v[158:159], v[162:163], v[158:159]
	v_fma_f64 v[6:7], v[160:161], v[156:157], -v[158:159]
	ds_read_b128 v[156:159], v2 offset:1808
	s_waitcnt vmcnt(11) lgkmcnt(2)
	v_mul_f64 v[172:173], v[148:149], v[54:55]
	v_fmac_f64_e32 v[172:173], v[150:151], v[52:53]
	s_waitcnt vmcnt(10) lgkmcnt(1)
	v_mul_f64 v[26:27], v[152:153], v[58:59]
	v_add_f64 v[0:1], v[0:1], v[172:173]
	v_fmac_f64_e32 v[26:27], v[154:155], v[56:57]
	v_add_f64 v[0:1], v[0:1], v[26:27]
	s_waitcnt vmcnt(9) lgkmcnt(0)
	v_mul_f64 v[26:27], v[156:157], v[62:63]
	v_fmac_f64_e32 v[26:27], v[158:159], v[60:61]
	ds_read_b128 v[160:163], v2 offset:1824
	v_add_f64 v[0:1], v[0:1], v[26:27]
	v_mul_f64 v[26:27], v[222:223], v[166:167]
	v_fma_f64 v[26:27], v[220:221], v[164:165], -v[26:27]
	ds_read_b128 v[164:167], v2 offset:1840
	v_mul_f64 v[170:171], v[226:227], v[170:171]
	v_fma_f64 v[4:5], v[224:225], v[168:169], -v[170:171]
	ds_read_b128 v[168:171], v2 offset:1856
	s_waitcnt vmcnt(8) lgkmcnt(2)
	v_mul_f64 v[172:173], v[160:161], v[66:67]
	v_fmac_f64_e32 v[172:173], v[162:163], v[64:65]
	s_waitcnt vmcnt(7) lgkmcnt(1)
	v_mul_f64 v[30:31], v[164:165], v[70:71]
	v_add_f64 v[0:1], v[0:1], v[172:173]
	v_fmac_f64_e32 v[30:31], v[166:167], v[68:69]
	v_add_f64 v[0:1], v[0:1], v[30:31]
	ds_read_b128 v[172:175], v2 offset:1872
	s_waitcnt vmcnt(6) lgkmcnt(1)
	v_mul_f64 v[30:31], v[168:169], v[74:75]
	v_fmac_f64_e32 v[30:31], v[170:171], v[72:73]
	v_add_f64 v[30:31], v[0:1], v[30:31]
	v_mul_f64 v[0:1], v[230:231], v[178:179]
	v_fma_f64 v[0:1], v[228:229], v[176:177], -v[0:1]
	ds_read_b128 v[176:179], v2 offset:1888
	v_mul_f64 v[182:183], v[234:235], v[182:183]
	s_waitcnt vmcnt(5) lgkmcnt(1)
	v_mul_f64 v[184:185], v[172:173], v[78:79]
	v_fma_f64 v[180:181], v[232:233], v[180:181], -v[182:183]
	v_fmac_f64_e32 v[184:185], v[174:175], v[76:77]
	v_accvgpr_write_b32 a158, v180
	v_mul_f64 v[190:191], v[238:239], v[190:191]
	v_accvgpr_write_b32 a159, v181
	ds_read_b128 v[180:183], v2 offset:1904
	v_add_f64 v[30:31], v[30:31], v[184:185]
	v_fma_f64 v[242:243], v[236:237], v[188:189], -v[190:191]
	scratch_load_dwordx4 v[236:239], off, off offset:192
	s_waitcnt vmcnt(5) lgkmcnt(1)
	v_mul_f64 v[184:185], v[176:177], v[86:87]
	v_fmac_f64_e32 v[184:185], v[178:179], v[84:85]
	v_add_f64 v[30:31], v[30:31], v[184:185]
	ds_read_b128 v[184:187], v2 offset:1920
	ds_read_b128 v[188:191], v2 offset:1936
	s_waitcnt vmcnt(4) lgkmcnt(2)
	v_mul_f64 v[192:193], v[180:181], v[82:83]
	v_fmac_f64_e32 v[192:193], v[182:183], v[80:81]
	v_add_f64 v[30:31], v[30:31], v[192:193]
	s_waitcnt vmcnt(3) lgkmcnt(1)
	v_mul_f64 v[192:193], v[184:185], v[94:95]
	v_fmac_f64_e32 v[192:193], v[186:187], v[92:93]
	v_add_f64 v[30:31], v[30:31], v[192:193]
	;; [unrolled: 4-line block ×3, first 2 shown]
	ds_read_b128 v[192:195], v2 offset:1952
	ds_read_b128 v[200:203], v2 offset:1968
	scratch_load_dwordx4 v[232:235], off, off offset:1024
	ds_read_b128 v[208:211], v2 offset:1984
	ds_read_b128 v[216:219], v2 offset:2000
	s_waitcnt vmcnt(2) lgkmcnt(3)
	v_mul_f64 v[196:197], v[192:193], v[110:111]
	v_fmac_f64_e32 v[196:197], v[194:195], v[108:109]
	v_add_f64 v[30:31], v[30:31], v[196:197]
	scratch_load_dwordx4 v[196:199], off, off offset:960
	ds_read_b128 v[224:227], v2 offset:2016
	s_waitcnt vmcnt(0) lgkmcnt(3)
	v_mul_f64 v[204:205], v[200:201], v[198:199]
	v_fmac_f64_e32 v[204:205], v[202:203], v[196:197]
	v_add_f64 v[30:31], v[30:31], v[204:205]
	scratch_load_dwordx4 v[204:207], off, off offset:976
	s_waitcnt vmcnt(0) lgkmcnt(2)
	v_mul_f64 v[212:213], v[208:209], v[206:207]
	v_fmac_f64_e32 v[212:213], v[210:211], v[204:205]
	v_add_f64 v[30:31], v[30:31], v[212:213]
	scratch_load_dwordx4 v[212:215], off, off offset:992
	;; [unrolled: 5-line block ×3, first 2 shown]
	s_waitcnt vmcnt(0) lgkmcnt(0)
	v_mul_f64 v[228:229], v[224:225], v[222:223]
	v_fmac_f64_e32 v[228:229], v[226:227], v[220:221]
	v_add_f64 v[30:31], v[30:31], v[228:229]
	ds_read_b128 v[228:231], v2 offset:2032
	s_waitcnt lgkmcnt(0)
	v_mul_f64 v[2:3], v[228:229], v[234:235]
	v_fmac_f64_e32 v[2:3], v[230:231], v[232:233]
	v_add_f64 v[2:3], v[30:31], v[2:3]
	v_add_f64 v[30:31], v[244:245], 0
	;; [unrolled: 1-line block ×21, first 2 shown]
	v_accvgpr_read_b32 v6, a138
	v_add_f64 v[244:245], v[4:5], v[0:1]
	v_accvgpr_read_b32 v0, a158
	v_accvgpr_read_b32 v8, a140
	;; [unrolled: 1-line block ×5, first 2 shown]
	v_mul_f64 v[4:5], v[90:91], v[8:9]
	v_add_f64 v[0:1], v[244:245], v[0:1]
	v_fma_f64 v[4:5], v[88:89], v[6:7], -v[4:5]
	v_accvgpr_read_b32 v6, a142
	v_add_f64 v[0:1], v[0:1], v[242:243]
	v_accvgpr_read_b32 v8, a144
	v_accvgpr_read_b32 v9, a145
	v_add_f64 v[0:1], v[0:1], v[4:5]
	v_accvgpr_read_b32 v7, a143
	v_mul_f64 v[4:5], v[98:99], v[8:9]
	v_fma_f64 v[4:5], v[96:97], v[6:7], -v[4:5]
	v_accvgpr_read_b32 v6, a146
	v_accvgpr_read_b32 v8, a148
	v_accvgpr_read_b32 v9, a149
	v_add_f64 v[0:1], v[0:1], v[4:5]
	v_accvgpr_read_b32 v7, a147
	v_mul_f64 v[4:5], v[106:107], v[8:9]
	v_fma_f64 v[4:5], v[104:105], v[6:7], -v[4:5]
	v_accvgpr_read_b32 v6, a150
	;; [unrolled: 7-line block ×5, first 2 shown]
	v_accvgpr_read_b32 v8, a136
	v_accvgpr_read_b32 v9, a137
	v_add_f64 v[0:1], v[0:1], v[4:5]
	v_accvgpr_read_b32 v7, a135
	v_mul_f64 v[4:5], v[122:123], v[8:9]
	v_fma_f64 v[4:5], v[120:121], v[6:7], -v[4:5]
	v_add_f64 v[0:1], v[0:1], v[4:5]
	v_mul_f64 v[4:5], v[130:131], v[34:35]
	v_fma_f64 v[4:5], v[128:129], v[32:33], -v[4:5]
	v_add_f64 v[0:1], v[0:1], v[4:5]
	;; [unrolled: 3-line block ×23, first 2 shown]
	v_add_f64 v[4:5], v[236:237], -v[0:1]
	v_accvgpr_read_b32 v0, a128
	v_add_f64 v[6:7], v[238:239], -v[2:3]
	v_cmp_lt_u32_e32 vcc, 10, v0
	scratch_store_dwordx4 off, v[4:7], off offset:192
	s_and_saveexec_b64 s[0:1], vcc
	s_cbranch_execz .LBB63_389
; %bb.388:
	scratch_load_dwordx4 v[2:5], off, s67
	v_mov_b32_e32 v6, 0
	v_mov_b32_e32 v7, v6
	;; [unrolled: 1-line block ×4, first 2 shown]
	v_accvgpr_read_b32 v0, a129
	scratch_store_dwordx4 off, v[6:9], off offset:176
	s_waitcnt vmcnt(1)
	ds_write_b128 v0, v[2:5]
.LBB63_389:
	s_or_b64 exec, exec, s[0:1]
	s_waitcnt lgkmcnt(0)
	; wave barrier
	scratch_load_dwordx4 v[40:43], off, off offset:192
	scratch_load_dwordx4 v[44:47], off, off offset:208
	;; [unrolled: 1-line block ×29, first 2 shown]
	v_mov_b32_e32 v2, 0
	ds_read_b128 v[80:83], v2 offset:1200
	ds_read_b128 v[100:103], v2 offset:1216
	;; [unrolled: 1-line block ×18, first 2 shown]
	scratch_load_dwordx4 a[130:133], off, off offset:656
	scratch_load_dwordx4 a[134:137], off, off offset:672
	;; [unrolled: 1-line block ×4, first 2 shown]
	ds_read_b128 v[228:231], v2 offset:1552
	ds_read_b128 v[238:241], v2 offset:1568
	;; [unrolled: 1-line block ×4, first 2 shown]
	s_waitcnt vmcnt(32) lgkmcnt(14)
	v_mul_f64 v[0:1], v[80:81], v[42:43]
	s_waitcnt vmcnt(31)
	v_mul_f64 v[20:21], v[100:101], v[46:47]
	v_fmac_f64_e32 v[0:1], v[82:83], v[40:41]
	s_waitcnt vmcnt(30)
	v_mul_f64 v[22:23], v[104:105], v[50:51]
	v_fmac_f64_e32 v[20:21], v[102:103], v[44:45]
	v_add_f64 v[0:1], v[0:1], 0
	s_waitcnt vmcnt(29)
	v_mul_f64 v[24:25], v[108:109], v[54:55]
	v_fmac_f64_e32 v[22:23], v[106:107], v[48:49]
	v_add_f64 v[0:1], v[0:1], v[20:21]
	;; [unrolled: 4-line block ×6, first 2 shown]
	s_waitcnt vmcnt(24) lgkmcnt(13)
	v_mul_f64 v[34:35], v[144:145], v[74:75]
	v_fmac_f64_e32 v[32:33], v[134:135], v[68:69]
	v_add_f64 v[0:1], v[0:1], v[30:31]
	s_waitcnt vmcnt(23) lgkmcnt(12)
	v_mul_f64 v[36:37], v[156:157], v[78:79]
	v_fmac_f64_e32 v[34:35], v[146:147], v[72:73]
	v_add_f64 v[0:1], v[0:1], v[32:33]
	;; [unrolled: 4-line block ×7, first 2 shown]
	v_fmac_f64_e32 v[218:219], v[198:199], v[124:125]
	v_add_f64 v[0:1], v[0:1], v[216:217]
	ds_read_b128 v[212:215], v2 offset:1488
	s_waitcnt vmcnt(17) lgkmcnt(7)
	v_mul_f64 v[220:221], v[200:201], v[130:131]
	v_add_f64 v[0:1], v[0:1], v[218:219]
	ds_read_b128 v[216:219], v2 offset:1504
	v_fmac_f64_e32 v[220:221], v[202:203], v[128:129]
	s_waitcnt vmcnt(16) lgkmcnt(7)
	v_mul_f64 v[20:21], v[204:205], v[138:139]
	v_add_f64 v[0:1], v[0:1], v[220:221]
	v_fmac_f64_e32 v[20:21], v[206:207], v[136:137]
	s_waitcnt vmcnt(15) lgkmcnt(6)
	v_mul_f64 v[24:25], v[208:209], v[142:143]
	ds_read_b128 v[220:223], v2 offset:1520
	v_add_f64 v[0:1], v[0:1], v[20:21]
	v_fmac_f64_e32 v[24:25], v[210:211], v[140:141]
	v_add_f64 v[0:1], v[0:1], v[24:25]
	s_waitcnt vmcnt(14) lgkmcnt(2)
	v_mul_f64 v[24:25], v[212:213], v[150:151]
	v_fmac_f64_e32 v[24:25], v[214:215], v[148:149]
	s_waitcnt vmcnt(13) lgkmcnt(1)
	v_mul_f64 v[28:29], v[216:217], v[154:155]
	v_add_f64 v[0:1], v[0:1], v[24:25]
	v_fmac_f64_e32 v[28:29], v[218:219], v[152:153]
	v_add_f64 v[0:1], v[0:1], v[28:29]
	s_waitcnt vmcnt(12) lgkmcnt(0)
	v_mul_f64 v[28:29], v[220:221], v[162:163]
	v_fmac_f64_e32 v[28:29], v[222:223], v[160:161]
	s_waitcnt vmcnt(11)
	v_mul_f64 v[32:33], v[224:225], v[166:167]
	v_add_f64 v[0:1], v[0:1], v[28:29]
	v_fmac_f64_e32 v[32:33], v[226:227], v[164:165]
	v_add_f64 v[0:1], v[0:1], v[32:33]
	s_waitcnt vmcnt(10)
	v_mul_f64 v[32:33], v[228:229], v[174:175]
	v_fmac_f64_e32 v[32:33], v[230:231], v[172:173]
	s_waitcnt vmcnt(9)
	v_mul_f64 v[36:37], v[238:239], v[178:179]
	v_add_f64 v[0:1], v[0:1], v[32:33]
	v_fmac_f64_e32 v[36:37], v[240:241], v[176:177]
	v_mul_f64 v[42:43], v[82:83], v[42:43]
	v_add_f64 v[0:1], v[0:1], v[36:37]
	scratch_load_dwordx4 v[36:39], off, off offset:720
	v_fma_f64 v[246:247], v[80:81], v[40:41], -v[42:43]
	ds_read_b128 v[80:83], v2 offset:1600
	s_waitcnt vmcnt(9)
	v_mul_f64 v[40:41], v[242:243], v[186:187]
	v_fmac_f64_e32 v[40:41], v[244:245], v[184:185]
	v_add_f64 v[0:1], v[0:1], v[40:41]
	v_mul_f64 v[40:41], v[102:103], v[46:47]
	v_fma_f64 v[248:249], v[100:101], v[44:45], -v[40:41]
	scratch_load_dwordx4 v[40:43], off, off offset:736
	s_waitcnt vmcnt(9) lgkmcnt(0)
	v_mul_f64 v[44:45], v[80:81], v[6:7]
	v_fmac_f64_e32 v[44:45], v[82:83], v[4:5]
	v_add_f64 v[0:1], v[0:1], v[44:45]
	scratch_load_dwordx4 v[44:47], off, off offset:752
	v_mul_f64 v[50:51], v[106:107], v[50:51]
	v_fma_f64 v[250:251], v[104:105], v[48:49], -v[50:51]
	ds_read_b128 v[100:103], v2 offset:1616
	v_mul_f64 v[48:49], v[110:111], v[54:55]
	v_fma_f64 v[252:253], v[108:109], v[52:53], -v[48:49]
	scratch_load_dwordx4 v[52:55], off, off offset:768
	scratch_load_dwordx4 v[48:51], off, off offset:784
	v_accvgpr_write_b32 a145, v7
	v_accvgpr_write_b32 a144, v6
	v_accvgpr_write_b32 a143, v5
	v_accvgpr_write_b32 a142, v4
	s_waitcnt vmcnt(11)
	v_mov_b64_e32 v[4:5], v[8:9]
	v_mul_f64 v[58:59], v[114:115], v[58:59]
	v_mov_b64_e32 v[6:7], v[10:11]
	v_fma_f64 v[254:255], v[112:113], v[56:57], -v[58:59]
	s_waitcnt lgkmcnt(0)
	v_mul_f64 v[56:57], v[100:101], v[6:7]
	v_fmac_f64_e32 v[56:57], v[102:103], v[4:5]
	v_add_f64 v[0:1], v[0:1], v[56:57]
	v_mul_f64 v[56:57], v[118:119], v[62:63]
	v_fma_f64 v[232:233], v[116:117], v[60:61], -v[56:57]
	scratch_load_dwordx4 v[56:59], off, off offset:800
	scratch_load_dwordx4 v[60:63], off, off offset:816
	ds_read_b128 v[104:107], v2 offset:1632
	ds_read_b128 v[112:115], v2 offset:1664
	v_mul_f64 v[66:67], v[122:123], v[66:67]
	v_fma_f64 v[32:33], v[120:121], v[64:65], -v[66:67]
	scratch_load_dwordx4 v[64:67], off, off offset:832
	s_waitcnt vmcnt(13)
	v_mov_b64_e32 v[4:5], v[12:13]
	v_mov_b64_e32 v[6:7], v[14:15]
	s_waitcnt lgkmcnt(1)
	v_mul_f64 v[108:109], v[104:105], v[6:7]
	v_fmac_f64_e32 v[108:109], v[106:107], v[4:5]
	v_mul_f64 v[6:7], v[134:135], v[70:71]
	v_add_f64 v[0:1], v[0:1], v[108:109]
	ds_read_b128 v[108:111], v2 offset:1648
	ds_read_b128 v[116:119], v2 offset:1680
	v_fma_f64 v[28:29], v[132:133], v[68:69], -v[6:7]
	scratch_load_dwordx4 v[68:71], off, off offset:848
	v_mul_f64 v[6:7], v[146:147], v[74:75]
	v_accvgpr_write_b32 a149, v11
	v_fma_f64 v[24:25], v[144:145], v[72:73], -v[6:7]
	scratch_load_dwordx4 v[72:75], off, off offset:864
	v_accvgpr_write_b32 a148, v10
	v_accvgpr_write_b32 a147, v9
	;; [unrolled: 1-line block ×3, first 2 shown]
	s_waitcnt vmcnt(14)
	v_mov_b64_e32 v[8:9], v[16:17]
	v_mov_b64_e32 v[10:11], v[18:19]
	s_waitcnt lgkmcnt(1)
	v_mul_f64 v[6:7], v[108:109], v[10:11]
	v_fmac_f64_e32 v[6:7], v[110:111], v[8:9]
	s_waitcnt vmcnt(13)
	v_accvgpr_read_b32 v8, a130
	v_add_f64 v[0:1], v[0:1], v[6:7]
	v_mul_f64 v[6:7], v[158:159], v[78:79]
	v_accvgpr_read_b32 v10, a132
	v_accvgpr_read_b32 v11, a133
	v_fma_f64 v[20:21], v[156:157], v[76:77], -v[6:7]
	v_accvgpr_read_b32 v9, a131
	v_mul_f64 v[6:7], v[112:113], v[10:11]
	scratch_load_dwordx4 v[76:79], off, off offset:880
	v_accvgpr_write_b32 a153, v15
	v_fmac_f64_e32 v[6:7], v[114:115], v[8:9]
	v_accvgpr_write_b32 a152, v14
	v_accvgpr_write_b32 a151, v13
	;; [unrolled: 1-line block ×4, first 2 shown]
	v_mul_f64 v[14:15], v[170:171], v[86:87]
	v_add_f64 v[0:1], v[0:1], v[6:7]
	v_mul_f64 v[6:7], v[182:183], v[90:91]
	v_accvgpr_write_b32 a156, v18
	v_accvgpr_write_b32 a155, v17
	;; [unrolled: 1-line block ×3, first 2 shown]
	v_fma_f64 v[16:17], v[168:169], v[84:85], -v[14:15]
	v_fma_f64 v[14:15], v[180:181], v[88:89], -v[6:7]
	ds_read_b128 v[120:123], v2 offset:1696
	scratch_load_dwordx4 v[88:91], off, off offset:896
	scratch_load_dwordx4 v[84:87], off, off offset:912
	s_waitcnt vmcnt(15)
	v_accvgpr_read_b32 v8, a134
	v_accvgpr_read_b32 v10, a136
	;; [unrolled: 1-line block ×3, first 2 shown]
	v_mul_f64 v[18:19], v[190:191], v[94:95]
	v_accvgpr_read_b32 v9, a135
	s_waitcnt lgkmcnt(1)
	v_mul_f64 v[6:7], v[116:117], v[10:11]
	v_fma_f64 v[18:19], v[188:189], v[92:93], -v[18:19]
	v_mul_f64 v[92:93], v[194:195], v[98:99]
	v_fmac_f64_e32 v[6:7], v[118:119], v[8:9]
	s_waitcnt vmcnt(14)
	v_accvgpr_read_b32 v8, a138
	v_fma_f64 v[12:13], v[192:193], v[96:97], -v[92:93]
	scratch_load_dwordx4 v[92:95], off, off offset:928
	v_accvgpr_read_b32 v10, a140
	v_accvgpr_read_b32 v11, a141
	v_mul_f64 v[96:97], v[202:203], v[130:131]
	v_add_f64 v[0:1], v[0:1], v[6:7]
	s_waitcnt lgkmcnt(0)
	v_mul_f64 v[6:7], v[120:121], v[10:11]
	v_fma_f64 v[10:11], v[200:201], v[128:129], -v[96:97]
	scratch_load_dwordx4 v[96:99], off, off offset:944
	v_mul_f64 v[22:23], v[198:199], v[126:127]
	v_fma_f64 v[22:23], v[196:197], v[124:125], -v[22:23]
	ds_read_b128 v[124:127], v2 offset:1712
	ds_read_b128 v[128:131], v2 offset:1728
	v_accvgpr_read_b32 v9, a139
	v_fmac_f64_e32 v[6:7], v[122:123], v[8:9]
	v_add_f64 v[0:1], v[0:1], v[6:7]
	s_waitcnt vmcnt(15) lgkmcnt(1)
	v_mul_f64 v[6:7], v[124:125], v[236:237]
	ds_read_b128 v[132:135], v2 offset:1744
	v_fmac_f64_e32 v[6:7], v[126:127], v[234:235]
	v_add_f64 v[0:1], v[0:1], v[6:7]
	s_waitcnt vmcnt(14) lgkmcnt(1)
	v_mul_f64 v[6:7], v[128:129], v[38:39]
	v_fmac_f64_e32 v[6:7], v[130:131], v[36:37]
	v_add_f64 v[0:1], v[0:1], v[6:7]
	v_mul_f64 v[6:7], v[206:207], v[138:139]
	v_fma_f64 v[26:27], v[204:205], v[136:137], -v[6:7]
	ds_read_b128 v[136:139], v2 offset:1760
	s_waitcnt vmcnt(13) lgkmcnt(1)
	v_mul_f64 v[6:7], v[132:133], v[42:43]
	v_fmac_f64_e32 v[6:7], v[134:135], v[40:41]
	v_add_f64 v[0:1], v[0:1], v[6:7]
	v_mul_f64 v[6:7], v[210:211], v[142:143]
	v_fma_f64 v[8:9], v[208:209], v[140:141], -v[6:7]
	ds_read_b128 v[140:143], v2 offset:1776
	ds_read_b128 v[144:147], v2 offset:1792
	s_waitcnt vmcnt(12) lgkmcnt(2)
	v_mul_f64 v[6:7], v[136:137], v[46:47]
	v_fmac_f64_e32 v[6:7], v[138:139], v[44:45]
	v_add_f64 v[0:1], v[0:1], v[6:7]
	s_waitcnt vmcnt(11) lgkmcnt(1)
	v_mul_f64 v[6:7], v[140:141], v[54:55]
	v_fmac_f64_e32 v[6:7], v[142:143], v[52:53]
	v_add_f64 v[0:1], v[0:1], v[6:7]
	v_mul_f64 v[6:7], v[214:215], v[150:151]
	v_fma_f64 v[30:31], v[212:213], v[148:149], -v[6:7]
	ds_read_b128 v[148:151], v2 offset:1808
	v_mul_f64 v[154:155], v[218:219], v[154:155]
	v_fma_f64 v[4:5], v[216:217], v[152:153], -v[154:155]
	ds_read_b128 v[152:155], v2 offset:1824
	s_waitcnt vmcnt(10) lgkmcnt(2)
	v_mul_f64 v[6:7], v[144:145], v[50:51]
	v_fmac_f64_e32 v[6:7], v[146:147], v[48:49]
	v_add_f64 v[0:1], v[0:1], v[6:7]
	s_waitcnt vmcnt(9) lgkmcnt(1)
	v_mul_f64 v[6:7], v[148:149], v[58:59]
	ds_read_b128 v[156:159], v2 offset:1840
	v_fmac_f64_e32 v[6:7], v[150:151], v[56:57]
	v_add_f64 v[0:1], v[0:1], v[6:7]
	s_waitcnt vmcnt(8) lgkmcnt(1)
	v_mul_f64 v[6:7], v[152:153], v[62:63]
	v_fmac_f64_e32 v[6:7], v[154:155], v[60:61]
	v_add_f64 v[0:1], v[0:1], v[6:7]
	v_mul_f64 v[6:7], v[222:223], v[162:163]
	v_fma_f64 v[34:35], v[220:221], v[160:161], -v[6:7]
	ds_read_b128 v[160:163], v2 offset:1856
	s_waitcnt vmcnt(7) lgkmcnt(1)
	v_mul_f64 v[6:7], v[156:157], v[66:67]
	v_fmac_f64_e32 v[6:7], v[158:159], v[64:65]
	v_add_f64 v[0:1], v[0:1], v[6:7]
	v_mul_f64 v[6:7], v[226:227], v[166:167]
	v_fma_f64 v[6:7], v[224:225], v[164:165], -v[6:7]
	ds_read_b128 v[164:167], v2 offset:1872
	s_waitcnt vmcnt(6) lgkmcnt(1)
	v_mul_f64 v[168:169], v[160:161], v[70:71]
	v_fmac_f64_e32 v[168:169], v[162:163], v[68:69]
	v_add_f64 v[0:1], v[0:1], v[168:169]
	ds_read_b128 v[168:171], v2 offset:1888
	s_waitcnt vmcnt(5) lgkmcnt(1)
	v_mul_f64 v[180:181], v[164:165], v[74:75]
	v_fmac_f64_e32 v[180:181], v[166:167], v[72:73]
	v_add_f64 v[180:181], v[0:1], v[180:181]
	v_mul_f64 v[0:1], v[230:231], v[174:175]
	v_fma_f64 v[0:1], v[228:229], v[172:173], -v[0:1]
	ds_read_b128 v[172:175], v2 offset:1904
	s_waitcnt vmcnt(4) lgkmcnt(1)
	v_mul_f64 v[182:183], v[168:169], v[78:79]
	v_fmac_f64_e32 v[182:183], v[170:171], v[76:77]
	v_mul_f64 v[178:179], v[240:241], v[178:179]
	v_fma_f64 v[238:239], v[238:239], v[176:177], -v[178:179]
	ds_read_b128 v[176:179], v2 offset:1920
	v_add_f64 v[180:181], v[180:181], v[182:183]
	s_waitcnt vmcnt(3) lgkmcnt(1)
	v_mul_f64 v[182:183], v[172:173], v[90:91]
	v_fmac_f64_e32 v[182:183], v[174:175], v[88:89]
	v_add_f64 v[188:189], v[180:181], v[182:183]
	ds_read_b128 v[180:183], v2 offset:1936
	v_mul_f64 v[186:187], v[244:245], v[186:187]
	v_fma_f64 v[240:241], v[242:243], v[184:185], -v[186:187]
	ds_read_b128 v[184:187], v2 offset:1952
	s_waitcnt vmcnt(2) lgkmcnt(2)
	v_mul_f64 v[190:191], v[176:177], v[86:87]
	v_fmac_f64_e32 v[190:191], v[178:179], v[84:85]
	v_add_f64 v[188:189], v[188:189], v[190:191]
	s_waitcnt vmcnt(1) lgkmcnt(1)
	v_mul_f64 v[190:191], v[180:181], v[94:95]
	v_fmac_f64_e32 v[190:191], v[182:183], v[92:93]
	v_add_f64 v[188:189], v[188:189], v[190:191]
	;; [unrolled: 4-line block ×3, first 2 shown]
	scratch_load_dwordx4 v[188:191], off, off offset:960
	ds_read_b128 v[192:195], v2 offset:1968
	ds_read_b128 v[200:203], v2 offset:1984
	;; [unrolled: 1-line block ×5, first 2 shown]
	s_waitcnt vmcnt(0) lgkmcnt(4)
	v_mul_f64 v[198:199], v[192:193], v[190:191]
	v_fmac_f64_e32 v[198:199], v[194:195], v[188:189]
	v_add_f64 v[204:205], v[196:197], v[198:199]
	scratch_load_dwordx4 v[196:199], off, off offset:976
	s_waitcnt vmcnt(0) lgkmcnt(3)
	v_mul_f64 v[206:207], v[200:201], v[198:199]
	v_fmac_f64_e32 v[206:207], v[202:203], v[196:197]
	v_add_f64 v[212:213], v[204:205], v[206:207]
	scratch_load_dwordx4 v[204:207], off, off offset:992
	s_waitcnt vmcnt(0) lgkmcnt(2)
	v_mul_f64 v[214:215], v[208:209], v[206:207]
	v_fmac_f64_e32 v[214:215], v[210:211], v[204:205]
	v_add_f64 v[220:221], v[212:213], v[214:215]
	scratch_load_dwordx4 v[212:215], off, off offset:1008
	s_waitcnt vmcnt(0) lgkmcnt(1)
	v_mul_f64 v[222:223], v[216:217], v[214:215]
	v_fmac_f64_e32 v[222:223], v[218:219], v[212:213]
	v_add_f64 v[228:229], v[220:221], v[222:223]
	scratch_load_dwordx4 v[220:223], off, off offset:1024
	s_waitcnt vmcnt(0) lgkmcnt(0)
	v_mul_f64 v[230:231], v[224:225], v[222:223]
	v_fmac_f64_e32 v[230:231], v[226:227], v[220:221]
	v_add_f64 v[244:245], v[228:229], v[230:231]
	v_add_f64 v[228:229], v[246:247], 0
	v_add_f64 v[228:229], v[228:229], v[248:249]
	v_add_f64 v[228:229], v[228:229], v[250:251]
	v_add_f64 v[228:229], v[228:229], v[252:253]
	v_add_f64 v[228:229], v[228:229], v[254:255]
	v_add_f64 v[228:229], v[228:229], v[232:233]
	v_add_f64 v[32:33], v[228:229], v[32:33]
	scratch_load_dwordx4 v[228:231], off, off offset:176
	v_add_f64 v[28:29], v[32:33], v[28:29]
	v_add_f64 v[24:25], v[28:29], v[24:25]
	;; [unrolled: 1-line block ×15, first 2 shown]
	v_accvgpr_read_b32 v6, a142
	v_accvgpr_read_b32 v8, a144
	;; [unrolled: 1-line block ×3, first 2 shown]
	v_add_f64 v[0:1], v[4:5], v[0:1]
	v_accvgpr_read_b32 v7, a143
	v_mul_f64 v[4:5], v[82:83], v[8:9]
	v_add_f64 v[0:1], v[0:1], v[238:239]
	v_fma_f64 v[4:5], v[80:81], v[6:7], -v[4:5]
	v_accvgpr_read_b32 v6, a146
	v_add_f64 v[0:1], v[0:1], v[240:241]
	v_accvgpr_read_b32 v8, a148
	v_accvgpr_read_b32 v9, a149
	v_add_f64 v[0:1], v[0:1], v[4:5]
	v_accvgpr_read_b32 v7, a147
	v_mul_f64 v[4:5], v[102:103], v[8:9]
	v_fma_f64 v[4:5], v[100:101], v[6:7], -v[4:5]
	v_accvgpr_read_b32 v6, a150
	v_accvgpr_read_b32 v8, a152
	v_accvgpr_read_b32 v9, a153
	v_add_f64 v[0:1], v[0:1], v[4:5]
	v_accvgpr_read_b32 v7, a151
	v_mul_f64 v[4:5], v[106:107], v[8:9]
	v_fma_f64 v[4:5], v[104:105], v[6:7], -v[4:5]
	v_accvgpr_read_b32 v6, a154
	;; [unrolled: 7-line block ×5, first 2 shown]
	v_accvgpr_read_b32 v8, a140
	v_accvgpr_read_b32 v9, a141
	v_add_f64 v[0:1], v[0:1], v[4:5]
	v_accvgpr_read_b32 v7, a139
	v_mul_f64 v[4:5], v[122:123], v[8:9]
	v_fma_f64 v[4:5], v[120:121], v[6:7], -v[4:5]
	v_add_f64 v[0:1], v[0:1], v[4:5]
	v_mul_f64 v[4:5], v[126:127], v[236:237]
	v_fma_f64 v[4:5], v[124:125], v[234:235], -v[4:5]
	v_add_f64 v[0:1], v[0:1], v[4:5]
	;; [unrolled: 3-line block ×22, first 2 shown]
	s_waitcnt vmcnt(0)
	v_add_f64 v[4:5], v[228:229], -v[0:1]
	v_accvgpr_read_b32 v0, a128
	v_add_f64 v[6:7], v[230:231], -v[244:245]
	v_cmp_lt_u32_e32 vcc, 9, v0
	scratch_store_dwordx4 off, v[4:7], off offset:176
	s_and_saveexec_b64 s[0:1], vcc
	s_cbranch_execz .LBB63_391
; %bb.390:
	scratch_load_dwordx4 v[6:9], off, s66
	v_mov_b32_e32 v3, v2
	v_mov_b32_e32 v4, v2
	;; [unrolled: 1-line block ×3, first 2 shown]
	v_accvgpr_read_b32 v0, a129
	scratch_store_dwordx4 off, v[2:5], off offset:160
	s_waitcnt vmcnt(1)
	ds_write_b128 v0, v[6:9]
.LBB63_391:
	s_or_b64 exec, exec, s[0:1]
	s_waitcnt lgkmcnt(0)
	; wave barrier
	scratch_load_dwordx4 v[40:43], off, off offset:176
	scratch_load_dwordx4 v[44:47], off, off offset:192
	;; [unrolled: 1-line block ×18, first 2 shown]
	ds_read_b128 v[80:83], v2 offset:1184
	ds_read_b128 v[204:207], v2 offset:1200
	;; [unrolled: 1-line block ×6, first 2 shown]
	scratch_load_dwordx4 v[148:151], off, off offset:464
	ds_read_b128 v[180:183], v2 offset:1280
	ds_read_b128 v[112:115], v2 offset:1296
	scratch_load_dwordx4 v[152:155], off, off offset:480
	ds_read_b128 v[208:211], v2 offset:1312
	ds_read_b128 v[200:203], v2 offset:1328
	;; [unrolled: 1-line block ×5, first 2 shown]
	scratch_load_dwordx4 v[160:163], off, off offset:496
	ds_read_b128 v[196:199], v2 offset:1392
	ds_read_b128 v[192:195], v2 offset:1408
	;; [unrolled: 1-line block ×4, first 2 shown]
	scratch_load_dwordx4 v[164:167], off, off offset:512
	ds_read_b128 v[168:171], v2 offset:1456
	scratch_load_dwordx4 v[172:175], off, off offset:528
	scratch_load_dwordx4 v[176:179], off, off offset:544
	;; [unrolled: 1-line block ×7, first 2 shown]
	ds_read_b128 v[228:231], v2 offset:1536
	ds_read_b128 v[232:235], v2 offset:1552
	scratch_load_dwordx4 a[134:137], off, off offset:672
	scratch_load_dwordx4 a[138:141], off, off offset:688
	ds_read_b128 v[236:239], v2 offset:1568
	scratch_load_dwordx4 a[130:133], off, off offset:656
	ds_read_b128 v[224:227], v2 offset:1520
	s_waitcnt vmcnt(31) lgkmcnt(14)
	v_mul_f64 v[0:1], v[80:81], v[42:43]
	s_waitcnt vmcnt(30)
	v_mul_f64 v[20:21], v[204:205], v[46:47]
	v_fmac_f64_e32 v[0:1], v[82:83], v[40:41]
	s_waitcnt vmcnt(29)
	v_mul_f64 v[22:23], v[100:101], v[50:51]
	v_fmac_f64_e32 v[20:21], v[206:207], v[44:45]
	v_add_f64 v[0:1], v[0:1], 0
	v_fmac_f64_e32 v[22:23], v[102:103], v[48:49]
	v_add_f64 v[0:1], v[0:1], v[20:21]
	v_add_f64 v[0:1], v[0:1], v[22:23]
	scratch_load_dwordx4 v[20:23], off, off offset:640
	s_waitcnt vmcnt(29)
	v_mul_f64 v[24:25], v[116:117], v[54:55]
	s_waitcnt vmcnt(28)
	v_mul_f64 v[26:27], v[104:105], v[58:59]
	v_fmac_f64_e32 v[24:25], v[118:119], v[52:53]
	s_waitcnt vmcnt(27)
	v_mul_f64 v[28:29], v[108:109], v[62:63]
	v_fmac_f64_e32 v[26:27], v[106:107], v[56:57]
	v_add_f64 v[0:1], v[0:1], v[24:25]
	s_waitcnt vmcnt(26)
	v_mul_f64 v[30:31], v[180:181], v[66:67]
	v_fmac_f64_e32 v[28:29], v[110:111], v[60:61]
	v_add_f64 v[0:1], v[0:1], v[26:27]
	;; [unrolled: 4-line block ×3, first 2 shown]
	s_waitcnt vmcnt(24) lgkmcnt(13)
	v_mul_f64 v[34:35], v[208:209], v[74:75]
	v_fmac_f64_e32 v[32:33], v[114:115], v[68:69]
	v_add_f64 v[0:1], v[0:1], v[30:31]
	s_waitcnt vmcnt(23) lgkmcnt(12)
	v_mul_f64 v[36:37], v[200:201], v[78:79]
	v_fmac_f64_e32 v[34:35], v[210:211], v[72:73]
	v_add_f64 v[0:1], v[0:1], v[32:33]
	s_waitcnt vmcnt(22) lgkmcnt(11)
	v_mul_f64 v[38:39], v[188:189], v[86:87]
	v_fmac_f64_e32 v[36:37], v[202:203], v[76:77]
	v_add_f64 v[0:1], v[0:1], v[34:35]
	s_waitcnt vmcnt(21) lgkmcnt(10)
	v_mul_f64 v[212:213], v[120:121], v[90:91]
	v_fmac_f64_e32 v[38:39], v[190:191], v[84:85]
	v_add_f64 v[0:1], v[0:1], v[36:37]
	s_waitcnt vmcnt(20) lgkmcnt(9)
	v_mul_f64 v[214:215], v[132:133], v[94:95]
	v_fmac_f64_e32 v[212:213], v[122:123], v[88:89]
	v_add_f64 v[0:1], v[0:1], v[38:39]
	s_waitcnt vmcnt(19) lgkmcnt(8)
	v_mul_f64 v[216:217], v[196:197], v[98:99]
	v_fmac_f64_e32 v[214:215], v[134:135], v[92:93]
	v_add_f64 v[0:1], v[0:1], v[212:213]
	s_waitcnt vmcnt(18) lgkmcnt(7)
	v_mul_f64 v[218:219], v[192:193], v[126:127]
	v_fmac_f64_e32 v[216:217], v[198:199], v[96:97]
	v_add_f64 v[0:1], v[0:1], v[214:215]
	s_waitcnt vmcnt(17) lgkmcnt(6)
	v_mul_f64 v[220:221], v[156:157], v[130:131]
	v_fmac_f64_e32 v[218:219], v[194:195], v[124:125]
	v_add_f64 v[0:1], v[0:1], v[216:217]
	ds_read_b128 v[212:215], v2 offset:1472
	s_waitcnt vmcnt(16) lgkmcnt(6)
	v_mul_f64 v[222:223], v[144:145], v[138:139]
	v_fmac_f64_e32 v[220:221], v[158:159], v[128:129]
	v_add_f64 v[0:1], v[0:1], v[218:219]
	ds_read_b128 v[216:219], v2 offset:1488
	v_add_f64 v[0:1], v[0:1], v[220:221]
	v_fmac_f64_e32 v[222:223], v[146:147], v[136:137]
	v_add_f64 v[0:1], v[0:1], v[222:223]
	s_waitcnt vmcnt(15) lgkmcnt(6)
	v_mul_f64 v[24:25], v[168:169], v[142:143]
	ds_read_b128 v[220:223], v2 offset:1504
	v_fmac_f64_e32 v[24:25], v[170:171], v[140:141]
	v_add_f64 v[0:1], v[0:1], v[24:25]
	s_waitcnt vmcnt(14) lgkmcnt(2)
	v_mul_f64 v[24:25], v[212:213], v[150:151]
	v_fmac_f64_e32 v[24:25], v[214:215], v[148:149]
	s_waitcnt vmcnt(13) lgkmcnt(1)
	v_mul_f64 v[28:29], v[216:217], v[154:155]
	v_add_f64 v[0:1], v[0:1], v[24:25]
	v_fmac_f64_e32 v[28:29], v[218:219], v[152:153]
	v_add_f64 v[0:1], v[0:1], v[28:29]
	s_waitcnt vmcnt(12) lgkmcnt(0)
	v_mul_f64 v[28:29], v[220:221], v[162:163]
	v_fmac_f64_e32 v[28:29], v[222:223], v[160:161]
	s_waitcnt vmcnt(11)
	v_mul_f64 v[32:33], v[224:225], v[166:167]
	v_add_f64 v[0:1], v[0:1], v[28:29]
	v_fmac_f64_e32 v[32:33], v[226:227], v[164:165]
	v_add_f64 v[0:1], v[0:1], v[32:33]
	s_waitcnt vmcnt(10)
	v_mul_f64 v[32:33], v[228:229], v[174:175]
	v_fmac_f64_e32 v[32:33], v[230:231], v[172:173]
	s_waitcnt vmcnt(9)
	v_mul_f64 v[36:37], v[232:233], v[178:179]
	v_add_f64 v[0:1], v[0:1], v[32:33]
	v_fmac_f64_e32 v[36:37], v[234:235], v[176:177]
	v_mul_f64 v[42:43], v[82:83], v[42:43]
	v_add_f64 v[0:1], v[0:1], v[36:37]
	scratch_load_dwordx4 v[36:39], off, off offset:704
	v_fma_f64 v[244:245], v[80:81], v[40:41], -v[42:43]
	ds_read_b128 v[80:83], v2 offset:1584
	s_waitcnt vmcnt(9)
	v_mul_f64 v[40:41], v[236:237], v[186:187]
	v_fmac_f64_e32 v[40:41], v[238:239], v[184:185]
	v_add_f64 v[0:1], v[0:1], v[40:41]
	v_mul_f64 v[40:41], v[206:207], v[46:47]
	v_fma_f64 v[246:247], v[204:205], v[44:45], -v[40:41]
	scratch_load_dwordx4 v[40:43], off, off offset:720
	s_waitcnt vmcnt(9) lgkmcnt(0)
	v_mul_f64 v[44:45], v[80:81], v[6:7]
	v_fmac_f64_e32 v[44:45], v[82:83], v[4:5]
	v_add_f64 v[0:1], v[0:1], v[44:45]
	scratch_load_dwordx4 v[44:47], off, off offset:736
	v_mul_f64 v[50:51], v[102:103], v[50:51]
	v_fma_f64 v[248:249], v[100:101], v[48:49], -v[50:51]
	ds_read_b128 v[100:103], v2 offset:1600
	v_mul_f64 v[48:49], v[118:119], v[54:55]
	v_fma_f64 v[250:251], v[116:117], v[52:53], -v[48:49]
	scratch_load_dwordx4 v[52:55], off, off offset:752
	scratch_load_dwordx4 v[48:51], off, off offset:768
	v_accvgpr_write_b32 a145, v7
	v_accvgpr_write_b32 a144, v6
	v_accvgpr_write_b32 a143, v5
	v_accvgpr_write_b32 a142, v4
	s_waitcnt vmcnt(11)
	v_mov_b64_e32 v[4:5], v[8:9]
	v_mul_f64 v[58:59], v[106:107], v[58:59]
	v_mov_b64_e32 v[6:7], v[10:11]
	v_fma_f64 v[252:253], v[104:105], v[56:57], -v[58:59]
	s_waitcnt lgkmcnt(0)
	v_mul_f64 v[56:57], v[100:101], v[6:7]
	ds_read_b128 v[104:107], v2 offset:1616
	v_fmac_f64_e32 v[56:57], v[102:103], v[4:5]
	v_add_f64 v[0:1], v[0:1], v[56:57]
	v_mul_f64 v[56:57], v[110:111], v[62:63]
	v_fma_f64 v[254:255], v[108:109], v[60:61], -v[56:57]
	scratch_load_dwordx4 v[56:59], off, off offset:784
	scratch_load_dwordx4 v[60:63], off, off offset:800
	s_waitcnt vmcnt(12)
	v_mov_b64_e32 v[4:5], v[12:13]
	v_mul_f64 v[66:67], v[182:183], v[66:67]
	v_mov_b64_e32 v[6:7], v[14:15]
	v_fma_f64 v[240:241], v[180:181], v[64:65], -v[66:67]
	v_mul_f64 v[64:65], v[114:115], v[70:71]
	v_fma_f64 v[32:33], v[112:113], v[68:69], -v[64:65]
	ds_read_b128 v[112:115], v2 offset:1648
	s_waitcnt lgkmcnt(1)
	v_mul_f64 v[108:109], v[104:105], v[6:7]
	v_fmac_f64_e32 v[108:109], v[106:107], v[4:5]
	v_add_f64 v[0:1], v[0:1], v[108:109]
	ds_read_b128 v[108:111], v2 offset:1632
	ds_read_b128 v[116:119], v2 offset:1664
	scratch_load_dwordx4 v[64:67], off, off offset:816
	scratch_load_dwordx4 v[68:71], off, off offset:832
	v_mul_f64 v[6:7], v[210:211], v[74:75]
	v_fma_f64 v[28:29], v[208:209], v[72:73], -v[6:7]
	s_waitcnt vmcnt(13)
	v_mov_b64_e32 v[4:5], v[16:17]
	v_mov_b64_e32 v[6:7], v[18:19]
	s_waitcnt lgkmcnt(1)
	v_mul_f64 v[72:73], v[108:109], v[6:7]
	v_fmac_f64_e32 v[72:73], v[110:111], v[4:5]
	v_add_f64 v[0:1], v[0:1], v[72:73]
	v_mul_f64 v[72:73], v[202:203], v[78:79]
	v_fma_f64 v[24:25], v[200:201], v[76:77], -v[72:73]
	scratch_load_dwordx4 v[72:75], off, off offset:848
	s_waitcnt vmcnt(10)
	v_mov_b64_e32 v[4:5], v[20:21]
	v_accvgpr_write_b32 a149, v11
	v_mov_b64_e32 v[6:7], v[22:23]
	v_mul_f64 v[76:77], v[190:191], v[86:87]
	v_accvgpr_write_b32 a148, v10
	v_accvgpr_write_b32 a147, v9
	;; [unrolled: 1-line block ×3, first 2 shown]
	v_mul_f64 v[10:11], v[112:113], v[6:7]
	v_fma_f64 v[242:243], v[188:189], v[84:85], -v[76:77]
	scratch_load_dwordx4 v[76:79], off, off offset:864
	v_fmac_f64_e32 v[10:11], v[114:115], v[4:5]
	v_accvgpr_write_b32 a161, v23
	v_add_f64 v[0:1], v[0:1], v[10:11]
	v_mul_f64 v[10:11], v[122:123], v[90:91]
	v_accvgpr_write_b32 a160, v22
	v_accvgpr_write_b32 a159, v21
	;; [unrolled: 1-line block ×3, first 2 shown]
	v_fma_f64 v[20:21], v[120:121], v[88:89], -v[10:11]
	ds_read_b128 v[120:123], v2 offset:1680
	scratch_load_dwordx4 v[88:91], off, off offset:880
	scratch_load_dwordx4 v[84:87], off, off offset:896
	v_accvgpr_write_b32 a153, v15
	v_accvgpr_write_b32 a152, v14
	;; [unrolled: 1-line block ×5, first 2 shown]
	v_mul_f64 v[14:15], v[134:135], v[94:95]
	v_accvgpr_write_b32 a156, v18
	v_accvgpr_write_b32 a155, v17
	v_accvgpr_write_b32 a154, v16
	v_fma_f64 v[16:17], v[132:133], v[92:93], -v[14:15]
	v_mul_f64 v[92:93], v[198:199], v[98:99]
	v_fma_f64 v[14:15], v[196:197], v[96:97], -v[92:93]
	scratch_load_dwordx4 v[92:95], off, off offset:912
	v_mul_f64 v[96:97], v[158:159], v[130:131]
	v_fma_f64 v[12:13], v[156:157], v[128:129], -v[96:97]
	scratch_load_dwordx4 v[96:99], off, off offset:928
	v_accvgpr_read_b32 v4, a130
	v_accvgpr_read_b32 v6, a132
	;; [unrolled: 1-line block ×4, first 2 shown]
	s_waitcnt lgkmcnt(1)
	v_mul_f64 v[10:11], v[116:117], v[6:7]
	v_mul_f64 v[18:19], v[194:195], v[126:127]
	v_fmac_f64_e32 v[10:11], v[118:119], v[4:5]
	v_accvgpr_read_b32 v4, a134
	v_fma_f64 v[18:19], v[192:193], v[124:125], -v[18:19]
	ds_read_b128 v[124:127], v2 offset:1696
	ds_read_b128 v[128:131], v2 offset:1712
	v_accvgpr_read_b32 v6, a136
	v_accvgpr_read_b32 v7, a137
	v_add_f64 v[0:1], v[0:1], v[10:11]
	v_accvgpr_read_b32 v5, a135
	s_waitcnt lgkmcnt(2)
	v_mul_f64 v[10:11], v[120:121], v[6:7]
	v_fmac_f64_e32 v[10:11], v[122:123], v[4:5]
	v_accvgpr_read_b32 v4, a138
	v_accvgpr_read_b32 v6, a140
	;; [unrolled: 1-line block ×3, first 2 shown]
	v_add_f64 v[0:1], v[0:1], v[10:11]
	v_accvgpr_read_b32 v5, a139
	s_waitcnt lgkmcnt(1)
	v_mul_f64 v[10:11], v[124:125], v[6:7]
	ds_read_b128 v[132:135], v2 offset:1728
	v_fmac_f64_e32 v[10:11], v[126:127], v[4:5]
	v_add_f64 v[0:1], v[0:1], v[10:11]
	s_waitcnt vmcnt(14) lgkmcnt(1)
	v_mul_f64 v[10:11], v[128:129], v[38:39]
	v_fmac_f64_e32 v[10:11], v[130:131], v[36:37]
	v_add_f64 v[0:1], v[0:1], v[10:11]
	v_mul_f64 v[10:11], v[146:147], v[138:139]
	v_fma_f64 v[22:23], v[144:145], v[136:137], -v[10:11]
	ds_read_b128 v[136:139], v2 offset:1744
	s_waitcnt vmcnt(13) lgkmcnt(1)
	v_mul_f64 v[10:11], v[132:133], v[42:43]
	v_fmac_f64_e32 v[10:11], v[134:135], v[40:41]
	v_add_f64 v[0:1], v[0:1], v[10:11]
	v_mul_f64 v[10:11], v[170:171], v[142:143]
	v_fma_f64 v[8:9], v[168:169], v[140:141], -v[10:11]
	ds_read_b128 v[140:143], v2 offset:1760
	ds_read_b128 v[144:147], v2 offset:1776
	s_waitcnt vmcnt(12) lgkmcnt(2)
	v_mul_f64 v[10:11], v[136:137], v[46:47]
	v_fmac_f64_e32 v[10:11], v[138:139], v[44:45]
	v_add_f64 v[0:1], v[0:1], v[10:11]
	s_waitcnt vmcnt(11) lgkmcnt(1)
	v_mul_f64 v[10:11], v[140:141], v[54:55]
	v_fmac_f64_e32 v[10:11], v[142:143], v[52:53]
	v_add_f64 v[0:1], v[0:1], v[10:11]
	v_mul_f64 v[10:11], v[214:215], v[150:151]
	v_fma_f64 v[26:27], v[212:213], v[148:149], -v[10:11]
	ds_read_b128 v[148:151], v2 offset:1792
	v_mul_f64 v[154:155], v[218:219], v[154:155]
	v_fma_f64 v[6:7], v[216:217], v[152:153], -v[154:155]
	ds_read_b128 v[152:155], v2 offset:1808
	s_waitcnt vmcnt(10) lgkmcnt(2)
	v_mul_f64 v[10:11], v[144:145], v[50:51]
	v_fmac_f64_e32 v[10:11], v[146:147], v[48:49]
	v_add_f64 v[0:1], v[0:1], v[10:11]
	s_waitcnt vmcnt(9) lgkmcnt(1)
	v_mul_f64 v[10:11], v[148:149], v[58:59]
	ds_read_b128 v[156:159], v2 offset:1824
	v_fmac_f64_e32 v[10:11], v[150:151], v[56:57]
	v_add_f64 v[0:1], v[0:1], v[10:11]
	s_waitcnt vmcnt(8) lgkmcnt(1)
	v_mul_f64 v[10:11], v[152:153], v[62:63]
	v_fmac_f64_e32 v[10:11], v[154:155], v[60:61]
	v_add_f64 v[0:1], v[0:1], v[10:11]
	v_mul_f64 v[10:11], v[222:223], v[162:163]
	v_fma_f64 v[30:31], v[220:221], v[160:161], -v[10:11]
	ds_read_b128 v[160:163], v2 offset:1840
	s_waitcnt vmcnt(7) lgkmcnt(1)
	v_mul_f64 v[10:11], v[156:157], v[66:67]
	v_fmac_f64_e32 v[10:11], v[158:159], v[64:65]
	v_add_f64 v[0:1], v[0:1], v[10:11]
	v_mul_f64 v[10:11], v[226:227], v[166:167]
	v_fma_f64 v[4:5], v[224:225], v[164:165], -v[10:11]
	ds_read_b128 v[164:167], v2 offset:1856
	ds_read_b128 v[168:171], v2 offset:1872
	s_waitcnt vmcnt(6) lgkmcnt(2)
	v_mul_f64 v[10:11], v[160:161], v[70:71]
	v_fmac_f64_e32 v[10:11], v[162:163], v[68:69]
	v_add_f64 v[0:1], v[0:1], v[10:11]
	s_waitcnt vmcnt(5) lgkmcnt(1)
	v_mul_f64 v[10:11], v[164:165], v[74:75]
	v_fmac_f64_e32 v[10:11], v[166:167], v[72:73]
	v_add_f64 v[10:11], v[0:1], v[10:11]
	v_mul_f64 v[0:1], v[230:231], v[174:175]
	v_fma_f64 v[34:35], v[228:229], v[172:173], -v[0:1]
	ds_read_b128 v[172:175], v2 offset:1888
	s_waitcnt vmcnt(4) lgkmcnt(1)
	v_mul_f64 v[180:181], v[168:169], v[78:79]
	v_fmac_f64_e32 v[180:181], v[170:171], v[76:77]
	v_mul_f64 v[0:1], v[234:235], v[178:179]
	v_fma_f64 v[0:1], v[232:233], v[176:177], -v[0:1]
	ds_read_b128 v[176:179], v2 offset:1904
	v_add_f64 v[10:11], v[10:11], v[180:181]
	s_waitcnt vmcnt(3) lgkmcnt(1)
	v_mul_f64 v[180:181], v[172:173], v[90:91]
	v_fmac_f64_e32 v[180:181], v[174:175], v[88:89]
	v_add_f64 v[188:189], v[10:11], v[180:181]
	ds_read_b128 v[180:183], v2 offset:1920
	v_mul_f64 v[10:11], v[238:239], v[186:187]
	v_fma_f64 v[10:11], v[236:237], v[184:185], -v[10:11]
	ds_read_b128 v[184:187], v2 offset:1936
	s_waitcnt vmcnt(2) lgkmcnt(2)
	v_mul_f64 v[190:191], v[176:177], v[86:87]
	v_fmac_f64_e32 v[190:191], v[178:179], v[84:85]
	v_add_f64 v[188:189], v[188:189], v[190:191]
	s_waitcnt vmcnt(1) lgkmcnt(1)
	v_mul_f64 v[190:191], v[180:181], v[94:95]
	v_fmac_f64_e32 v[190:191], v[182:183], v[92:93]
	v_add_f64 v[188:189], v[188:189], v[190:191]
	;; [unrolled: 4-line block ×3, first 2 shown]
	scratch_load_dwordx4 v[188:191], off, off offset:944
	scratch_load_dwordx4 v[232:235], off, off offset:1024
	ds_read_b128 v[192:195], v2 offset:1952
	ds_read_b128 v[200:203], v2 offset:1968
	;; [unrolled: 1-line block ×5, first 2 shown]
	s_waitcnt vmcnt(1) lgkmcnt(4)
	v_mul_f64 v[198:199], v[192:193], v[190:191]
	v_fmac_f64_e32 v[198:199], v[194:195], v[188:189]
	v_add_f64 v[204:205], v[196:197], v[198:199]
	scratch_load_dwordx4 v[196:199], off, off offset:960
	s_waitcnt vmcnt(0) lgkmcnt(3)
	v_mul_f64 v[206:207], v[200:201], v[198:199]
	v_fmac_f64_e32 v[206:207], v[202:203], v[196:197]
	v_add_f64 v[212:213], v[204:205], v[206:207]
	scratch_load_dwordx4 v[204:207], off, off offset:976
	;; [unrolled: 5-line block ×4, first 2 shown]
	s_waitcnt vmcnt(0) lgkmcnt(0)
	v_mul_f64 v[230:231], v[224:225], v[222:223]
	v_fmac_f64_e32 v[230:231], v[226:227], v[220:221]
	v_add_f64 v[236:237], v[228:229], v[230:231]
	ds_read_b128 v[228:231], v2 offset:2032
	s_waitcnt lgkmcnt(0)
	v_mul_f64 v[2:3], v[228:229], v[234:235]
	v_fmac_f64_e32 v[2:3], v[230:231], v[232:233]
	v_add_f64 v[2:3], v[236:237], v[2:3]
	v_add_f64 v[236:237], v[244:245], 0
	v_add_f64 v[236:237], v[236:237], v[246:247]
	v_add_f64 v[236:237], v[236:237], v[248:249]
	v_add_f64 v[236:237], v[236:237], v[250:251]
	v_add_f64 v[236:237], v[236:237], v[252:253]
	v_add_f64 v[236:237], v[236:237], v[254:255]
	v_add_f64 v[236:237], v[236:237], v[240:241]
	v_add_f64 v[32:33], v[236:237], v[32:33]
	v_add_f64 v[28:29], v[32:33], v[28:29]
	v_add_f64 v[24:25], v[28:29], v[24:25]
	scratch_load_dwordx4 v[236:239], off, off offset:160
	v_add_f64 v[24:25], v[24:25], v[242:243]
	v_add_f64 v[20:21], v[24:25], v[20:21]
	;; [unrolled: 1-line block ×12, first 2 shown]
	v_accvgpr_read_b32 v6, a142
	v_accvgpr_read_b32 v8, a144
	;; [unrolled: 1-line block ×3, first 2 shown]
	v_add_f64 v[244:245], v[4:5], v[34:35]
	v_accvgpr_read_b32 v7, a143
	v_mul_f64 v[4:5], v[82:83], v[8:9]
	v_add_f64 v[0:1], v[244:245], v[0:1]
	v_fma_f64 v[4:5], v[80:81], v[6:7], -v[4:5]
	v_accvgpr_read_b32 v6, a146
	v_add_f64 v[0:1], v[0:1], v[10:11]
	v_accvgpr_read_b32 v8, a148
	v_accvgpr_read_b32 v9, a149
	v_add_f64 v[0:1], v[0:1], v[4:5]
	v_accvgpr_read_b32 v7, a147
	v_mul_f64 v[4:5], v[102:103], v[8:9]
	v_fma_f64 v[4:5], v[100:101], v[6:7], -v[4:5]
	v_accvgpr_read_b32 v6, a150
	v_accvgpr_read_b32 v8, a152
	v_accvgpr_read_b32 v9, a153
	v_add_f64 v[0:1], v[0:1], v[4:5]
	v_accvgpr_read_b32 v7, a151
	v_mul_f64 v[4:5], v[106:107], v[8:9]
	v_fma_f64 v[4:5], v[104:105], v[6:7], -v[4:5]
	v_accvgpr_read_b32 v6, a154
	v_accvgpr_read_b32 v8, a156
	v_accvgpr_read_b32 v9, a157
	v_add_f64 v[0:1], v[0:1], v[4:5]
	v_accvgpr_read_b32 v7, a155
	v_mul_f64 v[4:5], v[110:111], v[8:9]
	v_fma_f64 v[4:5], v[108:109], v[6:7], -v[4:5]
	v_accvgpr_read_b32 v6, a158
	v_accvgpr_read_b32 v8, a160
	v_accvgpr_read_b32 v9, a161
	v_add_f64 v[0:1], v[0:1], v[4:5]
	v_accvgpr_read_b32 v7, a159
	v_mul_f64 v[4:5], v[114:115], v[8:9]
	v_fma_f64 v[4:5], v[112:113], v[6:7], -v[4:5]
	v_accvgpr_read_b32 v6, a130
	v_accvgpr_read_b32 v8, a132
	v_accvgpr_read_b32 v9, a133
	v_add_f64 v[0:1], v[0:1], v[4:5]
	v_accvgpr_read_b32 v7, a131
	v_mul_f64 v[4:5], v[118:119], v[8:9]
	v_fma_f64 v[4:5], v[116:117], v[6:7], -v[4:5]
	v_accvgpr_read_b32 v6, a134
	v_accvgpr_read_b32 v8, a136
	v_accvgpr_read_b32 v9, a137
	v_add_f64 v[0:1], v[0:1], v[4:5]
	v_accvgpr_read_b32 v7, a135
	v_mul_f64 v[4:5], v[122:123], v[8:9]
	v_fma_f64 v[4:5], v[120:121], v[6:7], -v[4:5]
	v_accvgpr_read_b32 v6, a138
	v_accvgpr_read_b32 v8, a140
	v_accvgpr_read_b32 v9, a141
	v_add_f64 v[0:1], v[0:1], v[4:5]
	v_accvgpr_read_b32 v7, a139
	v_mul_f64 v[4:5], v[126:127], v[8:9]
	v_fma_f64 v[4:5], v[124:125], v[6:7], -v[4:5]
	v_add_f64 v[0:1], v[0:1], v[4:5]
	v_mul_f64 v[4:5], v[130:131], v[38:39]
	v_fma_f64 v[4:5], v[128:129], v[36:37], -v[4:5]
	v_add_f64 v[0:1], v[0:1], v[4:5]
	;; [unrolled: 3-line block ×22, first 2 shown]
	s_waitcnt vmcnt(0)
	v_add_f64 v[4:5], v[236:237], -v[0:1]
	v_accvgpr_read_b32 v0, a128
	v_add_f64 v[6:7], v[238:239], -v[2:3]
	v_cmp_lt_u32_e32 vcc, 8, v0
	scratch_store_dwordx4 off, v[4:7], off offset:160
	s_and_saveexec_b64 s[0:1], vcc
	s_cbranch_execz .LBB63_393
; %bb.392:
	scratch_load_dwordx4 v[2:5], off, s65
	v_mov_b32_e32 v6, 0
	v_mov_b32_e32 v7, v6
	v_mov_b32_e32 v8, v6
	v_mov_b32_e32 v9, v6
	v_accvgpr_read_b32 v0, a129
	scratch_store_dwordx4 off, v[6:9], off offset:144
	s_waitcnt vmcnt(1)
	ds_write_b128 v0, v[2:5]
.LBB63_393:
	s_or_b64 exec, exec, s[0:1]
	s_waitcnt lgkmcnt(0)
	; wave barrier
	scratch_load_dwordx4 v[16:19], off, off offset:160
	scratch_load_dwordx4 v[20:23], off, off offset:176
	;; [unrolled: 1-line block ×30, first 2 shown]
	v_mov_b32_e32 v2, 0
	ds_read_b128 v[84:87], v2 offset:1168
	ds_read_b128 v[96:99], v2 offset:1184
	;; [unrolled: 1-line block ×17, first 2 shown]
	scratch_load_dwordx4 a[130:133], off, off offset:640
	scratch_load_dwordx4 a[134:137], off, off offset:656
	;; [unrolled: 1-line block ×4, first 2 shown]
	ds_read_b128 v[228:231], v2 offset:1536
	ds_read_b128 v[236:239], v2 offset:1552
	scratch_load_dwordx4 a[146:149], off, off offset:704
	ds_read_b128 v[240:243], v2 offset:1568
	ds_read_b128 v[244:247], v2 offset:1584
	;; [unrolled: 1-line block ×3, first 2 shown]
	s_waitcnt vmcnt(34) lgkmcnt(14)
	v_mul_f64 v[0:1], v[84:85], v[18:19]
	s_waitcnt vmcnt(33)
	v_mul_f64 v[40:41], v[96:97], v[22:23]
	v_fmac_f64_e32 v[0:1], v[86:87], v[16:17]
	s_waitcnt vmcnt(32)
	v_mul_f64 v[42:43], v[104:105], v[26:27]
	v_fmac_f64_e32 v[40:41], v[98:99], v[20:21]
	v_add_f64 v[0:1], v[0:1], 0
	s_waitcnt vmcnt(31)
	v_mul_f64 v[48:49], v[108:109], v[30:31]
	v_fmac_f64_e32 v[42:43], v[106:107], v[24:25]
	v_add_f64 v[0:1], v[0:1], v[40:41]
	;; [unrolled: 4-line block ×6, first 2 shown]
	s_waitcnt vmcnt(26) lgkmcnt(13)
	v_mul_f64 v[206:207], v[140:141], v[62:63]
	v_fmac_f64_e32 v[204:205], v[126:127], v[52:53]
	v_add_f64 v[0:1], v[0:1], v[58:59]
	s_waitcnt vmcnt(25) lgkmcnt(12)
	v_mul_f64 v[208:209], v[152:153], v[66:67]
	v_fmac_f64_e32 v[206:207], v[142:143], v[60:61]
	v_add_f64 v[0:1], v[0:1], v[204:205]
	;; [unrolled: 4-line block ×6, first 2 shown]
	ds_read_b128 v[204:207], v2 offset:1440
	ds_read_b128 v[208:211], v2 offset:1456
	s_waitcnt vmcnt(20) lgkmcnt(9)
	v_mul_f64 v[218:219], v[192:193], v[90:91]
	v_fmac_f64_e32 v[216:217], v[190:191], v[80:81]
	v_add_f64 v[0:1], v[0:1], v[214:215]
	s_waitcnt vmcnt(19) lgkmcnt(8)
	v_mul_f64 v[220:221], v[196:197], v[94:95]
	v_fmac_f64_e32 v[218:219], v[194:195], v[88:89]
	v_add_f64 v[0:1], v[0:1], v[216:217]
	v_fmac_f64_e32 v[220:221], v[198:199], v[92:93]
	v_add_f64 v[0:1], v[0:1], v[218:219]
	s_waitcnt vmcnt(18) lgkmcnt(7)
	v_mul_f64 v[40:41], v[200:201], v[102:103]
	ds_read_b128 v[212:215], v2 offset:1472
	ds_read_b128 v[216:219], v2 offset:1488
	v_add_f64 v[0:1], v[0:1], v[220:221]
	v_fmac_f64_e32 v[40:41], v[202:203], v[100:101]
	v_add_f64 v[0:1], v[0:1], v[40:41]
	s_waitcnt vmcnt(17) lgkmcnt(3)
	v_mul_f64 v[40:41], v[204:205], v[130:131]
	v_fmac_f64_e32 v[40:41], v[206:207], v[128:129]
	ds_read_b128 v[220:223], v2 offset:1504
	v_add_f64 v[0:1], v[0:1], v[40:41]
	s_waitcnt vmcnt(16) lgkmcnt(3)
	v_mul_f64 v[40:41], v[208:209], v[134:135]
	v_fmac_f64_e32 v[40:41], v[210:211], v[132:133]
	s_waitcnt vmcnt(15) lgkmcnt(2)
	v_mul_f64 v[48:49], v[212:213], v[138:139]
	v_add_f64 v[0:1], v[0:1], v[40:41]
	v_fmac_f64_e32 v[48:49], v[214:215], v[136:137]
	s_waitcnt vmcnt(14) lgkmcnt(1)
	v_mul_f64 v[56:57], v[216:217], v[146:147]
	v_add_f64 v[0:1], v[0:1], v[48:49]
	v_fmac_f64_e32 v[56:57], v[218:219], v[144:145]
	v_add_f64 v[0:1], v[0:1], v[56:57]
	s_waitcnt vmcnt(13) lgkmcnt(0)
	v_mul_f64 v[56:57], v[220:221], v[150:151]
	v_fmac_f64_e32 v[56:57], v[222:223], v[148:149]
	v_add_f64 v[0:1], v[0:1], v[56:57]
	s_waitcnt vmcnt(12)
	v_mul_f64 v[56:57], v[224:225], v[158:159]
	v_fmac_f64_e32 v[56:57], v[226:227], v[156:157]
	s_waitcnt vmcnt(11)
	v_mul_f64 v[232:233], v[228:229], v[162:163]
	v_add_f64 v[0:1], v[0:1], v[56:57]
	v_fmac_f64_e32 v[232:233], v[230:231], v[160:161]
	v_add_f64 v[0:1], v[0:1], v[232:233]
	s_waitcnt vmcnt(10)
	v_mul_f64 v[232:233], v[236:237], v[170:171]
	v_mul_f64 v[18:19], v[86:87], v[18:19]
	v_fmac_f64_e32 v[232:233], v[238:239], v[168:169]
	v_fma_f64 v[248:249], v[84:85], v[16:17], -v[18:19]
	s_waitcnt vmcnt(9)
	v_mul_f64 v[84:85], v[240:241], v[174:175]
	v_add_f64 v[0:1], v[0:1], v[232:233]
	v_fmac_f64_e32 v[84:85], v[242:243], v[172:173]
	v_add_f64 v[0:1], v[0:1], v[84:85]
	ds_read_b128 v[84:87], v2 offset:1600
	scratch_load_dwordx4 v[56:59], off, off offset:720
	scratch_load_dwordx4 v[40:43], off, off offset:736
	;; [unrolled: 1-line block ×3, first 2 shown]
	v_mul_f64 v[30:31], v[110:111], v[30:31]
	v_mul_f64 v[22:23], v[98:99], v[22:23]
	;; [unrolled: 1-line block ×3, first 2 shown]
	v_fma_f64 v[254:255], v[108:109], v[28:29], -v[30:31]
	s_waitcnt vmcnt(11)
	v_mul_f64 v[28:29], v[244:245], v[182:183]
	v_fma_f64 v[250:251], v[96:97], v[20:21], -v[22:23]
	v_fma_f64 v[252:253], v[104:105], v[24:25], -v[26:27]
	v_fmac_f64_e32 v[28:29], v[246:247], v[180:181]
	ds_read_b128 v[104:107], v2 offset:1632
	s_waitcnt vmcnt(10) lgkmcnt(1)
	v_mul_f64 v[96:97], v[84:85], v[6:7]
	v_add_f64 v[0:1], v[0:1], v[28:29]
	v_fmac_f64_e32 v[96:97], v[86:87], v[4:5]
	v_add_f64 v[0:1], v[0:1], v[96:97]
	ds_read_b128 v[96:99], v2 offset:1616
	v_mul_f64 v[34:35], v[114:115], v[34:35]
	v_accvgpr_write_b32 a153, v7
	v_mul_f64 v[38:39], v[118:119], v[38:39]
	v_fma_f64 v[232:233], v[112:113], v[32:33], -v[34:35]
	v_accvgpr_write_b32 a152, v6
	v_accvgpr_write_b32 a151, v5
	;; [unrolled: 1-line block ×3, first 2 shown]
	v_fma_f64 v[32:33], v[116:117], v[36:37], -v[38:39]
	scratch_load_dwordx4 v[36:39], off, off offset:768
	v_mul_f64 v[6:7], v[122:123], v[46:47]
	v_mul_f64 v[46:47], v[126:127], v[54:55]
	v_fma_f64 v[28:29], v[120:121], v[44:45], -v[6:7]
	v_fma_f64 v[24:25], v[124:125], v[52:53], -v[46:47]
	scratch_load_dwordx4 v[52:55], off, off offset:784
	ds_read_b128 v[112:115], v2 offset:1664
	s_waitcnt vmcnt(11) lgkmcnt(1)
	v_mul_f64 v[44:45], v[96:97], v[10:11]
	v_fmac_f64_e32 v[44:45], v[98:99], v[8:9]
	v_add_f64 v[0:1], v[0:1], v[44:45]
	scratch_load_dwordx4 v[44:47], off, off offset:800
	s_waitcnt vmcnt(11)
	v_mov_b64_e32 v[4:5], v[12:13]
	v_mov_b64_e32 v[6:7], v[14:15]
	v_accvgpr_write_b32 a157, v11
	v_mul_f64 v[108:109], v[104:105], v[6:7]
	v_accvgpr_write_b32 a156, v10
	v_accvgpr_write_b32 a155, v9
	;; [unrolled: 1-line block ×3, first 2 shown]
	v_mul_f64 v[10:11], v[142:143], v[62:63]
	v_fmac_f64_e32 v[108:109], v[106:107], v[4:5]
	v_fma_f64 v[20:21], v[140:141], v[60:61], -v[10:11]
	scratch_load_dwordx4 v[60:63], off, off offset:816
	v_add_f64 v[0:1], v[0:1], v[108:109]
	ds_read_b128 v[108:111], v2 offset:1648
	v_mul_f64 v[66:67], v[154:155], v[66:67]
	v_fma_f64 v[16:17], v[152:153], v[64:65], -v[66:67]
	scratch_load_dwordx4 v[64:67], off, off offset:832
	s_waitcnt vmcnt(12)
	v_accvgpr_read_b32 v4, a130
	v_accvgpr_write_b32 a161, v15
	v_accvgpr_read_b32 v6, a132
	v_accvgpr_read_b32 v7, a133
	v_accvgpr_write_b32 a160, v14
	v_accvgpr_write_b32 a159, v13
	;; [unrolled: 1-line block ×3, first 2 shown]
	v_mul_f64 v[14:15], v[166:167], v[70:71]
	v_accvgpr_read_b32 v5, a131
	s_waitcnt lgkmcnt(0)
	v_mul_f64 v[116:117], v[108:109], v[6:7]
	v_fma_f64 v[14:15], v[164:165], v[68:69], -v[14:15]
	v_mul_f64 v[68:69], v[178:179], v[74:75]
	v_fmac_f64_e32 v[116:117], v[110:111], v[4:5]
	s_waitcnt vmcnt(11)
	v_accvgpr_read_b32 v4, a134
	v_fma_f64 v[12:13], v[176:177], v[72:73], -v[68:69]
	scratch_load_dwordx4 v[68:71], off, off offset:848
	v_accvgpr_read_b32 v6, a136
	v_accvgpr_read_b32 v7, a137
	;; [unrolled: 1-line block ×3, first 2 shown]
	v_mul_f64 v[18:19], v[112:113], v[6:7]
	v_add_f64 v[0:1], v[0:1], v[116:117]
	v_fmac_f64_e32 v[18:19], v[114:115], v[4:5]
	scratch_load_dwordx4 v[72:75], off, off offset:864
	v_add_f64 v[0:1], v[0:1], v[18:19]
	v_mul_f64 v[18:19], v[186:187], v[78:79]
	v_fma_f64 v[18:19], v[184:185], v[76:77], -v[18:19]
	ds_read_b128 v[116:119], v2 offset:1680
	v_mul_f64 v[76:77], v[190:191], v[82:83]
	v_fma_f64 v[184:185], v[188:189], v[80:81], -v[76:77]
	scratch_load_dwordx4 v[80:83], off, off offset:880
	scratch_load_dwordx4 v[76:79], off, off offset:896
	ds_read_b128 v[120:123], v2 offset:1696
	s_waitcnt vmcnt(14)
	v_accvgpr_read_b32 v4, a138
	v_mul_f64 v[90:91], v[194:195], v[90:91]
	v_accvgpr_read_b32 v6, a140
	v_accvgpr_read_b32 v7, a141
	v_fma_f64 v[186:187], v[192:193], v[88:89], -v[90:91]
	v_accvgpr_read_b32 v5, a139
	s_waitcnt lgkmcnt(1)
	v_mul_f64 v[88:89], v[116:117], v[6:7]
	v_fmac_f64_e32 v[88:89], v[118:119], v[4:5]
	s_waitcnt vmcnt(13)
	v_accvgpr_read_b32 v4, a142
	v_add_f64 v[0:1], v[0:1], v[88:89]
	v_mul_f64 v[88:89], v[198:199], v[94:95]
	v_mul_f64 v[22:23], v[202:203], v[102:103]
	v_accvgpr_read_b32 v6, a144
	v_accvgpr_read_b32 v7, a145
	v_fma_f64 v[10:11], v[196:197], v[92:93], -v[88:89]
	scratch_load_dwordx4 v[92:95], off, off offset:912
	scratch_load_dwordx4 v[88:91], off, off offset:928
	v_fma_f64 v[22:23], v[200:201], v[100:101], -v[22:23]
	v_accvgpr_read_b32 v5, a143
	s_waitcnt lgkmcnt(0)
	v_mul_f64 v[100:101], v[120:121], v[6:7]
	v_fmac_f64_e32 v[100:101], v[122:123], v[4:5]
	v_add_f64 v[0:1], v[0:1], v[100:101]
	v_mul_f64 v[100:101], v[206:207], v[130:131]
	v_fma_f64 v[8:9], v[204:205], v[128:129], -v[100:101]
	scratch_load_dwordx4 v[100:103], off, off offset:944
	ds_read_b128 v[124:127], v2 offset:1712
	ds_read_b128 v[128:131], v2 offset:1728
	s_waitcnt vmcnt(15)
	v_accvgpr_read_b32 v4, a146
	v_accvgpr_read_b32 v6, a148
	;; [unrolled: 1-line block ×4, first 2 shown]
	s_waitcnt lgkmcnt(1)
	v_mul_f64 v[26:27], v[124:125], v[6:7]
	v_fmac_f64_e32 v[26:27], v[126:127], v[4:5]
	v_add_f64 v[0:1], v[0:1], v[26:27]
	v_mul_f64 v[26:27], v[210:211], v[134:135]
	v_fma_f64 v[26:27], v[208:209], v[132:133], -v[26:27]
	ds_read_b128 v[132:135], v2 offset:1744
	v_mul_f64 v[138:139], v[214:215], v[138:139]
	v_fma_f64 v[6:7], v[212:213], v[136:137], -v[138:139]
	ds_read_b128 v[136:139], v2 offset:1760
	s_waitcnt vmcnt(14) lgkmcnt(2)
	v_mul_f64 v[140:141], v[128:129], v[58:59]
	v_fmac_f64_e32 v[140:141], v[130:131], v[56:57]
	s_waitcnt vmcnt(13) lgkmcnt(1)
	v_mul_f64 v[30:31], v[132:133], v[42:43]
	v_add_f64 v[0:1], v[0:1], v[140:141]
	v_fmac_f64_e32 v[30:31], v[134:135], v[40:41]
	v_add_f64 v[0:1], v[0:1], v[30:31]
	s_waitcnt vmcnt(12) lgkmcnt(0)
	v_mul_f64 v[30:31], v[136:137], v[50:51]
	v_fmac_f64_e32 v[30:31], v[138:139], v[48:49]
	ds_read_b128 v[140:143], v2 offset:1776
	v_add_f64 v[0:1], v[0:1], v[30:31]
	v_mul_f64 v[30:31], v[218:219], v[146:147]
	v_fma_f64 v[30:31], v[216:217], v[144:145], -v[30:31]
	ds_read_b128 v[144:147], v2 offset:1792
	v_mul_f64 v[150:151], v[222:223], v[150:151]
	v_fma_f64 v[4:5], v[220:221], v[148:149], -v[150:151]
	ds_read_b128 v[148:151], v2 offset:1808
	s_waitcnt vmcnt(11) lgkmcnt(2)
	v_mul_f64 v[152:153], v[140:141], v[38:39]
	v_fmac_f64_e32 v[152:153], v[142:143], v[36:37]
	s_waitcnt vmcnt(10) lgkmcnt(1)
	v_mul_f64 v[34:35], v[144:145], v[54:55]
	v_add_f64 v[0:1], v[0:1], v[152:153]
	v_fmac_f64_e32 v[34:35], v[146:147], v[52:53]
	v_add_f64 v[0:1], v[0:1], v[34:35]
	ds_read_b128 v[152:155], v2 offset:1824
	s_waitcnt vmcnt(9) lgkmcnt(1)
	v_mul_f64 v[34:35], v[148:149], v[46:47]
	v_fmac_f64_e32 v[34:35], v[150:151], v[44:45]
	v_add_f64 v[0:1], v[0:1], v[34:35]
	v_mul_f64 v[34:35], v[226:227], v[158:159]
	v_fma_f64 v[34:35], v[224:225], v[156:157], -v[34:35]
	ds_read_b128 v[156:159], v2 offset:1840
	s_waitcnt vmcnt(8) lgkmcnt(1)
	v_mul_f64 v[164:165], v[152:153], v[62:63]
	v_fmac_f64_e32 v[164:165], v[154:155], v[60:61]
	v_mul_f64 v[162:163], v[230:231], v[162:163]
	v_fma_f64 v[234:235], v[228:229], v[160:161], -v[162:163]
	ds_read_b128 v[160:163], v2 offset:1856
	v_add_f64 v[0:1], v[0:1], v[164:165]
	s_waitcnt vmcnt(7) lgkmcnt(1)
	v_mul_f64 v[164:165], v[156:157], v[66:67]
	v_fmac_f64_e32 v[164:165], v[158:159], v[64:65]
	v_add_f64 v[0:1], v[0:1], v[164:165]
	ds_read_b128 v[164:167], v2 offset:1872
	v_mul_f64 v[170:171], v[238:239], v[170:171]
	v_fma_f64 v[236:237], v[236:237], v[168:169], -v[170:171]
	ds_read_b128 v[168:171], v2 offset:1888
	s_waitcnt vmcnt(6) lgkmcnt(2)
	v_mul_f64 v[176:177], v[160:161], v[70:71]
	v_fmac_f64_e32 v[176:177], v[162:163], v[68:69]
	v_add_f64 v[0:1], v[0:1], v[176:177]
	s_waitcnt vmcnt(5) lgkmcnt(1)
	v_mul_f64 v[176:177], v[164:165], v[74:75]
	v_fmac_f64_e32 v[176:177], v[166:167], v[72:73]
	v_mul_f64 v[174:175], v[242:243], v[174:175]
	v_add_f64 v[0:1], v[0:1], v[176:177]
	v_fma_f64 v[238:239], v[240:241], v[172:173], -v[174:175]
	ds_read_b128 v[172:175], v2 offset:1904
	s_waitcnt vmcnt(4) lgkmcnt(1)
	v_mul_f64 v[176:177], v[168:169], v[82:83]
	v_fmac_f64_e32 v[176:177], v[170:171], v[80:81]
	v_add_f64 v[0:1], v[0:1], v[176:177]
	ds_read_b128 v[176:179], v2 offset:1920
	v_mul_f64 v[182:183], v[246:247], v[182:183]
	v_fma_f64 v[240:241], v[244:245], v[180:181], -v[182:183]
	ds_read_b128 v[180:183], v2 offset:1936
	ds_read_b128 v[244:247], v2 offset:1952
	s_waitcnt vmcnt(3) lgkmcnt(3)
	v_mul_f64 v[188:189], v[172:173], v[78:79]
	v_fmac_f64_e32 v[188:189], v[174:175], v[76:77]
	v_add_f64 v[0:1], v[0:1], v[188:189]
	s_waitcnt vmcnt(2) lgkmcnt(2)
	v_mul_f64 v[188:189], v[176:177], v[94:95]
	v_fmac_f64_e32 v[188:189], v[178:179], v[92:93]
	v_add_f64 v[0:1], v[0:1], v[188:189]
	;; [unrolled: 4-line block ×4, first 2 shown]
	scratch_load_dwordx4 v[188:191], off, off offset:960
	ds_read_b128 v[192:195], v2 offset:1968
	ds_read_b128 v[200:203], v2 offset:1984
	;; [unrolled: 1-line block ×5, first 2 shown]
	s_waitcnt vmcnt(0) lgkmcnt(4)
	v_mul_f64 v[196:197], v[192:193], v[190:191]
	v_fmac_f64_e32 v[196:197], v[194:195], v[188:189]
	v_add_f64 v[0:1], v[0:1], v[196:197]
	scratch_load_dwordx4 v[196:199], off, off offset:976
	s_waitcnt vmcnt(0) lgkmcnt(3)
	v_mul_f64 v[204:205], v[200:201], v[198:199]
	v_fmac_f64_e32 v[204:205], v[202:203], v[196:197]
	v_add_f64 v[0:1], v[0:1], v[204:205]
	scratch_load_dwordx4 v[204:207], off, off offset:992
	;; [unrolled: 5-line block ×4, first 2 shown]
	s_waitcnt vmcnt(0) lgkmcnt(0)
	v_mul_f64 v[228:229], v[224:225], v[222:223]
	v_fmac_f64_e32 v[228:229], v[226:227], v[220:221]
	v_add_f64 v[0:1], v[0:1], v[228:229]
	v_add_f64 v[228:229], v[248:249], 0
	;; [unrolled: 1-line block ×9, first 2 shown]
	scratch_load_dwordx4 v[228:231], off, off offset:144
	v_add_f64 v[20:21], v[24:25], v[20:21]
	v_add_f64 v[16:17], v[20:21], v[16:17]
	;; [unrolled: 1-line block ×15, first 2 shown]
	v_accvgpr_read_b32 v8, a150
	v_add_f64 v[4:5], v[242:243], v[234:235]
	v_accvgpr_read_b32 v10, a152
	v_accvgpr_read_b32 v11, a153
	v_add_f64 v[4:5], v[4:5], v[236:237]
	v_accvgpr_read_b32 v9, a151
	v_mul_f64 v[6:7], v[86:87], v[10:11]
	v_add_f64 v[4:5], v[4:5], v[238:239]
	v_fma_f64 v[6:7], v[84:85], v[8:9], -v[6:7]
	v_accvgpr_read_b32 v8, a154
	v_add_f64 v[4:5], v[4:5], v[240:241]
	v_accvgpr_read_b32 v10, a156
	v_accvgpr_read_b32 v11, a157
	v_add_f64 v[4:5], v[4:5], v[6:7]
	v_accvgpr_read_b32 v9, a155
	v_mul_f64 v[6:7], v[98:99], v[10:11]
	v_fma_f64 v[6:7], v[96:97], v[8:9], -v[6:7]
	v_accvgpr_read_b32 v8, a158
	v_accvgpr_read_b32 v10, a160
	v_accvgpr_read_b32 v11, a161
	v_add_f64 v[4:5], v[4:5], v[6:7]
	v_accvgpr_read_b32 v9, a159
	v_mul_f64 v[6:7], v[106:107], v[10:11]
	v_fma_f64 v[6:7], v[104:105], v[8:9], -v[6:7]
	v_accvgpr_read_b32 v8, a130
	;; [unrolled: 7-line block ×6, first 2 shown]
	v_accvgpr_read_b32 v10, a148
	v_accvgpr_read_b32 v11, a149
	v_add_f64 v[4:5], v[4:5], v[6:7]
	v_accvgpr_read_b32 v9, a147
	v_mul_f64 v[6:7], v[126:127], v[10:11]
	v_fma_f64 v[6:7], v[124:125], v[8:9], -v[6:7]
	v_add_f64 v[4:5], v[4:5], v[6:7]
	v_mul_f64 v[6:7], v[130:131], v[58:59]
	v_fma_f64 v[6:7], v[128:129], v[56:57], -v[6:7]
	v_add_f64 v[4:5], v[4:5], v[6:7]
	;; [unrolled: 3-line block ×21, first 2 shown]
	s_waitcnt vmcnt(0)
	v_add_f64 v[6:7], v[230:231], -v[0:1]
	v_accvgpr_read_b32 v0, a128
	v_add_f64 v[4:5], v[228:229], -v[4:5]
	v_cmp_lt_u32_e32 vcc, 7, v0
	scratch_store_dwordx4 off, v[4:7], off offset:144
	s_and_saveexec_b64 s[0:1], vcc
	s_cbranch_execz .LBB63_395
; %bb.394:
	scratch_load_dwordx4 v[6:9], off, s64
	v_mov_b32_e32 v3, v2
	v_mov_b32_e32 v4, v2
	;; [unrolled: 1-line block ×3, first 2 shown]
	v_accvgpr_read_b32 v0, a129
	scratch_store_dwordx4 off, v[2:5], off offset:128
	s_waitcnt vmcnt(1)
	ds_write_b128 v0, v[6:9]
.LBB63_395:
	s_or_b64 exec, exec, s[0:1]
	s_waitcnt lgkmcnt(0)
	; wave barrier
	scratch_load_dwordx4 v[16:19], off, off offset:144
	scratch_load_dwordx4 v[20:23], off, off offset:160
	;; [unrolled: 1-line block ×17, first 2 shown]
	ds_read_b128 v[112:115], v2 offset:1152
	ds_read_b128 v[96:99], v2 offset:1168
	ds_read_b128 v[84:87], v2 offset:1184
	scratch_load_dwordx4 v[120:123], off, off offset:416
	ds_read_b128 v[184:187], v2 offset:1200
	ds_read_b128 v[140:143], v2 offset:1216
	ds_read_b128 v[104:107], v2 offset:1232
	scratch_load_dwordx4 v[132:135], off, off offset:432
	;; [unrolled: 4-line block ×3, first 2 shown]
	ds_read_b128 v[200:203], v2 offset:1296
	ds_read_b128 v[192:195], v2 offset:1312
	;; [unrolled: 1-line block ×5, first 2 shown]
	scratch_load_dwordx4 v[144:147], off, off offset:464
	ds_read_b128 v[180:183], v2 offset:1376
	ds_read_b128 v[152:155], v2 offset:1392
	;; [unrolled: 1-line block ×3, first 2 shown]
	scratch_load_dwordx4 v[148:151], off, off offset:480
	scratch_load_dwordx4 v[156:159], off, off offset:496
	;; [unrolled: 1-line block ×13, first 2 shown]
	ds_read_b128 v[204:207], v2 offset:1424
	scratch_load_dwordx4 a[146:149], off, off offset:688
	scratch_load_dwordx4 a[150:153], off, off offset:704
	ds_read_b128 v[228:231], v2 offset:1520
	ds_read_b128 v[232:235], v2 offset:1536
	;; [unrolled: 1-line block ×4, first 2 shown]
	s_waitcnt vmcnt(35) lgkmcnt(14)
	v_mul_f64 v[0:1], v[112:113], v[18:19]
	s_waitcnt vmcnt(34)
	v_mul_f64 v[48:49], v[96:97], v[22:23]
	v_fmac_f64_e32 v[0:1], v[114:115], v[16:17]
	s_waitcnt vmcnt(33)
	v_mul_f64 v[50:51], v[84:85], v[26:27]
	v_fmac_f64_e32 v[48:49], v[98:99], v[20:21]
	v_add_f64 v[0:1], v[0:1], 0
	s_waitcnt vmcnt(32)
	v_mul_f64 v[56:57], v[184:185], v[30:31]
	v_fmac_f64_e32 v[50:51], v[86:87], v[24:25]
	v_add_f64 v[0:1], v[0:1], v[48:49]
	;; [unrolled: 4-line block ×6, first 2 shown]
	s_waitcnt vmcnt(27) lgkmcnt(13)
	v_mul_f64 v[210:211], v[108:109], v[54:55]
	v_fmac_f64_e32 v[208:209], v[166:167], v[44:45]
	v_add_f64 v[0:1], v[0:1], v[66:67]
	s_waitcnt vmcnt(26) lgkmcnt(12)
	v_mul_f64 v[212:213], v[200:201], v[62:63]
	v_fmac_f64_e32 v[210:211], v[110:111], v[52:53]
	v_add_f64 v[0:1], v[0:1], v[208:209]
	;; [unrolled: 4-line block ×8, first 2 shown]
	ds_read_b128 v[208:211], v2 offset:1440
	v_fmac_f64_e32 v[224:225], v[154:155], v[92:93]
	v_add_f64 v[0:1], v[0:1], v[222:223]
	s_waitcnt vmcnt(19) lgkmcnt(6)
	v_mul_f64 v[48:49], v[128:129], v[102:103]
	ds_read_b128 v[212:215], v2 offset:1456
	ds_read_b128 v[216:219], v2 offset:1472
	v_add_f64 v[0:1], v[0:1], v[224:225]
	v_fmac_f64_e32 v[48:49], v[130:131], v[100:101]
	v_add_f64 v[0:1], v[0:1], v[48:49]
	s_waitcnt vmcnt(18) lgkmcnt(7)
	v_mul_f64 v[48:49], v[204:205], v[122:123]
	v_fmac_f64_e32 v[48:49], v[206:207], v[120:121]
	ds_read_b128 v[220:223], v2 offset:1488
	ds_read_b128 v[224:227], v2 offset:1504
	v_add_f64 v[0:1], v[0:1], v[48:49]
	s_waitcnt vmcnt(17) lgkmcnt(4)
	v_mul_f64 v[48:49], v[208:209], v[134:135]
	v_fmac_f64_e32 v[48:49], v[210:211], v[132:133]
	s_waitcnt vmcnt(16) lgkmcnt(3)
	v_mul_f64 v[56:57], v[212:213], v[138:139]
	v_add_f64 v[0:1], v[0:1], v[48:49]
	v_fmac_f64_e32 v[56:57], v[214:215], v[136:137]
	s_waitcnt vmcnt(15) lgkmcnt(2)
	v_mul_f64 v[64:65], v[216:217], v[146:147]
	v_add_f64 v[0:1], v[0:1], v[56:57]
	v_fmac_f64_e32 v[64:65], v[218:219], v[144:145]
	v_add_f64 v[0:1], v[0:1], v[64:65]
	s_waitcnt vmcnt(14) lgkmcnt(1)
	v_mul_f64 v[64:65], v[220:221], v[150:151]
	v_fmac_f64_e32 v[64:65], v[222:223], v[148:149]
	v_add_f64 v[0:1], v[0:1], v[64:65]
	s_waitcnt vmcnt(13) lgkmcnt(0)
	v_mul_f64 v[64:65], v[224:225], v[158:159]
	v_fmac_f64_e32 v[64:65], v[226:227], v[156:157]
	v_mul_f64 v[30:31], v[186:187], v[30:31]
	v_add_f64 v[0:1], v[0:1], v[64:65]
	v_fma_f64 v[252:253], v[184:185], v[28:29], -v[30:31]
	scratch_load_dwordx4 v[64:67], off, off offset:720
	scratch_load_dwordx4 v[184:187], off, off offset:736
	v_mul_f64 v[26:27], v[86:87], v[26:27]
	s_waitcnt vmcnt(14)
	v_mul_f64 v[240:241], v[228:229], v[162:163]
	v_fma_f64 v[250:251], v[84:85], v[24:25], -v[26:27]
	ds_read_b128 v[84:87], v2 offset:1584
	v_fmac_f64_e32 v[240:241], v[230:231], v[160:161]
	v_add_f64 v[0:1], v[0:1], v[240:241]
	s_waitcnt vmcnt(13)
	v_mul_f64 v[240:241], v[232:233], v[170:171]
	v_mul_f64 v[18:19], v[114:115], v[18:19]
	v_fmac_f64_e32 v[240:241], v[234:235], v[168:169]
	v_fma_f64 v[246:247], v[112:113], v[16:17], -v[18:19]
	s_waitcnt vmcnt(12)
	v_mul_f64 v[112:113], v[236:237], v[174:175]
	v_add_f64 v[0:1], v[0:1], v[240:241]
	v_fmac_f64_e32 v[112:113], v[238:239], v[172:173]
	v_mul_f64 v[22:23], v[98:99], v[22:23]
	s_waitcnt vmcnt(11)
	v_mul_f64 v[28:29], v[242:243], v[198:199]
	v_mul_f64 v[38:39], v[106:107], v[38:39]
	v_add_f64 v[0:1], v[0:1], v[112:113]
	v_fma_f64 v[248:249], v[96:97], v[20:21], -v[22:23]
	v_fmac_f64_e32 v[28:29], v[244:245], v[196:197]
	v_fma_f64 v[240:241], v[104:105], v[36:37], -v[38:39]
	ds_read_b128 v[104:107], v2 offset:1616
	s_waitcnt vmcnt(10) lgkmcnt(1)
	v_mul_f64 v[96:97], v[84:85], v[6:7]
	v_add_f64 v[0:1], v[0:1], v[28:29]
	v_fmac_f64_e32 v[96:97], v[86:87], v[4:5]
	scratch_load_dwordx4 v[56:59], off, off offset:752
	v_mul_f64 v[42:43], v[190:191], v[42:43]
	v_add_f64 v[0:1], v[0:1], v[96:97]
	ds_read_b128 v[96:99], v2 offset:1600
	ds_read_b128 v[112:115], v2 offset:1648
	v_fma_f64 v[42:43], v[188:189], v[40:41], -v[42:43]
	v_mul_f64 v[40:41], v[166:167], v[46:47]
	v_fma_f64 v[36:37], v[164:165], v[44:45], -v[40:41]
	scratch_load_dwordx4 v[44:47], off, off offset:768
	v_accvgpr_write_b32 a157, v7
	v_accvgpr_write_b32 a156, v6
	;; [unrolled: 1-line block ×4, first 2 shown]
	s_waitcnt vmcnt(11) lgkmcnt(1)
	v_mul_f64 v[6:7], v[96:97], v[10:11]
	v_fmac_f64_e32 v[6:7], v[98:99], v[8:9]
	v_accvgpr_write_b32 a161, v11
	v_mul_f64 v[34:35], v[142:143], v[34:35]
	v_accvgpr_write_b32 a160, v10
	v_accvgpr_write_b32 a159, v9
	;; [unrolled: 1-line block ×3, first 2 shown]
	v_add_f64 v[0:1], v[0:1], v[6:7]
	scratch_load_dwordx4 v[48:51], off, off offset:784
	v_mul_f64 v[6:7], v[110:111], v[54:55]
	s_waitcnt vmcnt(11)
	v_mul_f64 v[10:11], v[104:105], v[14:15]
	v_fma_f64 v[254:255], v[140:141], v[32:33], -v[34:35]
	v_fma_f64 v[32:33], v[108:109], v[52:53], -v[6:7]
	v_fmac_f64_e32 v[10:11], v[106:107], v[12:13]
	scratch_load_dwordx4 v[52:55], off, off offset:800
	v_add_f64 v[0:1], v[0:1], v[10:11]
	v_mul_f64 v[10:11], v[202:203], v[62:63]
	ds_read_b128 v[108:111], v2 offset:1632
	v_fma_f64 v[28:29], v[200:201], v[60:61], -v[10:11]
	scratch_load_dwordx4 v[60:63], off, off offset:816
	v_mul_f64 v[70:71], v[194:195], v[70:71]
	v_fma_f64 v[24:25], v[192:193], v[68:69], -v[70:71]
	v_mul_f64 v[68:69], v[178:179], v[74:75]
	s_waitcnt vmcnt(12)
	v_accvgpr_read_b32 v4, a130
	v_fma_f64 v[20:21], v[176:177], v[72:73], -v[68:69]
	scratch_load_dwordx4 v[68:71], off, off offset:832
	v_accvgpr_write_b32 a165, v15
	v_accvgpr_read_b32 v6, a132
	v_accvgpr_read_b32 v7, a133
	v_accvgpr_write_b32 a164, v14
	v_accvgpr_write_b32 a163, v13
	;; [unrolled: 1-line block ×3, first 2 shown]
	v_accvgpr_read_b32 v5, a131
	s_waitcnt lgkmcnt(0)
	v_mul_f64 v[14:15], v[108:109], v[6:7]
	v_fmac_f64_e32 v[14:15], v[110:111], v[4:5]
	s_waitcnt vmcnt(12)
	v_accvgpr_read_b32 v4, a134
	v_accvgpr_read_b32 v6, a136
	;; [unrolled: 1-line block ×3, first 2 shown]
	v_add_f64 v[0:1], v[0:1], v[14:15]
	v_accvgpr_read_b32 v5, a135
	v_mul_f64 v[14:15], v[112:113], v[6:7]
	scratch_load_dwordx4 v[72:75], off, off offset:848
	v_fmac_f64_e32 v[14:15], v[114:115], v[4:5]
	v_add_f64 v[0:1], v[0:1], v[14:15]
	v_mul_f64 v[14:15], v[118:119], v[78:79]
	v_fma_f64 v[16:17], v[116:117], v[76:77], -v[14:15]
	ds_read_b128 v[116:119], v2 offset:1664
	v_mul_f64 v[18:19], v[126:127], v[82:83]
	v_fma_f64 v[18:19], v[124:125], v[80:81], -v[18:19]
	scratch_load_dwordx4 v[80:83], off, off offset:864
	scratch_load_dwordx4 v[76:79], off, off offset:880
	s_waitcnt vmcnt(14)
	v_accvgpr_read_b32 v4, a138
	v_accvgpr_read_b32 v6, a140
	;; [unrolled: 1-line block ×4, first 2 shown]
	s_waitcnt lgkmcnt(0)
	v_mul_f64 v[22:23], v[116:117], v[6:7]
	v_fmac_f64_e32 v[22:23], v[118:119], v[4:5]
	v_mul_f64 v[90:91], v[182:183], v[90:91]
	v_add_f64 v[0:1], v[0:1], v[22:23]
	v_mul_f64 v[22:23], v[154:155], v[94:95]
	v_fma_f64 v[14:15], v[180:181], v[88:89], -v[90:91]
	ds_read_b128 v[124:127], v2 offset:1680
	v_fma_f64 v[22:23], v[152:153], v[92:93], -v[22:23]
	scratch_load_dwordx4 v[92:95], off, off offset:896
	scratch_load_dwordx4 v[88:91], off, off offset:912
	v_mul_f64 v[102:103], v[130:131], v[102:103]
	v_fma_f64 v[12:13], v[128:129], v[100:101], -v[102:103]
	scratch_load_dwordx4 v[100:103], off, off offset:928
	s_waitcnt vmcnt(16)
	v_accvgpr_read_b32 v4, a142
	v_accvgpr_read_b32 v6, a144
	;; [unrolled: 1-line block ×3, first 2 shown]
	ds_read_b128 v[128:131], v2 offset:1696
	v_accvgpr_read_b32 v5, a143
	s_waitcnt lgkmcnt(1)
	v_mul_f64 v[26:27], v[124:125], v[6:7]
	v_fmac_f64_e32 v[26:27], v[126:127], v[4:5]
	v_add_f64 v[0:1], v[0:1], v[26:27]
	v_mul_f64 v[26:27], v[206:207], v[122:123]
	v_fma_f64 v[26:27], v[204:205], v[120:121], -v[26:27]
	ds_read_b128 v[120:123], v2 offset:1712
	s_waitcnt vmcnt(15)
	v_accvgpr_read_b32 v4, a146
	v_accvgpr_read_b32 v6, a148
	;; [unrolled: 1-line block ×3, first 2 shown]
	v_mul_f64 v[134:135], v[210:211], v[134:135]
	v_accvgpr_read_b32 v5, a147
	s_waitcnt lgkmcnt(1)
	v_mul_f64 v[140:141], v[128:129], v[6:7]
	v_fma_f64 v[10:11], v[208:209], v[132:133], -v[134:135]
	ds_read_b128 v[132:135], v2 offset:1728
	v_fmac_f64_e32 v[140:141], v[130:131], v[4:5]
	s_waitcnt vmcnt(14)
	v_accvgpr_read_b32 v4, a150
	v_mul_f64 v[138:139], v[214:215], v[138:139]
	v_accvgpr_read_b32 v6, a152
	v_accvgpr_read_b32 v7, a153
	v_fma_f64 v[8:9], v[212:213], v[136:137], -v[138:139]
	ds_read_b128 v[136:139], v2 offset:1744
	v_accvgpr_read_b32 v5, a151
	s_waitcnt lgkmcnt(2)
	v_mul_f64 v[30:31], v[120:121], v[6:7]
	v_add_f64 v[0:1], v[0:1], v[140:141]
	v_fmac_f64_e32 v[30:31], v[122:123], v[4:5]
	v_add_f64 v[0:1], v[0:1], v[30:31]
	s_waitcnt vmcnt(13) lgkmcnt(1)
	v_mul_f64 v[30:31], v[132:133], v[66:67]
	s_waitcnt vmcnt(12)
	v_mov_b64_e32 v[4:5], v[184:185]
	v_fmac_f64_e32 v[30:31], v[134:135], v[64:65]
	v_mov_b64_e32 v[6:7], v[186:187]
	v_add_f64 v[0:1], v[0:1], v[30:31]
	s_waitcnt lgkmcnt(0)
	v_mul_f64 v[30:31], v[136:137], v[6:7]
	v_fmac_f64_e32 v[30:31], v[138:139], v[4:5]
	ds_read_b128 v[140:143], v2 offset:1760
	v_add_f64 v[0:1], v[0:1], v[30:31]
	v_mul_f64 v[30:31], v[218:219], v[146:147]
	v_fma_f64 v[30:31], v[216:217], v[144:145], -v[30:31]
	ds_read_b128 v[144:147], v2 offset:1776
	s_waitcnt vmcnt(11) lgkmcnt(1)
	v_mul_f64 v[34:35], v[140:141], v[58:59]
	v_fmac_f64_e32 v[34:35], v[142:143], v[56:57]
	v_add_f64 v[0:1], v[0:1], v[34:35]
	v_mul_f64 v[34:35], v[222:223], v[150:151]
	s_waitcnt vmcnt(10) lgkmcnt(0)
	v_mul_f64 v[152:153], v[144:145], v[46:47]
	v_fma_f64 v[34:35], v[220:221], v[148:149], -v[34:35]
	ds_read_b128 v[148:151], v2 offset:1792
	v_fmac_f64_e32 v[152:153], v[146:147], v[44:45]
	v_add_f64 v[0:1], v[0:1], v[152:153]
	ds_read_b128 v[152:155], v2 offset:1808
	v_mul_f64 v[158:159], v[226:227], v[158:159]
	v_fma_f64 v[6:7], v[224:225], v[156:157], -v[158:159]
	ds_read_b128 v[156:159], v2 offset:1824
	v_mul_f64 v[162:163], v[230:231], v[162:163]
	s_waitcnt vmcnt(9) lgkmcnt(2)
	v_mul_f64 v[164:165], v[148:149], v[50:51]
	v_fma_f64 v[4:5], v[228:229], v[160:161], -v[162:163]
	ds_read_b128 v[160:163], v2 offset:1840
	v_fmac_f64_e32 v[164:165], v[150:151], v[48:49]
	s_waitcnt vmcnt(8) lgkmcnt(2)
	v_mul_f64 v[38:39], v[152:153], v[54:55]
	v_add_f64 v[0:1], v[0:1], v[164:165]
	v_fmac_f64_e32 v[38:39], v[154:155], v[52:53]
	v_add_f64 v[0:1], v[0:1], v[38:39]
	s_waitcnt vmcnt(7) lgkmcnt(1)
	v_mul_f64 v[38:39], v[156:157], v[62:63]
	v_fmac_f64_e32 v[38:39], v[158:159], v[60:61]
	v_add_f64 v[0:1], v[0:1], v[38:39]
	s_waitcnt vmcnt(6) lgkmcnt(0)
	v_mul_f64 v[38:39], v[160:161], v[70:71]
	ds_read_b128 v[164:167], v2 offset:1856
	v_fmac_f64_e32 v[38:39], v[162:163], v[68:69]
	v_add_f64 v[0:1], v[0:1], v[38:39]
	v_mul_f64 v[38:39], v[234:235], v[170:171]
	v_fma_f64 v[38:39], v[232:233], v[168:169], -v[38:39]
	ds_read_b128 v[168:171], v2 offset:1872
	s_waitcnt vmcnt(5) lgkmcnt(1)
	v_mul_f64 v[40:41], v[164:165], v[74:75]
	v_fmac_f64_e32 v[40:41], v[166:167], v[72:73]
	v_add_f64 v[40:41], v[0:1], v[40:41]
	v_mul_f64 v[0:1], v[238:239], v[174:175]
	v_fma_f64 v[0:1], v[236:237], v[172:173], -v[0:1]
	ds_read_b128 v[172:175], v2 offset:1888
	s_waitcnt vmcnt(4) lgkmcnt(1)
	v_mul_f64 v[176:177], v[168:169], v[82:83]
	v_fmac_f64_e32 v[176:177], v[170:171], v[80:81]
	v_add_f64 v[40:41], v[40:41], v[176:177]
	ds_read_b128 v[176:179], v2 offset:1904
	v_mul_f64 v[180:181], v[244:245], v[198:199]
	v_accvgpr_write_b32 a166, v184
	v_fma_f64 v[242:243], v[242:243], v[196:197], -v[180:181]
	ds_read_b128 v[180:183], v2 offset:1920
	ds_read_b128 v[192:195], v2 offset:1952
	v_accvgpr_write_b32 a167, v185
	v_accvgpr_write_b32 a168, v186
	;; [unrolled: 1-line block ×3, first 2 shown]
	s_waitcnt vmcnt(3) lgkmcnt(3)
	v_mul_f64 v[184:185], v[172:173], v[78:79]
	v_fmac_f64_e32 v[184:185], v[174:175], v[76:77]
	v_add_f64 v[40:41], v[40:41], v[184:185]
	s_waitcnt vmcnt(2) lgkmcnt(2)
	v_mul_f64 v[184:185], v[176:177], v[94:95]
	v_fmac_f64_e32 v[184:185], v[178:179], v[92:93]
	v_add_f64 v[40:41], v[40:41], v[184:185]
	;; [unrolled: 4-line block ×3, first 2 shown]
	ds_read_b128 v[184:187], v2 offset:1936
	ds_read_b128 v[200:203], v2 offset:1968
	scratch_load_dwordx4 v[236:239], off, off offset:128
	scratch_load_dwordx4 v[232:235], off, off offset:1024
	ds_read_b128 v[208:211], v2 offset:1984
	ds_read_b128 v[216:219], v2 offset:2000
	s_waitcnt vmcnt(2) lgkmcnt(3)
	v_mul_f64 v[188:189], v[184:185], v[102:103]
	v_fmac_f64_e32 v[188:189], v[186:187], v[100:101]
	v_add_f64 v[40:41], v[40:41], v[188:189]
	scratch_load_dwordx4 v[188:191], off, off offset:944
	ds_read_b128 v[224:227], v2 offset:2016
	s_waitcnt vmcnt(0)
	v_mul_f64 v[196:197], v[192:193], v[190:191]
	v_fmac_f64_e32 v[196:197], v[194:195], v[188:189]
	v_add_f64 v[40:41], v[40:41], v[196:197]
	scratch_load_dwordx4 v[196:199], off, off offset:960
	s_waitcnt vmcnt(0) lgkmcnt(3)
	v_mul_f64 v[204:205], v[200:201], v[198:199]
	v_fmac_f64_e32 v[204:205], v[202:203], v[196:197]
	v_add_f64 v[40:41], v[40:41], v[204:205]
	scratch_load_dwordx4 v[204:207], off, off offset:976
	s_waitcnt vmcnt(0) lgkmcnt(2)
	;; [unrolled: 5-line block ×4, first 2 shown]
	v_mul_f64 v[228:229], v[224:225], v[222:223]
	v_fmac_f64_e32 v[228:229], v[226:227], v[220:221]
	v_add_f64 v[40:41], v[40:41], v[228:229]
	ds_read_b128 v[228:231], v2 offset:2032
	s_waitcnt lgkmcnt(0)
	v_mul_f64 v[2:3], v[228:229], v[234:235]
	v_fmac_f64_e32 v[2:3], v[230:231], v[232:233]
	v_add_f64 v[2:3], v[40:41], v[2:3]
	v_add_f64 v[40:41], v[246:247], 0
	v_add_f64 v[40:41], v[40:41], v[248:249]
	v_add_f64 v[40:41], v[40:41], v[250:251]
	v_add_f64 v[40:41], v[40:41], v[252:253]
	v_add_f64 v[40:41], v[40:41], v[254:255]
	v_add_f64 v[40:41], v[40:41], v[240:241]
	v_add_f64 v[40:41], v[40:41], v[42:43]
	v_add_f64 v[36:37], v[40:41], v[36:37]
	v_add_f64 v[32:33], v[36:37], v[32:33]
	v_add_f64 v[28:29], v[32:33], v[28:29]
	v_add_f64 v[24:25], v[28:29], v[24:25]
	v_add_f64 v[20:21], v[24:25], v[20:21]
	v_add_f64 v[16:17], v[20:21], v[16:17]
	v_add_f64 v[16:17], v[16:17], v[18:19]
	v_add_f64 v[14:15], v[16:17], v[14:15]
	v_add_f64 v[14:15], v[14:15], v[22:23]
	v_add_f64 v[12:13], v[14:15], v[12:13]
	v_add_f64 v[12:13], v[12:13], v[26:27]
	v_add_f64 v[10:11], v[12:13], v[10:11]
	v_add_f64 v[8:9], v[10:11], v[8:9]
	v_add_f64 v[8:9], v[8:9], v[30:31]
	v_add_f64 v[8:9], v[8:9], v[34:35]
	v_add_f64 v[6:7], v[8:9], v[6:7]
	v_add_f64 v[4:5], v[6:7], v[4:5]
	v_accvgpr_read_b32 v6, a154
	v_accvgpr_read_b32 v8, a156
	;; [unrolled: 1-line block ×3, first 2 shown]
	v_add_f64 v[244:245], v[4:5], v[38:39]
	v_accvgpr_read_b32 v7, a155
	v_mul_f64 v[4:5], v[86:87], v[8:9]
	v_add_f64 v[0:1], v[244:245], v[0:1]
	v_fma_f64 v[4:5], v[84:85], v[6:7], -v[4:5]
	v_accvgpr_read_b32 v6, a158
	v_add_f64 v[0:1], v[0:1], v[242:243]
	v_accvgpr_read_b32 v8, a160
	v_accvgpr_read_b32 v9, a161
	v_add_f64 v[0:1], v[0:1], v[4:5]
	v_accvgpr_read_b32 v7, a159
	v_mul_f64 v[4:5], v[98:99], v[8:9]
	v_fma_f64 v[4:5], v[96:97], v[6:7], -v[4:5]
	v_accvgpr_read_b32 v6, a162
	v_accvgpr_read_b32 v8, a164
	v_accvgpr_read_b32 v9, a165
	v_add_f64 v[0:1], v[0:1], v[4:5]
	v_accvgpr_read_b32 v7, a163
	v_mul_f64 v[4:5], v[106:107], v[8:9]
	v_fma_f64 v[4:5], v[104:105], v[6:7], -v[4:5]
	v_accvgpr_read_b32 v6, a130
	;; [unrolled: 7-line block ×7, first 2 shown]
	v_accvgpr_read_b32 v8, a152
	v_accvgpr_read_b32 v9, a153
	v_add_f64 v[0:1], v[0:1], v[4:5]
	v_accvgpr_read_b32 v7, a151
	v_mul_f64 v[4:5], v[122:123], v[8:9]
	v_fma_f64 v[4:5], v[120:121], v[6:7], -v[4:5]
	v_add_f64 v[0:1], v[0:1], v[4:5]
	v_mul_f64 v[4:5], v[134:135], v[66:67]
	v_accvgpr_read_b32 v6, a166
	v_fma_f64 v[4:5], v[132:133], v[64:65], -v[4:5]
	v_accvgpr_read_b32 v8, a168
	v_accvgpr_read_b32 v9, a169
	v_add_f64 v[0:1], v[0:1], v[4:5]
	v_accvgpr_read_b32 v7, a167
	v_mul_f64 v[4:5], v[138:139], v[8:9]
	v_fma_f64 v[4:5], v[136:137], v[6:7], -v[4:5]
	v_add_f64 v[0:1], v[0:1], v[4:5]
	v_mul_f64 v[4:5], v[142:143], v[58:59]
	v_fma_f64 v[4:5], v[140:141], v[56:57], -v[4:5]
	v_add_f64 v[0:1], v[0:1], v[4:5]
	;; [unrolled: 3-line block ×19, first 2 shown]
	v_add_f64 v[4:5], v[236:237], -v[0:1]
	v_accvgpr_read_b32 v0, a128
	v_add_f64 v[6:7], v[238:239], -v[2:3]
	v_cmp_lt_u32_e32 vcc, 6, v0
	scratch_store_dwordx4 off, v[4:7], off offset:128
	s_and_saveexec_b64 s[0:1], vcc
	s_cbranch_execz .LBB63_397
; %bb.396:
	scratch_load_dwordx4 v[2:5], off, s63
	v_mov_b32_e32 v6, 0
	v_mov_b32_e32 v7, v6
	;; [unrolled: 1-line block ×4, first 2 shown]
	v_accvgpr_read_b32 v0, a129
	scratch_store_dwordx4 off, v[6:9], off offset:112
	s_waitcnt vmcnt(1)
	ds_write_b128 v0, v[2:5]
.LBB63_397:
	s_or_b64 exec, exec, s[0:1]
	s_waitcnt lgkmcnt(0)
	; wave barrier
	scratch_load_dwordx4 v[24:27], off, off offset:128
	scratch_load_dwordx4 v[28:31], off, off offset:144
	;; [unrolled: 1-line block ×30, first 2 shown]
	v_mov_b32_e32 v2, 0
	ds_read_b128 v[80:83], v2 offset:1136
	ds_read_b128 v[96:99], v2 offset:1152
	;; [unrolled: 1-line block ×17, first 2 shown]
	scratch_load_dwordx4 a[134:137], off, off offset:608
	scratch_load_dwordx4 a[138:141], off, off offset:624
	;; [unrolled: 1-line block ×6, first 2 shown]
	ds_read_b128 v[224:227], v2 offset:1472
	ds_read_b128 v[228:231], v2 offset:1488
	;; [unrolled: 1-line block ×6, first 2 shown]
	scratch_load_dwordx4 a[158:161], off, off offset:704
	ds_read_b128 v[248:251], v2 offset:1568
	ds_read_b128 v[252:255], v2 offset:1584
	s_waitcnt vmcnt(36) lgkmcnt(14)
	v_mul_f64 v[0:1], v[80:81], v[26:27]
	s_waitcnt vmcnt(35)
	v_mul_f64 v[8:9], v[96:97], v[30:31]
	v_fmac_f64_e32 v[0:1], v[82:83], v[24:25]
	s_waitcnt vmcnt(34)
	v_mul_f64 v[10:11], v[100:101], v[34:35]
	v_fmac_f64_e32 v[8:9], v[98:99], v[28:29]
	v_add_f64 v[0:1], v[0:1], 0
	s_waitcnt vmcnt(33)
	v_mul_f64 v[12:13], v[104:105], v[38:39]
	v_fmac_f64_e32 v[10:11], v[102:103], v[32:33]
	v_add_f64 v[0:1], v[0:1], v[8:9]
	;; [unrolled: 4-line block ×9, first 2 shown]
	s_waitcnt vmcnt(25) lgkmcnt(13)
	v_mul_f64 v[212:213], v[184:185], v[70:71]
	v_fmac_f64_e32 v[210:211], v[182:183], v[64:65]
	v_add_f64 v[0:1], v[0:1], v[208:209]
	s_waitcnt vmcnt(24) lgkmcnt(12)
	v_mul_f64 v[214:215], v[188:189], v[74:75]
	v_fmac_f64_e32 v[212:213], v[186:187], v[68:69]
	v_add_f64 v[0:1], v[0:1], v[210:211]
	;; [unrolled: 4-line block ×4, first 2 shown]
	ds_read_b128 v[208:211], v2 offset:1408
	ds_read_b128 v[212:215], v2 offset:1424
	v_fmac_f64_e32 v[218:219], v[198:199], v[84:85]
	v_add_f64 v[0:1], v[0:1], v[216:217]
	s_waitcnt vmcnt(21) lgkmcnt(11)
	v_mul_f64 v[220:221], v[200:201], v[90:91]
	v_add_f64 v[0:1], v[0:1], v[218:219]
	ds_read_b128 v[216:219], v2 offset:1440
	v_fmac_f64_e32 v[220:221], v[202:203], v[88:89]
	s_waitcnt vmcnt(20) lgkmcnt(11)
	v_mul_f64 v[8:9], v[204:205], v[94:95]
	v_add_f64 v[0:1], v[0:1], v[220:221]
	v_fmac_f64_e32 v[8:9], v[206:207], v[92:93]
	ds_read_b128 v[220:223], v2 offset:1456
	v_add_f64 v[0:1], v[0:1], v[8:9]
	s_waitcnt vmcnt(19) lgkmcnt(3)
	v_mul_f64 v[8:9], v[208:209], v[122:123]
	v_fmac_f64_e32 v[8:9], v[210:211], v[120:121]
	s_waitcnt vmcnt(18) lgkmcnt(2)
	v_mul_f64 v[12:13], v[212:213], v[126:127]
	v_add_f64 v[0:1], v[0:1], v[8:9]
	v_fmac_f64_e32 v[12:13], v[214:215], v[124:125]
	s_waitcnt vmcnt(17) lgkmcnt(1)
	v_mul_f64 v[16:17], v[216:217], v[130:131]
	v_add_f64 v[0:1], v[0:1], v[12:13]
	v_fmac_f64_e32 v[16:17], v[218:219], v[128:129]
	v_add_f64 v[0:1], v[0:1], v[16:17]
	s_waitcnt vmcnt(16) lgkmcnt(0)
	v_mul_f64 v[16:17], v[220:221], v[134:135]
	v_fmac_f64_e32 v[16:17], v[222:223], v[132:133]
	v_add_f64 v[0:1], v[0:1], v[16:17]
	s_waitcnt vmcnt(15)
	v_mul_f64 v[16:17], v[224:225], v[138:139]
	v_fmac_f64_e32 v[16:17], v[226:227], v[136:137]
	s_waitcnt vmcnt(14)
	v_mul_f64 v[20:21], v[228:229], v[142:143]
	v_add_f64 v[0:1], v[0:1], v[16:17]
	v_fmac_f64_e32 v[20:21], v[230:231], v[140:141]
	s_waitcnt vmcnt(13)
	v_mul_f64 v[6:7], v[232:233], v[146:147]
	v_add_f64 v[0:1], v[0:1], v[20:21]
	v_fmac_f64_e32 v[6:7], v[234:235], v[144:145]
	v_add_f64 v[0:1], v[0:1], v[6:7]
	s_waitcnt vmcnt(12)
	v_mul_f64 v[6:7], v[236:237], v[154:155]
	v_fmac_f64_e32 v[6:7], v[238:239], v[152:153]
	v_add_f64 v[0:1], v[0:1], v[6:7]
	s_waitcnt vmcnt(11)
	v_mul_f64 v[6:7], v[240:241], v[158:159]
	v_fmac_f64_e32 v[6:7], v[242:243], v[156:157]
	v_mul_f64 v[10:11], v[106:107], v[38:39]
	v_add_f64 v[0:1], v[0:1], v[6:7]
	v_mul_f64 v[6:7], v[98:99], v[30:31]
	v_fma_f64 v[20:21], v[104:105], v[36:37], -v[10:11]
	v_mul_f64 v[36:37], v[110:111], v[42:43]
	v_mul_f64 v[26:27], v[82:83], v[26:27]
	v_fma_f64 v[30:31], v[96:97], v[28:29], -v[6:7]
	v_mul_f64 v[28:29], v[102:103], v[34:35]
	v_fma_f64 v[16:17], v[108:109], v[40:41], -v[36:37]
	scratch_load_dwordx4 v[36:39], off, off offset:720
	v_fma_f64 v[80:81], v[80:81], v[24:25], -v[26:27]
	v_fma_f64 v[24:25], v[100:101], v[32:33], -v[28:29]
	s_waitcnt vmcnt(11)
	v_mul_f64 v[32:33], v[244:245], v[166:167]
	v_fmac_f64_e32 v[32:33], v[246:247], v[164:165]
	v_mul_f64 v[40:41], v[118:119], v[50:51]
	v_add_f64 v[0:1], v[0:1], v[32:33]
	s_waitcnt vmcnt(10)
	v_mul_f64 v[32:33], v[248:249], v[170:171]
	v_fma_f64 v[12:13], v[116:117], v[48:49], -v[40:41]
	scratch_load_dwordx4 v[40:43], off, off offset:736
	v_fmac_f64_e32 v[32:33], v[250:251], v[168:169]
	v_add_f64 v[0:1], v[0:1], v[32:33]
	ds_read_b128 v[32:35], v2 offset:1600
	ds_read_b128 v[96:99], v2 offset:1616
	v_mul_f64 v[14:15], v[114:115], v[46:47]
	v_fma_f64 v[14:15], v[112:113], v[44:45], -v[14:15]
	v_mul_f64 v[44:45], v[150:151], v[54:55]
	s_waitcnt vmcnt(10)
	v_mul_f64 v[18:19], v[252:253], v[178:179]
	s_waitcnt vmcnt(9)
	v_accvgpr_read_b32 v4, a130
	v_fma_f64 v[10:11], v[148:149], v[52:53], -v[44:45]
	scratch_load_dwordx4 v[44:47], off, off offset:752
	v_fmac_f64_e32 v[18:19], v[254:255], v[176:177]
	v_accvgpr_read_b32 v6, a132
	v_accvgpr_read_b32 v7, a133
	v_add_f64 v[0:1], v[0:1], v[18:19]
	v_accvgpr_read_b32 v5, a131
	s_waitcnt lgkmcnt(1)
	v_mul_f64 v[18:19], v[32:33], v[6:7]
	scratch_load_dwordx4 v[48:51], off, off offset:768
	scratch_load_dwordx4 v[52:55], off, off offset:784
	v_fmac_f64_e32 v[18:19], v[34:35], v[4:5]
	ds_read_b128 v[100:103], v2 offset:1632
	ds_read_b128 v[104:107], v2 offset:1648
	s_waitcnt vmcnt(11)
	v_accvgpr_read_b32 v4, a134
	v_add_f64 v[0:1], v[0:1], v[18:19]
	v_mul_f64 v[18:19], v[162:163], v[58:59]
	v_accvgpr_read_b32 v6, a136
	v_accvgpr_read_b32 v7, a137
	v_fma_f64 v[18:19], v[160:161], v[56:57], -v[18:19]
	v_accvgpr_read_b32 v5, a135
	s_waitcnt lgkmcnt(2)
	v_mul_f64 v[56:57], v[96:97], v[6:7]
	v_fmac_f64_e32 v[56:57], v[98:99], v[4:5]
	s_waitcnt vmcnt(10)
	v_accvgpr_read_b32 v4, a138
	v_mul_f64 v[22:23], v[174:175], v[62:63]
	v_accvgpr_read_b32 v6, a140
	v_accvgpr_read_b32 v7, a141
	v_fma_f64 v[22:23], v[172:173], v[60:61], -v[22:23]
	v_add_f64 v[0:1], v[0:1], v[56:57]
	v_mul_f64 v[56:57], v[182:183], v[66:67]
	v_accvgpr_read_b32 v5, a139
	s_waitcnt lgkmcnt(1)
	v_mul_f64 v[60:61], v[100:101], v[6:7]
	v_fma_f64 v[172:173], v[180:181], v[64:65], -v[56:57]
	scratch_load_dwordx4 v[56:59], off, off offset:800
	v_fmac_f64_e32 v[60:61], v[102:103], v[4:5]
	v_add_f64 v[0:1], v[0:1], v[60:61]
	v_mul_f64 v[60:61], v[186:187], v[70:71]
	v_fma_f64 v[174:175], v[184:185], v[68:69], -v[60:61]
	scratch_load_dwordx4 v[60:63], off, off offset:816
	v_mul_f64 v[64:65], v[190:191], v[74:75]
	v_fma_f64 v[180:181], v[188:189], v[72:73], -v[64:65]
	scratch_load_dwordx4 v[64:67], off, off offset:832
	ds_read_b128 v[108:111], v2 offset:1664
	s_waitcnt vmcnt(12)
	v_accvgpr_read_b32 v4, a142
	v_accvgpr_read_b32 v6, a144
	;; [unrolled: 1-line block ×4, first 2 shown]
	s_waitcnt lgkmcnt(1)
	v_mul_f64 v[72:73], v[104:105], v[6:7]
	v_fmac_f64_e32 v[72:73], v[106:107], v[4:5]
	s_waitcnt vmcnt(11)
	v_accvgpr_read_b32 v4, a146
	v_mul_f64 v[68:69], v[194:195], v[78:79]
	v_accvgpr_read_b32 v6, a148
	v_accvgpr_read_b32 v7, a149
	v_fma_f64 v[182:183], v[192:193], v[76:77], -v[68:69]
	scratch_load_dwordx4 v[68:71], off, off offset:848
	v_accvgpr_read_b32 v5, a147
	s_waitcnt lgkmcnt(0)
	v_mul_f64 v[76:77], v[108:109], v[6:7]
	v_add_f64 v[0:1], v[0:1], v[72:73]
	v_mul_f64 v[72:73], v[198:199], v[86:87]
	v_fmac_f64_e32 v[76:77], v[110:111], v[4:5]
	v_fma_f64 v[184:185], v[196:197], v[84:85], -v[72:73]
	scratch_load_dwordx4 v[72:75], off, off offset:864
	v_add_f64 v[0:1], v[0:1], v[76:77]
	v_mul_f64 v[76:77], v[202:203], v[90:91]
	v_fma_f64 v[186:187], v[200:201], v[88:89], -v[76:77]
	scratch_load_dwordx4 v[76:79], off, off offset:880
	ds_read_b128 v[116:119], v2 offset:1680
	ds_read_b128 v[112:115], v2 offset:1696
	s_waitcnt vmcnt(13)
	v_accvgpr_read_b32 v4, a150
	v_mul_f64 v[84:85], v[206:207], v[94:95]
	scratch_load_dwordx4 v[88:91], off, off offset:896
	v_accvgpr_read_b32 v6, a152
	v_accvgpr_read_b32 v7, a153
	v_fma_f64 v[8:9], v[204:205], v[92:93], -v[84:85]
	v_accvgpr_read_b32 v5, a151
	s_waitcnt lgkmcnt(1)
	v_mul_f64 v[92:93], v[116:117], v[6:7]
	scratch_load_dwordx4 v[84:87], off, off offset:912
	v_fmac_f64_e32 v[92:93], v[118:119], v[4:5]
	v_add_f64 v[0:1], v[0:1], v[92:93]
	v_mul_f64 v[92:93], v[214:215], v[126:127]
	v_fma_f64 v[6:7], v[212:213], v[124:125], -v[92:93]
	scratch_load_dwordx4 v[92:95], off, off offset:928
	v_mul_f64 v[170:171], v[250:251], v[170:171]
	v_mul_f64 v[154:155], v[238:239], v[154:155]
	v_fma_f64 v[238:239], v[248:249], v[168:169], -v[170:171]
	scratch_load_dwordx4 v[248:251], off, off offset:944
	v_mul_f64 v[26:27], v[210:211], v[122:123]
	v_fma_f64 v[26:27], v[208:209], v[120:121], -v[26:27]
	v_mul_f64 v[82:83], v[218:219], v[130:131]
	ds_read_b128 v[120:123], v2 offset:1712
	v_fma_f64 v[82:83], v[216:217], v[128:129], -v[82:83]
	s_waitcnt vmcnt(16)
	v_accvgpr_read_b32 v126, a154
	v_accvgpr_read_b32 v128, a156
	;; [unrolled: 1-line block ×4, first 2 shown]
	s_waitcnt lgkmcnt(1)
	v_mul_f64 v[124:125], v[112:113], v[128:129]
	s_waitcnt vmcnt(15)
	v_accvgpr_read_b32 v148, a158
	v_fmac_f64_e32 v[124:125], v[114:115], v[126:127]
	v_accvgpr_read_b32 v150, a160
	v_accvgpr_read_b32 v151, a161
	v_add_f64 v[0:1], v[0:1], v[124:125]
	ds_read_b128 v[124:127], v2 offset:1728
	v_accvgpr_read_b32 v149, a159
	s_waitcnt lgkmcnt(1)
	v_mul_f64 v[128:129], v[120:121], v[150:151]
	v_fmac_f64_e32 v[128:129], v[122:123], v[148:149]
	v_add_f64 v[0:1], v[0:1], v[128:129]
	v_mul_f64 v[128:129], v[222:223], v[134:135]
	v_fma_f64 v[4:5], v[220:221], v[132:133], -v[128:129]
	ds_read_b128 v[128:131], v2 offset:1744
	ds_read_b128 v[132:135], v2 offset:1760
	s_waitcnt vmcnt(14) lgkmcnt(2)
	v_mul_f64 v[28:29], v[124:125], v[38:39]
	v_fmac_f64_e32 v[28:29], v[126:127], v[36:37]
	v_add_f64 v[0:1], v[0:1], v[28:29]
	v_mul_f64 v[28:29], v[226:227], v[138:139]
	v_fma_f64 v[28:29], v[224:225], v[136:137], -v[28:29]
	s_waitcnt vmcnt(13) lgkmcnt(1)
	v_mul_f64 v[136:137], v[128:129], v[42:43]
	v_fmac_f64_e32 v[136:137], v[130:131], v[40:41]
	v_add_f64 v[0:1], v[0:1], v[136:137]
	ds_read_b128 v[136:139], v2 offset:1776
	v_mul_f64 v[142:143], v[230:231], v[142:143]
	v_fma_f64 v[228:229], v[228:229], v[140:141], -v[142:143]
	ds_read_b128 v[140:143], v2 offset:1792
	s_waitcnt vmcnt(12) lgkmcnt(2)
	v_mul_f64 v[148:149], v[132:133], v[46:47]
	v_fmac_f64_e32 v[148:149], v[134:135], v[44:45]
	v_add_f64 v[80:81], v[80:81], 0
	v_add_f64 v[0:1], v[0:1], v[148:149]
	s_waitcnt vmcnt(11) lgkmcnt(1)
	v_mul_f64 v[148:149], v[136:137], v[50:51]
	v_add_f64 v[30:31], v[80:81], v[30:31]
	v_fmac_f64_e32 v[148:149], v[138:139], v[48:49]
	v_mul_f64 v[146:147], v[234:235], v[146:147]
	v_add_f64 v[24:25], v[30:31], v[24:25]
	v_add_f64 v[0:1], v[0:1], v[148:149]
	v_fma_f64 v[230:231], v[232:233], v[144:145], -v[146:147]
	ds_read_b128 v[144:147], v2 offset:1808
	s_waitcnt vmcnt(10) lgkmcnt(1)
	v_mul_f64 v[148:149], v[140:141], v[54:55]
	v_add_f64 v[20:21], v[24:25], v[20:21]
	v_fmac_f64_e32 v[148:149], v[142:143], v[52:53]
	v_add_f64 v[16:17], v[20:21], v[16:17]
	v_add_f64 v[0:1], v[0:1], v[148:149]
	ds_read_b128 v[148:151], v2 offset:1824
	v_add_f64 v[14:15], v[16:17], v[14:15]
	v_add_f64 v[12:13], v[14:15], v[12:13]
	v_fma_f64 v[232:233], v[236:237], v[152:153], -v[154:155]
	ds_read_b128 v[152:155], v2 offset:1840
	v_add_f64 v[10:11], v[12:13], v[10:11]
	s_waitcnt vmcnt(9) lgkmcnt(2)
	v_mul_f64 v[160:161], v[144:145], v[58:59]
	v_add_f64 v[10:11], v[10:11], v[18:19]
	v_fmac_f64_e32 v[160:161], v[146:147], v[56:57]
	v_add_f64 v[10:11], v[10:11], v[22:23]
	v_add_f64 v[0:1], v[0:1], v[160:161]
	s_waitcnt vmcnt(8) lgkmcnt(1)
	v_mul_f64 v[160:161], v[148:149], v[62:63]
	v_add_f64 v[10:11], v[10:11], v[172:173]
	v_fmac_f64_e32 v[160:161], v[150:151], v[60:61]
	v_mul_f64 v[158:159], v[242:243], v[158:159]
	v_add_f64 v[10:11], v[10:11], v[174:175]
	v_fma_f64 v[234:235], v[240:241], v[156:157], -v[158:159]
	ds_read_b128 v[156:159], v2 offset:1856
	v_add_f64 v[0:1], v[0:1], v[160:161]
	s_waitcnt vmcnt(7) lgkmcnt(1)
	v_mul_f64 v[160:161], v[152:153], v[66:67]
	v_add_f64 v[10:11], v[10:11], v[180:181]
	v_fmac_f64_e32 v[160:161], v[154:155], v[64:65]
	v_add_f64 v[10:11], v[10:11], v[182:183]
	v_add_f64 v[0:1], v[0:1], v[160:161]
	ds_read_b128 v[160:163], v2 offset:1872
	v_add_f64 v[10:11], v[10:11], v[184:185]
	v_mul_f64 v[166:167], v[246:247], v[166:167]
	v_add_f64 v[10:11], v[10:11], v[186:187]
	v_fma_f64 v[236:237], v[244:245], v[164:165], -v[166:167]
	ds_read_b128 v[164:167], v2 offset:1888
	v_add_f64 v[8:9], v[10:11], v[8:9]
	s_waitcnt vmcnt(6) lgkmcnt(2)
	v_mul_f64 v[188:189], v[156:157], v[70:71]
	v_add_f64 v[8:9], v[8:9], v[26:27]
	v_fmac_f64_e32 v[188:189], v[158:159], v[68:69]
	ds_read_b128 v[168:171], v2 offset:1904
	ds_read_b128 v[244:247], v2 offset:1920
	v_add_f64 v[6:7], v[8:9], v[6:7]
	v_add_f64 v[0:1], v[0:1], v[188:189]
	s_waitcnt vmcnt(5) lgkmcnt(3)
	v_mul_f64 v[188:189], v[160:161], v[74:75]
	v_add_f64 v[6:7], v[6:7], v[82:83]
	v_fmac_f64_e32 v[188:189], v[162:163], v[72:73]
	v_add_f64 v[4:5], v[6:7], v[4:5]
	v_add_f64 v[0:1], v[0:1], v[188:189]
	s_waitcnt vmcnt(4) lgkmcnt(2)
	v_mul_f64 v[188:189], v[164:165], v[78:79]
	v_mul_f64 v[178:179], v[254:255], v[178:179]
	v_add_f64 v[4:5], v[4:5], v[28:29]
	v_fmac_f64_e32 v[188:189], v[166:167], v[76:77]
	v_fma_f64 v[240:241], v[252:253], v[176:177], -v[178:179]
	ds_read_b128 v[176:179], v2 offset:1936
	ds_read_b128 v[252:255], v2 offset:1952
	v_add_f64 v[4:5], v[4:5], v[228:229]
	v_add_f64 v[0:1], v[0:1], v[188:189]
	;; [unrolled: 1-line block ×3, first 2 shown]
	scratch_load_dwordx4 v[228:231], off, off offset:112
	s_waitcnt vmcnt(4) lgkmcnt(3)
	v_mul_f64 v[188:189], v[168:169], v[90:91]
	v_fmac_f64_e32 v[188:189], v[170:171], v[88:89]
	v_add_f64 v[0:1], v[0:1], v[188:189]
	s_waitcnt vmcnt(3) lgkmcnt(2)
	v_mul_f64 v[188:189], v[244:245], v[86:87]
	v_fmac_f64_e32 v[188:189], v[246:247], v[84:85]
	v_add_f64 v[0:1], v[0:1], v[188:189]
	;; [unrolled: 4-line block ×4, first 2 shown]
	scratch_load_dwordx4 v[188:191], off, off offset:960
	ds_read_b128 v[192:195], v2 offset:1968
	ds_read_b128 v[200:203], v2 offset:1984
	;; [unrolled: 1-line block ×5, first 2 shown]
	v_accvgpr_read_b32 v8, a130
	v_accvgpr_read_b32 v10, a132
	;; [unrolled: 1-line block ×4, first 2 shown]
	v_mul_f64 v[6:7], v[34:35], v[10:11]
	v_fma_f64 v[6:7], v[32:33], v[8:9], -v[6:7]
	v_accvgpr_read_b32 v8, a134
	v_accvgpr_read_b32 v10, a136
	;; [unrolled: 1-line block ×4, first 2 shown]
	s_waitcnt vmcnt(0) lgkmcnt(4)
	v_mul_f64 v[196:197], v[192:193], v[190:191]
	v_fmac_f64_e32 v[196:197], v[194:195], v[188:189]
	v_add_f64 v[0:1], v[0:1], v[196:197]
	scratch_load_dwordx4 v[196:199], off, off offset:976
	s_waitcnt vmcnt(0) lgkmcnt(3)
	v_mul_f64 v[204:205], v[200:201], v[198:199]
	v_fmac_f64_e32 v[204:205], v[202:203], v[196:197]
	v_add_f64 v[0:1], v[0:1], v[204:205]
	scratch_load_dwordx4 v[204:207], off, off offset:992
	;; [unrolled: 5-line block ×4, first 2 shown]
	s_waitcnt vmcnt(0) lgkmcnt(0)
	v_mul_f64 v[242:243], v[224:225], v[222:223]
	v_fmac_f64_e32 v[242:243], v[226:227], v[220:221]
	v_add_f64 v[0:1], v[0:1], v[242:243]
	v_add_f64 v[242:243], v[4:5], v[232:233]
	;; [unrolled: 1-line block ×7, first 2 shown]
	v_mul_f64 v[6:7], v[98:99], v[10:11]
	v_fma_f64 v[6:7], v[96:97], v[8:9], -v[6:7]
	v_accvgpr_read_b32 v8, a138
	v_accvgpr_read_b32 v10, a140
	v_accvgpr_read_b32 v11, a141
	v_add_f64 v[4:5], v[4:5], v[6:7]
	v_accvgpr_read_b32 v9, a139
	v_mul_f64 v[6:7], v[102:103], v[10:11]
	v_fma_f64 v[6:7], v[100:101], v[8:9], -v[6:7]
	v_accvgpr_read_b32 v8, a142
	v_accvgpr_read_b32 v10, a144
	v_accvgpr_read_b32 v11, a145
	v_add_f64 v[4:5], v[4:5], v[6:7]
	v_accvgpr_read_b32 v9, a143
	;; [unrolled: 7-line block ×6, first 2 shown]
	v_mul_f64 v[6:7], v[122:123], v[10:11]
	v_fma_f64 v[6:7], v[120:121], v[8:9], -v[6:7]
	v_add_f64 v[4:5], v[4:5], v[6:7]
	v_mul_f64 v[6:7], v[126:127], v[38:39]
	v_fma_f64 v[6:7], v[124:125], v[36:37], -v[6:7]
	v_add_f64 v[4:5], v[4:5], v[6:7]
	;; [unrolled: 3-line block ×21, first 2 shown]
	v_add_f64 v[6:7], v[230:231], -v[0:1]
	v_accvgpr_read_b32 v0, a128
	v_add_f64 v[4:5], v[228:229], -v[4:5]
	v_cmp_lt_u32_e32 vcc, 5, v0
	scratch_store_dwordx4 off, v[4:7], off offset:112
	s_and_saveexec_b64 s[0:1], vcc
	s_cbranch_execz .LBB63_399
; %bb.398:
	scratch_load_dwordx4 v[6:9], off, s62
	v_mov_b32_e32 v3, v2
	v_mov_b32_e32 v4, v2
	;; [unrolled: 1-line block ×3, first 2 shown]
	v_accvgpr_read_b32 v0, a129
	scratch_store_dwordx4 off, v[2:5], off offset:96
	s_waitcnt vmcnt(1)
	ds_write_b128 v0, v[6:9]
.LBB63_399:
	s_or_b64 exec, exec, s[0:1]
	s_waitcnt lgkmcnt(0)
	; wave barrier
	scratch_load_dwordx4 v[8:11], off, off offset:112
	scratch_load_dwordx4 v[12:15], off, off offset:128
	;; [unrolled: 1-line block ×17, first 2 shown]
	ds_read_b128 v[180:183], v2 offset:1120
	ds_read_b128 v[108:111], v2 offset:1136
	scratch_load_dwordx4 v[92:95], off, off offset:384
	ds_read_b128 v[184:187], v2 offset:1152
	ds_read_b128 v[172:175], v2 offset:1168
	;; [unrolled: 1-line block ×5, first 2 shown]
	scratch_load_dwordx4 v[100:103], off, off offset:400
	ds_read_b128 v[160:163], v2 offset:1232
	ds_read_b128 v[128:131], v2 offset:1248
	scratch_load_dwordx4 v[116:119], off, off offset:416
	ds_read_b128 v[196:199], v2 offset:1264
	ds_read_b128 v[176:179], v2 offset:1280
	;; [unrolled: 1-line block ×5, first 2 shown]
	scratch_load_dwordx4 v[124:127], off, off offset:432
	ds_read_b128 v[168:171], v2 offset:1344
	ds_read_b128 v[156:159], v2 offset:1360
	ds_read_b128 v[132:135], v2 offset:1376
	scratch_load_dwordx4 v[136:139], off, off offset:448
	scratch_load_dwordx4 v[140:143], off, off offset:464
	;; [unrolled: 1-line block ×9, first 2 shown]
	ds_read_b128 v[208:211], v2 offset:1392
	scratch_load_dwordx4 a[142:145], off, off offset:624
	scratch_load_dwordx4 a[146:149], off, off offset:640
	;; [unrolled: 1-line block ×3, first 2 shown]
	ds_read_b128 v[232:235], v2 offset:1488
	ds_read_b128 v[236:239], v2 offset:1504
	scratch_load_dwordx4 a[154:157], off, off offset:688
	scratch_load_dwordx4 a[158:161], off, off offset:704
	;; [unrolled: 1-line block ×3, first 2 shown]
	ds_read_b128 v[240:243], v2 offset:1536
	ds_read_b128 v[228:231], v2 offset:1472
	scratch_load_dwordx4 a[138:141], off, off offset:608
	ds_read_b128 v[244:247], v2 offset:1568
	s_waitcnt vmcnt(36) lgkmcnt(14)
	v_mul_f64 v[0:1], v[180:181], v[10:11]
	s_waitcnt vmcnt(35)
	v_mul_f64 v[56:57], v[108:109], v[14:15]
	v_fmac_f64_e32 v[0:1], v[182:183], v[8:9]
	s_waitcnt vmcnt(34)
	v_mul_f64 v[58:59], v[184:185], v[18:19]
	v_fmac_f64_e32 v[56:57], v[110:111], v[12:13]
	v_add_f64 v[0:1], v[0:1], 0
	s_waitcnt vmcnt(33)
	v_mul_f64 v[60:61], v[172:173], v[22:23]
	v_fmac_f64_e32 v[58:59], v[186:187], v[16:17]
	v_add_f64 v[0:1], v[0:1], v[56:57]
	;; [unrolled: 4-line block ×7, first 2 shown]
	s_waitcnt vmcnt(27) lgkmcnt(13)
	v_mul_f64 v[212:213], v[196:197], v[46:47]
	v_fmac_f64_e32 v[74:75], v[130:131], v[38:39]
	v_add_f64 v[0:1], v[0:1], v[72:73]
	s_waitcnt vmcnt(26) lgkmcnt(12)
	v_mul_f64 v[214:215], v[176:177], v[50:51]
	v_fmac_f64_e32 v[212:213], v[198:199], v[44:45]
	v_add_f64 v[0:1], v[0:1], v[74:75]
	;; [unrolled: 4-line block ×7, first 2 shown]
	v_fmac_f64_e32 v[224:225], v[158:159], v[84:85]
	v_add_f64 v[0:1], v[0:1], v[222:223]
	s_waitcnt vmcnt(20) lgkmcnt(6)
	v_mul_f64 v[56:57], v[132:133], v[90:91]
	v_add_f64 v[0:1], v[0:1], v[224:225]
	v_fmac_f64_e32 v[56:57], v[134:135], v[88:89]
	v_add_f64 v[0:1], v[0:1], v[56:57]
	ds_read_b128 v[212:215], v2 offset:1408
	s_waitcnt vmcnt(19) lgkmcnt(6)
	v_mul_f64 v[56:57], v[208:209], v[94:95]
	v_fmac_f64_e32 v[56:57], v[210:211], v[92:93]
	v_add_f64 v[0:1], v[0:1], v[56:57]
	scratch_load_dwordx4 v[56:59], off, off offset:592
	ds_read_b128 v[216:219], v2 offset:1424
	ds_read_b128 v[220:223], v2 offset:1440
	s_waitcnt vmcnt(19) lgkmcnt(2)
	v_mul_f64 v[60:61], v[212:213], v[102:103]
	ds_read_b128 v[224:227], v2 offset:1456
	v_fmac_f64_e32 v[60:61], v[214:215], v[100:101]
	s_waitcnt vmcnt(18) lgkmcnt(2)
	v_mul_f64 v[68:69], v[216:217], v[118:119]
	v_add_f64 v[0:1], v[0:1], v[60:61]
	v_fmac_f64_e32 v[68:69], v[218:219], v[116:117]
	v_add_f64 v[0:1], v[0:1], v[68:69]
	s_waitcnt vmcnt(17) lgkmcnt(1)
	v_mul_f64 v[68:69], v[220:221], v[126:127]
	v_fmac_f64_e32 v[68:69], v[222:223], v[124:125]
	v_add_f64 v[0:1], v[0:1], v[68:69]
	s_waitcnt vmcnt(16) lgkmcnt(0)
	v_mul_f64 v[68:69], v[224:225], v[138:139]
	v_mul_f64 v[10:11], v[182:183], v[10:11]
	v_fmac_f64_e32 v[68:69], v[226:227], v[136:137]
	s_waitcnt vmcnt(15)
	v_mul_f64 v[72:73], v[228:229], v[142:143]
	v_fma_f64 v[248:249], v[180:181], v[8:9], -v[10:11]
	ds_read_b128 v[180:183], v2 offset:1520
	v_add_f64 v[0:1], v[0:1], v[68:69]
	v_fmac_f64_e32 v[72:73], v[230:231], v[140:141]
	s_waitcnt vmcnt(14)
	v_mul_f64 v[8:9], v[232:233], v[146:147]
	v_add_f64 v[0:1], v[0:1], v[72:73]
	v_fmac_f64_e32 v[8:9], v[234:235], v[144:145]
	v_add_f64 v[0:1], v[0:1], v[8:9]
	s_waitcnt vmcnt(13)
	v_mul_f64 v[8:9], v[236:237], v[154:155]
	v_fmac_f64_e32 v[8:9], v[238:239], v[152:153]
	v_add_f64 v[0:1], v[0:1], v[8:9]
	s_waitcnt vmcnt(12) lgkmcnt(0)
	v_mul_f64 v[8:9], v[180:181], v[190:191]
	v_fmac_f64_e32 v[8:9], v[182:183], v[188:189]
	v_add_f64 v[0:1], v[0:1], v[8:9]
	v_mul_f64 v[8:9], v[110:111], v[14:15]
	v_fma_f64 v[250:251], v[108:109], v[12:13], -v[8:9]
	v_mul_f64 v[12:13], v[186:187], v[18:19]
	v_fma_f64 v[252:253], v[184:185], v[16:17], -v[12:13]
	v_mul_f64 v[12:13], v[174:175], v[22:23]
	v_fma_f64 v[254:255], v[172:173], v[20:21], -v[12:13]
	scratch_load_dwordx4 v[172:175], off, off offset:672
	ds_read_b128 v[184:187], v2 offset:1552
	v_accvgpr_write_b32 a137, v37
	v_mul_f64 v[6:7], v[98:99], v[6:7]
	v_accvgpr_write_b32 a136, v36
	v_accvgpr_write_b32 a135, v35
	;; [unrolled: 1-line block ×3, first 2 shown]
	s_waitcnt vmcnt(12)
	v_mul_f64 v[16:17], v[240:241], v[194:195]
	v_fma_f64 v[36:37], v[96:97], v[4:5], -v[6:7]
	ds_read_b128 v[96:99], v2 offset:1584
	scratch_load_dwordx4 v[72:75], off, off offset:736
	v_fmac_f64_e32 v[16:17], v[242:243], v[192:193]
	v_add_f64 v[0:1], v[0:1], v[16:17]
	s_waitcnt vmcnt(12) lgkmcnt(1)
	v_mul_f64 v[16:17], v[184:185], v[202:203]
	scratch_load_dwordx4 v[68:71], off, off offset:752
	scratch_load_dwordx4 v[60:63], off, off offset:768
	v_fmac_f64_e32 v[16:17], v[186:187], v[200:201]
	s_waitcnt vmcnt(13)
	v_mul_f64 v[10:11], v[244:245], v[206:207]
	s_waitcnt vmcnt(12)
	v_accvgpr_read_b32 v4, a130
	v_add_f64 v[0:1], v[0:1], v[16:17]
	v_mul_f64 v[24:25], v[106:107], v[28:29]
	v_fmac_f64_e32 v[10:11], v[246:247], v[204:205]
	v_accvgpr_read_b32 v6, a132
	v_accvgpr_read_b32 v7, a133
	v_mul_f64 v[20:21], v[114:115], v[32:33]
	v_fma_f64 v[32:33], v[104:105], v[26:27], -v[24:25]
	v_add_f64 v[0:1], v[0:1], v[10:11]
	v_accvgpr_read_b32 v5, a131
	ds_read_b128 v[104:107], v2 offset:1600
	s_waitcnt lgkmcnt(1)
	v_mul_f64 v[10:11], v[96:97], v[6:7]
	v_fmac_f64_e32 v[10:11], v[98:99], v[4:5]
	v_accvgpr_read_b32 v4, a134
	v_accvgpr_read_b32 v6, a136
	;; [unrolled: 1-line block ×4, first 2 shown]
	v_mul_f64 v[28:29], v[162:163], v[6:7]
	v_fma_f64 v[42:43], v[112:113], v[30:31], -v[20:21]
	v_fma_f64 v[30:31], v[160:161], v[4:5], -v[28:29]
	ds_read_b128 v[108:111], v2 offset:1616
	ds_read_b128 v[112:115], v2 offset:1632
	v_add_f64 v[0:1], v[0:1], v[10:11]
	v_mul_f64 v[10:11], v[130:131], v[40:41]
	v_mul_f64 v[14:15], v[198:199], v[46:47]
	s_waitcnt vmcnt(4)
	v_mov_b64_e32 v[4:5], v[56:57]
	v_accvgpr_write_b32 a137, v59
	v_mov_b64_e32 v[6:7], v[58:59]
	v_accvgpr_write_b32 a136, v58
	v_accvgpr_write_b32 a135, v57
	;; [unrolled: 1-line block ×3, first 2 shown]
	scratch_load_dwordx4 v[56:59], off, off offset:784
	s_waitcnt lgkmcnt(2)
	v_mul_f64 v[40:41], v[104:105], v[6:7]
	v_fmac_f64_e32 v[40:41], v[106:107], v[4:5]
	v_accvgpr_read_b32 v4, a138
	v_fma_f64 v[20:21], v[196:197], v[44:45], -v[14:15]
	v_add_f64 v[0:1], v[0:1], v[40:41]
	v_mul_f64 v[40:41], v[178:179], v[50:51]
	v_accvgpr_read_b32 v6, a140
	v_accvgpr_read_b32 v7, a141
	scratch_load_dwordx4 v[44:47], off, off offset:800
	v_fma_f64 v[16:17], v[176:177], v[48:49], -v[40:41]
	v_accvgpr_read_b32 v5, a139
	s_waitcnt lgkmcnt(1)
	v_mul_f64 v[18:19], v[108:109], v[6:7]
	v_mul_f64 v[48:49], v[150:151], v[66:67]
	v_fmac_f64_e32 v[18:19], v[110:111], v[4:5]
	v_fma_f64 v[14:15], v[148:149], v[64:65], -v[48:49]
	scratch_load_dwordx4 v[48:51], off, off offset:816
	v_add_f64 v[0:1], v[0:1], v[18:19]
	v_mul_f64 v[18:19], v[166:167], v[54:55]
	v_fma_f64 v[18:19], v[164:165], v[52:53], -v[18:19]
	v_accvgpr_read_b32 v4, a142
	scratch_load_dwordx4 v[52:55], off, off offset:832
	v_accvgpr_read_b32 v6, a144
	v_accvgpr_read_b32 v7, a145
	;; [unrolled: 1-line block ×3, first 2 shown]
	s_waitcnt lgkmcnt(0)
	v_mul_f64 v[64:65], v[112:113], v[6:7]
	v_mul_f64 v[22:23], v[122:123], v[78:79]
	v_fmac_f64_e32 v[64:65], v[114:115], v[4:5]
	v_fma_f64 v[22:23], v[120:121], v[76:77], -v[22:23]
	ds_read_b128 v[120:123], v2 offset:1648
	v_add_f64 v[0:1], v[0:1], v[64:65]
	v_mul_f64 v[64:65], v[170:171], v[82:83]
	v_fma_f64 v[12:13], v[168:169], v[80:81], -v[64:65]
	scratch_load_dwordx4 v[64:67], off, off offset:848
	scratch_load_dwordx4 v[76:79], off, off offset:864
	v_accvgpr_read_b32 v4, a146
	v_accvgpr_read_b32 v6, a148
	;; [unrolled: 1-line block ×3, first 2 shown]
	v_mul_f64 v[80:81], v[134:135], v[90:91]
	v_fma_f64 v[26:27], v[128:129], v[38:39], -v[10:11]
	v_accvgpr_read_b32 v5, a147
	s_waitcnt lgkmcnt(0)
	v_mul_f64 v[24:25], v[120:121], v[6:7]
	v_fma_f64 v[10:11], v[132:133], v[88:89], -v[80:81]
	ds_read_b128 v[132:135], v2 offset:1664
	ds_read_b128 v[128:131], v2 offset:1680
	v_fmac_f64_e32 v[24:25], v[122:123], v[4:5]
	v_add_f64 v[0:1], v[0:1], v[24:25]
	v_mul_f64 v[24:25], v[158:159], v[86:87]
	v_accvgpr_read_b32 v4, a150
	v_fma_f64 v[24:25], v[156:157], v[84:85], -v[24:25]
	scratch_load_dwordx4 v[84:87], off, off offset:880
	scratch_load_dwordx4 v[80:83], off, off offset:896
	v_accvgpr_read_b32 v6, a152
	v_accvgpr_read_b32 v7, a153
	;; [unrolled: 1-line block ×3, first 2 shown]
	s_waitcnt lgkmcnt(1)
	v_mul_f64 v[88:89], v[132:133], v[6:7]
	v_fmac_f64_e32 v[88:89], v[134:135], v[4:5]
	v_add_f64 v[0:1], v[0:1], v[88:89]
	v_mul_f64 v[88:89], v[214:215], v[102:103]
	v_fma_f64 v[8:9], v[212:213], v[100:101], -v[88:89]
	scratch_load_dwordx4 v[88:91], off, off offset:912
	v_mul_f64 v[28:29], v[210:211], v[94:95]
	v_fma_f64 v[28:29], v[208:209], v[92:93], -v[28:29]
	ds_read_b128 v[92:95], v2 offset:1696
	s_waitcnt vmcnt(12)
	v_mov_b64_e32 v[4:5], v[172:173]
	v_mov_b64_e32 v[6:7], v[174:175]
	s_waitcnt lgkmcnt(1)
	v_mul_f64 v[100:101], v[128:129], v[6:7]
	v_fmac_f64_e32 v[100:101], v[130:131], v[4:5]
	v_accvgpr_read_b32 v4, a154
	v_mul_f64 v[34:35], v[218:219], v[118:119]
	v_accvgpr_read_b32 v6, a156
	v_accvgpr_read_b32 v7, a157
	v_fma_f64 v[34:35], v[216:217], v[116:117], -v[34:35]
	v_add_f64 v[0:1], v[0:1], v[100:101]
	ds_read_b128 v[100:103], v2 offset:1712
	v_accvgpr_read_b32 v5, a155
	s_waitcnt lgkmcnt(1)
	v_mul_f64 v[116:117], v[92:93], v[6:7]
	v_fmac_f64_e32 v[116:117], v[94:95], v[4:5]
	v_add_f64 v[0:1], v[0:1], v[116:117]
	v_mul_f64 v[116:117], v[222:223], v[126:127]
	v_fma_f64 v[6:7], v[220:221], v[124:125], -v[116:117]
	ds_read_b128 v[116:119], v2 offset:1728
	v_accvgpr_read_b32 v124, a158
	v_accvgpr_read_b32 v126, a160
	;; [unrolled: 1-line block ×4, first 2 shown]
	s_waitcnt lgkmcnt(1)
	v_mul_f64 v[38:39], v[100:101], v[126:127]
	v_fmac_f64_e32 v[38:39], v[102:103], v[124:125]
	v_accvgpr_read_b32 v148, a162
	v_add_f64 v[0:1], v[0:1], v[38:39]
	v_mul_f64 v[38:39], v[226:227], v[138:139]
	v_accvgpr_read_b32 v150, a164
	v_accvgpr_read_b32 v151, a165
	v_fma_f64 v[38:39], v[224:225], v[136:137], -v[38:39]
	ds_read_b128 v[124:127], v2 offset:1744
	v_accvgpr_read_b32 v149, a163
	s_waitcnt lgkmcnt(1)
	v_mul_f64 v[136:137], v[116:117], v[150:151]
	v_fmac_f64_e32 v[136:137], v[118:119], v[148:149]
	v_add_f64 v[0:1], v[0:1], v[136:137]
	ds_read_b128 v[136:139], v2 offset:1760
	s_waitcnt vmcnt(11) lgkmcnt(1)
	v_mul_f64 v[40:41], v[124:125], v[74:75]
	v_mul_f64 v[142:143], v[230:231], v[142:143]
	v_fmac_f64_e32 v[40:41], v[126:127], v[72:73]
	v_fma_f64 v[4:5], v[228:229], v[140:141], -v[142:143]
	ds_read_b128 v[140:143], v2 offset:1776
	v_add_f64 v[0:1], v[0:1], v[40:41]
	s_waitcnt vmcnt(10) lgkmcnt(1)
	v_mul_f64 v[40:41], v[136:137], v[70:71]
	v_fmac_f64_e32 v[40:41], v[138:139], v[68:69]
	v_add_f64 v[0:1], v[0:1], v[40:41]
	v_mul_f64 v[40:41], v[234:235], v[146:147]
	v_fma_f64 v[40:41], v[232:233], v[144:145], -v[40:41]
	ds_read_b128 v[144:147], v2 offset:1792
	s_waitcnt vmcnt(9) lgkmcnt(1)
	v_mul_f64 v[148:149], v[140:141], v[62:63]
	v_fmac_f64_e32 v[148:149], v[142:143], v[60:61]
	v_add_f64 v[0:1], v[0:1], v[148:149]
	ds_read_b128 v[148:151], v2 offset:1808
	s_waitcnt vmcnt(8) lgkmcnt(1)
	v_mul_f64 v[156:157], v[144:145], v[58:59]
	v_mul_f64 v[154:155], v[238:239], v[154:155]
	v_fmac_f64_e32 v[156:157], v[146:147], v[56:57]
	v_fma_f64 v[236:237], v[236:237], v[152:153], -v[154:155]
	ds_read_b128 v[152:155], v2 offset:1824
	v_add_f64 v[0:1], v[0:1], v[156:157]
	v_mul_f64 v[156:157], v[182:183], v[190:191]
	v_fma_f64 v[238:239], v[180:181], v[188:189], -v[156:157]
	ds_read_b128 v[156:159], v2 offset:1840
	s_waitcnt vmcnt(7) lgkmcnt(2)
	v_mul_f64 v[160:161], v[148:149], v[46:47]
	v_fmac_f64_e32 v[160:161], v[150:151], v[44:45]
	v_add_f64 v[0:1], v[0:1], v[160:161]
	s_waitcnt vmcnt(6) lgkmcnt(1)
	v_mul_f64 v[160:161], v[152:153], v[50:51]
	v_fmac_f64_e32 v[160:161], v[154:155], v[48:49]
	v_add_f64 v[0:1], v[0:1], v[160:161]
	s_waitcnt vmcnt(5) lgkmcnt(0)
	v_mul_f64 v[164:165], v[156:157], v[54:55]
	ds_read_b128 v[160:163], v2 offset:1856
	v_fmac_f64_e32 v[164:165], v[158:159], v[52:53]
	v_add_f64 v[0:1], v[0:1], v[164:165]
	v_mul_f64 v[164:165], v[242:243], v[194:195]
	v_fma_f64 v[240:241], v[240:241], v[192:193], -v[164:165]
	ds_read_b128 v[164:167], v2 offset:1872
	s_waitcnt vmcnt(4) lgkmcnt(1)
	v_mul_f64 v[168:169], v[160:161], v[66:67]
	v_fmac_f64_e32 v[168:169], v[162:163], v[64:65]
	v_add_f64 v[176:177], v[0:1], v[168:169]
	ds_read_b128 v[168:171], v2 offset:1888
	v_accvgpr_write_b32 a166, v172
	s_waitcnt vmcnt(3) lgkmcnt(1)
	v_mul_f64 v[178:179], v[164:165], v[78:79]
	v_accvgpr_write_b32 a167, v173
	v_accvgpr_write_b32 a168, v174
	;; [unrolled: 1-line block ×3, first 2 shown]
	v_fmac_f64_e32 v[178:179], v[166:167], v[76:77]
	ds_read_b128 v[172:175], v2 offset:1904
	v_add_f64 v[180:181], v[176:177], v[178:179]
	v_mul_f64 v[176:177], v[246:247], v[206:207]
	v_fma_f64 v[242:243], v[244:245], v[204:205], -v[176:177]
	ds_read_b128 v[176:179], v2 offset:1920
	s_waitcnt vmcnt(2) lgkmcnt(2)
	v_mul_f64 v[182:183], v[168:169], v[86:87]
	v_fmac_f64_e32 v[182:183], v[170:171], v[84:85]
	v_add_f64 v[180:181], v[180:181], v[182:183]
	s_waitcnt vmcnt(1) lgkmcnt(1)
	v_mul_f64 v[182:183], v[172:173], v[82:83]
	v_mul_f64 v[0:1], v[186:187], v[202:203]
	v_fmac_f64_e32 v[182:183], v[174:175], v[80:81]
	v_fma_f64 v[0:1], v[184:185], v[200:201], -v[0:1]
	v_add_f64 v[180:181], v[180:181], v[182:183]
	ds_read_b128 v[184:187], v2 offset:1936
	scratch_load_dwordx4 v[232:235], off, off offset:1024
	s_waitcnt vmcnt(1) lgkmcnt(1)
	v_mul_f64 v[182:183], v[176:177], v[90:91]
	v_fmac_f64_e32 v[182:183], v[178:179], v[88:89]
	v_add_f64 v[188:189], v[180:181], v[182:183]
	scratch_load_dwordx4 v[180:183], off, off offset:928
	ds_read_b128 v[192:195], v2 offset:1952
	ds_read_b128 v[200:203], v2 offset:1968
	;; [unrolled: 1-line block ×5, first 2 shown]
	s_waitcnt vmcnt(0) lgkmcnt(5)
	v_mul_f64 v[190:191], v[184:185], v[182:183]
	v_fmac_f64_e32 v[190:191], v[186:187], v[180:181]
	v_add_f64 v[196:197], v[188:189], v[190:191]
	scratch_load_dwordx4 v[188:191], off, off offset:944
	s_waitcnt vmcnt(0) lgkmcnt(4)
	v_mul_f64 v[198:199], v[192:193], v[190:191]
	v_fmac_f64_e32 v[198:199], v[194:195], v[188:189]
	v_add_f64 v[204:205], v[196:197], v[198:199]
	scratch_load_dwordx4 v[196:199], off, off offset:960
	s_waitcnt vmcnt(0) lgkmcnt(3)
	v_mul_f64 v[206:207], v[200:201], v[198:199]
	v_fmac_f64_e32 v[206:207], v[202:203], v[196:197]
	v_add_f64 v[212:213], v[204:205], v[206:207]
	scratch_load_dwordx4 v[204:207], off, off offset:976
	s_waitcnt vmcnt(0) lgkmcnt(2)
	v_mul_f64 v[214:215], v[208:209], v[206:207]
	v_fmac_f64_e32 v[214:215], v[210:211], v[204:205]
	v_add_f64 v[220:221], v[212:213], v[214:215]
	scratch_load_dwordx4 v[212:215], off, off offset:992
	s_waitcnt vmcnt(0) lgkmcnt(1)
	v_mul_f64 v[222:223], v[216:217], v[214:215]
	v_fmac_f64_e32 v[222:223], v[218:219], v[212:213]
	v_add_f64 v[228:229], v[220:221], v[222:223]
	scratch_load_dwordx4 v[220:223], off, off offset:1008
	s_waitcnt vmcnt(0) lgkmcnt(0)
	v_mul_f64 v[230:231], v[224:225], v[222:223]
	v_fmac_f64_e32 v[230:231], v[226:227], v[220:221]
	v_add_f64 v[244:245], v[228:229], v[230:231]
	ds_read_b128 v[228:231], v2 offset:2032
	s_waitcnt lgkmcnt(0)
	v_mul_f64 v[2:3], v[228:229], v[234:235]
	v_fmac_f64_e32 v[2:3], v[230:231], v[232:233]
	v_add_f64 v[2:3], v[244:245], v[2:3]
	v_add_f64 v[244:245], v[248:249], 0
	;; [unrolled: 1-line block ×27, first 2 shown]
	scratch_load_dwordx4 v[236:239], off, off offset:96
	v_accvgpr_read_b32 v6, a130
	v_accvgpr_read_b32 v8, a132
	v_accvgpr_read_b32 v9, a133
	v_add_f64 v[244:245], v[4:5], v[240:241]
	v_accvgpr_read_b32 v7, a131
	v_mul_f64 v[4:5], v[98:99], v[8:9]
	v_add_f64 v[0:1], v[244:245], v[0:1]
	v_fma_f64 v[4:5], v[96:97], v[6:7], -v[4:5]
	v_accvgpr_read_b32 v6, a134
	v_add_f64 v[0:1], v[0:1], v[242:243]
	v_accvgpr_read_b32 v8, a136
	v_accvgpr_read_b32 v9, a137
	v_add_f64 v[0:1], v[0:1], v[4:5]
	v_accvgpr_read_b32 v7, a135
	v_mul_f64 v[4:5], v[106:107], v[8:9]
	v_fma_f64 v[4:5], v[104:105], v[6:7], -v[4:5]
	v_accvgpr_read_b32 v6, a138
	v_accvgpr_read_b32 v8, a140
	v_accvgpr_read_b32 v9, a141
	v_add_f64 v[0:1], v[0:1], v[4:5]
	v_accvgpr_read_b32 v7, a139
	v_mul_f64 v[4:5], v[110:111], v[8:9]
	v_fma_f64 v[4:5], v[108:109], v[6:7], -v[4:5]
	v_accvgpr_read_b32 v6, a142
	;; [unrolled: 7-line block ×8, first 2 shown]
	v_accvgpr_read_b32 v8, a164
	v_accvgpr_read_b32 v9, a165
	v_add_f64 v[0:1], v[0:1], v[4:5]
	v_accvgpr_read_b32 v7, a163
	v_mul_f64 v[4:5], v[118:119], v[8:9]
	v_fma_f64 v[4:5], v[116:117], v[6:7], -v[4:5]
	v_add_f64 v[0:1], v[0:1], v[4:5]
	v_mul_f64 v[4:5], v[126:127], v[74:75]
	v_fma_f64 v[4:5], v[124:125], v[72:73], -v[4:5]
	v_add_f64 v[0:1], v[0:1], v[4:5]
	;; [unrolled: 3-line block ×20, first 2 shown]
	s_waitcnt vmcnt(0)
	v_add_f64 v[4:5], v[236:237], -v[0:1]
	v_accvgpr_read_b32 v0, a128
	v_add_f64 v[6:7], v[238:239], -v[2:3]
	v_cmp_lt_u32_e32 vcc, 4, v0
	scratch_store_dwordx4 off, v[4:7], off offset:96
	s_and_saveexec_b64 s[0:1], vcc
	s_cbranch_execz .LBB63_401
; %bb.400:
	scratch_load_dwordx4 v[2:5], off, s61
	v_mov_b32_e32 v6, 0
	v_mov_b32_e32 v7, v6
	;; [unrolled: 1-line block ×4, first 2 shown]
	v_accvgpr_read_b32 v0, a129
	scratch_store_dwordx4 off, v[6:9], off offset:80
	s_waitcnt vmcnt(1)
	ds_write_b128 v0, v[2:5]
.LBB63_401:
	s_or_b64 exec, exec, s[0:1]
	s_waitcnt lgkmcnt(0)
	; wave barrier
	scratch_load_dwordx4 v[16:19], off, off offset:96
	scratch_load_dwordx4 v[20:23], off, off offset:112
	;; [unrolled: 1-line block ×30, first 2 shown]
	v_mov_b32_e32 v2, 0
	ds_read_b128 v[88:91], v2 offset:1104
	ds_read_b128 v[96:99], v2 offset:1120
	;; [unrolled: 1-line block ×17, first 2 shown]
	scratch_load_dwordx4 a[134:137], off, off offset:640
	scratch_load_dwordx4 a[138:141], off, off offset:656
	;; [unrolled: 1-line block ×4, first 2 shown]
	ds_read_b128 v[224:227], v2 offset:1440
	ds_read_b128 v[228:231], v2 offset:1456
	;; [unrolled: 1-line block ×8, first 2 shown]
	scratch_load_dwordx4 a[130:133], off, off offset:624
	s_waitcnt vmcnt(34) lgkmcnt(14)
	v_mul_f64 v[0:1], v[88:89], v[18:19]
	s_waitcnt vmcnt(33)
	v_mul_f64 v[4:5], v[96:97], v[22:23]
	v_fmac_f64_e32 v[0:1], v[90:91], v[16:17]
	s_waitcnt vmcnt(32)
	v_mul_f64 v[6:7], v[100:101], v[26:27]
	v_fmac_f64_e32 v[4:5], v[98:99], v[20:21]
	v_add_f64 v[0:1], v[0:1], 0
	s_waitcnt vmcnt(31)
	v_mul_f64 v[8:9], v[104:105], v[30:31]
	v_fmac_f64_e32 v[6:7], v[102:103], v[24:25]
	v_add_f64 v[0:1], v[0:1], v[4:5]
	;; [unrolled: 4-line block ×9, first 2 shown]
	s_waitcnt vmcnt(23) lgkmcnt(13)
	v_mul_f64 v[212:213], v[180:181], v[62:63]
	v_fmac_f64_e32 v[210:211], v[178:179], v[56:57]
	v_add_f64 v[0:1], v[0:1], v[208:209]
	s_waitcnt vmcnt(22) lgkmcnt(12)
	v_mul_f64 v[214:215], v[184:185], v[66:67]
	v_fmac_f64_e32 v[212:213], v[182:183], v[60:61]
	v_add_f64 v[0:1], v[0:1], v[210:211]
	;; [unrolled: 4-line block ×4, first 2 shown]
	v_fmac_f64_e32 v[218:219], v[194:195], v[72:73]
	v_add_f64 v[0:1], v[0:1], v[216:217]
	v_add_f64 v[0:1], v[0:1], v[218:219]
	scratch_load_dwordx4 v[216:219], off, off offset:576
	scratch_load_dwordx4 v[8:11], off, off offset:592
	;; [unrolled: 1-line block ×3, first 2 shown]
	ds_read_b128 v[204:207], v2 offset:1376
	ds_read_b128 v[208:211], v2 offset:1392
	s_waitcnt vmcnt(22) lgkmcnt(11)
	v_mul_f64 v[220:221], v[196:197], v[78:79]
	v_fmac_f64_e32 v[220:221], v[198:199], v[76:77]
	s_waitcnt vmcnt(21) lgkmcnt(10)
	v_mul_f64 v[4:5], v[200:201], v[82:83]
	v_add_f64 v[0:1], v[0:1], v[220:221]
	v_fmac_f64_e32 v[4:5], v[202:203], v[80:81]
	ds_read_b128 v[212:215], v2 offset:1408
	ds_read_b128 v[220:223], v2 offset:1424
	v_add_f64 v[0:1], v[0:1], v[4:5]
	s_waitcnt vmcnt(20) lgkmcnt(3)
	v_mul_f64 v[4:5], v[204:205], v[86:87]
	v_fmac_f64_e32 v[4:5], v[206:207], v[84:85]
	v_add_f64 v[0:1], v[0:1], v[4:5]
	s_waitcnt vmcnt(19) lgkmcnt(2)
	v_mul_f64 v[4:5], v[208:209], v[94:95]
	v_fmac_f64_e32 v[4:5], v[210:211], v[92:93]
	;; [unrolled: 4-line block ×4, first 2 shown]
	v_add_f64 v[0:1], v[0:1], v[4:5]
	s_waitcnt vmcnt(16)
	v_mul_f64 v[4:5], v[224:225], v[126:127]
	v_fmac_f64_e32 v[4:5], v[226:227], v[124:125]
	v_add_f64 v[0:1], v[0:1], v[4:5]
	s_waitcnt vmcnt(15)
	v_mul_f64 v[4:5], v[228:229], v[130:131]
	v_fmac_f64_e32 v[4:5], v[230:231], v[128:129]
	v_add_f64 v[0:1], v[0:1], v[4:5]
	v_mul_f64 v[4:5], v[90:91], v[18:19]
	v_fma_f64 v[4:5], v[88:89], v[16:17], -v[4:5]
	v_accvgpr_write_b32 a165, v5
	v_accvgpr_write_b32 a164, v4
	s_waitcnt vmcnt(14)
	v_mul_f64 v[4:5], v[232:233], v[134:135]
	v_fmac_f64_e32 v[4:5], v[234:235], v[132:133]
	v_add_f64 v[0:1], v[0:1], v[4:5]
	s_waitcnt vmcnt(13)
	v_mul_f64 v[4:5], v[236:237], v[138:139]
	v_fmac_f64_e32 v[4:5], v[238:239], v[136:137]
	v_add_f64 v[0:1], v[0:1], v[4:5]
	;; [unrolled: 4-line block ×4, first 2 shown]
	s_waitcnt vmcnt(10)
	v_mul_f64 v[4:5], v[248:249], v[154:155]
	v_mul_f64 v[6:7], v[98:99], v[22:23]
	v_fmac_f64_e32 v[4:5], v[250:251], v[152:153]
	v_fma_f64 v[96:97], v[96:97], v[20:21], -v[6:7]
	v_mul_f64 v[6:7], v[102:103], v[26:27]
	v_add_f64 v[0:1], v[0:1], v[4:5]
	v_mul_f64 v[4:5], v[110:111], v[34:35]
	v_fma_f64 v[88:89], v[100:101], v[24:25], -v[6:7]
	v_fma_f64 v[24:25], v[108:109], v[32:33], -v[4:5]
	v_mul_f64 v[32:33], v[146:147], v[42:43]
	v_mul_f64 v[6:7], v[106:107], v[30:31]
	;; [unrolled: 1-line block ×3, first 2 shown]
	v_fma_f64 v[16:17], v[144:145], v[40:41], -v[32:33]
	scratch_load_dwordx4 v[144:147], off, off offset:704
	v_fma_f64 v[28:29], v[104:105], v[28:29], -v[6:7]
	v_fma_f64 v[18:19], v[112:113], v[36:37], -v[4:5]
	ds_read_b128 v[4:7], v2 offset:1568
	v_mul_f64 v[22:23], v[158:159], v[46:47]
	s_waitcnt vmcnt(10)
	v_mul_f64 v[20:21], v[252:253], v[162:163]
	v_fma_f64 v[90:91], v[156:157], v[44:45], -v[22:23]
	ds_read_b128 v[156:159], v2 offset:1584
	v_fmac_f64_e32 v[20:21], v[254:255], v[160:161]
	v_add_f64 v[0:1], v[0:1], v[20:21]
	s_waitcnt vmcnt(9) lgkmcnt(1)
	v_mul_f64 v[20:21], v[4:5], v[166:167]
	scratch_load_dwordx4 v[36:39], off, off offset:720
	v_fmac_f64_e32 v[20:21], v[6:7], v[164:165]
	ds_read_b128 v[30:33], v2 offset:1600
	v_add_f64 v[0:1], v[0:1], v[20:21]
	v_mul_f64 v[20:21], v[170:171], v[50:51]
	scratch_load_dwordx4 v[40:43], off, off offset:736
	scratch_load_dwordx4 v[44:47], off, off offset:752
	v_fma_f64 v[168:169], v[168:169], v[48:49], -v[20:21]
	v_mul_f64 v[20:21], v[174:175], v[54:55]
	s_waitcnt vmcnt(6) lgkmcnt(1)
	v_mul_f64 v[48:49], v[156:157], v[218:219]
	v_fma_f64 v[170:171], v[172:173], v[52:53], -v[20:21]
	v_fmac_f64_e32 v[48:49], v[158:159], v[216:217]
	ds_read_b128 v[20:23], v2 offset:1616
	v_add_f64 v[0:1], v[0:1], v[48:49]
	v_mul_f64 v[48:49], v[178:179], v[58:59]
	v_fma_f64 v[172:173], v[176:177], v[56:57], -v[48:49]
	scratch_load_dwordx4 v[48:51], off, off offset:768
	s_waitcnt vmcnt(6) lgkmcnt(1)
	v_mul_f64 v[52:53], v[30:31], v[10:11]
	v_accvgpr_write_b32 a153, v11
	v_fmac_f64_e32 v[52:53], v[32:33], v[8:9]
	v_accvgpr_write_b32 a152, v10
	v_accvgpr_write_b32 a151, v9
	;; [unrolled: 1-line block ×3, first 2 shown]
	ds_read_b128 v[100:103], v2 offset:1632
	s_waitcnt vmcnt(5)
	v_mov_b64_e32 v[8:9], v[12:13]
	v_mul_f64 v[56:57], v[186:187], v[66:67]
	v_mov_b64_e32 v[10:11], v[14:15]
	v_fma_f64 v[176:177], v[184:185], v[64:65], -v[56:57]
	s_waitcnt lgkmcnt(1)
	v_mul_f64 v[64:65], v[20:21], v[10:11]
	v_add_f64 v[0:1], v[0:1], v[52:53]
	v_mul_f64 v[52:53], v[182:183], v[62:63]
	v_fmac_f64_e32 v[64:65], v[22:23], v[8:9]
	v_accvgpr_read_b32 v8, a130
	v_fma_f64 v[174:175], v[180:181], v[60:61], -v[52:53]
	scratch_load_dwordx4 v[52:55], off, off offset:784
	v_mul_f64 v[60:61], v[190:191], v[70:71]
	v_accvgpr_read_b32 v10, a132
	v_accvgpr_read_b32 v11, a133
	v_fma_f64 v[178:179], v[188:189], v[68:69], -v[60:61]
	v_accvgpr_read_b32 v9, a131
	s_waitcnt lgkmcnt(0)
	v_mul_f64 v[68:69], v[100:101], v[10:11]
	scratch_load_dwordx4 v[56:59], off, off offset:800
	scratch_load_dwordx4 v[60:63], off, off offset:816
	v_add_f64 v[0:1], v[0:1], v[64:65]
	v_fmac_f64_e32 v[68:69], v[102:103], v[8:9]
	v_mul_f64 v[64:65], v[194:195], v[74:75]
	v_add_f64 v[0:1], v[0:1], v[68:69]
	v_mul_f64 v[68:69], v[198:199], v[78:79]
	v_fma_f64 v[180:181], v[192:193], v[72:73], -v[64:65]
	scratch_load_dwordx4 v[64:67], off, off offset:832
	v_fma_f64 v[182:183], v[196:197], v[76:77], -v[68:69]
	scratch_load_dwordx4 v[68:71], off, off offset:848
	ds_read_b128 v[108:111], v2 offset:1648
	ds_read_b128 v[104:107], v2 offset:1664
	v_accvgpr_read_b32 v8, a134
	v_accvgpr_read_b32 v10, a136
	;; [unrolled: 1-line block ×4, first 2 shown]
	s_waitcnt lgkmcnt(1)
	v_mul_f64 v[26:27], v[108:109], v[10:11]
	v_accvgpr_write_b32 a157, v15
	v_mul_f64 v[72:73], v[202:203], v[82:83]
	scratch_load_dwordx4 v[76:79], off, off offset:864
	v_fmac_f64_e32 v[26:27], v[110:111], v[8:9]
	v_accvgpr_read_b32 v8, a138
	ds_read_b128 v[112:115], v2 offset:1680
	v_accvgpr_write_b32 a156, v14
	v_accvgpr_write_b32 a155, v13
	;; [unrolled: 1-line block ×3, first 2 shown]
	v_fma_f64 v[14:15], v[200:201], v[80:81], -v[72:73]
	v_mul_f64 v[72:73], v[206:207], v[86:87]
	v_accvgpr_read_b32 v10, a140
	v_accvgpr_read_b32 v11, a141
	v_fma_f64 v[12:13], v[204:205], v[84:85], -v[72:73]
	v_add_f64 v[0:1], v[0:1], v[26:27]
	v_accvgpr_read_b32 v9, a139
	s_waitcnt lgkmcnt(1)
	v_mul_f64 v[26:27], v[104:105], v[10:11]
	v_mul_f64 v[84:85], v[222:223], v[122:123]
	v_fmac_f64_e32 v[26:27], v[106:107], v[8:9]
	v_fma_f64 v[98:99], v[220:221], v[120:121], -v[84:85]
	v_accvgpr_read_b32 v120, a142
	v_add_f64 v[0:1], v[0:1], v[26:27]
	v_mul_f64 v[26:27], v[210:211], v[94:95]
	v_mul_f64 v[80:81], v[214:215], v[118:119]
	v_accvgpr_read_b32 v122, a144
	v_accvgpr_read_b32 v123, a145
	scratch_load_dwordx4 v[72:75], off, off offset:880
	v_fma_f64 v[26:27], v[208:209], v[92:93], -v[26:27]
	v_fma_f64 v[10:11], v[212:213], v[116:117], -v[80:81]
	ds_read_b128 v[116:119], v2 offset:1696
	v_accvgpr_read_b32 v121, a143
	s_waitcnt lgkmcnt(1)
	v_mul_f64 v[92:93], v[112:113], v[122:123]
	v_fmac_f64_e32 v[92:93], v[114:115], v[120:121]
	scratch_load_dwordx4 v[80:83], off, off offset:896
	scratch_load_dwordx4 v[84:87], off, off offset:912
	v_add_f64 v[0:1], v[0:1], v[92:93]
	v_mul_f64 v[92:93], v[226:227], v[126:127]
	v_fma_f64 v[8:9], v[224:225], v[124:125], -v[92:93]
	v_accvgpr_read_b32 v92, a146
	v_accvgpr_read_b32 v94, a148
	;; [unrolled: 1-line block ×4, first 2 shown]
	s_waitcnt lgkmcnt(0)
	v_mul_f64 v[34:35], v[116:117], v[94:95]
	v_fmac_f64_e32 v[34:35], v[118:119], v[92:93]
	scratch_load_dwordx4 v[92:95], off, off offset:928
	v_mul_f64 v[138:139], v[238:239], v[138:139]
	v_mul_f64 v[162:163], v[254:255], v[162:163]
	v_add_f64 v[0:1], v[0:1], v[34:35]
	v_mul_f64 v[34:35], v[230:231], v[130:131]
	v_fma_f64 v[230:231], v[236:237], v[136:137], -v[138:139]
	v_fma_f64 v[236:237], v[252:253], v[160:161], -v[162:163]
	scratch_load_dwordx4 v[252:255], off, off offset:944
	ds_read_b128 v[120:123], v2 offset:1712
	ds_read_b128 v[124:127], v2 offset:1728
	v_fma_f64 v[34:35], v[228:229], v[128:129], -v[34:35]
	s_waitcnt vmcnt(15)
	v_accvgpr_write_b32 a161, v147
	v_accvgpr_write_b32 a160, v146
	s_waitcnt lgkmcnt(1)
	v_mul_f64 v[128:129], v[120:121], v[146:147]
	v_fmac_f64_e32 v[128:129], v[122:123], v[144:145]
	v_add_f64 v[0:1], v[0:1], v[128:129]
	v_mul_f64 v[128:129], v[234:235], v[134:135]
	v_fma_f64 v[228:229], v[232:233], v[132:133], -v[128:129]
	ds_read_b128 v[128:131], v2 offset:1744
	ds_read_b128 v[132:135], v2 offset:1760
	v_accvgpr_write_b32 a159, v145
	v_accvgpr_write_b32 a158, v144
	s_waitcnt vmcnt(14) lgkmcnt(2)
	v_mul_f64 v[144:145], v[124:125], v[38:39]
	v_fmac_f64_e32 v[144:145], v[126:127], v[36:37]
	ds_read_b128 v[136:139], v2 offset:1776
	v_add_f64 v[0:1], v[0:1], v[144:145]
	s_waitcnt vmcnt(13) lgkmcnt(2)
	v_mul_f64 v[144:145], v[128:129], v[42:43]
	v_fmac_f64_e32 v[144:145], v[130:131], v[40:41]
	v_add_f64 v[0:1], v[0:1], v[144:145]
	s_waitcnt vmcnt(12) lgkmcnt(1)
	v_mul_f64 v[144:145], v[132:133], v[46:47]
	v_fmac_f64_e32 v[144:145], v[134:135], v[44:45]
	v_mul_f64 v[142:143], v[242:243], v[142:143]
	v_add_f64 v[0:1], v[0:1], v[144:145]
	v_fma_f64 v[242:243], v[240:241], v[140:141], -v[142:143]
	ds_read_b128 v[140:143], v2 offset:1792
	s_waitcnt vmcnt(11) lgkmcnt(1)
	v_mul_f64 v[144:145], v[136:137], v[50:51]
	v_fmac_f64_e32 v[144:145], v[138:139], v[48:49]
	v_add_f64 v[0:1], v[0:1], v[144:145]
	ds_read_b128 v[144:147], v2 offset:1808
	v_mul_f64 v[150:151], v[246:247], v[150:151]
	v_mul_f64 v[154:155], v[250:251], v[154:155]
	v_fma_f64 v[232:233], v[244:245], v[148:149], -v[150:151]
	ds_read_b128 v[148:151], v2 offset:1824
	v_fma_f64 v[152:153], v[248:249], v[152:153], -v[154:155]
	s_waitcnt vmcnt(10) lgkmcnt(2)
	v_mul_f64 v[184:185], v[140:141], v[54:55]
	v_accvgpr_write_b32 a163, v153
	v_fmac_f64_e32 v[184:185], v[142:143], v[52:53]
	v_accvgpr_write_b32 a162, v152
	ds_read_b128 v[152:155], v2 offset:1840
	ds_read_b128 v[244:247], v2 offset:1856
	v_add_f64 v[0:1], v[0:1], v[184:185]
	s_waitcnt vmcnt(9) lgkmcnt(3)
	v_mul_f64 v[184:185], v[144:145], v[58:59]
	v_fmac_f64_e32 v[184:185], v[146:147], v[56:57]
	v_add_f64 v[0:1], v[0:1], v[184:185]
	s_waitcnt vmcnt(8) lgkmcnt(2)
	v_mul_f64 v[184:185], v[148:149], v[62:63]
	ds_read_b128 v[160:163], v2 offset:1872
	v_fmac_f64_e32 v[184:185], v[150:151], v[60:61]
	v_add_f64 v[0:1], v[0:1], v[184:185]
	s_waitcnt vmcnt(7) lgkmcnt(2)
	v_mul_f64 v[184:185], v[152:153], v[66:67]
	v_fmac_f64_e32 v[184:185], v[154:155], v[64:65]
	v_add_f64 v[0:1], v[0:1], v[184:185]
	s_waitcnt vmcnt(6) lgkmcnt(1)
	v_mul_f64 v[184:185], v[244:245], v[70:71]
	v_mul_f64 v[6:7], v[6:7], v[166:167]
	v_fmac_f64_e32 v[184:185], v[246:247], v[68:69]
	v_fma_f64 v[238:239], v[4:5], v[164:165], -v[6:7]
	ds_read_b128 v[164:167], v2 offset:1888
	s_waitcnt vmcnt(5) lgkmcnt(1)
	v_mul_f64 v[4:5], v[160:161], v[78:79]
	v_add_f64 v[0:1], v[0:1], v[184:185]
	v_fmac_f64_e32 v[4:5], v[162:163], v[76:77]
	v_add_f64 v[0:1], v[0:1], v[4:5]
	ds_read_b128 v[4:7], v2 offset:1904
	v_mul_f64 v[158:159], v[158:159], v[218:219]
	v_fma_f64 v[240:241], v[156:157], v[216:217], -v[158:159]
	ds_read_b128 v[156:159], v2 offset:1920
	s_waitcnt vmcnt(4) lgkmcnt(2)
	v_mul_f64 v[184:185], v[164:165], v[74:75]
	v_fmac_f64_e32 v[184:185], v[166:167], v[72:73]
	ds_read_b128 v[248:251], v2 offset:1936
	ds_read_b128 v[192:195], v2 offset:1968
	v_add_f64 v[0:1], v[0:1], v[184:185]
	s_waitcnt vmcnt(3) lgkmcnt(3)
	v_mul_f64 v[184:185], v[4:5], v[82:83]
	v_fmac_f64_e32 v[184:185], v[6:7], v[80:81]
	v_add_f64 v[0:1], v[0:1], v[184:185]
	s_waitcnt vmcnt(2) lgkmcnt(2)
	v_mul_f64 v[184:185], v[156:157], v[86:87]
	v_fmac_f64_e32 v[184:185], v[158:159], v[84:85]
	;; [unrolled: 4-line block ×3, first 2 shown]
	v_add_f64 v[0:1], v[0:1], v[184:185]
	ds_read_b128 v[184:187], v2 offset:1952
	ds_read_b128 v[200:203], v2 offset:1984
	;; [unrolled: 1-line block ×5, first 2 shown]
	s_waitcnt vmcnt(0) lgkmcnt(4)
	v_mul_f64 v[188:189], v[184:185], v[254:255]
	v_fmac_f64_e32 v[188:189], v[186:187], v[252:253]
	v_add_f64 v[0:1], v[0:1], v[188:189]
	scratch_load_dwordx4 v[188:191], off, off offset:960
	v_mul_f64 v[6:7], v[6:7], v[82:83]
	v_fma_f64 v[4:5], v[4:5], v[80:81], -v[6:7]
	v_mul_f64 v[6:7], v[158:159], v[86:87]
	v_fma_f64 v[6:7], v[156:157], v[84:85], -v[6:7]
	s_waitcnt vmcnt(0)
	v_mul_f64 v[196:197], v[192:193], v[190:191]
	v_fmac_f64_e32 v[196:197], v[194:195], v[188:189]
	v_add_f64 v[0:1], v[0:1], v[196:197]
	scratch_load_dwordx4 v[196:199], off, off offset:976
	s_waitcnt vmcnt(0) lgkmcnt(3)
	v_mul_f64 v[204:205], v[200:201], v[198:199]
	v_fmac_f64_e32 v[204:205], v[202:203], v[196:197]
	v_add_f64 v[0:1], v[0:1], v[204:205]
	scratch_load_dwordx4 v[204:207], off, off offset:992
	s_waitcnt vmcnt(0) lgkmcnt(2)
	;; [unrolled: 5-line block ×4, first 2 shown]
	v_mul_f64 v[234:235], v[224:225], v[222:223]
	v_fmac_f64_e32 v[234:235], v[226:227], v[220:221]
	v_add_f64 v[0:1], v[0:1], v[234:235]
	v_accvgpr_read_b32 v235, a165
	v_accvgpr_read_b32 v234, a164
	v_add_f64 v[234:235], v[234:235], 0
	v_add_f64 v[96:97], v[234:235], v[96:97]
	;; [unrolled: 1-line block ×25, first 2 shown]
	scratch_load_dwordx4 v[228:231], off, off offset:80
	v_add_f64 v[8:9], v[8:9], v[242:243]
	v_add_f64 v[242:243], v[8:9], v[232:233]
	v_accvgpr_read_b32 v8, a162
	v_accvgpr_read_b32 v9, a163
	;; [unrolled: 1-line block ×3, first 2 shown]
	v_add_f64 v[8:9], v[242:243], v[8:9]
	v_accvgpr_read_b32 v14, a152
	v_accvgpr_read_b32 v15, a153
	v_add_f64 v[8:9], v[8:9], v[236:237]
	v_accvgpr_read_b32 v13, a151
	v_mul_f64 v[10:11], v[32:33], v[14:15]
	v_add_f64 v[8:9], v[8:9], v[238:239]
	v_fma_f64 v[10:11], v[30:31], v[12:13], -v[10:11]
	v_accvgpr_read_b32 v12, a154
	v_add_f64 v[8:9], v[8:9], v[240:241]
	v_accvgpr_read_b32 v14, a156
	v_accvgpr_read_b32 v15, a157
	v_add_f64 v[8:9], v[8:9], v[10:11]
	v_accvgpr_read_b32 v13, a155
	v_mul_f64 v[10:11], v[22:23], v[14:15]
	v_fma_f64 v[10:11], v[20:21], v[12:13], -v[10:11]
	v_accvgpr_read_b32 v12, a130
	v_accvgpr_read_b32 v14, a132
	v_accvgpr_read_b32 v15, a133
	v_add_f64 v[8:9], v[8:9], v[10:11]
	v_accvgpr_read_b32 v13, a131
	v_mul_f64 v[10:11], v[102:103], v[14:15]
	v_fma_f64 v[10:11], v[100:101], v[12:13], -v[10:11]
	v_accvgpr_read_b32 v12, a134
	;; [unrolled: 7-line block ×6, first 2 shown]
	v_accvgpr_read_b32 v14, a160
	v_accvgpr_read_b32 v15, a161
	v_add_f64 v[8:9], v[8:9], v[10:11]
	v_accvgpr_read_b32 v13, a159
	v_mul_f64 v[10:11], v[122:123], v[14:15]
	v_fma_f64 v[10:11], v[120:121], v[12:13], -v[10:11]
	v_add_f64 v[8:9], v[8:9], v[10:11]
	v_mul_f64 v[10:11], v[126:127], v[38:39]
	v_fma_f64 v[10:11], v[124:125], v[36:37], -v[10:11]
	v_add_f64 v[8:9], v[8:9], v[10:11]
	;; [unrolled: 3-line block ×12, first 2 shown]
	v_add_f64 v[4:5], v[8:9], v[4:5]
	v_add_f64 v[4:5], v[4:5], v[6:7]
	v_mul_f64 v[6:7], v[250:251], v[94:95]
	v_fma_f64 v[6:7], v[248:249], v[92:93], -v[6:7]
	v_add_f64 v[4:5], v[4:5], v[6:7]
	v_mul_f64 v[6:7], v[186:187], v[254:255]
	v_fma_f64 v[6:7], v[184:185], v[252:253], -v[6:7]
	;; [unrolled: 3-line block ×7, first 2 shown]
	v_add_f64 v[4:5], v[4:5], v[6:7]
	s_waitcnt vmcnt(0)
	v_add_f64 v[6:7], v[230:231], -v[0:1]
	v_accvgpr_read_b32 v0, a128
	v_add_f64 v[4:5], v[228:229], -v[4:5]
	v_cmp_lt_u32_e32 vcc, 3, v0
	scratch_store_dwordx4 off, v[4:7], off offset:80
	s_and_saveexec_b64 s[0:1], vcc
	s_cbranch_execz .LBB63_403
; %bb.402:
	scratch_load_dwordx4 v[6:9], off, s87
	v_mov_b32_e32 v3, v2
	v_mov_b32_e32 v4, v2
	;; [unrolled: 1-line block ×3, first 2 shown]
	v_accvgpr_read_b32 v0, a129
	scratch_store_dwordx4 off, v[2:5], off offset:64
	s_waitcnt vmcnt(1)
	ds_write_b128 v0, v[6:9]
.LBB63_403:
	s_or_b64 exec, exec, s[0:1]
	s_waitcnt lgkmcnt(0)
	; wave barrier
	scratch_load_dwordx4 v[4:7], off, off offset:80
	scratch_load_dwordx4 v[8:11], off, off offset:96
	;; [unrolled: 1-line block ×17, first 2 shown]
	ds_read_b128 v[172:175], v2 offset:1088
	ds_read_b128 v[108:111], v2 offset:1104
	scratch_load_dwordx4 v[84:87], off, off offset:352
	ds_read_b128 v[176:179], v2 offset:1120
	ds_read_b128 v[164:167], v2 offset:1136
	;; [unrolled: 1-line block ×5, first 2 shown]
	scratch_load_dwordx4 v[92:95], off, off offset:368
	ds_read_b128 v[148:151], v2 offset:1200
	ds_read_b128 v[112:115], v2 offset:1216
	scratch_load_dwordx4 v[116:119], off, off offset:384
	ds_read_b128 v[180:183], v2 offset:1232
	ds_read_b128 v[168:171], v2 offset:1248
	;; [unrolled: 1-line block ×5, first 2 shown]
	scratch_load_dwordx4 v[120:123], off, off offset:400
	ds_read_b128 v[156:159], v2 offset:1312
	ds_read_b128 v[140:143], v2 offset:1328
	;; [unrolled: 1-line block ×3, first 2 shown]
	scratch_load_dwordx4 v[124:127], off, off offset:416
	scratch_load_dwordx4 v[128:131], off, off offset:432
	;; [unrolled: 1-line block ×9, first 2 shown]
	ds_read_b128 v[204:207], v2 offset:1360
	scratch_load_dwordx4 a[134:137], off, off offset:592
	scratch_load_dwordx4 a[138:141], off, off offset:624
	;; [unrolled: 1-line block ×3, first 2 shown]
	ds_read_b128 v[232:235], v2 offset:1456
	ds_read_b128 v[236:239], v2 offset:1472
	scratch_load_dwordx4 a[150:153], off, off offset:656
	scratch_load_dwordx4 a[154:157], off, off offset:672
	;; [unrolled: 1-line block ×5, first 2 shown]
	ds_read_b128 v[228:231], v2 offset:1440
	s_waitcnt vmcnt(37) lgkmcnt(14)
	v_mul_f64 v[0:1], v[172:173], v[6:7]
	s_waitcnt vmcnt(36)
	v_mul_f64 v[24:25], v[108:109], v[10:11]
	v_fmac_f64_e32 v[0:1], v[174:175], v[4:5]
	s_waitcnt vmcnt(35)
	v_mul_f64 v[26:27], v[176:177], v[14:15]
	v_fmac_f64_e32 v[24:25], v[110:111], v[8:9]
	v_add_f64 v[0:1], v[0:1], 0
	s_waitcnt vmcnt(34)
	v_mul_f64 v[28:29], v[164:165], v[38:39]
	v_fmac_f64_e32 v[26:27], v[178:179], v[12:13]
	v_add_f64 v[0:1], v[0:1], v[24:25]
	;; [unrolled: 4-line block ×5, first 2 shown]
	s_waitcnt vmcnt(30) lgkmcnt(13)
	v_mul_f64 v[208:209], v[148:149], v[250:251]
	v_fmac_f64_e32 v[34:35], v[90:91], v[40:41]
	v_add_f64 v[0:1], v[0:1], v[32:33]
	s_waitcnt vmcnt(29) lgkmcnt(12)
	v_mul_f64 v[210:211], v[112:113], v[50:51]
	v_fmac_f64_e32 v[208:209], v[150:151], v[248:249]
	v_add_f64 v[0:1], v[0:1], v[34:35]
	;; [unrolled: 4-line block ×6, first 2 shown]
	v_fmac_f64_e32 v[218:219], v[138:139], v[64:65]
	v_add_f64 v[0:1], v[0:1], v[216:217]
	v_add_f64 v[0:1], v[0:1], v[218:219]
	scratch_load_dwordx4 v[216:219], off, off offset:560
	s_waitcnt vmcnt(25) lgkmcnt(7)
	v_mul_f64 v[220:221], v[104:105], v[70:71]
	s_waitcnt vmcnt(24) lgkmcnt(6)
	v_mul_f64 v[222:223], v[156:157], v[74:75]
	v_fmac_f64_e32 v[220:221], v[106:107], v[68:69]
	s_waitcnt vmcnt(23) lgkmcnt(5)
	v_mul_f64 v[224:225], v[140:141], v[78:79]
	v_fmac_f64_e32 v[222:223], v[158:159], v[72:73]
	v_add_f64 v[0:1], v[0:1], v[220:221]
	ds_read_b128 v[208:211], v2 offset:1376
	v_fmac_f64_e32 v[224:225], v[142:143], v[76:77]
	v_add_f64 v[0:1], v[0:1], v[222:223]
	s_waitcnt vmcnt(22) lgkmcnt(5)
	v_mul_f64 v[24:25], v[132:133], v[82:83]
	ds_read_b128 v[212:215], v2 offset:1392
	ds_read_b128 v[220:223], v2 offset:1408
	v_add_f64 v[0:1], v[0:1], v[224:225]
	v_fmac_f64_e32 v[24:25], v[134:135], v[80:81]
	v_add_f64 v[0:1], v[0:1], v[24:25]
	s_waitcnt vmcnt(21) lgkmcnt(6)
	v_mul_f64 v[24:25], v[204:205], v[86:87]
	v_fmac_f64_e32 v[24:25], v[206:207], v[84:85]
	v_add_f64 v[0:1], v[0:1], v[24:25]
	s_waitcnt vmcnt(20) lgkmcnt(2)
	v_mul_f64 v[24:25], v[208:209], v[94:95]
	ds_read_b128 v[224:227], v2 offset:1424
	v_fmac_f64_e32 v[24:25], v[210:211], v[92:93]
	s_waitcnt vmcnt(19) lgkmcnt(2)
	v_mul_f64 v[28:29], v[212:213], v[118:119]
	v_add_f64 v[0:1], v[0:1], v[24:25]
	v_fmac_f64_e32 v[28:29], v[214:215], v[116:117]
	v_add_f64 v[0:1], v[0:1], v[28:29]
	s_waitcnt vmcnt(18) lgkmcnt(1)
	v_mul_f64 v[28:29], v[220:221], v[122:123]
	v_fmac_f64_e32 v[28:29], v[222:223], v[120:121]
	v_add_f64 v[0:1], v[0:1], v[28:29]
	s_waitcnt vmcnt(17) lgkmcnt(0)
	v_mul_f64 v[28:29], v[224:225], v[126:127]
	v_fmac_f64_e32 v[28:29], v[226:227], v[124:125]
	s_waitcnt vmcnt(16)
	v_mul_f64 v[32:33], v[228:229], v[130:131]
	v_add_f64 v[0:1], v[0:1], v[28:29]
	v_fmac_f64_e32 v[32:33], v[230:231], v[128:129]
	v_add_f64 v[0:1], v[0:1], v[32:33]
	scratch_load_dwordx4 v[30:33], off, off offset:608
	v_mul_f64 v[6:7], v[174:175], v[6:7]
	v_fma_f64 v[252:253], v[172:173], v[4:5], -v[6:7]
	s_waitcnt vmcnt(16)
	v_mul_f64 v[4:5], v[232:233], v[146:147]
	v_fmac_f64_e32 v[4:5], v[234:235], v[144:145]
	v_add_f64 v[0:1], v[0:1], v[4:5]
	s_waitcnt vmcnt(15)
	v_mul_f64 v[4:5], v[236:237], v[162:163]
	v_accvgpr_write_b32 a145, v43
	v_fmac_f64_e32 v[4:5], v[238:239], v[160:161]
	v_accvgpr_write_b32 a142, v40
	v_add_f64 v[0:1], v[0:1], v[4:5]
	v_mul_f64 v[4:5], v[110:111], v[10:11]
	v_mul_f64 v[6:7], v[166:167], v[38:39]
	v_accvgpr_write_b32 a144, v42
	v_accvgpr_write_b32 a143, v41
	v_fma_f64 v[254:255], v[108:109], v[8:9], -v[4:5]
	v_fma_f64 v[40:41], v[164:165], v[36:37], -v[6:7]
	v_accvgpr_read_b32 v4, a142
	ds_read_b128 v[172:175], v2 offset:1488
	v_accvgpr_read_b32 v5, a143
	v_accvgpr_read_b32 v6, a144
	;; [unrolled: 1-line block ×3, first 2 shown]
	scratch_load_dwordx4 a[142:145], off, off offset:688
	v_mul_f64 v[8:9], v[178:179], v[14:15]
	v_fma_f64 v[44:45], v[176:177], v[12:13], -v[8:9]
	ds_read_b128 v[176:179], v2 offset:1504
	v_mul_f64 v[36:37], v[150:151], v[250:251]
	v_fma_f64 v[24:25], v[148:149], v[248:249], -v[36:37]
	scratch_load_dwordx4 v[148:151], off, off offset:704
	s_waitcnt vmcnt(16) lgkmcnt(1)
	v_mul_f64 v[240:241], v[172:173], v[186:187]
	ds_read_b128 v[164:167], v2 offset:1520
	v_fmac_f64_e32 v[240:241], v[174:175], v[184:185]
	v_mul_f64 v[16:17], v[102:103], v[244:245]
	v_add_f64 v[0:1], v[0:1], v[240:241]
	v_fma_f64 v[38:39], v[100:101], v[242:243], -v[16:17]
	ds_read_b128 v[240:243], v2 offset:1536
	s_waitcnt vmcnt(15) lgkmcnt(2)
	v_mul_f64 v[12:13], v[176:177], v[190:191]
	v_fmac_f64_e32 v[12:13], v[178:179], v[188:189]
	ds_read_b128 v[244:247], v2 offset:1552
	ds_read_b128 v[248:251], v2 offset:1568
	v_add_f64 v[0:1], v[0:1], v[12:13]
	s_waitcnt vmcnt(14) lgkmcnt(3)
	v_mul_f64 v[12:13], v[164:165], v[194:195]
	v_fmac_f64_e32 v[12:13], v[166:167], v[192:193]
	v_add_f64 v[0:1], v[0:1], v[12:13]
	v_mul_f64 v[10:11], v[98:99], v[20:21]
	v_mul_f64 v[20:21], v[90:91], v[6:7]
	s_waitcnt vmcnt(13) lgkmcnt(2)
	v_mul_f64 v[12:13], v[240:241], v[198:199]
	v_fma_f64 v[26:27], v[88:89], v[4:5], -v[20:21]
	v_fmac_f64_e32 v[12:13], v[242:243], v[196:197]
	ds_read_b128 v[88:91], v2 offset:1584
	v_add_f64 v[0:1], v[0:1], v[12:13]
	s_waitcnt vmcnt(12) lgkmcnt(2)
	v_mul_f64 v[12:13], v[244:245], v[202:203]
	v_fmac_f64_e32 v[12:13], v[246:247], v[200:201]
	v_add_f64 v[0:1], v[0:1], v[12:13]
	v_mul_f64 v[12:13], v[114:115], v[50:51]
	s_waitcnt vmcnt(4)
	v_accvgpr_read_b32 v4, a130
	v_fma_f64 v[22:23], v[112:113], v[48:49], -v[12:13]
	v_mul_f64 v[16:17], v[182:183], v[54:55]
	s_waitcnt vmcnt(3) lgkmcnt(1)
	v_mul_f64 v[48:49], v[248:249], v[218:219]
	v_accvgpr_read_b32 v6, a132
	v_accvgpr_read_b32 v7, a133
	v_fma_f64 v[28:29], v[96:97], v[18:19], -v[10:11]
	v_fma_f64 v[18:19], v[180:181], v[52:53], -v[16:17]
	v_fmac_f64_e32 v[48:49], v[250:251], v[216:217]
	v_accvgpr_read_b32 v5, a131
	ds_read_b128 v[96:99], v2 offset:1600
	s_waitcnt lgkmcnt(1)
	v_mul_f64 v[52:53], v[88:89], v[6:7]
	v_add_f64 v[0:1], v[0:1], v[48:49]
	v_mul_f64 v[48:49], v[170:171], v[58:59]
	v_fmac_f64_e32 v[52:53], v[90:91], v[4:5]
	v_fma_f64 v[180:181], v[168:169], v[56:57], -v[48:49]
	scratch_load_dwordx4 v[48:51], off, off offset:752
	v_add_f64 v[0:1], v[0:1], v[52:53]
	v_mul_f64 v[52:53], v[154:155], v[62:63]
	v_fma_f64 v[182:183], v[152:153], v[60:61], -v[52:53]
	scratch_load_dwordx4 v[52:55], off, off offset:768
	v_accvgpr_read_b32 v4, a134
	v_mul_f64 v[56:57], v[138:139], v[66:67]
	v_accvgpr_read_b32 v6, a136
	v_accvgpr_read_b32 v7, a137
	v_fma_f64 v[16:17], v[136:137], v[64:65], -v[56:57]
	scratch_load_dwordx4 v[56:59], off, off offset:784
	scratch_load_dwordx4 v[60:63], off, off offset:800
	v_accvgpr_read_b32 v5, a135
	s_waitcnt lgkmcnt(0)
	v_mul_f64 v[64:65], v[96:97], v[6:7]
	v_fmac_f64_e32 v[64:65], v[98:99], v[4:5]
	v_add_f64 v[0:1], v[0:1], v[64:65]
	v_mul_f64 v[64:65], v[158:159], v[74:75]
	ds_read_b128 v[100:103], v2 offset:1616
	v_fma_f64 v[14:15], v[156:157], v[72:73], -v[64:65]
	scratch_load_dwordx4 v[64:67], off, off offset:816
	s_waitcnt vmcnt(7)
	v_mov_b64_e32 v[4:5], v[30:31]
	v_mov_b64_e32 v[6:7], v[32:33]
	v_mul_f64 v[20:21], v[106:107], v[70:71]
	s_waitcnt lgkmcnt(0)
	v_mul_f64 v[34:35], v[100:101], v[6:7]
	v_fma_f64 v[20:21], v[104:105], v[68:69], -v[20:21]
	v_fmac_f64_e32 v[34:35], v[102:103], v[4:5]
	scratch_load_dwordx4 v[68:71], off, off offset:832
	v_add_f64 v[0:1], v[0:1], v[34:35]
	v_mul_f64 v[34:35], v[142:143], v[78:79]
	v_fma_f64 v[34:35], v[140:141], v[76:77], -v[34:35]
	ds_read_b128 v[108:111], v2 offset:1632
	ds_read_b128 v[104:107], v2 offset:1648
	scratch_load_dwordx4 v[76:79], off, off offset:848
	v_accvgpr_read_b32 v4, a138
	v_mul_f64 v[72:73], v[134:135], v[82:83]
	v_accvgpr_read_b32 v6, a140
	v_accvgpr_read_b32 v7, a141
	v_fma_f64 v[12:13], v[132:133], v[80:81], -v[72:73]
	v_accvgpr_read_b32 v5, a139
	s_waitcnt lgkmcnt(1)
	v_mul_f64 v[80:81], v[108:109], v[6:7]
	v_fmac_f64_e32 v[80:81], v[110:111], v[4:5]
	v_accvgpr_read_b32 v4, a146
	ds_read_b128 v[112:115], v2 offset:1664
	v_accvgpr_write_b32 a169, v33
	v_accvgpr_read_b32 v6, a148
	v_accvgpr_read_b32 v7, a149
	v_accvgpr_write_b32 a168, v32
	v_accvgpr_write_b32 a167, v31
	;; [unrolled: 1-line block ×3, first 2 shown]
	v_add_f64 v[0:1], v[0:1], v[80:81]
	v_accvgpr_read_b32 v5, a147
	s_waitcnt lgkmcnt(1)
	v_mul_f64 v[80:81], v[104:105], v[6:7]
	v_mul_f64 v[30:31], v[214:215], v[118:119]
	v_fmac_f64_e32 v[80:81], v[106:107], v[4:5]
	v_fma_f64 v[30:31], v[212:213], v[116:117], -v[30:31]
	ds_read_b128 v[116:119], v2 offset:1680
	v_accvgpr_read_b32 v4, a150
	v_accvgpr_read_b32 v6, a152
	;; [unrolled: 1-line block ×4, first 2 shown]
	s_waitcnt lgkmcnt(1)
	v_mul_f64 v[36:37], v[112:113], v[6:7]
	v_mul_f64 v[32:33], v[206:207], v[86:87]
	v_add_f64 v[0:1], v[0:1], v[80:81]
	v_fmac_f64_e32 v[36:37], v[114:115], v[4:5]
	v_accvgpr_read_b32 v4, a154
	v_fma_f64 v[32:33], v[204:205], v[84:85], -v[32:33]
	v_mul_f64 v[84:85], v[222:223], v[122:123]
	v_add_f64 v[0:1], v[0:1], v[36:37]
	v_mul_f64 v[36:37], v[226:227], v[126:127]
	v_accvgpr_read_b32 v6, a156
	v_accvgpr_read_b32 v7, a157
	v_fma_f64 v[8:9], v[220:221], v[120:121], -v[84:85]
	v_fma_f64 v[36:37], v[224:225], v[124:125], -v[36:37]
	ds_read_b128 v[120:123], v2 offset:1696
	v_accvgpr_read_b32 v5, a155
	s_waitcnt lgkmcnt(1)
	v_mul_f64 v[124:125], v[116:117], v[6:7]
	v_fmac_f64_e32 v[124:125], v[118:119], v[4:5]
	v_add_f64 v[0:1], v[0:1], v[124:125]
	v_mul_f64 v[124:125], v[230:231], v[130:131]
	v_fma_f64 v[6:7], v[228:229], v[128:129], -v[124:125]
	s_waitcnt vmcnt(8)
	v_accvgpr_read_b32 v128, a142
	ds_read_b128 v[124:127], v2 offset:1712
	v_accvgpr_read_b32 v130, a144
	v_accvgpr_read_b32 v131, a145
	;; [unrolled: 1-line block ×3, first 2 shown]
	s_waitcnt lgkmcnt(1)
	v_mul_f64 v[42:43], v[120:121], v[130:131]
	v_fmac_f64_e32 v[42:43], v[122:123], v[128:129]
	ds_read_b128 v[128:131], v2 offset:1728
	s_waitcnt vmcnt(7)
	v_mov_b64_e32 v[132:133], v[148:149]
	v_mov_b64_e32 v[134:135], v[150:151]
	s_waitcnt lgkmcnt(1)
	v_mul_f64 v[136:137], v[124:125], v[134:135]
	v_accvgpr_read_b32 v138, a158
	v_add_f64 v[0:1], v[0:1], v[42:43]
	v_fmac_f64_e32 v[136:137], v[126:127], v[132:133]
	v_accvgpr_read_b32 v140, a160
	v_accvgpr_read_b32 v141, a161
	ds_read_b128 v[132:135], v2 offset:1744
	v_add_f64 v[0:1], v[0:1], v[136:137]
	v_accvgpr_read_b32 v139, a159
	s_waitcnt lgkmcnt(1)
	v_mul_f64 v[136:137], v[128:129], v[140:141]
	v_fmac_f64_e32 v[136:137], v[130:131], v[138:139]
	v_add_f64 v[0:1], v[0:1], v[136:137]
	v_mul_f64 v[136:137], v[238:239], v[162:163]
	v_fma_f64 v[236:237], v[236:237], v[160:161], -v[136:137]
	v_accvgpr_read_b32 v136, a162
	v_accvgpr_read_b32 v138, a164
	;; [unrolled: 1-line block ×4, first 2 shown]
	s_waitcnt lgkmcnt(0)
	v_mul_f64 v[140:141], v[132:133], v[138:139]
	v_fmac_f64_e32 v[140:141], v[134:135], v[136:137]
	ds_read_b128 v[136:139], v2 offset:1760
	v_add_f64 v[0:1], v[0:1], v[140:141]
	v_mul_f64 v[140:141], v[174:175], v[186:187]
	v_fma_f64 v[238:239], v[172:173], v[184:185], -v[140:141]
	ds_read_b128 v[140:143], v2 offset:1776
	v_mul_f64 v[42:43], v[234:235], v[146:147]
	v_fma_f64 v[42:43], v[232:233], v[144:145], -v[42:43]
	v_accvgpr_write_b32 a173, v151
	s_waitcnt vmcnt(6) lgkmcnt(1)
	v_mul_f64 v[144:145], v[136:137], v[50:51]
	v_accvgpr_write_b32 a172, v150
	v_accvgpr_write_b32 a171, v149
	;; [unrolled: 1-line block ×3, first 2 shown]
	v_fmac_f64_e32 v[144:145], v[138:139], v[48:49]
	s_waitcnt vmcnt(5) lgkmcnt(0)
	v_mul_f64 v[148:149], v[140:141], v[54:55]
	v_add_f64 v[0:1], v[0:1], v[144:145]
	v_fmac_f64_e32 v[148:149], v[142:143], v[52:53]
	ds_read_b128 v[144:147], v2 offset:1792
	v_add_f64 v[0:1], v[0:1], v[148:149]
	v_mul_f64 v[148:149], v[178:179], v[190:191]
	scratch_load_dwordx4 v[72:75], off, off offset:864
	v_fma_f64 v[4:5], v[176:177], v[188:189], -v[148:149]
	ds_read_b128 v[148:151], v2 offset:1808
	v_mul_f64 v[80:81], v[210:211], v[94:95]
	v_fma_f64 v[10:11], v[208:209], v[92:93], -v[80:81]
	scratch_load_dwordx4 v[80:83], off, off offset:880
	scratch_load_dwordx4 v[84:87], off, off offset:896
	ds_read_b128 v[152:155], v2 offset:1824
	s_waitcnt vmcnt(7) lgkmcnt(2)
	v_mul_f64 v[46:47], v[144:145], v[58:59]
	v_fmac_f64_e32 v[46:47], v[146:147], v[56:57]
	s_waitcnt vmcnt(6) lgkmcnt(1)
	v_mul_f64 v[156:157], v[148:149], v[62:63]
	v_add_f64 v[0:1], v[0:1], v[46:47]
	v_fmac_f64_e32 v[156:157], v[150:151], v[60:61]
	v_add_f64 v[0:1], v[0:1], v[156:157]
	ds_read_b128 v[156:159], v2 offset:1840
	s_waitcnt vmcnt(5) lgkmcnt(1)
	v_mul_f64 v[160:161], v[152:153], v[66:67]
	v_fmac_f64_e32 v[160:161], v[154:155], v[64:65]
	v_add_f64 v[0:1], v[0:1], v[160:161]
	v_mul_f64 v[160:161], v[242:243], v[198:199]
	v_fma_f64 v[242:243], v[240:241], v[196:197], -v[160:161]
	ds_read_b128 v[160:163], v2 offset:1856
	scratch_load_dwordx4 v[92:95], off, off offset:912
	v_mul_f64 v[46:47], v[166:167], v[194:195]
	s_waitcnt vmcnt(5) lgkmcnt(1)
	v_mul_f64 v[168:169], v[156:157], v[70:71]
	v_fma_f64 v[46:47], v[164:165], v[192:193], -v[46:47]
	v_fmac_f64_e32 v[168:169], v[158:159], v[68:69]
	v_mul_f64 v[164:165], v[246:247], v[202:203]
	v_fma_f64 v[240:241], v[244:245], v[200:201], -v[164:165]
	ds_read_b128 v[164:167], v2 offset:1872
	v_add_f64 v[0:1], v[0:1], v[168:169]
	s_waitcnt vmcnt(4) lgkmcnt(1)
	v_mul_f64 v[168:169], v[160:161], v[78:79]
	v_fmac_f64_e32 v[168:169], v[162:163], v[76:77]
	v_add_f64 v[176:177], v[0:1], v[168:169]
	v_mul_f64 v[0:1], v[250:251], v[218:219]
	v_fma_f64 v[0:1], v[248:249], v[216:217], -v[0:1]
	scratch_load_dwordx4 v[246:249], off, off offset:928
	ds_read_b128 v[168:171], v2 offset:1888
	ds_read_b128 v[172:175], v2 offset:1904
	ds_read_b128 v[192:195], v2 offset:1952
	ds_read_b128 v[200:203], v2 offset:1968
	scratch_load_dwordx4 v[232:235], off, off offset:1024
	ds_read_b128 v[208:211], v2 offset:1984
	ds_read_b128 v[216:219], v2 offset:2000
	;; [unrolled: 1-line block ×3, first 2 shown]
	s_waitcnt vmcnt(5) lgkmcnt(7)
	v_mul_f64 v[178:179], v[164:165], v[74:75]
	v_fmac_f64_e32 v[178:179], v[166:167], v[72:73]
	v_add_f64 v[176:177], v[176:177], v[178:179]
	s_waitcnt vmcnt(4) lgkmcnt(6)
	v_mul_f64 v[178:179], v[168:169], v[82:83]
	v_fmac_f64_e32 v[178:179], v[170:171], v[80:81]
	v_add_f64 v[176:177], v[176:177], v[178:179]
	;; [unrolled: 4-line block ×3, first 2 shown]
	ds_read_b128 v[176:179], v2 offset:1920
	s_waitcnt vmcnt(2) lgkmcnt(0)
	v_mul_f64 v[186:187], v[176:177], v[94:95]
	v_fmac_f64_e32 v[186:187], v[178:179], v[92:93]
	v_add_f64 v[188:189], v[184:185], v[186:187]
	ds_read_b128 v[184:187], v2 offset:1936
	s_waitcnt vmcnt(1) lgkmcnt(0)
	v_mul_f64 v[190:191], v[184:185], v[248:249]
	v_fmac_f64_e32 v[190:191], v[186:187], v[246:247]
	v_add_f64 v[196:197], v[188:189], v[190:191]
	scratch_load_dwordx4 v[188:191], off, off offset:944
	s_waitcnt vmcnt(0)
	v_mul_f64 v[198:199], v[192:193], v[190:191]
	v_fmac_f64_e32 v[198:199], v[194:195], v[188:189]
	v_add_f64 v[204:205], v[196:197], v[198:199]
	scratch_load_dwordx4 v[196:199], off, off offset:960
	s_waitcnt vmcnt(0)
	;; [unrolled: 5-line block ×5, first 2 shown]
	v_mul_f64 v[230:231], v[224:225], v[222:223]
	v_fmac_f64_e32 v[230:231], v[226:227], v[220:221]
	v_add_f64 v[244:245], v[228:229], v[230:231]
	ds_read_b128 v[228:231], v2 offset:2032
	s_waitcnt lgkmcnt(0)
	v_mul_f64 v[2:3], v[228:229], v[234:235]
	v_fmac_f64_e32 v[2:3], v[230:231], v[232:233]
	v_add_f64 v[2:3], v[244:245], v[2:3]
	v_add_f64 v[244:245], v[252:253], 0
	;; [unrolled: 1-line block ×27, first 2 shown]
	scratch_load_dwordx4 v[236:239], off, off offset:64
	v_add_f64 v[4:5], v[6:7], v[4:5]
	v_add_f64 v[4:5], v[4:5], v[46:47]
	;; [unrolled: 1-line block ×3, first 2 shown]
	v_accvgpr_read_b32 v6, a130
	v_add_f64 v[4:5], v[244:245], v[240:241]
	v_accvgpr_read_b32 v8, a132
	v_accvgpr_read_b32 v9, a133
	v_add_f64 v[0:1], v[4:5], v[0:1]
	v_accvgpr_read_b32 v7, a131
	v_mul_f64 v[4:5], v[90:91], v[8:9]
	v_fma_f64 v[4:5], v[88:89], v[6:7], -v[4:5]
	v_accvgpr_read_b32 v6, a134
	v_accvgpr_read_b32 v8, a136
	v_accvgpr_read_b32 v9, a137
	v_add_f64 v[0:1], v[0:1], v[4:5]
	v_accvgpr_read_b32 v7, a135
	v_mul_f64 v[4:5], v[98:99], v[8:9]
	v_fma_f64 v[4:5], v[96:97], v[6:7], -v[4:5]
	v_accvgpr_read_b32 v6, a166
	;; [unrolled: 7-line block ×10, first 2 shown]
	v_accvgpr_read_b32 v8, a164
	v_accvgpr_read_b32 v9, a165
	v_add_f64 v[0:1], v[0:1], v[4:5]
	v_accvgpr_read_b32 v7, a163
	v_mul_f64 v[4:5], v[134:135], v[8:9]
	v_fma_f64 v[4:5], v[132:133], v[6:7], -v[4:5]
	v_add_f64 v[0:1], v[0:1], v[4:5]
	v_mul_f64 v[4:5], v[138:139], v[50:51]
	v_fma_f64 v[4:5], v[136:137], v[48:49], -v[4:5]
	v_add_f64 v[0:1], v[0:1], v[4:5]
	;; [unrolled: 3-line block ×19, first 2 shown]
	s_waitcnt vmcnt(0)
	v_add_f64 v[4:5], v[236:237], -v[0:1]
	v_accvgpr_read_b32 v0, a128
	v_add_f64 v[6:7], v[238:239], -v[2:3]
	v_cmp_lt_u32_e32 vcc, 2, v0
	scratch_store_dwordx4 off, v[4:7], off offset:64
	s_and_saveexec_b64 s[0:1], vcc
	s_cbranch_execz .LBB63_405
; %bb.404:
	scratch_load_dwordx4 v[2:5], off, s88
	v_mov_b32_e32 v6, 0
	v_mov_b32_e32 v7, v6
	;; [unrolled: 1-line block ×4, first 2 shown]
	v_accvgpr_read_b32 v0, a129
	scratch_store_dwordx4 off, v[6:9], off offset:48
	s_waitcnt vmcnt(1)
	ds_write_b128 v0, v[2:5]
.LBB63_405:
	s_or_b64 exec, exec, s[0:1]
	s_waitcnt lgkmcnt(0)
	; wave barrier
	scratch_load_dwordx4 v[8:11], off, off offset:64
	scratch_load_dwordx4 v[12:15], off, off offset:80
	;; [unrolled: 1-line block ×30, first 2 shown]
	v_mov_b32_e32 v2, 0
	ds_read_b128 v[88:91], v2 offset:1072
	ds_read_b128 v[92:95], v2 offset:1088
	;; [unrolled: 1-line block ×19, first 2 shown]
	scratch_load_dwordx4 v[228:231], off, off offset:576
	scratch_load_dwordx4 a[130:133], off, off offset:592
	ds_read_b128 v[240:243], v2 offset:1472
	ds_read_b128 v[244:247], v2 offset:1488
	ds_read_b128 v[248:251], v2 offset:1504
	ds_read_b128 v[252:255], v2 offset:1520
	scratch_load_dwordx4 a[134:137], off, off offset:608
	scratch_load_dwordx4 a[138:141], off, off offset:640
	;; [unrolled: 1-line block ×3, first 2 shown]
	ds_read_b128 v[224:227], v2 offset:1424
	s_waitcnt vmcnt(34) lgkmcnt(14)
	v_mul_f64 v[0:1], v[88:89], v[10:11]
	s_waitcnt vmcnt(33)
	v_mul_f64 v[4:5], v[92:93], v[14:15]
	v_fmac_f64_e32 v[0:1], v[90:91], v[8:9]
	s_waitcnt vmcnt(32)
	v_mul_f64 v[6:7], v[96:97], v[18:19]
	v_fmac_f64_e32 v[4:5], v[94:95], v[12:13]
	v_add_f64 v[0:1], v[0:1], 0
	s_waitcnt vmcnt(31)
	v_mul_f64 v[196:197], v[100:101], v[22:23]
	v_fmac_f64_e32 v[6:7], v[98:99], v[16:17]
	v_add_f64 v[0:1], v[0:1], v[4:5]
	;; [unrolled: 4-line block ×8, first 2 shown]
	s_waitcnt vmcnt(24) lgkmcnt(13)
	v_mul_f64 v[210:211], v[168:169], v[50:51]
	v_fmac_f64_e32 v[208:209], v[166:167], v[44:45]
	v_add_f64 v[0:1], v[0:1], v[206:207]
	s_waitcnt vmcnt(23) lgkmcnt(12)
	v_mul_f64 v[212:213], v[172:173], v[54:55]
	v_fmac_f64_e32 v[210:211], v[170:171], v[48:49]
	v_add_f64 v[0:1], v[0:1], v[208:209]
	;; [unrolled: 4-line block ×4, first 2 shown]
	ds_read_b128 v[196:199], v2 offset:1344
	ds_read_b128 v[204:207], v2 offset:1360
	s_waitcnt vmcnt(20) lgkmcnt(11)
	v_mul_f64 v[218:219], v[184:185], v[66:67]
	v_fmac_f64_e32 v[216:217], v[182:183], v[60:61]
	v_add_f64 v[0:1], v[0:1], v[214:215]
	s_waitcnt vmcnt(19) lgkmcnt(10)
	v_mul_f64 v[220:221], v[188:189], v[70:71]
	v_fmac_f64_e32 v[218:219], v[186:187], v[64:65]
	v_add_f64 v[0:1], v[0:1], v[216:217]
	v_fmac_f64_e32 v[220:221], v[190:191], v[68:69]
	v_add_f64 v[0:1], v[0:1], v[218:219]
	s_waitcnt vmcnt(18) lgkmcnt(9)
	v_mul_f64 v[4:5], v[192:193], v[74:75]
	v_add_f64 v[0:1], v[0:1], v[220:221]
	v_fmac_f64_e32 v[4:5], v[194:195], v[72:73]
	ds_read_b128 v[212:215], v2 offset:1376
	ds_read_b128 v[216:219], v2 offset:1392
	v_add_f64 v[0:1], v[0:1], v[4:5]
	s_waitcnt vmcnt(17) lgkmcnt(3)
	v_mul_f64 v[4:5], v[196:197], v[78:79]
	v_fmac_f64_e32 v[4:5], v[198:199], v[76:77]
	v_add_f64 v[0:1], v[0:1], v[4:5]
	s_waitcnt vmcnt(16) lgkmcnt(2)
	v_mul_f64 v[4:5], v[204:205], v[82:83]
	v_fmac_f64_e32 v[4:5], v[206:207], v[80:81]
	ds_read_b128 v[220:223], v2 offset:1408
	v_add_f64 v[0:1], v[0:1], v[4:5]
	s_waitcnt vmcnt(15) lgkmcnt(2)
	v_mul_f64 v[4:5], v[212:213], v[86:87]
	scratch_load_dwordx4 v[200:203], off, off offset:544
	scratch_load_dwordx4 v[208:211], off, off offset:560
	v_fmac_f64_e32 v[4:5], v[214:215], v[84:85]
	v_add_f64 v[0:1], v[0:1], v[4:5]
	s_waitcnt vmcnt(16) lgkmcnt(1)
	v_mul_f64 v[4:5], v[216:217], v[110:111]
	v_fmac_f64_e32 v[4:5], v[218:219], v[108:109]
	v_add_f64 v[0:1], v[0:1], v[4:5]
	s_waitcnt vmcnt(15) lgkmcnt(0)
	v_mul_f64 v[4:5], v[220:221], v[114:115]
	v_fmac_f64_e32 v[4:5], v[222:223], v[112:113]
	v_add_f64 v[0:1], v[0:1], v[4:5]
	s_waitcnt vmcnt(14)
	v_mul_f64 v[4:5], v[224:225], v[118:119]
	v_fmac_f64_e32 v[4:5], v[226:227], v[116:117]
	v_add_f64 v[0:1], v[0:1], v[4:5]
	s_waitcnt vmcnt(13)
	v_mul_f64 v[4:5], v[232:233], v[122:123]
	v_fmac_f64_e32 v[4:5], v[234:235], v[120:121]
	v_add_f64 v[0:1], v[0:1], v[4:5]
	v_mul_f64 v[4:5], v[90:91], v[10:11]
	v_fma_f64 v[4:5], v[88:89], v[8:9], -v[4:5]
	v_accvgpr_write_b32 a171, v5
	v_accvgpr_write_b32 a170, v4
	s_waitcnt vmcnt(12)
	v_mul_f64 v[4:5], v[236:237], v[126:127]
	v_fmac_f64_e32 v[4:5], v[238:239], v[124:125]
	v_add_f64 v[0:1], v[0:1], v[4:5]
	v_mul_f64 v[4:5], v[94:95], v[14:15]
	v_fma_f64 v[4:5], v[92:93], v[12:13], -v[4:5]
	v_accvgpr_write_b32 a173, v5
	v_accvgpr_write_b32 a172, v4
	s_waitcnt vmcnt(11)
	v_mul_f64 v[4:5], v[240:241], v[130:131]
	v_fmac_f64_e32 v[4:5], v[242:243], v[128:129]
	v_add_f64 v[0:1], v[0:1], v[4:5]
	s_waitcnt vmcnt(10)
	v_mul_f64 v[4:5], v[244:245], v[134:135]
	v_fmac_f64_e32 v[4:5], v[246:247], v[132:133]
	v_add_f64 v[0:1], v[0:1], v[4:5]
	s_waitcnt vmcnt(9)
	v_mul_f64 v[4:5], v[248:249], v[138:139]
	v_mul_f64 v[6:7], v[98:99], v[18:19]
	v_fmac_f64_e32 v[4:5], v[250:251], v[136:137]
	v_fma_f64 v[92:93], v[96:97], v[16:17], -v[6:7]
	scratch_load_dwordx4 v[16:19], off, off offset:624
	v_add_f64 v[0:1], v[0:1], v[4:5]
	v_mul_f64 v[4:5], v[106:107], v[26:27]
	v_mul_f64 v[6:7], v[102:103], v[22:23]
	v_fma_f64 v[88:89], v[104:105], v[24:25], -v[4:5]
	v_mul_f64 v[4:5], v[142:143], v[30:31]
	v_fma_f64 v[90:91], v[100:101], v[20:21], -v[6:7]
	v_fma_f64 v[28:29], v[140:141], v[28:29], -v[4:5]
	ds_read_b128 v[4:7], v2 offset:1536
	s_waitcnt vmcnt(9)
	v_mul_f64 v[8:9], v[252:253], v[146:147]
	v_fmac_f64_e32 v[8:9], v[254:255], v[144:145]
	v_add_f64 v[0:1], v[0:1], v[8:9]
	v_mul_f64 v[20:21], v[158:159], v[38:39]
	s_waitcnt vmcnt(8) lgkmcnt(0)
	v_mul_f64 v[8:9], v[4:5], v[150:151]
	v_fmac_f64_e32 v[8:9], v[6:7], v[148:149]
	v_add_f64 v[0:1], v[0:1], v[8:9]
	v_mul_f64 v[8:9], v[154:155], v[34:35]
	v_fma_f64 v[140:141], v[152:153], v[32:33], -v[8:9]
	ds_read_b128 v[8:11], v2 offset:1552
	scratch_load_dwordx4 a[146:149], off, off offset:672
	scratch_load_dwordx4 v[30:33], off, off offset:688
	v_fma_f64 v[142:143], v[156:157], v[36:37], -v[20:21]
	v_mul_f64 v[20:21], v[162:163], v[42:43]
	v_fma_f64 v[152:153], v[160:161], v[40:41], -v[20:21]
	ds_read_b128 v[160:163], v2 offset:1568
	scratch_load_dwordx4 a[150:153], off, off offset:704
	scratch_load_dwordx4 a[154:157], off, off offset:720
	s_waitcnt vmcnt(10)
	v_accvgpr_read_b32 v12, a130
	v_accvgpr_read_b32 v14, a132
	;; [unrolled: 1-line block ×4, first 2 shown]
	v_mul_f64 v[34:35], v[226:227], v[118:119]
	v_fma_f64 v[34:35], v[224:225], v[116:117], -v[34:35]
	v_mul_f64 v[146:147], v[254:255], v[146:147]
	v_mul_f64 v[134:135], v[246:247], v[134:135]
	;; [unrolled: 1-line block ×4, first 2 shown]
	v_fma_f64 v[4:5], v[4:5], v[148:149], -v[6:7]
	s_waitcnt vmcnt(6) lgkmcnt(1)
	v_mul_f64 v[20:21], v[8:9], v[202:203]
	v_fmac_f64_e32 v[20:21], v[10:11], v[200:201]
	v_add_f64 v[0:1], v[0:1], v[20:21]
	v_mul_f64 v[20:21], v[166:167], v[46:47]
	v_fma_f64 v[154:155], v[164:165], v[44:45], -v[20:21]
	s_waitcnt vmcnt(5) lgkmcnt(0)
	v_mul_f64 v[20:21], v[160:161], v[210:211]
	v_fmac_f64_e32 v[20:21], v[162:163], v[208:209]
	v_add_f64 v[0:1], v[0:1], v[20:21]
	v_mul_f64 v[20:21], v[170:171], v[50:51]
	v_fma_f64 v[156:157], v[168:169], v[48:49], -v[20:21]
	ds_read_b128 v[168:171], v2 offset:1584
	scratch_load_dwordx4 v[44:47], off, off offset:736
	scratch_load_dwordx4 a[158:161], off, off offset:752
	ds_read_b128 v[40:43], v2 offset:1600
	ds_read_b128 v[36:39], v2 offset:1616
	v_mul_f64 v[20:21], v[174:175], v[54:55]
	s_waitcnt lgkmcnt(2)
	v_mul_f64 v[48:49], v[168:169], v[230:231]
	v_fma_f64 v[158:159], v[172:173], v[52:53], -v[20:21]
	v_mul_f64 v[20:21], v[178:179], v[58:59]
	v_fmac_f64_e32 v[48:49], v[170:171], v[228:229]
	v_fma_f64 v[164:165], v[176:177], v[56:57], -v[20:21]
	v_add_f64 v[0:1], v[0:1], v[48:49]
	v_mul_f64 v[48:49], v[182:183], v[62:63]
	s_waitcnt lgkmcnt(1)
	v_mul_f64 v[56:57], v[40:41], v[14:15]
	v_fma_f64 v[166:167], v[180:181], v[60:61], -v[48:49]
	scratch_load_dwordx4 v[48:51], off, off offset:768
	scratch_load_dwordx4 v[52:55], off, off offset:784
	v_fmac_f64_e32 v[56:57], v[42:43], v[12:13]
	v_add_f64 v[0:1], v[0:1], v[56:57]
	v_mul_f64 v[56:57], v[186:187], v[66:67]
	v_fma_f64 v[172:173], v[184:185], v[64:65], -v[56:57]
	v_mul_f64 v[56:57], v[190:191], v[70:71]
	v_fma_f64 v[174:175], v[188:189], v[68:69], -v[56:57]
	scratch_load_dwordx4 v[56:59], off, off offset:800
	v_mul_f64 v[60:61], v[194:195], v[74:75]
	v_fma_f64 v[26:27], v[192:193], v[72:73], -v[60:61]
	v_accvgpr_read_b32 v12, a134
	scratch_load_dwordx4 v[60:63], off, off offset:816
	v_accvgpr_read_b32 v14, a136
	v_accvgpr_read_b32 v15, a137
	ds_read_b128 v[96:99], v2 offset:1632
	ds_read_b128 v[100:103], v2 offset:1648
	v_accvgpr_read_b32 v13, a135
	s_waitcnt lgkmcnt(2)
	v_mul_f64 v[64:65], v[36:37], v[14:15]
	v_fmac_f64_e32 v[64:65], v[38:39], v[12:13]
	v_add_f64 v[0:1], v[0:1], v[64:65]
	v_mul_f64 v[64:65], v[198:199], v[78:79]
	v_fma_f64 v[24:25], v[196:197], v[76:77], -v[64:65]
	scratch_load_dwordx4 v[64:67], off, off offset:832
	s_waitcnt vmcnt(11)
	v_mov_b64_e32 v[12:13], v[16:17]
	v_mov_b64_e32 v[14:15], v[18:19]
	v_mul_f64 v[68:69], v[206:207], v[82:83]
	s_waitcnt lgkmcnt(1)
	v_mul_f64 v[20:21], v[96:97], v[14:15]
	v_fma_f64 v[22:23], v[204:205], v[80:81], -v[68:69]
	scratch_load_dwordx4 v[68:71], off, off offset:848
	v_fmac_f64_e32 v[20:21], v[98:99], v[12:13]
	ds_read_b128 v[104:107], v2 offset:1664
	v_accvgpr_read_b32 v12, a138
	v_accvgpr_read_b32 v14, a140
	;; [unrolled: 1-line block ×3, first 2 shown]
	v_mul_f64 v[72:73], v[218:219], v[110:111]
	v_accvgpr_read_b32 v13, a139
	s_waitcnt lgkmcnt(1)
	v_mul_f64 v[80:81], v[100:101], v[14:15]
	v_fma_f64 v[94:95], v[216:217], v[108:109], -v[72:73]
	scratch_load_dwordx4 v[76:79], off, off offset:864
	scratch_load_dwordx4 v[72:75], off, off offset:880
	v_fmac_f64_e32 v[80:81], v[102:103], v[12:13]
	v_accvgpr_read_b32 v12, a142
	ds_read_b128 v[108:111], v2 offset:1680
	v_add_f64 v[0:1], v[0:1], v[20:21]
	v_accvgpr_read_b32 v14, a144
	v_accvgpr_read_b32 v15, a145
	v_accvgpr_write_b32 a165, v19
	v_add_f64 v[0:1], v[0:1], v[80:81]
	v_accvgpr_read_b32 v13, a143
	s_waitcnt lgkmcnt(1)
	v_mul_f64 v[176:177], v[104:105], v[14:15]
	v_mul_f64 v[80:81], v[222:223], v[114:115]
	v_accvgpr_write_b32 a164, v18
	v_accvgpr_write_b32 a163, v17
	;; [unrolled: 1-line block ×3, first 2 shown]
	v_fmac_f64_e32 v[176:177], v[106:107], v[12:13]
	v_fma_f64 v[18:19], v[220:221], v[112:113], -v[80:81]
	ds_read_b128 v[112:115], v2 offset:1696
	s_waitcnt vmcnt(13)
	v_accvgpr_read_b32 v12, a146
	v_accvgpr_read_b32 v14, a148
	;; [unrolled: 1-line block ×3, first 2 shown]
	v_mul_f64 v[20:21], v[214:215], v[86:87]
	scratch_load_dwordx4 v[80:83], off, off offset:896
	v_accvgpr_read_b32 v13, a147
	s_waitcnt lgkmcnt(1)
	v_mul_f64 v[116:117], v[108:109], v[14:15]
	v_fma_f64 v[20:21], v[212:213], v[84:85], -v[20:21]
	v_mul_f64 v[84:85], v[234:235], v[122:123]
	v_fmac_f64_e32 v[116:117], v[110:111], v[12:13]
	s_waitcnt vmcnt(13)
	v_mov_b64_e32 v[12:13], v[30:31]
	v_fma_f64 v[232:233], v[232:233], v[120:121], -v[84:85]
	scratch_load_dwordx4 v[84:87], off, off offset:912
	v_mov_b64_e32 v[14:15], v[32:33]
	s_waitcnt lgkmcnt(0)
	v_mul_f64 v[120:121], v[112:113], v[14:15]
	v_fmac_f64_e32 v[120:121], v[114:115], v[12:13]
	v_fma_f64 v[12:13], v[252:253], v[144:145], -v[146:147]
	scratch_load_dwordx4 v[252:255], off, off offset:928
	scratch_load_dwordx4 v[180:183], off, off offset:944
	;; [unrolled: 1-line block ×7, first 2 shown]
	v_add_f64 v[0:1], v[0:1], v[176:177]
	v_add_f64 v[0:1], v[0:1], v[116:117]
	ds_read_b128 v[116:119], v2 offset:1712
	v_add_f64 v[0:1], v[0:1], v[120:121]
	v_mul_f64 v[120:121], v[238:239], v[126:127]
	v_accvgpr_mov_b32 a169, a149
	v_fma_f64 v[16:17], v[236:237], v[124:125], -v[120:121]
	s_waitcnt vmcnt(20)
	v_accvgpr_read_b32 v237, a153
	v_accvgpr_mov_b32 a168, a148
	v_accvgpr_mov_b32 a167, a147
	;; [unrolled: 1-line block ×3, first 2 shown]
	v_accvgpr_write_b32 a149, v33
	v_accvgpr_read_b32 v236, a152
	v_accvgpr_write_b32 a148, v32
	v_accvgpr_write_b32 a147, v31
	;; [unrolled: 1-line block ×3, first 2 shown]
	ds_read_b128 v[120:123], v2 offset:1728
	v_accvgpr_read_b32 v235, a151
	v_accvgpr_read_b32 v234, a150
	s_waitcnt lgkmcnt(1)
	v_mul_f64 v[32:33], v[116:117], v[236:237]
	v_fmac_f64_e32 v[32:33], v[118:119], v[234:235]
	v_add_f64 v[0:1], v[0:1], v[32:33]
	v_mul_f64 v[32:33], v[242:243], v[130:131]
	v_fma_f64 v[32:33], v[240:241], v[128:129], -v[32:33]
	s_waitcnt vmcnt(19)
	v_accvgpr_read_b32 v241, a157
	v_accvgpr_read_b32 v240, a156
	ds_read_b128 v[124:127], v2 offset:1744
	v_accvgpr_read_b32 v239, a155
	v_accvgpr_read_b32 v238, a154
	s_waitcnt lgkmcnt(1)
	v_mul_f64 v[128:129], v[120:121], v[240:241]
	v_fmac_f64_e32 v[128:129], v[122:123], v[238:239]
	v_add_f64 v[0:1], v[0:1], v[128:129]
	ds_read_b128 v[128:131], v2 offset:1760
	v_fma_f64 v[242:243], v[244:245], v[132:133], -v[134:135]
	ds_read_b128 v[132:135], v2 offset:1776
	s_waitcnt vmcnt(18) lgkmcnt(2)
	v_mul_f64 v[176:177], v[124:125], v[46:47]
	s_waitcnt vmcnt(17)
	v_accvgpr_read_b32 v237, a161
	v_fmac_f64_e32 v[176:177], v[126:127], v[44:45]
	v_accvgpr_read_b32 v236, a160
	v_fma_f64 v[14:15], v[248:249], v[136:137], -v[138:139]
	ds_read_b128 v[136:139], v2 offset:1792
	v_add_f64 v[0:1], v[0:1], v[176:177]
	v_accvgpr_read_b32 v235, a159
	v_accvgpr_read_b32 v234, a158
	s_waitcnt lgkmcnt(2)
	v_mul_f64 v[176:177], v[128:129], v[236:237]
	ds_read_b128 v[244:247], v2 offset:1808
	ds_read_b128 v[144:147], v2 offset:1824
	v_fmac_f64_e32 v[176:177], v[130:131], v[234:235]
	v_add_f64 v[0:1], v[0:1], v[176:177]
	s_waitcnt vmcnt(16) lgkmcnt(3)
	v_mul_f64 v[176:177], v[132:133], v[50:51]
	v_fmac_f64_e32 v[176:177], v[134:135], v[48:49]
	v_add_f64 v[0:1], v[0:1], v[176:177]
	s_waitcnt vmcnt(15) lgkmcnt(2)
	v_mul_f64 v[176:177], v[136:137], v[54:55]
	v_fmac_f64_e32 v[176:177], v[138:139], v[52:53]
	s_waitcnt vmcnt(14) lgkmcnt(1)
	v_mul_f64 v[30:31], v[244:245], v[58:59]
	v_accvgpr_write_b32 a155, v5
	v_add_f64 v[0:1], v[0:1], v[176:177]
	v_fmac_f64_e32 v[30:31], v[246:247], v[56:57]
	v_accvgpr_write_b32 a154, v4
	ds_read_b128 v[148:151], v2 offset:1840
	s_waitcnt vmcnt(13) lgkmcnt(1)
	v_mul_f64 v[4:5], v[144:145], v[62:63]
	v_add_f64 v[0:1], v[0:1], v[30:31]
	v_fmac_f64_e32 v[4:5], v[146:147], v[60:61]
	v_mul_f64 v[10:11], v[10:11], v[202:203]
	v_add_f64 v[0:1], v[0:1], v[4:5]
	ds_read_b128 v[4:7], v2 offset:1856
	v_fma_f64 v[8:9], v[8:9], v[200:201], -v[10:11]
	v_accvgpr_write_b32 a157, v9
	v_accvgpr_write_b32 a156, v8
	ds_read_b128 v[8:11], v2 offset:1872
	s_waitcnt vmcnt(12) lgkmcnt(2)
	v_mul_f64 v[30:31], v[148:149], v[66:67]
	v_fmac_f64_e32 v[30:31], v[150:151], v[64:65]
	v_mul_f64 v[162:163], v[162:163], v[210:211]
	v_add_f64 v[0:1], v[0:1], v[30:31]
	s_waitcnt vmcnt(11) lgkmcnt(1)
	v_mul_f64 v[30:31], v[4:5], v[70:71]
	v_fma_f64 v[160:161], v[160:161], v[208:209], -v[162:163]
	v_fmac_f64_e32 v[30:31], v[6:7], v[68:69]
	v_accvgpr_write_b32 a158, v160
	v_accvgpr_write_b32 a159, v161
	ds_read_b128 v[160:163], v2 offset:1888
	v_add_f64 v[0:1], v[0:1], v[30:31]
	s_waitcnt vmcnt(10) lgkmcnt(1)
	v_mul_f64 v[30:31], v[8:9], v[78:79]
	v_fmac_f64_e32 v[30:31], v[10:11], v[76:77]
	v_add_f64 v[0:1], v[0:1], v[30:31]
	ds_read_b128 v[248:251], v2 offset:1904
	v_mul_f64 v[30:31], v[170:171], v[230:231]
	v_fma_f64 v[30:31], v[168:169], v[228:229], -v[30:31]
	v_accvgpr_write_b32 a161, v31
	ds_read_b128 v[168:171], v2 offset:1920
	v_accvgpr_write_b32 a160, v30
	s_waitcnt vmcnt(9) lgkmcnt(2)
	v_mul_f64 v[30:31], v[160:161], v[74:75]
	v_fmac_f64_e32 v[30:31], v[162:163], v[72:73]
	ds_read_b128 v[176:179], v2 offset:1936
	ds_read_b128 v[184:187], v2 offset:1952
	v_add_f64 v[0:1], v[0:1], v[30:31]
	s_waitcnt vmcnt(8) lgkmcnt(3)
	v_mul_f64 v[30:31], v[248:249], v[82:83]
	v_fmac_f64_e32 v[30:31], v[250:251], v[80:81]
	v_add_f64 v[0:1], v[0:1], v[30:31]
	s_waitcnt vmcnt(7) lgkmcnt(2)
	v_mul_f64 v[30:31], v[168:169], v[86:87]
	v_fmac_f64_e32 v[30:31], v[170:171], v[84:85]
	ds_read_b128 v[192:195], v2 offset:1968
	ds_read_b128 v[200:203], v2 offset:1984
	v_add_f64 v[0:1], v[0:1], v[30:31]
	s_waitcnt vmcnt(6) lgkmcnt(3)
	v_mul_f64 v[30:31], v[176:177], v[254:255]
	v_fmac_f64_e32 v[30:31], v[178:179], v[252:253]
	v_add_f64 v[0:1], v[0:1], v[30:31]
	s_waitcnt vmcnt(5) lgkmcnt(2)
	v_mul_f64 v[30:31], v[184:185], v[182:183]
	v_fmac_f64_e32 v[30:31], v[186:187], v[180:181]
	ds_read_b128 v[208:211], v2 offset:2000
	ds_read_b128 v[216:219], v2 offset:2016
	v_add_f64 v[0:1], v[0:1], v[30:31]
	s_waitcnt vmcnt(4) lgkmcnt(3)
	v_mul_f64 v[30:31], v[192:193], v[190:191]
	v_fmac_f64_e32 v[30:31], v[194:195], v[188:189]
	v_add_f64 v[0:1], v[0:1], v[30:31]
	s_waitcnt vmcnt(3) lgkmcnt(2)
	v_mul_f64 v[30:31], v[200:201], v[198:199]
	v_fmac_f64_e32 v[30:31], v[202:203], v[196:197]
	ds_read_b128 v[224:227], v2 offset:2032
	v_add_f64 v[0:1], v[0:1], v[30:31]
	s_waitcnt vmcnt(2) lgkmcnt(2)
	v_mul_f64 v[30:31], v[208:209], v[206:207]
	v_fmac_f64_e32 v[30:31], v[210:211], v[204:205]
	v_add_f64 v[0:1], v[0:1], v[30:31]
	s_waitcnt vmcnt(1) lgkmcnt(1)
	v_mul_f64 v[30:31], v[216:217], v[214:215]
	v_fmac_f64_e32 v[30:31], v[218:219], v[212:213]
	;; [unrolled: 4-line block ×3, first 2 shown]
	v_add_f64 v[0:1], v[0:1], v[30:31]
	v_accvgpr_read_b32 v30, a170
	v_accvgpr_read_b32 v31, a171
	;; [unrolled: 1-line block ×3, first 2 shown]
	v_add_f64 v[30:31], v[30:31], 0
	v_accvgpr_read_b32 v228, a172
	v_add_f64 v[30:31], v[30:31], v[228:229]
	v_add_f64 v[30:31], v[30:31], v[92:93]
	;; [unrolled: 1-line block ×16, first 2 shown]
	scratch_load_dwordx4 v[228:231], off, off offset:48
	v_add_f64 v[24:25], v[26:27], v[24:25]
	v_add_f64 v[22:23], v[24:25], v[22:23]
	v_add_f64 v[20:21], v[22:23], v[20:21]
	v_add_f64 v[20:21], v[20:21], v[94:95]
	v_add_f64 v[18:19], v[20:21], v[18:19]
	v_add_f64 v[18:19], v[18:19], v[34:35]
	v_add_f64 v[18:19], v[18:19], v[232:233]
	v_add_f64 v[16:17], v[18:19], v[16:17]
	v_add_f64 v[16:17], v[16:17], v[32:33]
	v_add_f64 v[16:17], v[16:17], v[242:243]
	v_add_f64 v[14:15], v[16:17], v[14:15]
	v_add_f64 v[242:243], v[14:15], v[12:13]
	v_accvgpr_read_b32 v12, a154
	v_accvgpr_read_b32 v13, a155
	;; [unrolled: 1-line block ×3, first 2 shown]
	v_add_f64 v[12:13], v[242:243], v[12:13]
	v_accvgpr_read_b32 v15, a157
	v_add_f64 v[12:13], v[12:13], v[14:15]
	v_accvgpr_read_b32 v14, a158
	v_accvgpr_read_b32 v15, a159
	v_add_f64 v[12:13], v[12:13], v[14:15]
	v_accvgpr_read_b32 v14, a160
	v_accvgpr_read_b32 v16, a130
	;; [unrolled: 1-line block ×5, first 2 shown]
	v_add_f64 v[12:13], v[12:13], v[14:15]
	v_accvgpr_read_b32 v17, a131
	v_mul_f64 v[14:15], v[42:43], v[18:19]
	v_fma_f64 v[14:15], v[40:41], v[16:17], -v[14:15]
	v_accvgpr_read_b32 v16, a134
	v_accvgpr_read_b32 v18, a136
	v_accvgpr_read_b32 v19, a137
	v_add_f64 v[12:13], v[12:13], v[14:15]
	v_accvgpr_read_b32 v17, a135
	v_mul_f64 v[14:15], v[38:39], v[18:19]
	v_fma_f64 v[14:15], v[36:37], v[16:17], -v[14:15]
	v_accvgpr_read_b32 v16, a162
	v_accvgpr_read_b32 v18, a164
	v_accvgpr_read_b32 v19, a165
	;; [unrolled: 7-line block ×7, first 2 shown]
	v_add_f64 v[12:13], v[12:13], v[14:15]
	v_accvgpr_read_b32 v17, a151
	v_mul_f64 v[14:15], v[118:119], v[18:19]
	v_fma_f64 v[14:15], v[116:117], v[16:17], -v[14:15]
	v_add_f64 v[12:13], v[12:13], v[14:15]
	v_mul_f64 v[14:15], v[122:123], v[240:241]
	v_fma_f64 v[14:15], v[120:121], v[238:239], -v[14:15]
	v_add_f64 v[12:13], v[12:13], v[14:15]
	;; [unrolled: 3-line block ×8, first 2 shown]
	v_mul_f64 v[14:15], v[150:151], v[66:67]
	v_fma_f64 v[14:15], v[148:149], v[64:65], -v[14:15]
	v_mul_f64 v[6:7], v[6:7], v[70:71]
	v_add_f64 v[12:13], v[12:13], v[14:15]
	v_fma_f64 v[4:5], v[4:5], v[68:69], -v[6:7]
	v_mul_f64 v[6:7], v[10:11], v[78:79]
	v_add_f64 v[4:5], v[12:13], v[4:5]
	v_fma_f64 v[6:7], v[8:9], v[76:77], -v[6:7]
	v_add_f64 v[4:5], v[4:5], v[6:7]
	v_mul_f64 v[6:7], v[162:163], v[74:75]
	v_fma_f64 v[6:7], v[160:161], v[72:73], -v[6:7]
	v_add_f64 v[4:5], v[4:5], v[6:7]
	v_mul_f64 v[6:7], v[250:251], v[82:83]
	;; [unrolled: 3-line block ×10, first 2 shown]
	v_fma_f64 v[6:7], v[224:225], v[220:221], -v[6:7]
	v_add_f64 v[4:5], v[4:5], v[6:7]
	s_waitcnt vmcnt(0)
	v_add_f64 v[6:7], v[230:231], -v[0:1]
	v_accvgpr_read_b32 v0, a128
	v_add_f64 v[4:5], v[228:229], -v[4:5]
	v_cmp_lt_u32_e32 vcc, 1, v0
	scratch_store_dwordx4 off, v[4:7], off offset:48
	s_and_saveexec_b64 s[0:1], vcc
	s_cbranch_execz .LBB63_407
; %bb.406:
	scratch_load_dwordx4 v[6:9], off, s89
	v_mov_b32_e32 v3, v2
	v_mov_b32_e32 v4, v2
	;; [unrolled: 1-line block ×3, first 2 shown]
	v_accvgpr_read_b32 v0, a129
	scratch_store_dwordx4 off, v[2:5], off offset:32
	s_waitcnt vmcnt(1)
	ds_write_b128 v0, v[6:9]
.LBB63_407:
	s_or_b64 exec, exec, s[0:1]
	s_waitcnt lgkmcnt(0)
	; wave barrier
	scratch_load_dwordx4 v[4:7], off, off offset:48
	scratch_load_dwordx4 v[38:41], off, off offset:64
	;; [unrolled: 1-line block ×17, first 2 shown]
	ds_read_b128 v[156:159], v2 offset:1056
	ds_read_b128 v[148:151], v2 offset:1072
	scratch_load_dwordx4 v[76:79], off, off offset:320
	ds_read_b128 v[172:175], v2 offset:1088
	ds_read_b128 v[164:167], v2 offset:1104
	;; [unrolled: 1-line block ×6, first 2 shown]
	scratch_load_dwordx4 v[80:83], off, off offset:336
	ds_read_b128 v[124:127], v2 offset:1184
	ds_read_b128 v[100:103], v2 offset:1200
	;; [unrolled: 1-line block ×3, first 2 shown]
	scratch_load_dwordx4 v[84:87], off, off offset:352
	ds_read_b128 v[140:143], v2 offset:1232
	ds_read_b128 v[128:131], v2 offset:1248
	;; [unrolled: 1-line block ×3, first 2 shown]
	scratch_load_dwordx4 v[108:111], off, off offset:368
	ds_read_b128 v[144:147], v2 offset:1280
	ds_read_b128 v[136:139], v2 offset:1296
	scratch_load_dwordx4 v[112:115], off, off offset:384
	ds_read_b128 v[168:171], v2 offset:1312
	scratch_load_dwordx4 v[116:119], off, off offset:400
	scratch_load_dwordx4 v[152:155], off, off offset:416
	;; [unrolled: 1-line block ×8, first 2 shown]
	ds_read_b128 v[196:199], v2 offset:1328
	scratch_load_dwordx4 v[228:231], off, off offset:560
	scratch_load_dwordx4 a[130:133], off, off offset:576
	;; [unrolled: 1-line block ×4, first 2 shown]
	ds_read_b128 v[232:235], v2 offset:1424
	ds_read_b128 v[236:239], v2 offset:1440
	s_waitcnt vmcnt(33) lgkmcnt(14)
	v_mul_f64 v[0:1], v[156:157], v[6:7]
	s_waitcnt vmcnt(32)
	v_mul_f64 v[16:17], v[148:149], v[40:41]
	v_fmac_f64_e32 v[0:1], v[158:159], v[4:5]
	s_waitcnt vmcnt(31)
	v_mul_f64 v[18:19], v[172:173], v[36:37]
	v_fmac_f64_e32 v[16:17], v[150:151], v[38:39]
	v_add_f64 v[0:1], v[0:1], 0
	s_waitcnt vmcnt(30)
	v_mul_f64 v[200:201], v[164:165], v[12:13]
	v_fmac_f64_e32 v[18:19], v[174:175], v[34:35]
	v_add_f64 v[0:1], v[0:1], v[16:17]
	;; [unrolled: 4-line block ×3, first 2 shown]
	v_fmac_f64_e32 v[202:203], v[134:135], v[26:27]
	v_add_f64 v[0:1], v[0:1], v[200:201]
	v_add_f64 v[0:1], v[0:1], v[202:203]
	scratch_load_dwordx4 v[200:203], off, off offset:528
	s_waitcnt vmcnt(29)
	v_mul_f64 v[204:205], v[120:121], v[24:25]
	s_waitcnt vmcnt(28) lgkmcnt(13)
	v_mul_f64 v[206:207], v[96:97], v[246:247]
	v_fmac_f64_e32 v[204:205], v[122:123], v[22:23]
	s_waitcnt vmcnt(27) lgkmcnt(12)
	v_mul_f64 v[208:209], v[88:89], v[32:33]
	v_fmac_f64_e32 v[206:207], v[98:99], v[244:245]
	v_add_f64 v[0:1], v[0:1], v[204:205]
	s_waitcnt vmcnt(26) lgkmcnt(11)
	v_mul_f64 v[210:211], v[124:125], v[250:251]
	v_fmac_f64_e32 v[208:209], v[90:91], v[30:31]
	v_add_f64 v[0:1], v[0:1], v[206:207]
	;; [unrolled: 4-line block ×9, first 2 shown]
	ds_read_b128 v[204:207], v2 offset:1344
	v_fmac_f64_e32 v[224:225], v[138:139], v[68:69]
	v_add_f64 v[0:1], v[0:1], v[222:223]
	s_waitcnt vmcnt(18) lgkmcnt(4)
	v_mul_f64 v[16:17], v[168:169], v[74:75]
	v_add_f64 v[0:1], v[0:1], v[224:225]
	v_fmac_f64_e32 v[16:17], v[170:171], v[72:73]
	ds_read_b128 v[212:215], v2 offset:1360
	ds_read_b128 v[216:219], v2 offset:1376
	v_add_f64 v[0:1], v[0:1], v[16:17]
	s_waitcnt vmcnt(17) lgkmcnt(5)
	v_mul_f64 v[16:17], v[196:197], v[78:79]
	v_fmac_f64_e32 v[16:17], v[198:199], v[76:77]
	v_add_f64 v[0:1], v[0:1], v[16:17]
	scratch_load_dwordx4 v[208:211], off, off offset:544
	s_waitcnt vmcnt(17) lgkmcnt(2)
	v_mul_f64 v[16:17], v[204:205], v[82:83]
	v_fmac_f64_e32 v[16:17], v[206:207], v[80:81]
	ds_read_b128 v[220:223], v2 offset:1392
	ds_read_b128 v[224:227], v2 offset:1408
	v_add_f64 v[0:1], v[0:1], v[16:17]
	s_waitcnt vmcnt(16) lgkmcnt(3)
	v_mul_f64 v[16:17], v[212:213], v[86:87]
	v_fmac_f64_e32 v[16:17], v[214:215], v[84:85]
	v_add_f64 v[0:1], v[0:1], v[16:17]
	s_waitcnt vmcnt(15) lgkmcnt(2)
	v_mul_f64 v[16:17], v[216:217], v[110:111]
	v_fmac_f64_e32 v[16:17], v[218:219], v[108:109]
	;; [unrolled: 4-line block ×4, first 2 shown]
	s_waitcnt vmcnt(12)
	v_mul_f64 v[240:241], v[232:233], v[154:155]
	v_mul_f64 v[6:7], v[158:159], v[6:7]
	v_add_f64 v[0:1], v[0:1], v[16:17]
	v_fmac_f64_e32 v[240:241], v[234:235], v[152:153]
	v_fma_f64 v[50:51], v[156:157], v[4:5], -v[6:7]
	s_waitcnt vmcnt(11)
	v_mul_f64 v[6:7], v[236:237], v[162:163]
	v_add_f64 v[0:1], v[0:1], v[240:241]
	v_fmac_f64_e32 v[6:7], v[238:239], v[160:161]
	ds_read_b128 v[156:159], v2 offset:1456
	v_add_f64 v[0:1], v[0:1], v[6:7]
	v_mul_f64 v[6:7], v[150:151], v[40:41]
	v_fma_f64 v[44:45], v[148:149], v[38:39], -v[6:7]
	v_mul_f64 v[8:9], v[174:175], v[36:37]
	ds_read_b128 v[148:151], v2 offset:1472
	v_fma_f64 v[42:43], v[172:173], v[34:35], -v[8:9]
	v_mul_f64 v[8:9], v[166:167], v[12:13]
	v_fma_f64 v[38:39], v[164:165], v[10:11], -v[8:9]
	ds_read_b128 v[164:167], v2 offset:1488
	ds_read_b128 v[172:175], v2 offset:1504
	scratch_load_dwordx4 v[8:11], off, off offset:624
	s_waitcnt vmcnt(11) lgkmcnt(3)
	v_mul_f64 v[240:241], v[156:157], v[178:179]
	v_fmac_f64_e32 v[240:241], v[158:159], v[176:177]
	s_waitcnt vmcnt(10) lgkmcnt(2)
	v_mul_f64 v[12:13], v[148:149], v[182:183]
	v_add_f64 v[0:1], v[0:1], v[240:241]
	v_fmac_f64_e32 v[12:13], v[150:151], v[180:181]
	v_add_f64 v[0:1], v[0:1], v[12:13]
	s_waitcnt vmcnt(9) lgkmcnt(1)
	v_mul_f64 v[12:13], v[164:165], v[186:187]
	v_fmac_f64_e32 v[12:13], v[166:167], v[184:185]
	v_add_f64 v[0:1], v[0:1], v[12:13]
	v_mul_f64 v[12:13], v[122:123], v[24:25]
	v_mul_f64 v[20:21], v[134:135], v[28:29]
	v_fma_f64 v[28:29], v[120:121], v[22:23], -v[12:13]
	scratch_load_dwordx4 v[120:123], off, off offset:640
	ds_read_b128 v[240:243], v2 offset:1520
	s_waitcnt vmcnt(9) lgkmcnt(1)
	v_mul_f64 v[24:25], v[172:173], v[190:191]
	v_fmac_f64_e32 v[24:25], v[174:175], v[188:189]
	v_add_f64 v[0:1], v[0:1], v[24:25]
	v_fma_f64 v[34:35], v[132:133], v[26:27], -v[20:21]
	s_waitcnt vmcnt(8) lgkmcnt(0)
	v_mul_f64 v[24:25], v[240:241], v[194:195]
	v_fmac_f64_e32 v[24:25], v[242:243], v[192:193]
	v_add_f64 v[0:1], v[0:1], v[24:25]
	v_mul_f64 v[24:25], v[98:99], v[246:247]
	v_fma_f64 v[26:27], v[96:97], v[244:245], -v[24:25]
	ds_read_b128 v[244:247], v2 offset:1536
	scratch_load_dwordx4 a[142:145], off, off offset:656
	scratch_load_dwordx4 v[132:135], off, off offset:672
	v_mul_f64 v[18:19], v[90:91], v[32:33]
	v_mul_f64 v[32:33], v[126:127], v[250:251]
	v_fma_f64 v[22:23], v[88:89], v[30:31], -v[18:19]
	v_fma_f64 v[18:19], v[124:125], v[248:249], -v[32:33]
	scratch_load_dwordx4 v[124:127], off, off offset:688
	scratch_load_dwordx4 a[146:149], off, off offset:704
	s_waitcnt vmcnt(7) lgkmcnt(0)
	v_mul_f64 v[20:21], v[244:245], v[202:203]
	v_fmac_f64_e32 v[20:21], v[246:247], v[200:201]
	v_add_f64 v[0:1], v[0:1], v[20:21]
	v_mul_f64 v[20:21], v[102:103], v[254:255]
	v_mul_f64 v[24:25], v[142:143], v[54:55]
	ds_read_b128 v[248:251], v2 offset:1552
	v_fma_f64 v[20:21], v[100:101], v[252:253], -v[20:21]
	ds_read_b128 v[252:255], v2 offset:1568
	v_fma_f64 v[24:25], v[140:141], v[52:53], -v[24:25]
	scratch_load_dwordx4 a[150:153], off, off offset:720
	scratch_load_dwordx4 v[140:143], off, off offset:736
	;; [unrolled: 1-line block ×4, first 2 shown]
	ds_read_b128 v[88:91], v2 offset:1584
	v_mul_f64 v[40:41], v[94:95], v[48:49]
	s_waitcnt vmcnt(10) lgkmcnt(2)
	v_mul_f64 v[36:37], v[248:249], v[210:211]
	v_fma_f64 v[16:17], v[92:93], v[46:47], -v[40:41]
	v_accvgpr_read_b32 v4, a130
	ds_read_b128 v[92:95], v2 offset:1600
	v_fmac_f64_e32 v[36:37], v[250:251], v[208:209]
	v_mul_f64 v[48:49], v[130:131], v[58:59]
	s_waitcnt lgkmcnt(2)
	v_mul_f64 v[30:31], v[252:253], v[230:231]
	v_accvgpr_read_b32 v6, a132
	v_accvgpr_read_b32 v7, a133
	v_add_f64 v[0:1], v[0:1], v[36:37]
	v_fma_f64 v[14:15], v[128:129], v[56:57], -v[48:49]
	v_fmac_f64_e32 v[30:31], v[254:255], v[228:229]
	v_accvgpr_read_b32 v5, a131
	s_waitcnt lgkmcnt(1)
	v_mul_f64 v[56:57], v[88:89], v[6:7]
	v_add_f64 v[0:1], v[0:1], v[30:31]
	v_fmac_f64_e32 v[56:57], v[90:91], v[4:5]
	v_accvgpr_read_b32 v4, a134
	v_mul_f64 v[30:31], v[106:107], v[62:63]
	v_add_f64 v[0:1], v[0:1], v[56:57]
	v_mul_f64 v[56:57], v[146:147], v[66:67]
	v_accvgpr_read_b32 v6, a136
	v_accvgpr_read_b32 v7, a137
	v_fma_f64 v[30:31], v[104:105], v[60:61], -v[30:31]
	v_fma_f64 v[12:13], v[144:145], v[64:65], -v[56:57]
	scratch_load_dwordx4 v[56:59], off, off offset:784
	v_mul_f64 v[60:61], v[170:171], v[74:75]
	v_accvgpr_read_b32 v5, a135
	s_waitcnt lgkmcnt(0)
	v_mul_f64 v[64:65], v[92:93], v[6:7]
	v_fma_f64 v[168:169], v[168:169], v[72:73], -v[60:61]
	v_fmac_f64_e32 v[64:65], v[94:95], v[4:5]
	scratch_load_dwordx4 v[60:63], off, off offset:800
	v_add_f64 v[0:1], v[0:1], v[64:65]
	v_mul_f64 v[64:65], v[198:199], v[78:79]
	ds_read_b128 v[96:99], v2 offset:1616
	ds_read_b128 v[100:103], v2 offset:1632
	v_fma_f64 v[170:171], v[196:197], v[76:77], -v[64:65]
	scratch_load_dwordx4 v[64:67], off, off offset:816
	v_accvgpr_read_b32 v4, a138
	v_mul_f64 v[32:33], v[138:139], v[70:71]
	v_accvgpr_read_b32 v6, a140
	v_accvgpr_read_b32 v7, a141
	v_fma_f64 v[32:33], v[136:137], v[68:69], -v[32:33]
	v_accvgpr_read_b32 v5, a139
	s_waitcnt lgkmcnt(1)
	v_mul_f64 v[72:73], v[96:97], v[6:7]
	v_mul_f64 v[68:69], v[206:207], v[82:83]
	v_fmac_f64_e32 v[72:73], v[98:99], v[4:5]
	v_fma_f64 v[196:197], v[204:205], v[80:81], -v[68:69]
	scratch_load_dwordx4 v[68:71], off, off offset:832
	v_add_f64 v[0:1], v[0:1], v[72:73]
	v_mul_f64 v[72:73], v[214:215], v[86:87]
	v_fma_f64 v[198:199], v[212:213], v[84:85], -v[72:73]
	s_waitcnt vmcnt(13)
	v_mov_b64_e32 v[4:5], v[8:9]
	v_mul_f64 v[72:73], v[218:219], v[110:111]
	ds_read_b128 v[104:107], v2 offset:1648
	v_mov_b64_e32 v[6:7], v[10:11]
	v_fma_f64 v[10:11], v[216:217], v[108:109], -v[72:73]
	scratch_load_dwordx4 v[76:79], off, off offset:848
	scratch_load_dwordx4 v[72:75], off, off offset:864
	s_waitcnt lgkmcnt(1)
	v_mul_f64 v[80:81], v[100:101], v[6:7]
	v_fmac_f64_e32 v[80:81], v[102:103], v[4:5]
	v_accvgpr_write_b32 a161, v7
	v_add_f64 v[0:1], v[0:1], v[80:81]
	v_mul_f64 v[80:81], v[222:223], v[114:115]
	v_accvgpr_write_b32 a160, v6
	v_accvgpr_write_b32 a159, v5
	;; [unrolled: 1-line block ×3, first 2 shown]
	s_waitcnt vmcnt(14)
	v_mov_b64_e32 v[4:5], v[120:121]
	v_fma_f64 v[8:9], v[220:221], v[112:113], -v[80:81]
	scratch_load_dwordx4 v[80:83], off, off offset:880
	v_mov_b64_e32 v[6:7], v[122:123]
	v_mul_f64 v[84:85], v[234:235], v[154:155]
	s_waitcnt lgkmcnt(0)
	v_mul_f64 v[36:37], v[104:105], v[6:7]
	v_fma_f64 v[6:7], v[232:233], v[152:153], -v[84:85]
	scratch_load_dwordx4 v[84:87], off, off offset:896
	ds_read_b128 v[108:111], v2 offset:1664
	ds_read_b128 v[112:115], v2 offset:1680
	v_mul_f64 v[40:41], v[226:227], v[118:119]
	s_waitcnt vmcnt(15)
	v_accvgpr_read_b32 v46, a142
	v_fmac_f64_e32 v[36:37], v[106:107], v[4:5]
	v_fma_f64 v[40:41], v[224:225], v[116:117], -v[40:41]
	v_accvgpr_read_b32 v48, a144
	v_accvgpr_read_b32 v49, a145
	ds_read_b128 v[116:119], v2 offset:1696
	v_add_f64 v[0:1], v[0:1], v[36:37]
	v_accvgpr_read_b32 v47, a143
	s_waitcnt lgkmcnt(2)
	v_mul_f64 v[36:37], v[108:109], v[48:49]
	v_fmac_f64_e32 v[36:37], v[110:111], v[46:47]
	s_waitcnt vmcnt(14)
	v_mov_b64_e32 v[46:47], v[132:133]
	v_accvgpr_write_b32 a165, v123
	v_mov_b64_e32 v[48:49], v[134:135]
	v_accvgpr_write_b32 a164, v122
	v_accvgpr_write_b32 a163, v121
	;; [unrolled: 1-line block ×3, first 2 shown]
	v_add_f64 v[0:1], v[0:1], v[36:37]
	s_waitcnt lgkmcnt(1)
	v_mul_f64 v[36:37], v[112:113], v[48:49]
	ds_read_b128 v[120:123], v2 offset:1712
	v_accvgpr_mov_b32 a169, a145
	v_fmac_f64_e32 v[36:37], v[114:115], v[46:47]
	s_waitcnt vmcnt(13) lgkmcnt(1)
	v_mul_f64 v[46:47], v[116:117], v[126:127]
	v_accvgpr_write_b32 a173, v127
	v_accvgpr_mov_b32 a168, a144
	v_accvgpr_mov_b32 a167, a143
	;; [unrolled: 1-line block ×3, first 2 shown]
	v_accvgpr_write_b32 a145, v135
	v_fmac_f64_e32 v[46:47], v[118:119], v[124:125]
	v_accvgpr_write_b32 a172, v126
	v_accvgpr_write_b32 a171, v125
	;; [unrolled: 1-line block ×3, first 2 shown]
	ds_read_b128 v[124:127], v2 offset:1728
	v_accvgpr_write_b32 a144, v134
	v_accvgpr_write_b32 a143, v133
	;; [unrolled: 1-line block ×3, first 2 shown]
	s_waitcnt vmcnt(12)
	v_accvgpr_read_b32 v130, a146
	v_accvgpr_read_b32 v132, a148
	;; [unrolled: 1-line block ×3, first 2 shown]
	v_add_f64 v[0:1], v[0:1], v[36:37]
	v_accvgpr_read_b32 v131, a147
	s_waitcnt lgkmcnt(1)
	v_mul_f64 v[128:129], v[120:121], v[132:133]
	s_waitcnt vmcnt(11)
	v_accvgpr_read_b32 v134, a150
	v_add_f64 v[0:1], v[0:1], v[46:47]
	v_fmac_f64_e32 v[128:129], v[122:123], v[130:131]
	v_accvgpr_read_b32 v136, a152
	v_accvgpr_read_b32 v137, a153
	v_add_f64 v[0:1], v[0:1], v[128:129]
	ds_read_b128 v[128:131], v2 offset:1744
	v_accvgpr_read_b32 v135, a151
	s_waitcnt lgkmcnt(1)
	v_mul_f64 v[132:133], v[124:125], v[136:137]
	v_fmac_f64_e32 v[132:133], v[126:127], v[134:135]
	v_mul_f64 v[36:37], v[238:239], v[162:163]
	v_add_f64 v[0:1], v[0:1], v[132:133]
	v_mul_f64 v[132:133], v[150:151], v[182:183]
	v_fma_f64 v[36:37], v[236:237], v[160:161], -v[36:37]
	v_fma_f64 v[236:237], v[148:149], v[180:181], -v[132:133]
	s_waitcnt vmcnt(10)
	v_mov_b64_e32 v[132:133], v[140:141]
	v_mov_b64_e32 v[134:135], v[142:143]
	s_waitcnt lgkmcnt(0)
	v_mul_f64 v[140:141], v[128:129], v[134:135]
	v_accvgpr_write_b32 a177, v135
	v_fmac_f64_e32 v[140:141], v[130:131], v[132:133]
	v_accvgpr_write_b32 a176, v134
	v_accvgpr_write_b32 a175, v133
	;; [unrolled: 1-line block ×3, first 2 shown]
	ds_read_b128 v[132:135], v2 offset:1760
	v_mul_f64 v[136:137], v[166:167], v[186:187]
	v_fma_f64 v[238:239], v[164:165], v[184:185], -v[136:137]
	ds_read_b128 v[136:139], v2 offset:1776
	s_waitcnt vmcnt(9)
	v_accvgpr_read_b32 v142, a154
	v_accvgpr_read_b32 v144, a156
	;; [unrolled: 1-line block ×3, first 2 shown]
	v_add_f64 v[0:1], v[0:1], v[140:141]
	v_accvgpr_read_b32 v143, a155
	s_waitcnt lgkmcnt(1)
	v_mul_f64 v[140:141], v[132:133], v[144:145]
	v_fmac_f64_e32 v[140:141], v[134:135], v[142:143]
	s_waitcnt vmcnt(8) lgkmcnt(0)
	v_mul_f64 v[144:145], v[136:137], v[54:55]
	v_add_f64 v[0:1], v[0:1], v[140:141]
	v_fmac_f64_e32 v[144:145], v[138:139], v[52:53]
	ds_read_b128 v[140:143], v2 offset:1792
	v_add_f64 v[0:1], v[0:1], v[144:145]
	v_mul_f64 v[144:145], v[174:175], v[190:191]
	v_fma_f64 v[4:5], v[172:173], v[188:189], -v[144:145]
	ds_read_b128 v[144:147], v2 offset:1808
	ds_read_b128 v[148:151], v2 offset:1824
	s_waitcnt vmcnt(7) lgkmcnt(2)
	v_mul_f64 v[48:49], v[140:141], v[58:59]
	v_fmac_f64_e32 v[48:49], v[142:143], v[56:57]
	v_mul_f64 v[46:47], v[158:159], v[178:179]
	s_waitcnt vmcnt(6) lgkmcnt(1)
	v_mul_f64 v[152:153], v[144:145], v[62:63]
	v_add_f64 v[0:1], v[0:1], v[48:49]
	v_fmac_f64_e32 v[152:153], v[146:147], v[60:61]
	v_fma_f64 v[46:47], v[156:157], v[176:177], -v[46:47]
	v_add_f64 v[0:1], v[0:1], v[152:153]
	ds_read_b128 v[152:155], v2 offset:1840
	s_waitcnt vmcnt(5) lgkmcnt(1)
	v_mul_f64 v[156:157], v[148:149], v[66:67]
	v_fmac_f64_e32 v[156:157], v[150:151], v[64:65]
	v_add_f64 v[0:1], v[0:1], v[156:157]
	v_mul_f64 v[156:157], v[246:247], v[202:203]
	v_fma_f64 v[244:245], v[244:245], v[200:201], -v[156:157]
	ds_read_b128 v[156:159], v2 offset:1856
	s_waitcnt vmcnt(4) lgkmcnt(1)
	v_mul_f64 v[164:165], v[152:153], v[70:71]
	v_mul_f64 v[48:49], v[242:243], v[194:195]
	v_fmac_f64_e32 v[164:165], v[154:155], v[68:69]
	v_mul_f64 v[160:161], v[250:251], v[210:211]
	v_fma_f64 v[48:49], v[240:241], v[192:193], -v[48:49]
	v_fma_f64 v[240:241], v[248:249], v[208:209], -v[160:161]
	ds_read_b128 v[160:163], v2 offset:1872
	v_add_f64 v[0:1], v[0:1], v[164:165]
	s_waitcnt vmcnt(3) lgkmcnt(1)
	v_mul_f64 v[164:165], v[156:157], v[78:79]
	v_fmac_f64_e32 v[164:165], v[158:159], v[76:77]
	v_add_f64 v[0:1], v[0:1], v[164:165]
	ds_read_b128 v[164:167], v2 offset:1888
	ds_read_b128 v[246:249], v2 offset:1904
	v_mul_f64 v[172:173], v[254:255], v[230:231]
	v_fma_f64 v[242:243], v[252:253], v[228:229], -v[172:173]
	s_waitcnt vmcnt(2) lgkmcnt(2)
	v_mul_f64 v[172:173], v[160:161], v[74:75]
	v_fmac_f64_e32 v[172:173], v[162:163], v[72:73]
	v_add_f64 v[0:1], v[0:1], v[172:173]
	s_waitcnt vmcnt(1) lgkmcnt(1)
	v_mul_f64 v[172:173], v[164:165], v[82:83]
	v_fmac_f64_e32 v[172:173], v[166:167], v[80:81]
	v_add_f64 v[0:1], v[0:1], v[172:173]
	s_waitcnt vmcnt(0) lgkmcnt(0)
	v_mul_f64 v[172:173], v[246:247], v[86:87]
	v_fmac_f64_e32 v[172:173], v[248:249], v[84:85]
	v_add_f64 v[0:1], v[0:1], v[172:173]
	scratch_load_dwordx4 v[172:175], off, off offset:912
	scratch_load_dwordx4 v[250:253], off, off offset:960
	ds_read_b128 v[176:179], v2 offset:1920
	ds_read_b128 v[184:187], v2 offset:1936
	scratch_load_dwordx4 v[232:235], off, off offset:1024
	ds_read_b128 v[192:195], v2 offset:1952
	ds_read_b128 v[208:211], v2 offset:1984
	;; [unrolled: 1-line block ×4, first 2 shown]
	s_waitcnt vmcnt(2) lgkmcnt(5)
	v_mul_f64 v[180:181], v[176:177], v[174:175]
	v_fmac_f64_e32 v[180:181], v[178:179], v[172:173]
	v_add_f64 v[0:1], v[0:1], v[180:181]
	scratch_load_dwordx4 v[180:183], off, off offset:928
	s_waitcnt vmcnt(0) lgkmcnt(4)
	v_mul_f64 v[188:189], v[184:185], v[182:183]
	v_fmac_f64_e32 v[188:189], v[186:187], v[180:181]
	v_add_f64 v[0:1], v[0:1], v[188:189]
	scratch_load_dwordx4 v[188:191], off, off offset:944
	s_waitcnt vmcnt(0) lgkmcnt(3)
	v_mul_f64 v[200:201], v[192:193], v[190:191]
	v_fmac_f64_e32 v[200:201], v[194:195], v[188:189]
	v_add_f64 v[0:1], v[0:1], v[200:201]
	ds_read_b128 v[200:203], v2 offset:1968
	s_waitcnt lgkmcnt(0)
	v_mul_f64 v[204:205], v[200:201], v[252:253]
	v_fmac_f64_e32 v[204:205], v[202:203], v[250:251]
	v_add_f64 v[0:1], v[0:1], v[204:205]
	scratch_load_dwordx4 v[204:207], off, off offset:976
	s_waitcnt vmcnt(0)
	v_mul_f64 v[212:213], v[208:209], v[206:207]
	v_fmac_f64_e32 v[212:213], v[210:211], v[204:205]
	v_add_f64 v[0:1], v[0:1], v[212:213]
	scratch_load_dwordx4 v[212:215], off, off offset:992
	s_waitcnt vmcnt(0)
	;; [unrolled: 5-line block ×3, first 2 shown]
	v_mul_f64 v[228:229], v[224:225], v[222:223]
	v_fmac_f64_e32 v[228:229], v[226:227], v[220:221]
	v_add_f64 v[0:1], v[0:1], v[228:229]
	ds_read_b128 v[228:231], v2 offset:2032
	s_waitcnt lgkmcnt(0)
	v_mul_f64 v[2:3], v[228:229], v[234:235]
	v_fmac_f64_e32 v[2:3], v[230:231], v[232:233]
	v_add_f64 v[2:3], v[0:1], v[2:3]
	v_add_f64 v[0:1], v[50:51], 0
	;; [unrolled: 1-line block ×29, first 2 shown]
	scratch_load_dwordx4 v[236:239], off, off offset:32
	v_add_f64 v[0:1], v[0:1], v[4:5]
	v_accvgpr_read_b32 v6, a130
	v_add_f64 v[0:1], v[0:1], v[48:49]
	v_accvgpr_read_b32 v8, a132
	v_accvgpr_read_b32 v9, a133
	v_add_f64 v[244:245], v[0:1], v[244:245]
	v_accvgpr_read_b32 v7, a131
	v_mul_f64 v[4:5], v[90:91], v[8:9]
	v_add_f64 v[0:1], v[244:245], v[240:241]
	v_fma_f64 v[4:5], v[88:89], v[6:7], -v[4:5]
	v_accvgpr_read_b32 v6, a134
	v_add_f64 v[0:1], v[0:1], v[242:243]
	v_accvgpr_read_b32 v8, a136
	v_accvgpr_read_b32 v9, a137
	v_add_f64 v[0:1], v[0:1], v[4:5]
	v_accvgpr_read_b32 v7, a135
	v_mul_f64 v[4:5], v[94:95], v[8:9]
	v_fma_f64 v[4:5], v[92:93], v[6:7], -v[4:5]
	v_accvgpr_read_b32 v6, a138
	v_accvgpr_read_b32 v8, a140
	v_accvgpr_read_b32 v9, a141
	v_add_f64 v[0:1], v[0:1], v[4:5]
	v_accvgpr_read_b32 v7, a139
	v_mul_f64 v[4:5], v[98:99], v[8:9]
	v_fma_f64 v[4:5], v[96:97], v[6:7], -v[4:5]
	v_accvgpr_read_b32 v6, a158
	;; [unrolled: 7-line block ×10, first 2 shown]
	v_accvgpr_read_b32 v8, a156
	v_accvgpr_read_b32 v9, a157
	v_add_f64 v[0:1], v[0:1], v[4:5]
	v_accvgpr_read_b32 v7, a155
	v_mul_f64 v[4:5], v[134:135], v[8:9]
	v_fma_f64 v[4:5], v[132:133], v[6:7], -v[4:5]
	v_add_f64 v[0:1], v[0:1], v[4:5]
	v_mul_f64 v[4:5], v[138:139], v[54:55]
	v_fma_f64 v[4:5], v[136:137], v[52:53], -v[4:5]
	v_add_f64 v[0:1], v[0:1], v[4:5]
	;; [unrolled: 3-line block ×18, first 2 shown]
	s_waitcnt vmcnt(0)
	v_add_f64 v[4:5], v[236:237], -v[0:1]
	v_accvgpr_read_b32 v0, a128
	v_add_f64 v[6:7], v[238:239], -v[2:3]
	v_cmp_ne_u32_e32 vcc, 0, v0
	scratch_store_dwordx4 off, v[4:7], off offset:32
	s_and_saveexec_b64 s[0:1], vcc
	s_cbranch_execz .LBB63_409
; %bb.408:
	scratch_load_dwordx4 v[2:5], off, off offset:16
	v_mov_b32_e32 v6, 0
	v_mov_b32_e32 v7, v6
	;; [unrolled: 1-line block ×4, first 2 shown]
	v_accvgpr_read_b32 v0, a129
	scratch_store_dwordx4 off, v[6:9], off offset:16
	s_waitcnt vmcnt(1)
	ds_write_b128 v0, v[2:5]
.LBB63_409:
	s_or_b64 exec, exec, s[0:1]
	s_waitcnt lgkmcnt(0)
	; wave barrier
	scratch_load_dwordx4 v[0:3], off, off offset:32
	scratch_load_dwordx4 v[242:245], off, off offset:48
	;; [unrolled: 1-line block ×30, first 2 shown]
	v_mov_b32_e32 v18, 0
	ds_read_b128 v[84:87], v18 offset:1040
	ds_read_b128 v[92:95], v18 offset:1056
	;; [unrolled: 1-line block ×18, first 2 shown]
	s_and_b64 vcc, exec, s[18:19]
	ds_read_b128 v[224:227], v18 offset:1392
	s_waitcnt vmcnt(29) lgkmcnt(14)
	v_mul_f64 v[188:189], v[84:85], v[2:3]
	s_waitcnt vmcnt(28)
	v_mul_f64 v[190:191], v[92:93], v[244:245]
	v_fmac_f64_e32 v[188:189], v[86:87], v[0:1]
	s_waitcnt vmcnt(27)
	v_mul_f64 v[192:193], v[96:97], v[248:249]
	v_fmac_f64_e32 v[190:191], v[94:95], v[242:243]
	v_add_f64 v[188:189], v[188:189], 0
	s_waitcnt vmcnt(26)
	v_mul_f64 v[194:195], v[100:101], v[14:15]
	v_fmac_f64_e32 v[192:193], v[98:99], v[246:247]
	v_add_f64 v[188:189], v[188:189], v[190:191]
	;; [unrolled: 4-line block ×3, first 2 shown]
	s_waitcnt vmcnt(24) lgkmcnt(13)
	v_mul_f64 v[198:199], v[108:109], v[22:23]
	v_fmac_f64_e32 v[196:197], v[106:107], v[6:7]
	v_add_f64 v[188:189], v[188:189], v[194:195]
	s_waitcnt vmcnt(23) lgkmcnt(12)
	v_mul_f64 v[200:201], v[144:145], v[26:27]
	v_fmac_f64_e32 v[198:199], v[110:111], v[20:21]
	v_add_f64 v[188:189], v[188:189], v[196:197]
	;; [unrolled: 4-line block ×11, first 2 shown]
	v_fmac_f64_e32 v[218:219], v[182:183], v[60:61]
	v_add_f64 v[188:189], v[188:189], v[216:217]
	ds_read_b128 v[192:195], v18 offset:1312
	s_waitcnt vmcnt(13) lgkmcnt(3)
	v_mul_f64 v[198:199], v[184:185], v[66:67]
	v_add_f64 v[196:197], v[188:189], v[218:219]
	v_fmac_f64_e32 v[198:199], v[186:187], v[64:65]
	v_add_f64 v[208:209], v[196:197], v[198:199]
	ds_read_b128 v[196:199], v18 offset:1328
	ds_read_b128 v[204:207], v18 offset:1344
	s_waitcnt vmcnt(12) lgkmcnt(2)
	v_mul_f64 v[210:211], v[192:193], v[70:71]
	v_fmac_f64_e32 v[210:211], v[194:195], v[68:69]
	v_add_f64 v[208:209], v[208:209], v[210:211]
	s_waitcnt vmcnt(11) lgkmcnt(1)
	v_mul_f64 v[210:211], v[196:197], v[74:75]
	v_fmac_f64_e32 v[210:211], v[198:199], v[72:73]
	v_add_f64 v[212:213], v[208:209], v[210:211]
	ds_read_b128 v[208:211], v18 offset:1360
	s_waitcnt vmcnt(10) lgkmcnt(1)
	v_mul_f64 v[214:215], v[204:205], v[78:79]
	scratch_load_dwordx4 v[188:191], off, off offset:512
	scratch_load_dwordx4 v[200:203], off, off offset:528
	v_fmac_f64_e32 v[214:215], v[206:207], v[76:77]
	v_add_f64 v[220:221], v[212:213], v[214:215]
	ds_read_b128 v[212:215], v18 offset:1376
	s_waitcnt vmcnt(11) lgkmcnt(1)
	v_mul_f64 v[222:223], v[208:209], v[82:83]
	scratch_load_dwordx4 v[216:219], off, off offset:544
	v_fmac_f64_e32 v[222:223], v[210:211], v[80:81]
	v_add_f64 v[232:233], v[220:221], v[222:223]
	s_waitcnt vmcnt(11) lgkmcnt(0)
	v_mul_f64 v[234:235], v[212:213], v[90:91]
	v_fmac_f64_e32 v[234:235], v[214:215], v[88:89]
	v_add_f64 v[232:233], v[232:233], v[234:235]
	s_waitcnt vmcnt(10)
	v_mul_f64 v[234:235], v[224:225], v[114:115]
	v_fmac_f64_e32 v[234:235], v[226:227], v[112:113]
	v_add_f64 v[232:233], v[232:233], v[234:235]
	s_waitcnt vmcnt(9)
	v_mul_f64 v[234:235], v[228:229], v[118:119]
	scratch_load_dwordx4 v[220:223], off, off offset:560
	v_fmac_f64_e32 v[234:235], v[230:231], v[116:117]
	v_add_f64 v[240:241], v[232:233], v[234:235]
	ds_read_b128 v[232:235], v18 offset:1424
	ds_read_b128 v[236:239], v18 offset:1440
	scratch_load_dwordx4 a[128:131], off, off offset:576
	scratch_load_dwordx4 a[132:135], off, off offset:592
	v_mul_f64 v[2:3], v[86:87], v[2:3]
	v_fma_f64 v[0:1], v[84:85], v[0:1], -v[2:3]
	v_accvgpr_write_b32 a175, v1
	v_mul_f64 v[2:3], v[94:95], v[244:245]
	v_accvgpr_write_b32 a174, v0
	s_waitcnt vmcnt(11) lgkmcnt(1)
	v_mul_f64 v[0:1], v[232:233], v[122:123]
	v_fma_f64 v[2:3], v[92:93], v[242:243], -v[2:3]
	v_fmac_f64_e32 v[0:1], v[234:235], v[120:121]
	v_accvgpr_write_b32 a177, v3
	v_add_f64 v[0:1], v[240:241], v[0:1]
	v_accvgpr_write_b32 a176, v2
	s_waitcnt vmcnt(10) lgkmcnt(0)
	v_mul_f64 v[2:3], v[236:237], v[126:127]
	ds_read_b128 v[240:243], v18 offset:1456
	v_fmac_f64_e32 v[2:3], v[238:239], v[124:125]
	v_add_f64 v[0:1], v[0:1], v[2:3]
	v_mul_f64 v[2:3], v[98:99], v[248:249]
	v_fma_f64 v[96:97], v[96:97], v[246:247], -v[2:3]
	ds_read_b128 v[246:249], v18 offset:1472
	s_waitcnt vmcnt(9) lgkmcnt(1)
	v_mul_f64 v[2:3], v[240:241], v[130:131]
	v_fmac_f64_e32 v[2:3], v[242:243], v[128:129]
	scratch_load_dwordx4 a[136:139], off, off offset:608
	v_add_f64 v[0:1], v[0:1], v[2:3]
	v_mul_f64 v[2:3], v[102:103], v[14:15]
	v_fma_f64 v[92:93], v[100:101], v[12:13], -v[2:3]
	s_waitcnt vmcnt(9) lgkmcnt(0)
	v_mul_f64 v[2:3], v[246:247], v[134:135]
	v_fmac_f64_e32 v[2:3], v[248:249], v[132:133]
	v_add_f64 v[4:5], v[0:1], v[2:3]
	v_mul_f64 v[0:1], v[106:107], v[8:9]
	v_fma_f64 v[86:87], v[104:105], v[6:7], -v[0:1]
	scratch_load_dwordx4 v[104:107], off, off offset:624
	scratch_load_dwordx4 a[140:143], off, off offset:640
	;; [unrolled: 1-line block ×3, first 2 shown]
	ds_read_b128 v[250:253], v18 offset:1488
	v_mul_f64 v[0:1], v[110:111], v[22:23]
	v_fma_f64 v[84:85], v[108:109], v[20:21], -v[0:1]
	ds_read_b128 v[0:3], v18 offset:1504
	v_mul_f64 v[16:17], v[146:147], v[26:27]
	s_waitcnt vmcnt(11) lgkmcnt(1)
	v_mul_f64 v[6:7], v[250:251], v[138:139]
	v_fmac_f64_e32 v[6:7], v[252:253], v[136:137]
	v_fma_f64 v[26:27], v[144:145], v[24:25], -v[16:17]
	s_waitcnt vmcnt(10) lgkmcnt(0)
	v_mul_f64 v[16:17], v[0:1], v[142:143]
	v_add_f64 v[12:13], v[4:5], v[6:7]
	v_fmac_f64_e32 v[16:17], v[2:3], v[140:141]
	v_add_f64 v[12:13], v[12:13], v[16:17]
	v_mul_f64 v[16:17], v[150:151], v[30:31]
	ds_read_b128 v[4:7], v18 offset:1520
	ds_read_b128 v[144:147], v18 offset:1536
	v_fma_f64 v[94:95], v[148:149], v[28:29], -v[16:17]
	ds_read_b128 v[148:151], v18 offset:1552
	scratch_load_dwordx4 a[152:155], off, off offset:672
	scratch_load_dwordx4 a[148:151], off, off offset:688
	;; [unrolled: 1-line block ×4, first 2 shown]
	v_mul_f64 v[20:21], v[162:163], v[42:43]
	v_mul_f64 v[138:139], v[252:253], v[138:139]
	v_mul_f64 v[2:3], v[2:3], v[142:143]
	v_fma_f64 v[0:1], v[0:1], v[140:141], -v[2:3]
	s_waitcnt vmcnt(13) lgkmcnt(2)
	v_mul_f64 v[16:17], v[4:5], v[190:191]
	v_fmac_f64_e32 v[16:17], v[6:7], v[188:189]
	v_add_f64 v[12:13], v[12:13], v[16:17]
	s_waitcnt vmcnt(12) lgkmcnt(1)
	v_mul_f64 v[16:17], v[144:145], v[202:203]
	v_fmac_f64_e32 v[16:17], v[146:147], v[200:201]
	v_add_f64 v[12:13], v[12:13], v[16:17]
	v_mul_f64 v[16:17], v[154:155], v[34:35]
	v_fma_f64 v[24:25], v[152:153], v[32:33], -v[16:17]
	v_mul_f64 v[16:17], v[158:159], v[38:39]
	v_fma_f64 v[22:23], v[156:157], v[36:37], -v[16:17]
	v_fma_f64 v[156:157], v[160:161], v[40:41], -v[20:21]
	ds_read_b128 v[152:155], v18 offset:1568
	ds_read_b128 v[40:43], v18 offset:1584
	s_waitcnt vmcnt(11) lgkmcnt(2)
	v_mul_f64 v[20:21], v[148:149], v[218:219]
	v_fmac_f64_e32 v[20:21], v[150:151], v[216:217]
	v_add_f64 v[12:13], v[12:13], v[20:21]
	v_mul_f64 v[20:21], v[166:167], v[46:47]
	v_fma_f64 v[158:159], v[164:165], v[44:45], -v[20:21]
	scratch_load_dwordx4 v[44:47], off, off offset:736
	scratch_load_dwordx4 a[164:167], off, off offset:752
	s_waitcnt vmcnt(12) lgkmcnt(1)
	v_mul_f64 v[20:21], v[152:153], v[222:223]
	v_fmac_f64_e32 v[20:21], v[154:155], v[220:221]
	ds_read_b128 v[32:35], v18 offset:1600
	ds_read_b128 v[28:31], v18 offset:1616
	s_waitcnt vmcnt(11)
	v_accvgpr_read_b32 v8, a128
	v_add_f64 v[12:13], v[12:13], v[20:21]
	v_mul_f64 v[20:21], v[170:171], v[50:51]
	v_accvgpr_read_b32 v10, a130
	v_accvgpr_read_b32 v11, a131
	v_fma_f64 v[160:161], v[168:169], v[48:49], -v[20:21]
	v_accvgpr_read_b32 v9, a129
	s_waitcnt lgkmcnt(2)
	v_mul_f64 v[48:49], v[40:41], v[10:11]
	v_mul_f64 v[20:21], v[174:175], v[54:55]
	v_fmac_f64_e32 v[48:49], v[42:43], v[8:9]
	s_waitcnt vmcnt(10)
	v_accvgpr_read_b32 v8, a132
	v_fma_f64 v[162:163], v[172:173], v[52:53], -v[20:21]
	v_mul_f64 v[20:21], v[178:179], v[58:59]
	v_add_f64 v[12:13], v[12:13], v[48:49]
	v_mul_f64 v[48:49], v[182:183], v[62:63]
	v_accvgpr_read_b32 v10, a134
	v_accvgpr_read_b32 v11, a135
	v_fma_f64 v[164:165], v[176:177], v[56:57], -v[20:21]
	v_fma_f64 v[166:167], v[180:181], v[60:61], -v[48:49]
	scratch_load_dwordx4 v[48:51], off, off offset:768
	scratch_load_dwordx4 v[52:55], off, off offset:784
	v_accvgpr_read_b32 v9, a133
	s_waitcnt lgkmcnt(1)
	v_mul_f64 v[56:57], v[32:33], v[10:11]
	v_fmac_f64_e32 v[56:57], v[34:35], v[8:9]
	v_add_f64 v[12:13], v[12:13], v[56:57]
	v_mul_f64 v[56:57], v[186:187], v[66:67]
	v_fma_f64 v[168:169], v[184:185], v[64:65], -v[56:57]
	v_mul_f64 v[56:57], v[194:195], v[70:71]
	v_fma_f64 v[170:171], v[192:193], v[68:69], -v[56:57]
	scratch_load_dwordx4 v[56:59], off, off offset:800
	s_waitcnt vmcnt(12)
	v_accvgpr_read_b32 v8, a136
	v_accvgpr_read_b32 v10, a138
	;; [unrolled: 1-line block ×3, first 2 shown]
	ds_read_b128 v[100:103], v18 offset:1632
	v_mul_f64 v[60:61], v[198:199], v[74:75]
	v_accvgpr_read_b32 v9, a137
	s_waitcnt lgkmcnt(1)
	v_mul_f64 v[64:65], v[28:29], v[10:11]
	v_fma_f64 v[16:17], v[196:197], v[72:73], -v[60:61]
	v_fmac_f64_e32 v[64:65], v[30:31], v[8:9]
	scratch_load_dwordx4 v[60:63], off, off offset:816
	v_add_f64 v[12:13], v[12:13], v[64:65]
	v_mul_f64 v[64:65], v[206:207], v[78:79]
	v_fma_f64 v[14:15], v[204:205], v[76:77], -v[64:65]
	scratch_load_dwordx4 v[64:67], off, off offset:832
	s_waitcnt vmcnt(13)
	v_mov_b64_e32 v[8:9], v[104:105]
	v_mov_b64_e32 v[10:11], v[106:107]
	v_accvgpr_write_b32 a171, v107
	v_mul_f64 v[68:69], v[210:211], v[82:83]
	v_accvgpr_write_b32 a170, v106
	v_accvgpr_write_b32 a169, v105
	;; [unrolled: 1-line block ×3, first 2 shown]
	ds_read_b128 v[104:107], v18 offset:1648
	s_waitcnt lgkmcnt(1)
	v_mul_f64 v[20:21], v[100:101], v[10:11]
	v_fma_f64 v[10:11], v[208:209], v[80:81], -v[68:69]
	scratch_load_dwordx4 v[68:71], off, off offset:848
	s_waitcnt vmcnt(13)
	v_accvgpr_read_b32 v36, a140
	v_accvgpr_read_b32 v38, a142
	;; [unrolled: 1-line block ×3, first 2 shown]
	scratch_load_dwordx4 v[76:79], off, off offset:864
	v_fmac_f64_e32 v[20:21], v[102:103], v[8:9]
	v_accvgpr_read_b32 v37, a141
	s_waitcnt lgkmcnt(0)
	v_mul_f64 v[80:81], v[104:105], v[38:39]
	v_mul_f64 v[72:73], v[226:227], v[114:115]
	v_add_f64 v[12:13], v[12:13], v[20:21]
	v_fma_f64 v[98:99], v[224:225], v[112:113], -v[72:73]
	v_fmac_f64_e32 v[80:81], v[106:107], v[36:37]
	scratch_load_dwordx4 v[72:75], off, off offset:880
	v_add_f64 v[12:13], v[12:13], v[80:81]
	v_mul_f64 v[80:81], v[230:231], v[118:119]
	ds_read_b128 v[108:111], v18 offset:1664
	v_fma_f64 v[8:9], v[228:229], v[116:117], -v[80:81]
	scratch_load_dwordx4 v[80:83], off, off offset:896
	v_mul_f64 v[20:21], v[214:215], v[90:91]
	v_fma_f64 v[20:21], v[212:213], v[88:89], -v[20:21]
	s_waitcnt vmcnt(15)
	v_accvgpr_read_b32 v88, a144
	v_accvgpr_read_b32 v90, a146
	;; [unrolled: 1-line block ×4, first 2 shown]
	s_waitcnt lgkmcnt(0)
	v_mul_f64 v[38:39], v[108:109], v[90:91]
	v_fmac_f64_e32 v[38:39], v[110:111], v[88:89]
	v_mul_f64 v[88:89], v[234:235], v[122:123]
	v_fma_f64 v[232:233], v[232:233], v[120:121], -v[88:89]
	ds_read_b128 v[116:119], v18 offset:1680
	ds_read_b128 v[112:115], v18 offset:1696
	scratch_load_dwordx4 v[88:91], off, off offset:912
	v_add_f64 v[12:13], v[12:13], v[38:39]
	v_mul_f64 v[38:39], v[238:239], v[126:127]
	v_fma_f64 v[38:39], v[236:237], v[124:125], -v[38:39]
	s_waitcnt vmcnt(15)
	v_accvgpr_read_b32 v122, a152
	v_accvgpr_read_b32 v124, a154
	;; [unrolled: 1-line block ×4, first 2 shown]
	s_waitcnt lgkmcnt(1)
	v_mul_f64 v[120:121], v[116:117], v[124:125]
	v_fmac_f64_e32 v[120:121], v[118:119], v[122:123]
	v_add_f64 v[12:13], v[12:13], v[120:121]
	s_waitcnt vmcnt(14)
	v_accvgpr_read_b32 v120, a148
	v_accvgpr_read_b32 v122, a150
	;; [unrolled: 1-line block ×4, first 2 shown]
	s_waitcnt lgkmcnt(0)
	v_mul_f64 v[124:125], v[112:113], v[122:123]
	v_fmac_f64_e32 v[124:125], v[114:115], v[120:121]
	ds_read_b128 v[120:123], v18 offset:1712
	v_add_f64 v[12:13], v[12:13], v[124:125]
	v_mul_f64 v[124:125], v[242:243], v[130:131]
	v_fma_f64 v[234:235], v[240:241], v[128:129], -v[124:125]
	ds_read_b128 v[124:127], v18 offset:1728
	s_waitcnt vmcnt(13)
	v_accvgpr_read_b32 v175, a159
	v_accvgpr_read_b32 v174, a158
	;; [unrolled: 1-line block ×4, first 2 shown]
	s_waitcnt lgkmcnt(1)
	v_mul_f64 v[128:129], v[120:121], v[174:175]
	v_fmac_f64_e32 v[128:129], v[122:123], v[172:173]
	s_waitcnt vmcnt(12)
	v_accvgpr_read_b32 v175, a163
	v_add_f64 v[12:13], v[12:13], v[128:129]
	v_mul_f64 v[128:129], v[248:249], v[134:135]
	v_accvgpr_read_b32 v174, a162
	v_fma_f64 v[242:243], v[246:247], v[132:133], -v[128:129]
	ds_read_b128 v[128:131], v18 offset:1744
	v_accvgpr_read_b32 v173, a161
	v_accvgpr_read_b32 v172, a160
	s_waitcnt lgkmcnt(1)
	v_mul_f64 v[132:133], v[124:125], v[174:175]
	v_fmac_f64_e32 v[132:133], v[126:127], v[172:173]
	v_add_f64 v[12:13], v[12:13], v[132:133]
	ds_read_b128 v[132:135], v18 offset:1760
	s_waitcnt vmcnt(11) lgkmcnt(1)
	v_mul_f64 v[172:173], v[128:129], v[46:47]
	v_fma_f64 v[236:237], v[250:251], v[136:137], -v[138:139]
	s_waitcnt vmcnt(10)
	v_accvgpr_read_b32 v136, a164
	v_fmac_f64_e32 v[172:173], v[130:131], v[44:45]
	v_accvgpr_read_b32 v138, a166
	v_accvgpr_read_b32 v139, a167
	v_add_f64 v[12:13], v[12:13], v[172:173]
	v_accvgpr_read_b32 v137, a165
	s_waitcnt lgkmcnt(0)
	v_mul_f64 v[172:173], v[132:133], v[138:139]
	v_fmac_f64_e32 v[172:173], v[134:135], v[136:137]
	ds_read_b128 v[136:139], v18 offset:1776
	ds_read_b128 v[140:143], v18 offset:1792
	;; [unrolled: 1-line block ×3, first 2 shown]
	v_add_f64 v[2:3], v[12:13], v[172:173]
	v_mul_f64 v[6:7], v[6:7], v[190:191]
	s_waitcnt vmcnt(9) lgkmcnt(2)
	v_mul_f64 v[12:13], v[136:137], v[50:51]
	v_fmac_f64_e32 v[12:13], v[138:139], v[48:49]
	v_add_f64 v[2:3], v[2:3], v[12:13]
	s_waitcnt vmcnt(8) lgkmcnt(1)
	v_mul_f64 v[12:13], v[140:141], v[54:55]
	v_fmac_f64_e32 v[12:13], v[142:143], v[52:53]
	v_add_f64 v[2:3], v[2:3], v[12:13]
	v_fma_f64 v[244:245], v[4:5], v[188:189], -v[6:7]
	ds_read_b128 v[4:7], v18 offset:1824
	s_waitcnt vmcnt(7) lgkmcnt(1)
	v_mul_f64 v[12:13], v[238:239], v[58:59]
	v_fmac_f64_e32 v[12:13], v[240:241], v[56:57]
	v_add_f64 v[2:3], v[2:3], v[12:13]
	v_mul_f64 v[12:13], v[146:147], v[202:203]
	v_fma_f64 v[254:255], v[144:145], v[200:201], -v[12:13]
	ds_read_b128 v[144:147], v18 offset:1840
	ds_read_b128 v[246:249], v18 offset:1856
	s_waitcnt vmcnt(6) lgkmcnt(2)
	v_mul_f64 v[12:13], v[4:5], v[62:63]
	v_fmac_f64_e32 v[12:13], v[6:7], v[60:61]
	v_add_f64 v[2:3], v[2:3], v[12:13]
	s_waitcnt vmcnt(5) lgkmcnt(1)
	v_mul_f64 v[12:13], v[144:145], v[66:67]
	v_fmac_f64_e32 v[12:13], v[146:147], v[64:65]
	v_add_f64 v[12:13], v[2:3], v[12:13]
	v_mul_f64 v[2:3], v[150:151], v[218:219]
	s_waitcnt vmcnt(4) lgkmcnt(0)
	v_mul_f64 v[36:37], v[246:247], v[70:71]
	v_fma_f64 v[2:3], v[148:149], v[216:217], -v[2:3]
	v_fmac_f64_e32 v[36:37], v[248:249], v[68:69]
	ds_read_b128 v[148:151], v18 offset:1872
	v_add_f64 v[36:37], v[12:13], v[36:37]
	v_mul_f64 v[12:13], v[154:155], v[222:223]
	v_fma_f64 v[12:13], v[152:153], v[220:221], -v[12:13]
	ds_read_b128 v[152:155], v18 offset:1888
	ds_read_b128 v[250:253], v18 offset:1904
	ds_read_b128 v[180:183], v18 offset:1936
	s_waitcnt vmcnt(3) lgkmcnt(3)
	v_mul_f64 v[172:173], v[148:149], v[78:79]
	v_fmac_f64_e32 v[172:173], v[150:151], v[76:77]
	v_add_f64 v[36:37], v[36:37], v[172:173]
	s_waitcnt vmcnt(2) lgkmcnt(2)
	v_mul_f64 v[172:173], v[152:153], v[74:75]
	v_fmac_f64_e32 v[172:173], v[154:155], v[72:73]
	v_add_f64 v[36:37], v[36:37], v[172:173]
	;; [unrolled: 4-line block ×3, first 2 shown]
	ds_read_b128 v[172:175], v18 offset:1920
	ds_read_b128 v[188:191], v18 offset:1952
	;; [unrolled: 1-line block ×6, first 2 shown]
	s_waitcnt vmcnt(0) lgkmcnt(5)
	v_mul_f64 v[176:177], v[172:173], v[90:91]
	v_fmac_f64_e32 v[176:177], v[174:175], v[88:89]
	v_add_f64 v[36:37], v[36:37], v[176:177]
	scratch_load_dwordx4 v[176:179], off, off offset:928
	ds_read_b128 v[228:231], v18 offset:2032
	v_accvgpr_write_b32 a173, v3
	v_accvgpr_write_b32 a172, v2
	s_waitcnt vmcnt(0)
	v_mul_f64 v[184:185], v[180:181], v[178:179]
	v_fmac_f64_e32 v[184:185], v[182:183], v[176:177]
	v_add_f64 v[36:37], v[36:37], v[184:185]
	scratch_load_dwordx4 v[184:187], off, off offset:944
	s_waitcnt vmcnt(0) lgkmcnt(5)
	v_mul_f64 v[192:193], v[188:189], v[186:187]
	v_fmac_f64_e32 v[192:193], v[190:191], v[184:185]
	v_add_f64 v[36:37], v[36:37], v[192:193]
	scratch_load_dwordx4 v[192:195], off, off offset:960
	s_waitcnt vmcnt(0) lgkmcnt(4)
	;; [unrolled: 5-line block ×6, first 2 shown]
	v_mul_f64 v[2:3], v[228:229], v[226:227]
	v_fmac_f64_e32 v[2:3], v[230:231], v[224:225]
	v_add_f64 v[2:3], v[36:37], v[2:3]
	v_accvgpr_write_b32 a179, v3
	v_accvgpr_write_b32 a178, v2
	v_accvgpr_read_b32 v2, a174
	v_accvgpr_read_b32 v3, a175
	v_accvgpr_read_b32 v36, a176
	v_add_f64 v[2:3], v[2:3], 0
	v_accvgpr_read_b32 v37, a177
	v_add_f64 v[2:3], v[2:3], v[36:37]
	v_add_f64 v[2:3], v[2:3], v[96:97]
	;; [unrolled: 1-line block ×26, first 2 shown]
	scratch_load_dwordx4 v[232:235], off, off offset:16
	v_add_f64 v[2:3], v[2:3], v[242:243]
	v_add_f64 v[2:3], v[2:3], v[236:237]
	v_add_f64 v[0:1], v[2:3], v[0:1]
	v_add_f64 v[0:1], v[0:1], v[244:245]
	v_accvgpr_read_b32 v8, a128
	v_add_f64 v[242:243], v[0:1], v[254:255]
	v_accvgpr_read_b32 v0, a172
	v_accvgpr_read_b32 v10, a130
	;; [unrolled: 1-line block ×5, first 2 shown]
	v_mul_f64 v[2:3], v[42:43], v[10:11]
	v_add_f64 v[0:1], v[242:243], v[0:1]
	v_fma_f64 v[2:3], v[40:41], v[8:9], -v[2:3]
	v_accvgpr_read_b32 v8, a132
	v_add_f64 v[0:1], v[0:1], v[12:13]
	v_accvgpr_read_b32 v10, a134
	v_accvgpr_read_b32 v11, a135
	v_add_f64 v[0:1], v[0:1], v[2:3]
	v_accvgpr_read_b32 v9, a133
	v_mul_f64 v[2:3], v[34:35], v[10:11]
	v_fma_f64 v[2:3], v[32:33], v[8:9], -v[2:3]
	v_accvgpr_read_b32 v8, a136
	v_accvgpr_read_b32 v10, a138
	v_accvgpr_read_b32 v11, a139
	v_add_f64 v[0:1], v[0:1], v[2:3]
	v_accvgpr_read_b32 v9, a137
	v_mul_f64 v[2:3], v[30:31], v[10:11]
	v_fma_f64 v[2:3], v[28:29], v[8:9], -v[2:3]
	v_accvgpr_read_b32 v8, a168
	;; [unrolled: 7-line block ×8, first 2 shown]
	v_accvgpr_read_b32 v10, a162
	v_accvgpr_read_b32 v11, a163
	v_add_f64 v[0:1], v[0:1], v[2:3]
	v_accvgpr_read_b32 v9, a161
	v_mul_f64 v[2:3], v[126:127], v[10:11]
	v_fma_f64 v[2:3], v[124:125], v[8:9], -v[2:3]
	v_add_f64 v[0:1], v[0:1], v[2:3]
	v_mul_f64 v[2:3], v[130:131], v[46:47]
	v_accvgpr_read_b32 v8, a164
	v_fma_f64 v[2:3], v[128:129], v[44:45], -v[2:3]
	v_accvgpr_read_b32 v10, a166
	v_accvgpr_read_b32 v11, a167
	v_add_f64 v[0:1], v[0:1], v[2:3]
	v_accvgpr_read_b32 v9, a165
	v_mul_f64 v[2:3], v[134:135], v[10:11]
	v_fma_f64 v[2:3], v[132:133], v[8:9], -v[2:3]
	v_add_f64 v[0:1], v[0:1], v[2:3]
	v_mul_f64 v[2:3], v[138:139], v[50:51]
	v_fma_f64 v[2:3], v[136:137], v[48:49], -v[2:3]
	v_add_f64 v[0:1], v[0:1], v[2:3]
	;; [unrolled: 3-line block ×18, first 2 shown]
	v_accvgpr_read_b32 v2, a178
	v_accvgpr_read_b32 v3, a179
	s_waitcnt vmcnt(0)
	v_add_f64 v[0:1], v[232:233], -v[0:1]
	v_add_f64 v[2:3], v[234:235], -v[2:3]
	scratch_store_dwordx4 off, v[0:3], off offset:16
	s_cbranch_vccz .LBB63_536
; %bb.410:
	global_load_dword v0, v18, s[16:17] offset:248
	s_waitcnt vmcnt(0)
	v_readfirstlane_b32 s0, v0
	s_add_i32 s0, s0, -1
	s_cmp_lg_u32 s0, 62
	s_cbranch_scc0 .LBB63_412
; %bb.411:
	s_lshl_b32 s0, s0, 4
	s_add_i32 s0, s0, 16
	scratch_load_dwordx4 v[0:3], off, s0
	scratch_load_dwordx4 v[4:7], off, s60
	s_waitcnt vmcnt(1)
	scratch_store_dwordx4 off, v[0:3], s60
	s_waitcnt vmcnt(1)
	scratch_store_dwordx4 off, v[4:7], s0
.LBB63_412:
	v_mov_b32_e32 v0, 0
	global_load_dword v1, v0, s[16:17] offset:244
	s_waitcnt vmcnt(0)
	v_readfirstlane_b32 s0, v1
	s_add_i32 s0, s0, -1
	s_cmp_eq_u32 s0, 61
	s_cbranch_scc1 .LBB63_414
; %bb.413:
	s_lshl_b32 s0, s0, 4
	s_add_i32 s0, s0, 16
	scratch_load_dwordx4 v[2:5], off, s0
	scratch_load_dwordx4 v[6:9], off, s59
	s_waitcnt vmcnt(1)
	scratch_store_dwordx4 off, v[2:5], s59
	s_waitcnt vmcnt(1)
	scratch_store_dwordx4 off, v[6:9], s0
.LBB63_414:
	global_load_dword v0, v0, s[16:17] offset:240
	s_waitcnt vmcnt(0)
	v_readfirstlane_b32 s0, v0
	s_add_i32 s0, s0, -1
	s_cmp_eq_u32 s0, 60
	s_cbranch_scc1 .LBB63_416
; %bb.415:
	s_lshl_b32 s0, s0, 4
	s_add_i32 s0, s0, 16
	scratch_load_dwordx4 v[0:3], off, s0
	scratch_load_dwordx4 v[4:7], off, s58
	s_waitcnt vmcnt(1)
	scratch_store_dwordx4 off, v[0:3], s58
	s_waitcnt vmcnt(1)
	scratch_store_dwordx4 off, v[4:7], s0
.LBB63_416:
	v_mov_b32_e32 v0, 0
	global_load_dword v1, v0, s[16:17] offset:236
	s_waitcnt vmcnt(0)
	v_readfirstlane_b32 s0, v1
	s_add_i32 s0, s0, -1
	s_cmp_eq_u32 s0, 59
	s_cbranch_scc1 .LBB63_418
; %bb.417:
	s_lshl_b32 s0, s0, 4
	s_add_i32 s0, s0, 16
	scratch_load_dwordx4 v[2:5], off, s0
	scratch_load_dwordx4 v[6:9], off, s56
	s_waitcnt vmcnt(1)
	scratch_store_dwordx4 off, v[2:5], s56
	s_waitcnt vmcnt(1)
	scratch_store_dwordx4 off, v[6:9], s0
.LBB63_418:
	global_load_dword v0, v0, s[16:17] offset:232
	s_waitcnt vmcnt(0)
	v_readfirstlane_b32 s0, v0
	s_add_i32 s0, s0, -1
	s_cmp_eq_u32 s0, 58
	s_cbranch_scc1 .LBB63_420
; %bb.419:
	s_lshl_b32 s0, s0, 4
	s_add_i32 s0, s0, 16
	scratch_load_dwordx4 v[0:3], off, s0
	scratch_load_dwordx4 v[4:7], off, s53
	s_waitcnt vmcnt(1)
	scratch_store_dwordx4 off, v[0:3], s53
	s_waitcnt vmcnt(1)
	scratch_store_dwordx4 off, v[4:7], s0
.LBB63_420:
	;; [unrolled: 33-line block ×30, first 2 shown]
	v_mov_b32_e32 v0, 0
	global_load_dword v1, v0, s[16:17] offset:4
	s_waitcnt vmcnt(0)
	v_readfirstlane_b32 s0, v1
	s_add_i32 s0, s0, -1
	s_cmp_eq_u32 s0, 1
	s_cbranch_scc1 .LBB63_534
; %bb.533:
	s_lshl_b32 s0, s0, 4
	s_add_i32 s0, s0, 16
	scratch_load_dwordx4 v[2:5], off, s0
	scratch_load_dwordx4 v[6:9], off, s89
	s_waitcnt vmcnt(1)
	scratch_store_dwordx4 off, v[2:5], s89
	s_waitcnt vmcnt(1)
	scratch_store_dwordx4 off, v[6:9], s0
.LBB63_534:
	global_load_dword v0, v0, s[16:17]
	s_waitcnt vmcnt(0)
	v_readfirstlane_b32 s0, v0
	s_add_i32 s0, s0, -1
	s_cmp_eq_u32 s0, 0
	s_cbranch_scc1 .LBB63_536
; %bb.535:
	s_lshl_b32 s0, s0, 4
	s_add_i32 s0, s0, 16
	scratch_load_dwordx4 v[0:3], off, s0
	scratch_load_dwordx4 v[4:7], off, off offset:16
	s_waitcnt vmcnt(1)
	scratch_store_dwordx4 off, v[0:3], off offset:16
	s_waitcnt vmcnt(1)
	scratch_store_dwordx4 off, v[4:7], s0
.LBB63_536:
	scratch_load_dwordx4 v[0:3], off, off offset:16
	s_nop 0
	scratch_load_dwordx4 v[4:7], off, s89
	scratch_load_dwordx4 v[8:11], off, s88
	;; [unrolled: 1-line block ×29, first 2 shown]
	v_accvgpr_read_b32 v121, a1
	v_accvgpr_read_b32 v120, a0
	;; [unrolled: 1-line block ×24, first 2 shown]
	s_waitcnt vmcnt(29)
	global_store_dwordx4 v[120:121], v[0:3], off
	scratch_load_dwordx4 v[0:3], off, s26
	s_nop 0
	scratch_load_dwordx4 v[120:123], off, s27
	s_waitcnt vmcnt(31)
	global_store_dwordx4 v[124:125], v[4:7], off
	scratch_load_dwordx4 v[4:7], off, s28
	s_nop 0
	scratch_load_dwordx4 v[124:127], off, s30
	s_waitcnt vmcnt(33)
	global_store_dwordx4 v[128:129], v[8:11], off
	v_accvgpr_read_b32 v129, a9
	v_accvgpr_read_b32 v128, a8
	v_accvgpr_read_b32 v9, a7
	v_accvgpr_read_b32 v8, a6
	s_waitcnt vmcnt(33)
	global_store_dwordx4 v[8:9], v[12:15], off
	scratch_load_dwordx4 v[8:11], off, s29
	s_nop 0
	scratch_load_dwordx4 v[12:15], off, s31
	s_waitcnt vmcnt(35)
	global_store_dwordx4 v[128:129], v[16:19], off
	scratch_load_dwordx4 v[16:19], off, s33
	s_nop 0
	scratch_load_dwordx4 v[128:131], off, s34
	s_waitcnt vmcnt(37)
	global_store_dwordx4 v[132:133], v[20:23], off
	scratch_load_dwordx4 v[20:23], off, s35
	s_nop 0
	scratch_load_dwordx4 v[132:135], off, s37
	s_waitcnt vmcnt(39)
	global_store_dwordx4 v[136:137], v[24:27], off
	v_accvgpr_read_b32 v137, a17
	v_accvgpr_read_b32 v136, a16
	v_accvgpr_read_b32 v25, a15
	v_accvgpr_read_b32 v24, a14
	s_waitcnt vmcnt(39)
	global_store_dwordx4 v[24:25], v[28:31], off
	scratch_load_dwordx4 v[24:27], off, s36
	s_nop 0
	scratch_load_dwordx4 v[28:31], off, s38
	;; [unrolled: 21-line block ×4, first 2 shown]
	s_waitcnt vmcnt(53)
	global_store_dwordx4 v[152:153], v[64:67], off
	scratch_load_dwordx4 v[64:67], off, s52
	s_nop 0
	scratch_load_dwordx4 v[152:155], off, s54
	s_waitcnt vmcnt(55)
	global_store_dwordx4 v[156:157], v[68:71], off
	scratch_load_dwordx4 v[68:71], off, s55
	s_nop 0
	scratch_load_dwordx4 v[156:159], off, s57
	s_waitcnt vmcnt(57)
	global_store_dwordx4 v[160:161], v[72:75], off
	s_nop 1
	v_accvgpr_read_b32 v73, a39
	v_accvgpr_read_b32 v72, a38
	s_waitcnt vmcnt(57)
	global_store_dwordx4 v[72:73], v[76:79], off
	v_accvgpr_read_b32 v73, a41
	v_accvgpr_read_b32 v72, a40
	s_waitcnt vmcnt(57)
	global_store_dwordx4 v[72:73], v[80:83], off
	;; [unrolled: 4-line block ×3, first 2 shown]
	scratch_load_dwordx4 v[72:75], off, s49
	s_nop 0
	scratch_load_dwordx4 v[76:79], off, s53
	scratch_load_dwordx4 v[80:83], off, s56
	scratch_load_dwordx4 v[84:87], off, s58
	scratch_load_dwordx4 v[160:163], off, s59
	scratch_load_dwordx4 v[164:167], off, s60
	s_waitcnt vmcnt(62)
	global_store_dwordx4 v[168:169], v[88:91], off
	s_nop 1
	v_accvgpr_read_b32 v89, a47
	v_accvgpr_read_b32 v88, a46
	global_store_dwordx4 v[88:89], v[92:95], off
	v_accvgpr_read_b32 v89, a49
	v_accvgpr_read_b32 v88, a48
	s_waitcnt vmcnt(62)
	global_store_dwordx4 v[88:89], v[96:99], off
	v_accvgpr_read_b32 v89, a51
	v_accvgpr_read_b32 v88, a50
	global_store_dwordx4 v[88:89], v[100:103], off
	v_accvgpr_read_b32 v89, a53
	v_accvgpr_read_b32 v88, a52
	s_waitcnt vmcnt(62)
	global_store_dwordx4 v[88:89], v[104:107], off
	;; [unrolled: 7-line block ×3, first 2 shown]
	v_accvgpr_read_b32 v89, a59
	v_accvgpr_read_b32 v88, a58
	s_waitcnt vmcnt(61)
	global_store_dwordx4 v[88:89], v[0:3], off
	s_nop 1
	v_accvgpr_read_b32 v0, a60
	v_accvgpr_read_b32 v1, a61
	s_waitcnt vmcnt(61)
	global_store_dwordx4 v[0:1], v[120:123], off
	v_accvgpr_read_b32 v0, a62
	v_accvgpr_read_b32 v1, a63
	s_waitcnt vmcnt(60)
	global_store_dwordx4 v[0:1], v[4:7], off
	;; [unrolled: 4-line block ×33, first 2 shown]
	v_accvgpr_read_b32 v0, a126
	v_accvgpr_read_b32 v1, a127
	global_store_dwordx4 v[0:1], v[116:119], off
	s_endpgm
	.section	.rodata,"a",@progbits
	.p2align	6, 0x0
	.amdhsa_kernel _ZN9rocsolver6v33100L18getri_kernel_smallILi64E19rocblas_complex_numIdEPS3_EEvT1_iilPiilS6_bb
		.amdhsa_group_segment_fixed_size 2056
		.amdhsa_private_segment_fixed_size 1056
		.amdhsa_kernarg_size 60
		.amdhsa_user_sgpr_count 2
		.amdhsa_user_sgpr_dispatch_ptr 0
		.amdhsa_user_sgpr_queue_ptr 0
		.amdhsa_user_sgpr_kernarg_segment_ptr 1
		.amdhsa_user_sgpr_dispatch_id 0
		.amdhsa_user_sgpr_kernarg_preload_length 0
		.amdhsa_user_sgpr_kernarg_preload_offset 0
		.amdhsa_user_sgpr_private_segment_size 0
		.amdhsa_uses_dynamic_stack 0
		.amdhsa_enable_private_segment 1
		.amdhsa_system_sgpr_workgroup_id_x 1
		.amdhsa_system_sgpr_workgroup_id_y 0
		.amdhsa_system_sgpr_workgroup_id_z 0
		.amdhsa_system_sgpr_workgroup_info 0
		.amdhsa_system_vgpr_workitem_id 0
		.amdhsa_next_free_vgpr 436
		.amdhsa_next_free_sgpr 90
		.amdhsa_accum_offset 256
		.amdhsa_reserve_vcc 1
		.amdhsa_float_round_mode_32 0
		.amdhsa_float_round_mode_16_64 0
		.amdhsa_float_denorm_mode_32 3
		.amdhsa_float_denorm_mode_16_64 3
		.amdhsa_dx10_clamp 1
		.amdhsa_ieee_mode 1
		.amdhsa_fp16_overflow 0
		.amdhsa_tg_split 0
		.amdhsa_exception_fp_ieee_invalid_op 0
		.amdhsa_exception_fp_denorm_src 0
		.amdhsa_exception_fp_ieee_div_zero 0
		.amdhsa_exception_fp_ieee_overflow 0
		.amdhsa_exception_fp_ieee_underflow 0
		.amdhsa_exception_fp_ieee_inexact 0
		.amdhsa_exception_int_div_zero 0
	.end_amdhsa_kernel
	.section	.text._ZN9rocsolver6v33100L18getri_kernel_smallILi64E19rocblas_complex_numIdEPS3_EEvT1_iilPiilS6_bb,"axG",@progbits,_ZN9rocsolver6v33100L18getri_kernel_smallILi64E19rocblas_complex_numIdEPS3_EEvT1_iilPiilS6_bb,comdat
.Lfunc_end63:
	.size	_ZN9rocsolver6v33100L18getri_kernel_smallILi64E19rocblas_complex_numIdEPS3_EEvT1_iilPiilS6_bb, .Lfunc_end63-_ZN9rocsolver6v33100L18getri_kernel_smallILi64E19rocblas_complex_numIdEPS3_EEvT1_iilPiilS6_bb
                                        ; -- End function
	.set _ZN9rocsolver6v33100L18getri_kernel_smallILi64E19rocblas_complex_numIdEPS3_EEvT1_iilPiilS6_bb.num_vgpr, 256
	.set _ZN9rocsolver6v33100L18getri_kernel_smallILi64E19rocblas_complex_numIdEPS3_EEvT1_iilPiilS6_bb.num_agpr, 180
	.set _ZN9rocsolver6v33100L18getri_kernel_smallILi64E19rocblas_complex_numIdEPS3_EEvT1_iilPiilS6_bb.numbered_sgpr, 90
	.set _ZN9rocsolver6v33100L18getri_kernel_smallILi64E19rocblas_complex_numIdEPS3_EEvT1_iilPiilS6_bb.num_named_barrier, 0
	.set _ZN9rocsolver6v33100L18getri_kernel_smallILi64E19rocblas_complex_numIdEPS3_EEvT1_iilPiilS6_bb.private_seg_size, 1056
	.set _ZN9rocsolver6v33100L18getri_kernel_smallILi64E19rocblas_complex_numIdEPS3_EEvT1_iilPiilS6_bb.uses_vcc, 1
	.set _ZN9rocsolver6v33100L18getri_kernel_smallILi64E19rocblas_complex_numIdEPS3_EEvT1_iilPiilS6_bb.uses_flat_scratch, 0
	.set _ZN9rocsolver6v33100L18getri_kernel_smallILi64E19rocblas_complex_numIdEPS3_EEvT1_iilPiilS6_bb.has_dyn_sized_stack, 0
	.set _ZN9rocsolver6v33100L18getri_kernel_smallILi64E19rocblas_complex_numIdEPS3_EEvT1_iilPiilS6_bb.has_recursion, 0
	.set _ZN9rocsolver6v33100L18getri_kernel_smallILi64E19rocblas_complex_numIdEPS3_EEvT1_iilPiilS6_bb.has_indirect_call, 0
	.section	.AMDGPU.csdata,"",@progbits
; Kernel info:
; codeLenInByte = 173000
; TotalNumSgprs: 96
; NumVgprs: 256
; NumAgprs: 180
; TotalNumVgprs: 436
; ScratchSize: 1056
; MemoryBound: 0
; FloatMode: 240
; IeeeMode: 1
; LDSByteSize: 2056 bytes/workgroup (compile time only)
; SGPRBlocks: 11
; VGPRBlocks: 54
; NumSGPRsForWavesPerEU: 96
; NumVGPRsForWavesPerEU: 436
; AccumOffset: 256
; Occupancy: 1
; WaveLimiterHint : 1
; COMPUTE_PGM_RSRC2:SCRATCH_EN: 1
; COMPUTE_PGM_RSRC2:USER_SGPR: 2
; COMPUTE_PGM_RSRC2:TRAP_HANDLER: 0
; COMPUTE_PGM_RSRC2:TGID_X_EN: 1
; COMPUTE_PGM_RSRC2:TGID_Y_EN: 0
; COMPUTE_PGM_RSRC2:TGID_Z_EN: 0
; COMPUTE_PGM_RSRC2:TIDIG_COMP_CNT: 0
; COMPUTE_PGM_RSRC3_GFX90A:ACCUM_OFFSET: 63
; COMPUTE_PGM_RSRC3_GFX90A:TG_SPLIT: 0
	.section	.text._ZN9rocsolver6v33100L18getri_kernel_smallILi1E19rocblas_complex_numIdEPKPS3_EEvT1_iilPiilS8_bb,"axG",@progbits,_ZN9rocsolver6v33100L18getri_kernel_smallILi1E19rocblas_complex_numIdEPKPS3_EEvT1_iilPiilS8_bb,comdat
	.globl	_ZN9rocsolver6v33100L18getri_kernel_smallILi1E19rocblas_complex_numIdEPKPS3_EEvT1_iilPiilS8_bb ; -- Begin function _ZN9rocsolver6v33100L18getri_kernel_smallILi1E19rocblas_complex_numIdEPKPS3_EEvT1_iilPiilS8_bb
	.p2align	8
	.type	_ZN9rocsolver6v33100L18getri_kernel_smallILi1E19rocblas_complex_numIdEPKPS3_EEvT1_iilPiilS8_bb,@function
_ZN9rocsolver6v33100L18getri_kernel_smallILi1E19rocblas_complex_numIdEPKPS3_EEvT1_iilPiilS8_bb: ; @_ZN9rocsolver6v33100L18getri_kernel_smallILi1E19rocblas_complex_numIdEPKPS3_EEvT1_iilPiilS8_bb
; %bb.0:
	v_cmp_eq_u32_e32 vcc, 0, v0
	s_and_saveexec_b64 s[4:5], vcc
	s_cbranch_execz .LBB64_16
; %bb.1:
	s_load_dword s4, s[0:1], 0x8
	s_load_dword s3, s[0:1], 0x38
	s_load_dwordx2 s[8:9], s[0:1], 0x0
	s_load_dwordx2 s[6:7], s[0:1], 0x30
	s_waitcnt lgkmcnt(0)
	s_ashr_i32 s5, s4, 31
	s_bitcmp1_b32 s3, 0
	s_cselect_b64 s[0:1], -1, 0
	s_ashr_i32 s3, s2, 31
	s_lshl_b64 s[10:11], s[2:3], 3
	s_add_u32 s8, s8, s10
	s_addc_u32 s9, s9, s11
	s_load_dwordx2 s[8:9], s[8:9], 0x0
	s_lshl_b64 s[4:5], s[4:5], 4
	s_waitcnt lgkmcnt(0)
	s_add_u32 s4, s8, s4
	s_addc_u32 s5, s9, s5
	v_mov_b64_e32 v[0:1], s[4:5]
	flat_load_dwordx4 v[0:3], v[0:1]
	s_and_b64 vcc, exec, s[0:1]
	s_cbranch_vccnz .LBB64_3
; %bb.2:
	s_lshl_b64 s[0:1], s[2:3], 2
	s_add_u32 s0, s6, s0
	s_addc_u32 s1, s7, s1
	s_load_dword s8, s[0:1], 0x0
	s_waitcnt lgkmcnt(0)
	s_cmp_eq_u32 s8, 0
	s_cselect_b64 s[8:9], -1, 0
	s_cbranch_execz .LBB64_4
	s_branch .LBB64_14
.LBB64_3:
	s_mov_b64 s[8:9], 0
.LBB64_4:
	s_waitcnt vmcnt(0) lgkmcnt(0)
	v_cmp_eq_f64_e32 vcc, 0, v[0:1]
	v_cmp_eq_f64_e64 s[0:1], 0, v[2:3]
	v_mov_b32_e32 v4, 0
	s_and_b64 s[0:1], vcc, s[0:1]
	ds_write_b32 v4, v4
	s_waitcnt lgkmcnt(0)
	; wave barrier
	s_and_saveexec_b64 s[10:11], s[0:1]
	s_cbranch_execz .LBB64_8
; %bb.5:
	ds_read_b32 v5, v4
	s_waitcnt lgkmcnt(0)
	v_cmp_ne_u32_e32 vcc, 0, v5
	v_cmp_gt_i32_e64 s[0:1], 2, v5
	s_and_b64 s[0:1], vcc, s[0:1]
	s_and_b64 vcc, exec, s[0:1]
	s_cbranch_vccnz .LBB64_8
; %bb.6:
	s_mov_b64 s[12:13], 0
	v_mov_b32_e32 v6, 1
	v_mov_b32_e32 v7, 0
.LBB64_7:                               ; =>This Inner Loop Header: Depth=1
	ds_cmpst_rtn_b32 v5, v7, v5, v6
	s_waitcnt lgkmcnt(0)
	v_cmp_ne_u32_e32 vcc, 0, v5
	v_cmp_gt_i32_e64 s[0:1], 2, v5
	s_and_b64 s[0:1], vcc, s[0:1]
	s_and_b64 s[0:1], exec, s[0:1]
	s_or_b64 s[12:13], s[0:1], s[12:13]
	s_andn2_b64 exec, exec, s[12:13]
	s_cbranch_execnz .LBB64_7
.LBB64_8:
	s_or_b64 exec, exec, s[10:11]
	; wave barrier
	ds_read_b32 v5, v4
	s_lshl_b64 s[0:1], s[2:3], 2
	s_add_u32 s0, s6, s0
	s_addc_u32 s1, s7, s1
	s_waitcnt lgkmcnt(0)
	v_cmp_ne_u32_e32 vcc, 0, v5
	global_store_dword v4, v5, s[0:1]
	s_cbranch_vccnz .LBB64_14
; %bb.9:
	v_cmp_ngt_f64_e64 s[0:1], |v[0:1]|, |v[2:3]|
	s_and_saveexec_b64 s[2:3], s[0:1]
	s_xor_b64 s[0:1], exec, s[2:3]
	s_cbranch_execz .LBB64_11
; %bb.10:
	v_div_scale_f64 v[4:5], s[2:3], v[2:3], v[2:3], v[0:1]
	v_rcp_f64_e32 v[6:7], v[4:5]
	v_div_scale_f64 v[8:9], vcc, v[0:1], v[2:3], v[0:1]
	v_fma_f64 v[10:11], -v[4:5], v[6:7], 1.0
	v_fmac_f64_e32 v[6:7], v[6:7], v[10:11]
	v_fma_f64 v[10:11], -v[4:5], v[6:7], 1.0
	v_fmac_f64_e32 v[6:7], v[6:7], v[10:11]
	v_mul_f64 v[10:11], v[8:9], v[6:7]
	v_fma_f64 v[4:5], -v[4:5], v[10:11], v[8:9]
	v_div_fmas_f64 v[4:5], v[4:5], v[6:7], v[10:11]
	v_div_fixup_f64 v[4:5], v[4:5], v[2:3], v[0:1]
	v_fmac_f64_e32 v[2:3], v[0:1], v[4:5]
	v_div_scale_f64 v[0:1], s[2:3], v[2:3], v[2:3], 1.0
	v_rcp_f64_e32 v[6:7], v[0:1]
	s_nop 0
	v_fma_f64 v[8:9], -v[0:1], v[6:7], 1.0
	v_fmac_f64_e32 v[6:7], v[6:7], v[8:9]
	v_fma_f64 v[8:9], -v[0:1], v[6:7], 1.0
	v_fmac_f64_e32 v[6:7], v[6:7], v[8:9]
	v_div_scale_f64 v[8:9], vcc, 1.0, v[2:3], 1.0
	v_mul_f64 v[10:11], v[8:9], v[6:7]
	v_fma_f64 v[0:1], -v[0:1], v[10:11], v[8:9]
	s_nop 1
	v_div_fmas_f64 v[0:1], v[0:1], v[6:7], v[10:11]
	v_div_fixup_f64 v[2:3], v[0:1], v[2:3], 1.0
	v_mul_f64 v[0:1], v[4:5], v[2:3]
	v_xor_b32_e32 v3, 0x80000000, v3
.LBB64_11:
	s_andn2_saveexec_b64 s[0:1], s[0:1]
	s_cbranch_execz .LBB64_13
; %bb.12:
	v_div_scale_f64 v[4:5], s[2:3], v[0:1], v[0:1], v[2:3]
	v_rcp_f64_e32 v[6:7], v[4:5]
	v_div_scale_f64 v[8:9], vcc, v[2:3], v[0:1], v[2:3]
	v_fma_f64 v[10:11], -v[4:5], v[6:7], 1.0
	v_fmac_f64_e32 v[6:7], v[6:7], v[10:11]
	v_fma_f64 v[10:11], -v[4:5], v[6:7], 1.0
	v_fmac_f64_e32 v[6:7], v[6:7], v[10:11]
	v_mul_f64 v[10:11], v[8:9], v[6:7]
	v_fma_f64 v[4:5], -v[4:5], v[10:11], v[8:9]
	v_div_fmas_f64 v[4:5], v[4:5], v[6:7], v[10:11]
	v_div_fixup_f64 v[4:5], v[4:5], v[0:1], v[2:3]
	v_fmac_f64_e32 v[0:1], v[2:3], v[4:5]
	v_div_scale_f64 v[2:3], s[2:3], v[0:1], v[0:1], 1.0
	v_rcp_f64_e32 v[6:7], v[2:3]
	s_nop 0
	v_fma_f64 v[8:9], -v[2:3], v[6:7], 1.0
	v_fmac_f64_e32 v[6:7], v[6:7], v[8:9]
	v_fma_f64 v[8:9], -v[2:3], v[6:7], 1.0
	v_fmac_f64_e32 v[6:7], v[6:7], v[8:9]
	v_div_scale_f64 v[8:9], vcc, 1.0, v[0:1], 1.0
	v_mul_f64 v[10:11], v[8:9], v[6:7]
	v_fma_f64 v[2:3], -v[2:3], v[10:11], v[8:9]
	s_nop 1
	v_div_fmas_f64 v[2:3], v[2:3], v[6:7], v[10:11]
	v_div_fixup_f64 v[0:1], v[2:3], v[0:1], 1.0
	v_mul_f64 v[2:3], v[4:5], -v[0:1]
.LBB64_13:
	s_or_b64 exec, exec, s[0:1]
	s_mov_b64 s[8:9], -1
.LBB64_14:
	s_and_b64 vcc, exec, s[8:9]
	s_cbranch_vccz .LBB64_16
; %bb.15:
	v_mov_b64_e32 v[4:5], s[4:5]
	s_waitcnt vmcnt(0) lgkmcnt(0)
	flat_store_dwordx4 v[4:5], v[0:3]
.LBB64_16:
	s_endpgm
	.section	.rodata,"a",@progbits
	.p2align	6, 0x0
	.amdhsa_kernel _ZN9rocsolver6v33100L18getri_kernel_smallILi1E19rocblas_complex_numIdEPKPS3_EEvT1_iilPiilS8_bb
		.amdhsa_group_segment_fixed_size 4
		.amdhsa_private_segment_fixed_size 0
		.amdhsa_kernarg_size 60
		.amdhsa_user_sgpr_count 2
		.amdhsa_user_sgpr_dispatch_ptr 0
		.amdhsa_user_sgpr_queue_ptr 0
		.amdhsa_user_sgpr_kernarg_segment_ptr 1
		.amdhsa_user_sgpr_dispatch_id 0
		.amdhsa_user_sgpr_kernarg_preload_length 0
		.amdhsa_user_sgpr_kernarg_preload_offset 0
		.amdhsa_user_sgpr_private_segment_size 0
		.amdhsa_uses_dynamic_stack 0
		.amdhsa_enable_private_segment 0
		.amdhsa_system_sgpr_workgroup_id_x 1
		.amdhsa_system_sgpr_workgroup_id_y 0
		.amdhsa_system_sgpr_workgroup_id_z 0
		.amdhsa_system_sgpr_workgroup_info 0
		.amdhsa_system_vgpr_workitem_id 0
		.amdhsa_next_free_vgpr 12
		.amdhsa_next_free_sgpr 14
		.amdhsa_accum_offset 12
		.amdhsa_reserve_vcc 1
		.amdhsa_float_round_mode_32 0
		.amdhsa_float_round_mode_16_64 0
		.amdhsa_float_denorm_mode_32 3
		.amdhsa_float_denorm_mode_16_64 3
		.amdhsa_dx10_clamp 1
		.amdhsa_ieee_mode 1
		.amdhsa_fp16_overflow 0
		.amdhsa_tg_split 0
		.amdhsa_exception_fp_ieee_invalid_op 0
		.amdhsa_exception_fp_denorm_src 0
		.amdhsa_exception_fp_ieee_div_zero 0
		.amdhsa_exception_fp_ieee_overflow 0
		.amdhsa_exception_fp_ieee_underflow 0
		.amdhsa_exception_fp_ieee_inexact 0
		.amdhsa_exception_int_div_zero 0
	.end_amdhsa_kernel
	.section	.text._ZN9rocsolver6v33100L18getri_kernel_smallILi1E19rocblas_complex_numIdEPKPS3_EEvT1_iilPiilS8_bb,"axG",@progbits,_ZN9rocsolver6v33100L18getri_kernel_smallILi1E19rocblas_complex_numIdEPKPS3_EEvT1_iilPiilS8_bb,comdat
.Lfunc_end64:
	.size	_ZN9rocsolver6v33100L18getri_kernel_smallILi1E19rocblas_complex_numIdEPKPS3_EEvT1_iilPiilS8_bb, .Lfunc_end64-_ZN9rocsolver6v33100L18getri_kernel_smallILi1E19rocblas_complex_numIdEPKPS3_EEvT1_iilPiilS8_bb
                                        ; -- End function
	.set _ZN9rocsolver6v33100L18getri_kernel_smallILi1E19rocblas_complex_numIdEPKPS3_EEvT1_iilPiilS8_bb.num_vgpr, 12
	.set _ZN9rocsolver6v33100L18getri_kernel_smallILi1E19rocblas_complex_numIdEPKPS3_EEvT1_iilPiilS8_bb.num_agpr, 0
	.set _ZN9rocsolver6v33100L18getri_kernel_smallILi1E19rocblas_complex_numIdEPKPS3_EEvT1_iilPiilS8_bb.numbered_sgpr, 14
	.set _ZN9rocsolver6v33100L18getri_kernel_smallILi1E19rocblas_complex_numIdEPKPS3_EEvT1_iilPiilS8_bb.num_named_barrier, 0
	.set _ZN9rocsolver6v33100L18getri_kernel_smallILi1E19rocblas_complex_numIdEPKPS3_EEvT1_iilPiilS8_bb.private_seg_size, 0
	.set _ZN9rocsolver6v33100L18getri_kernel_smallILi1E19rocblas_complex_numIdEPKPS3_EEvT1_iilPiilS8_bb.uses_vcc, 1
	.set _ZN9rocsolver6v33100L18getri_kernel_smallILi1E19rocblas_complex_numIdEPKPS3_EEvT1_iilPiilS8_bb.uses_flat_scratch, 0
	.set _ZN9rocsolver6v33100L18getri_kernel_smallILi1E19rocblas_complex_numIdEPKPS3_EEvT1_iilPiilS8_bb.has_dyn_sized_stack, 0
	.set _ZN9rocsolver6v33100L18getri_kernel_smallILi1E19rocblas_complex_numIdEPKPS3_EEvT1_iilPiilS8_bb.has_recursion, 0
	.set _ZN9rocsolver6v33100L18getri_kernel_smallILi1E19rocblas_complex_numIdEPKPS3_EEvT1_iilPiilS8_bb.has_indirect_call, 0
	.section	.AMDGPU.csdata,"",@progbits
; Kernel info:
; codeLenInByte = 760
; TotalNumSgprs: 20
; NumVgprs: 12
; NumAgprs: 0
; TotalNumVgprs: 12
; ScratchSize: 0
; MemoryBound: 0
; FloatMode: 240
; IeeeMode: 1
; LDSByteSize: 4 bytes/workgroup (compile time only)
; SGPRBlocks: 2
; VGPRBlocks: 1
; NumSGPRsForWavesPerEU: 20
; NumVGPRsForWavesPerEU: 12
; AccumOffset: 12
; Occupancy: 8
; WaveLimiterHint : 1
; COMPUTE_PGM_RSRC2:SCRATCH_EN: 0
; COMPUTE_PGM_RSRC2:USER_SGPR: 2
; COMPUTE_PGM_RSRC2:TRAP_HANDLER: 0
; COMPUTE_PGM_RSRC2:TGID_X_EN: 1
; COMPUTE_PGM_RSRC2:TGID_Y_EN: 0
; COMPUTE_PGM_RSRC2:TGID_Z_EN: 0
; COMPUTE_PGM_RSRC2:TIDIG_COMP_CNT: 0
; COMPUTE_PGM_RSRC3_GFX90A:ACCUM_OFFSET: 2
; COMPUTE_PGM_RSRC3_GFX90A:TG_SPLIT: 0
	.section	.text._ZN9rocsolver6v33100L18getri_kernel_smallILi2E19rocblas_complex_numIdEPKPS3_EEvT1_iilPiilS8_bb,"axG",@progbits,_ZN9rocsolver6v33100L18getri_kernel_smallILi2E19rocblas_complex_numIdEPKPS3_EEvT1_iilPiilS8_bb,comdat
	.globl	_ZN9rocsolver6v33100L18getri_kernel_smallILi2E19rocblas_complex_numIdEPKPS3_EEvT1_iilPiilS8_bb ; -- Begin function _ZN9rocsolver6v33100L18getri_kernel_smallILi2E19rocblas_complex_numIdEPKPS3_EEvT1_iilPiilS8_bb
	.p2align	8
	.type	_ZN9rocsolver6v33100L18getri_kernel_smallILi2E19rocblas_complex_numIdEPKPS3_EEvT1_iilPiilS8_bb,@function
_ZN9rocsolver6v33100L18getri_kernel_smallILi2E19rocblas_complex_numIdEPKPS3_EEvT1_iilPiilS8_bb: ; @_ZN9rocsolver6v33100L18getri_kernel_smallILi2E19rocblas_complex_numIdEPKPS3_EEvT1_iilPiilS8_bb
; %bb.0:
	v_and_b32_e32 v1, 0x3ff, v0
	v_cmp_gt_u32_e32 vcc, 2, v1
	s_and_saveexec_b64 s[6:7], vcc
	s_cbranch_execz .LBB65_22
; %bb.1:
	s_load_dword s16, s[2:3], 0x38
	s_load_dwordx2 s[6:7], s[2:3], 0x0
	s_load_dwordx4 s[8:11], s[2:3], 0x28
	s_waitcnt lgkmcnt(0)
	s_bitcmp1_b32 s16, 8
	s_cselect_b64 s[12:13], -1, 0
	s_ashr_i32 s5, s4, 31
	s_lshl_b64 s[14:15], s[4:5], 3
	s_add_u32 s6, s6, s14
	s_addc_u32 s7, s7, s15
	s_load_dwordx2 s[6:7], s[6:7], 0x0
	s_bfe_u32 s14, s16, 0x10008
	s_cmp_eq_u32 s14, 0
                                        ; implicit-def: $sgpr14_sgpr15
	s_cbranch_scc1 .LBB65_3
; %bb.2:
	s_load_dword s14, s[2:3], 0x20
	s_load_dwordx2 s[16:17], s[2:3], 0x18
	s_mul_i32 s15, s8, s5
	s_mul_hi_u32 s18, s8, s4
	s_add_i32 s18, s18, s15
	s_mul_i32 s9, s9, s4
	s_add_i32 s9, s18, s9
	s_mul_i32 s8, s8, s4
	s_waitcnt lgkmcnt(0)
	s_ashr_i32 s15, s14, 31
	s_lshl_b64 s[8:9], s[8:9], 2
	s_add_u32 s16, s16, s8
	s_addc_u32 s17, s17, s9
	s_lshl_b64 s[8:9], s[14:15], 2
	s_add_u32 s14, s16, s8
	s_addc_u32 s15, s17, s9
.LBB65_3:
	s_load_dwordx2 s[8:9], s[2:3], 0x8
	s_load_dword s16, s[2:3], 0x38
	v_lshlrev_b32_e32 v18, 4, v1
	v_mov_b32_e32 v19, 0
	s_mov_b32 s18, 16
	s_waitcnt lgkmcnt(0)
	s_ashr_i32 s3, s8, 31
	s_mov_b32 s2, s8
	s_lshl_b64 s[2:3], s[2:3], 4
	s_add_u32 s2, s6, s2
	s_addc_u32 s3, s7, s3
	v_lshl_add_u64 v[14:15], s[2:3], 0, v[18:19]
	s_ashr_i32 s3, s9, 31
	s_mov_b32 s2, s9
	v_lshl_add_u64 v[16:17], s[2:3], 4, v[14:15]
	flat_load_dwordx4 v[2:5], v[14:15]
	flat_load_dwordx4 v[6:9], v[16:17]
	s_bitcmp0_b32 s16, 0
	s_mov_b64 s[6:7], -1
	s_waitcnt vmcnt(0) lgkmcnt(0)
	scratch_store_dwordx4 off, v[2:5], off
	scratch_store_dwordx4 off, v[6:9], off offset:16
	s_cbranch_scc1 .LBB65_20
; %bb.4:
	v_cmp_eq_u32_e64 s[2:3], 0, v1
	s_and_saveexec_b64 s[6:7], s[2:3]
; %bb.5:
	v_mov_b32_e32 v2, 0
	ds_write_b32 v2, v2 offset:64
; %bb.6:
	s_or_b64 exec, exec, s[6:7]
	s_waitcnt lgkmcnt(0)
	; wave barrier
	scratch_load_dwordx4 v[2:5], v18, off
	s_waitcnt vmcnt(0)
	v_cmp_eq_f64_e32 vcc, 0, v[2:3]
	v_cmp_eq_f64_e64 s[6:7], 0, v[4:5]
	s_and_b64 s[6:7], vcc, s[6:7]
	s_and_saveexec_b64 s[8:9], s[6:7]
	s_cbranch_execz .LBB65_10
; %bb.7:
	v_mov_b32_e32 v2, 0
	ds_read_b32 v4, v2 offset:64
	v_add_u32_e32 v3, 1, v1
	s_waitcnt lgkmcnt(0)
	v_readfirstlane_b32 s6, v4
	s_cmp_eq_u32 s6, 0
	s_cselect_b64 s[16:17], -1, 0
	v_cmp_gt_i32_e32 vcc, s6, v3
	s_or_b64 s[16:17], s[16:17], vcc
	s_and_b64 exec, exec, s[16:17]
	s_cbranch_execz .LBB65_10
; %bb.8:
	s_mov_b64 s[16:17], 0
	v_mov_b32_e32 v4, s6
.LBB65_9:                               ; =>This Inner Loop Header: Depth=1
	ds_cmpst_rtn_b32 v4, v2, v4, v3 offset:64
	s_waitcnt lgkmcnt(0)
	v_cmp_ne_u32_e32 vcc, 0, v4
	v_cmp_le_i32_e64 s[6:7], v4, v3
	s_and_b64 s[6:7], vcc, s[6:7]
	s_and_b64 s[6:7], exec, s[6:7]
	s_or_b64 s[16:17], s[6:7], s[16:17]
	s_andn2_b64 exec, exec, s[16:17]
	s_cbranch_execnz .LBB65_9
.LBB65_10:
	s_or_b64 exec, exec, s[8:9]
	v_mov_b32_e32 v3, 0
	; wave barrier
	ds_read_b32 v2, v3 offset:64
	s_and_saveexec_b64 s[6:7], s[2:3]
	s_cbranch_execz .LBB65_12
; %bb.11:
	s_lshl_b64 s[8:9], s[4:5], 2
	s_add_u32 s8, s10, s8
	s_addc_u32 s9, s11, s9
	s_waitcnt lgkmcnt(0)
	global_store_dword v3, v2, s[8:9]
.LBB65_12:
	s_or_b64 exec, exec, s[6:7]
	s_waitcnt lgkmcnt(0)
	v_cmp_ne_u32_e32 vcc, 0, v2
	s_mov_b64 s[6:7], 0
	s_cbranch_vccnz .LBB65_20
; %bb.13:
	v_mov_b32_e32 v12, v18
	scratch_load_dwordx4 v[2:5], v12, off
                                        ; implicit-def: $vgpr6_vgpr7
                                        ; implicit-def: $vgpr10_vgpr11
	s_waitcnt vmcnt(0)
	v_cmp_ngt_f64_e64 s[6:7], |v[2:3]|, |v[4:5]|
	s_and_saveexec_b64 s[8:9], s[6:7]
	s_xor_b64 s[6:7], exec, s[8:9]
	s_cbranch_execz .LBB65_15
; %bb.14:
	v_div_scale_f64 v[6:7], s[8:9], v[4:5], v[4:5], v[2:3]
	v_rcp_f64_e32 v[8:9], v[6:7]
	v_div_scale_f64 v[10:11], vcc, v[2:3], v[4:5], v[2:3]
	v_fma_f64 v[20:21], -v[6:7], v[8:9], 1.0
	v_fmac_f64_e32 v[8:9], v[8:9], v[20:21]
	v_fma_f64 v[20:21], -v[6:7], v[8:9], 1.0
	v_fmac_f64_e32 v[8:9], v[8:9], v[20:21]
	v_mul_f64 v[20:21], v[10:11], v[8:9]
	v_fma_f64 v[6:7], -v[6:7], v[20:21], v[10:11]
	v_div_fmas_f64 v[6:7], v[6:7], v[8:9], v[20:21]
	v_div_fixup_f64 v[6:7], v[6:7], v[4:5], v[2:3]
	v_fmac_f64_e32 v[4:5], v[2:3], v[6:7]
	v_div_scale_f64 v[2:3], s[8:9], v[4:5], v[4:5], 1.0
	v_rcp_f64_e32 v[8:9], v[2:3]
	s_nop 0
	v_fma_f64 v[10:11], -v[2:3], v[8:9], 1.0
	v_fmac_f64_e32 v[8:9], v[8:9], v[10:11]
	v_fma_f64 v[10:11], -v[2:3], v[8:9], 1.0
	v_fmac_f64_e32 v[8:9], v[8:9], v[10:11]
	v_div_scale_f64 v[10:11], vcc, 1.0, v[4:5], 1.0
	v_mul_f64 v[20:21], v[10:11], v[8:9]
	v_fma_f64 v[2:3], -v[2:3], v[20:21], v[10:11]
	s_nop 1
	v_div_fmas_f64 v[2:3], v[2:3], v[8:9], v[20:21]
	v_div_fixup_f64 v[8:9], v[2:3], v[4:5], 1.0
	v_mul_f64 v[6:7], v[6:7], v[8:9]
	v_xor_b32_e32 v9, 0x80000000, v9
	v_xor_b32_e32 v11, 0x80000000, v7
	v_mov_b32_e32 v10, v6
                                        ; implicit-def: $vgpr2_vgpr3
.LBB65_15:
	s_andn2_saveexec_b64 s[6:7], s[6:7]
	s_cbranch_execz .LBB65_17
; %bb.16:
	v_div_scale_f64 v[6:7], s[8:9], v[2:3], v[2:3], v[4:5]
	v_rcp_f64_e32 v[8:9], v[6:7]
	v_div_scale_f64 v[10:11], vcc, v[4:5], v[2:3], v[4:5]
	v_fma_f64 v[20:21], -v[6:7], v[8:9], 1.0
	v_fmac_f64_e32 v[8:9], v[8:9], v[20:21]
	v_fma_f64 v[20:21], -v[6:7], v[8:9], 1.0
	v_fmac_f64_e32 v[8:9], v[8:9], v[20:21]
	v_mul_f64 v[20:21], v[10:11], v[8:9]
	v_fma_f64 v[6:7], -v[6:7], v[20:21], v[10:11]
	v_div_fmas_f64 v[6:7], v[6:7], v[8:9], v[20:21]
	v_div_fixup_f64 v[8:9], v[6:7], v[2:3], v[4:5]
	v_fmac_f64_e32 v[2:3], v[4:5], v[8:9]
	v_div_scale_f64 v[4:5], s[8:9], v[2:3], v[2:3], 1.0
	v_rcp_f64_e32 v[6:7], v[4:5]
	s_nop 0
	v_fma_f64 v[10:11], -v[4:5], v[6:7], 1.0
	v_fmac_f64_e32 v[6:7], v[6:7], v[10:11]
	v_fma_f64 v[10:11], -v[4:5], v[6:7], 1.0
	v_fmac_f64_e32 v[6:7], v[6:7], v[10:11]
	v_div_scale_f64 v[10:11], vcc, 1.0, v[2:3], 1.0
	v_mul_f64 v[20:21], v[10:11], v[6:7]
	v_fma_f64 v[4:5], -v[4:5], v[20:21], v[10:11]
	s_nop 1
	v_div_fmas_f64 v[4:5], v[4:5], v[6:7], v[20:21]
	v_div_fixup_f64 v[6:7], v[4:5], v[2:3], 1.0
	v_xor_b32_e32 v11, 0x80000000, v7
	v_mov_b32_e32 v10, v6
	v_mul_f64 v[8:9], v[8:9], -v[6:7]
.LBB65_17:
	s_or_b64 exec, exec, s[6:7]
	scratch_store_dwordx4 v12, v[6:9], off
	scratch_load_dwordx4 v[2:5], off, s18
	v_xor_b32_e32 v13, 0x80000000, v9
	v_mov_b32_e32 v12, v8
	ds_write_b128 v18, v[10:13]
	s_waitcnt vmcnt(0)
	ds_write_b128 v18, v[2:5] offset:32
	s_waitcnt lgkmcnt(0)
	; wave barrier
	s_and_saveexec_b64 s[6:7], s[2:3]
	s_cbranch_execz .LBB65_19
; %bb.18:
	scratch_load_dwordx4 v[2:5], off, off
	v_mov_b32_e32 v10, 0
	ds_read_b128 v[6:9], v10 offset:32
	ds_read_b128 v[10:13], v10 offset:16
	s_waitcnt vmcnt(0) lgkmcnt(1)
	v_mul_f64 v[18:19], v[8:9], v[4:5]
	v_mul_f64 v[4:5], v[6:7], v[4:5]
	v_fma_f64 v[6:7], v[6:7], v[2:3], -v[18:19]
	v_fmac_f64_e32 v[4:5], v[8:9], v[2:3]
	v_add_f64 v[2:3], v[6:7], 0
	v_add_f64 v[6:7], v[4:5], 0
	s_waitcnt lgkmcnt(0)
	v_mul_f64 v[8:9], v[6:7], v[12:13]
	v_mul_f64 v[4:5], v[2:3], v[12:13]
	v_fma_f64 v[2:3], v[2:3], v[10:11], -v[8:9]
	v_fmac_f64_e32 v[4:5], v[6:7], v[10:11]
	scratch_store_dwordx4 off, v[2:5], off offset:16
.LBB65_19:
	s_or_b64 exec, exec, s[6:7]
	s_mov_b64 s[6:7], -1
	; wave barrier
.LBB65_20:
	s_and_b64 vcc, exec, s[6:7]
	s_cbranch_vccz .LBB65_22
; %bb.21:
	s_lshl_b64 s[2:3], s[4:5], 2
	s_add_u32 s2, s10, s2
	s_addc_u32 s3, s11, s3
	v_mov_b32_e32 v2, 0
	global_load_dword v2, v2, s[2:3]
	s_waitcnt vmcnt(0)
	v_cmp_ne_u32_e32 vcc, 0, v2
	s_cbranch_vccz .LBB65_23
.LBB65_22:
	s_endpgm
.LBB65_23:
	v_cmp_eq_u32_e32 vcc, 1, v1
	s_and_saveexec_b64 s[2:3], vcc
	s_cbranch_execz .LBB65_25
; %bb.24:
	scratch_load_dwordx4 v[2:5], off, off
	v_mov_b32_e32 v6, 0
	v_mov_b32_e32 v7, v6
	;; [unrolled: 1-line block ×4, first 2 shown]
	scratch_store_dwordx4 off, v[6:9], off
	s_waitcnt vmcnt(1)
	ds_write_b128 v6, v[2:5] offset:48
.LBB65_25:
	s_or_b64 exec, exec, s[2:3]
	s_waitcnt lgkmcnt(0)
	; wave barrier
	scratch_load_dwordx4 v[4:7], off, off offset:16
	scratch_load_dwordx4 v[8:11], off, off
	v_mov_b32_e32 v2, 0
	ds_read_b128 v[18:21], v2 offset:48
	s_and_b64 vcc, exec, s[12:13]
	s_waitcnt vmcnt(1) lgkmcnt(0)
	v_mul_f64 v[12:13], v[20:21], v[6:7]
	v_mul_f64 v[6:7], v[18:19], v[6:7]
	v_fma_f64 v[12:13], v[18:19], v[4:5], -v[12:13]
	v_fmac_f64_e32 v[6:7], v[20:21], v[4:5]
	v_add_f64 v[4:5], v[12:13], 0
	v_add_f64 v[6:7], v[6:7], 0
	s_waitcnt vmcnt(0)
	v_add_f64 v[4:5], v[8:9], -v[4:5]
	v_add_f64 v[6:7], v[10:11], -v[6:7]
	scratch_store_dwordx4 off, v[4:7], off
	s_cbranch_vccz .LBB65_28
; %bb.26:
	global_load_dword v2, v2, s[14:15]
	s_waitcnt vmcnt(0)
	v_readfirstlane_b32 s2, v2
	s_add_i32 s2, s2, -1
	s_cmp_lg_u32 s2, 0
	s_cbranch_scc0 .LBB65_28
; %bb.27:
	s_lshl_b32 s4, s2, 4
	scratch_load_dwordx4 v[2:5], off, off
	scratch_load_dwordx4 v[6:9], off, s4
	s_load_dwordx2 s[2:3], s[0:1], 0x4
	v_bfe_u32 v10, v0, 10, 10
	v_bfe_u32 v0, v0, 20, 10
	s_waitcnt lgkmcnt(0)
	s_lshr_b32 s0, s2, 16
	v_mul_u32_u24_e32 v10, s3, v10
	s_mul_i32 s0, s0, s3
	v_mad_u32_u24 v1, s0, v1, v10
	v_add_lshl_u32 v0, v1, v0, 4
	s_waitcnt vmcnt(1)
	ds_write2_b64 v0, v[2:3], v[4:5] offset0:9 offset1:10
	s_waitcnt vmcnt(0)
	scratch_store_dwordx4 off, v[6:9], off
	scratch_store_dwordx4 off, v[2:5], s4
.LBB65_28:
	scratch_load_dwordx4 v[0:3], off, off
	s_nop 0
	scratch_load_dwordx4 v[4:7], off, s18
	s_waitcnt vmcnt(1)
	flat_store_dwordx4 v[14:15], v[0:3]
	s_waitcnt vmcnt(0)
	flat_store_dwordx4 v[16:17], v[4:7]
	s_endpgm
	.section	.rodata,"a",@progbits
	.p2align	6, 0x0
	.amdhsa_kernel _ZN9rocsolver6v33100L18getri_kernel_smallILi2E19rocblas_complex_numIdEPKPS3_EEvT1_iilPiilS8_bb
		.amdhsa_group_segment_fixed_size 1096
		.amdhsa_private_segment_fixed_size 48
		.amdhsa_kernarg_size 60
		.amdhsa_user_sgpr_count 4
		.amdhsa_user_sgpr_dispatch_ptr 1
		.amdhsa_user_sgpr_queue_ptr 0
		.amdhsa_user_sgpr_kernarg_segment_ptr 1
		.amdhsa_user_sgpr_dispatch_id 0
		.amdhsa_user_sgpr_kernarg_preload_length 0
		.amdhsa_user_sgpr_kernarg_preload_offset 0
		.amdhsa_user_sgpr_private_segment_size 0
		.amdhsa_uses_dynamic_stack 0
		.amdhsa_enable_private_segment 1
		.amdhsa_system_sgpr_workgroup_id_x 1
		.amdhsa_system_sgpr_workgroup_id_y 0
		.amdhsa_system_sgpr_workgroup_id_z 0
		.amdhsa_system_sgpr_workgroup_info 0
		.amdhsa_system_vgpr_workitem_id 2
		.amdhsa_next_free_vgpr 22
		.amdhsa_next_free_sgpr 19
		.amdhsa_accum_offset 24
		.amdhsa_reserve_vcc 1
		.amdhsa_float_round_mode_32 0
		.amdhsa_float_round_mode_16_64 0
		.amdhsa_float_denorm_mode_32 3
		.amdhsa_float_denorm_mode_16_64 3
		.amdhsa_dx10_clamp 1
		.amdhsa_ieee_mode 1
		.amdhsa_fp16_overflow 0
		.amdhsa_tg_split 0
		.amdhsa_exception_fp_ieee_invalid_op 0
		.amdhsa_exception_fp_denorm_src 0
		.amdhsa_exception_fp_ieee_div_zero 0
		.amdhsa_exception_fp_ieee_overflow 0
		.amdhsa_exception_fp_ieee_underflow 0
		.amdhsa_exception_fp_ieee_inexact 0
		.amdhsa_exception_int_div_zero 0
	.end_amdhsa_kernel
	.section	.text._ZN9rocsolver6v33100L18getri_kernel_smallILi2E19rocblas_complex_numIdEPKPS3_EEvT1_iilPiilS8_bb,"axG",@progbits,_ZN9rocsolver6v33100L18getri_kernel_smallILi2E19rocblas_complex_numIdEPKPS3_EEvT1_iilPiilS8_bb,comdat
.Lfunc_end65:
	.size	_ZN9rocsolver6v33100L18getri_kernel_smallILi2E19rocblas_complex_numIdEPKPS3_EEvT1_iilPiilS8_bb, .Lfunc_end65-_ZN9rocsolver6v33100L18getri_kernel_smallILi2E19rocblas_complex_numIdEPKPS3_EEvT1_iilPiilS8_bb
                                        ; -- End function
	.set _ZN9rocsolver6v33100L18getri_kernel_smallILi2E19rocblas_complex_numIdEPKPS3_EEvT1_iilPiilS8_bb.num_vgpr, 22
	.set _ZN9rocsolver6v33100L18getri_kernel_smallILi2E19rocblas_complex_numIdEPKPS3_EEvT1_iilPiilS8_bb.num_agpr, 0
	.set _ZN9rocsolver6v33100L18getri_kernel_smallILi2E19rocblas_complex_numIdEPKPS3_EEvT1_iilPiilS8_bb.numbered_sgpr, 19
	.set _ZN9rocsolver6v33100L18getri_kernel_smallILi2E19rocblas_complex_numIdEPKPS3_EEvT1_iilPiilS8_bb.num_named_barrier, 0
	.set _ZN9rocsolver6v33100L18getri_kernel_smallILi2E19rocblas_complex_numIdEPKPS3_EEvT1_iilPiilS8_bb.private_seg_size, 48
	.set _ZN9rocsolver6v33100L18getri_kernel_smallILi2E19rocblas_complex_numIdEPKPS3_EEvT1_iilPiilS8_bb.uses_vcc, 1
	.set _ZN9rocsolver6v33100L18getri_kernel_smallILi2E19rocblas_complex_numIdEPKPS3_EEvT1_iilPiilS8_bb.uses_flat_scratch, 0
	.set _ZN9rocsolver6v33100L18getri_kernel_smallILi2E19rocblas_complex_numIdEPKPS3_EEvT1_iilPiilS8_bb.has_dyn_sized_stack, 0
	.set _ZN9rocsolver6v33100L18getri_kernel_smallILi2E19rocblas_complex_numIdEPKPS3_EEvT1_iilPiilS8_bb.has_recursion, 0
	.set _ZN9rocsolver6v33100L18getri_kernel_smallILi2E19rocblas_complex_numIdEPKPS3_EEvT1_iilPiilS8_bb.has_indirect_call, 0
	.section	.AMDGPU.csdata,"",@progbits
; Kernel info:
; codeLenInByte = 1544
; TotalNumSgprs: 25
; NumVgprs: 22
; NumAgprs: 0
; TotalNumVgprs: 22
; ScratchSize: 48
; MemoryBound: 0
; FloatMode: 240
; IeeeMode: 1
; LDSByteSize: 1096 bytes/workgroup (compile time only)
; SGPRBlocks: 3
; VGPRBlocks: 2
; NumSGPRsForWavesPerEU: 25
; NumVGPRsForWavesPerEU: 22
; AccumOffset: 24
; Occupancy: 8
; WaveLimiterHint : 1
; COMPUTE_PGM_RSRC2:SCRATCH_EN: 1
; COMPUTE_PGM_RSRC2:USER_SGPR: 4
; COMPUTE_PGM_RSRC2:TRAP_HANDLER: 0
; COMPUTE_PGM_RSRC2:TGID_X_EN: 1
; COMPUTE_PGM_RSRC2:TGID_Y_EN: 0
; COMPUTE_PGM_RSRC2:TGID_Z_EN: 0
; COMPUTE_PGM_RSRC2:TIDIG_COMP_CNT: 2
; COMPUTE_PGM_RSRC3_GFX90A:ACCUM_OFFSET: 5
; COMPUTE_PGM_RSRC3_GFX90A:TG_SPLIT: 0
	.section	.text._ZN9rocsolver6v33100L18getri_kernel_smallILi3E19rocblas_complex_numIdEPKPS3_EEvT1_iilPiilS8_bb,"axG",@progbits,_ZN9rocsolver6v33100L18getri_kernel_smallILi3E19rocblas_complex_numIdEPKPS3_EEvT1_iilPiilS8_bb,comdat
	.globl	_ZN9rocsolver6v33100L18getri_kernel_smallILi3E19rocblas_complex_numIdEPKPS3_EEvT1_iilPiilS8_bb ; -- Begin function _ZN9rocsolver6v33100L18getri_kernel_smallILi3E19rocblas_complex_numIdEPKPS3_EEvT1_iilPiilS8_bb
	.p2align	8
	.type	_ZN9rocsolver6v33100L18getri_kernel_smallILi3E19rocblas_complex_numIdEPKPS3_EEvT1_iilPiilS8_bb,@function
_ZN9rocsolver6v33100L18getri_kernel_smallILi3E19rocblas_complex_numIdEPKPS3_EEvT1_iilPiilS8_bb: ; @_ZN9rocsolver6v33100L18getri_kernel_smallILi3E19rocblas_complex_numIdEPKPS3_EEvT1_iilPiilS8_bb
; %bb.0:
	v_and_b32_e32 v1, 0x3ff, v0
	v_cmp_gt_u32_e32 vcc, 3, v1
	s_and_saveexec_b64 s[6:7], vcc
	s_cbranch_execz .LBB66_26
; %bb.1:
	s_load_dword s16, s[2:3], 0x38
	s_load_dwordx2 s[6:7], s[2:3], 0x0
	s_load_dwordx4 s[8:11], s[2:3], 0x28
	s_waitcnt lgkmcnt(0)
	s_bitcmp1_b32 s16, 8
	s_cselect_b64 s[14:15], -1, 0
	s_ashr_i32 s5, s4, 31
	s_lshl_b64 s[12:13], s[4:5], 3
	s_add_u32 s6, s6, s12
	s_addc_u32 s7, s7, s13
	s_load_dwordx2 s[6:7], s[6:7], 0x0
	s_bfe_u32 s12, s16, 0x10008
	s_cmp_eq_u32 s12, 0
                                        ; implicit-def: $sgpr12_sgpr13
	s_cbranch_scc1 .LBB66_3
; %bb.2:
	s_load_dword s12, s[2:3], 0x20
	s_load_dwordx2 s[16:17], s[2:3], 0x18
	s_mul_i32 s13, s8, s5
	s_mul_hi_u32 s18, s8, s4
	s_add_i32 s18, s18, s13
	s_mul_i32 s9, s9, s4
	s_add_i32 s9, s18, s9
	s_mul_i32 s8, s8, s4
	s_waitcnt lgkmcnt(0)
	s_ashr_i32 s13, s12, 31
	s_lshl_b64 s[8:9], s[8:9], 2
	s_add_u32 s16, s16, s8
	s_addc_u32 s17, s17, s9
	s_lshl_b64 s[8:9], s[12:13], 2
	s_add_u32 s12, s16, s8
	s_addc_u32 s13, s17, s9
.LBB66_3:
	s_load_dwordx2 s[8:9], s[2:3], 0x8
	s_load_dword s16, s[2:3], 0x38
	v_lshlrev_b32_e32 v20, 4, v1
	v_mov_b32_e32 v21, 0
	s_mov_b32 s18, 16
	s_waitcnt lgkmcnt(0)
	s_ashr_i32 s3, s8, 31
	s_mov_b32 s2, s8
	s_lshl_b64 s[2:3], s[2:3], 4
	s_add_u32 s2, s6, s2
	s_addc_u32 s3, s7, s3
	v_lshl_add_u64 v[14:15], s[2:3], 0, v[20:21]
	s_ashr_i32 s7, s9, 31
	s_mov_b32 s6, s9
	v_lshl_add_u64 v[16:17], s[6:7], 4, v[14:15]
	s_add_i32 s6, s9, s9
	v_add_u32_e32 v10, s6, v1
	flat_load_dwordx4 v[2:5], v[14:15]
	flat_load_dwordx4 v[6:9], v[16:17]
	v_ashrrev_i32_e32 v11, 31, v10
	v_lshl_add_u64 v[18:19], v[10:11], 4, s[2:3]
	flat_load_dwordx4 v[10:13], v[18:19]
	s_mov_b32 s19, 32
	s_bitcmp0_b32 s16, 0
	s_mov_b64 s[6:7], -1
	s_waitcnt vmcnt(0) lgkmcnt(0)
	scratch_store_dwordx4 off, v[2:5], off
	scratch_store_dwordx4 off, v[6:9], off offset:16
	scratch_store_dwordx4 off, v[10:13], off offset:32
	s_cbranch_scc1 .LBB66_24
; %bb.4:
	v_cmp_eq_u32_e64 s[2:3], 0, v1
	s_and_saveexec_b64 s[6:7], s[2:3]
; %bb.5:
	v_mov_b32_e32 v2, 0
	ds_write_b32 v2, v2 offset:96
; %bb.6:
	s_or_b64 exec, exec, s[6:7]
	s_waitcnt lgkmcnt(0)
	; wave barrier
	scratch_load_dwordx4 v[2:5], v20, off
	s_waitcnt vmcnt(0)
	v_cmp_eq_f64_e32 vcc, 0, v[2:3]
	v_cmp_eq_f64_e64 s[6:7], 0, v[4:5]
	s_and_b64 s[6:7], vcc, s[6:7]
	s_and_saveexec_b64 s[8:9], s[6:7]
	s_cbranch_execz .LBB66_10
; %bb.7:
	v_mov_b32_e32 v2, 0
	ds_read_b32 v4, v2 offset:96
	v_add_u32_e32 v3, 1, v1
	s_waitcnt lgkmcnt(0)
	v_readfirstlane_b32 s6, v4
	s_cmp_eq_u32 s6, 0
	s_cselect_b64 s[16:17], -1, 0
	v_cmp_gt_i32_e32 vcc, s6, v3
	s_or_b64 s[16:17], s[16:17], vcc
	s_and_b64 exec, exec, s[16:17]
	s_cbranch_execz .LBB66_10
; %bb.8:
	s_mov_b64 s[16:17], 0
	v_mov_b32_e32 v4, s6
.LBB66_9:                               ; =>This Inner Loop Header: Depth=1
	ds_cmpst_rtn_b32 v4, v2, v4, v3 offset:96
	s_waitcnt lgkmcnt(0)
	v_cmp_ne_u32_e32 vcc, 0, v4
	v_cmp_le_i32_e64 s[6:7], v4, v3
	s_and_b64 s[6:7], vcc, s[6:7]
	s_and_b64 s[6:7], exec, s[6:7]
	s_or_b64 s[16:17], s[6:7], s[16:17]
	s_andn2_b64 exec, exec, s[16:17]
	s_cbranch_execnz .LBB66_9
.LBB66_10:
	s_or_b64 exec, exec, s[8:9]
	v_mov_b32_e32 v3, 0
	; wave barrier
	ds_read_b32 v2, v3 offset:96
	s_and_saveexec_b64 s[6:7], s[2:3]
	s_cbranch_execz .LBB66_12
; %bb.11:
	s_lshl_b64 s[8:9], s[4:5], 2
	s_add_u32 s8, s10, s8
	s_addc_u32 s9, s11, s9
	s_waitcnt lgkmcnt(0)
	global_store_dword v3, v2, s[8:9]
.LBB66_12:
	s_or_b64 exec, exec, s[6:7]
	s_waitcnt lgkmcnt(0)
	v_cmp_ne_u32_e32 vcc, 0, v2
	s_mov_b64 s[6:7], 0
	s_cbranch_vccnz .LBB66_24
; %bb.13:
	v_mov_b32_e32 v21, v20
	scratch_load_dwordx4 v[2:5], v21, off
                                        ; implicit-def: $vgpr6_vgpr7
                                        ; implicit-def: $vgpr10_vgpr11
	s_waitcnt vmcnt(0)
	v_cmp_ngt_f64_e64 s[6:7], |v[2:3]|, |v[4:5]|
	s_and_saveexec_b64 s[8:9], s[6:7]
	s_xor_b64 s[6:7], exec, s[8:9]
	s_cbranch_execz .LBB66_15
; %bb.14:
	v_div_scale_f64 v[6:7], s[8:9], v[4:5], v[4:5], v[2:3]
	v_rcp_f64_e32 v[8:9], v[6:7]
	v_div_scale_f64 v[10:11], vcc, v[2:3], v[4:5], v[2:3]
	v_fma_f64 v[12:13], -v[6:7], v[8:9], 1.0
	v_fmac_f64_e32 v[8:9], v[8:9], v[12:13]
	v_fma_f64 v[12:13], -v[6:7], v[8:9], 1.0
	v_fmac_f64_e32 v[8:9], v[8:9], v[12:13]
	v_mul_f64 v[12:13], v[10:11], v[8:9]
	v_fma_f64 v[6:7], -v[6:7], v[12:13], v[10:11]
	v_div_fmas_f64 v[6:7], v[6:7], v[8:9], v[12:13]
	v_div_fixup_f64 v[6:7], v[6:7], v[4:5], v[2:3]
	v_fmac_f64_e32 v[4:5], v[2:3], v[6:7]
	v_div_scale_f64 v[2:3], s[8:9], v[4:5], v[4:5], 1.0
	v_rcp_f64_e32 v[8:9], v[2:3]
	s_nop 0
	v_fma_f64 v[10:11], -v[2:3], v[8:9], 1.0
	v_fmac_f64_e32 v[8:9], v[8:9], v[10:11]
	v_fma_f64 v[10:11], -v[2:3], v[8:9], 1.0
	v_fmac_f64_e32 v[8:9], v[8:9], v[10:11]
	v_div_scale_f64 v[10:11], vcc, 1.0, v[4:5], 1.0
	v_mul_f64 v[12:13], v[10:11], v[8:9]
	v_fma_f64 v[2:3], -v[2:3], v[12:13], v[10:11]
	s_nop 1
	v_div_fmas_f64 v[2:3], v[2:3], v[8:9], v[12:13]
	v_div_fixup_f64 v[8:9], v[2:3], v[4:5], 1.0
	v_mul_f64 v[6:7], v[6:7], v[8:9]
	v_xor_b32_e32 v9, 0x80000000, v9
	v_xor_b32_e32 v11, 0x80000000, v7
	v_mov_b32_e32 v10, v6
                                        ; implicit-def: $vgpr2_vgpr3
.LBB66_15:
	s_andn2_saveexec_b64 s[6:7], s[6:7]
	s_cbranch_execz .LBB66_17
; %bb.16:
	v_div_scale_f64 v[6:7], s[8:9], v[2:3], v[2:3], v[4:5]
	v_rcp_f64_e32 v[8:9], v[6:7]
	v_div_scale_f64 v[10:11], vcc, v[4:5], v[2:3], v[4:5]
	v_fma_f64 v[12:13], -v[6:7], v[8:9], 1.0
	v_fmac_f64_e32 v[8:9], v[8:9], v[12:13]
	v_fma_f64 v[12:13], -v[6:7], v[8:9], 1.0
	v_fmac_f64_e32 v[8:9], v[8:9], v[12:13]
	v_mul_f64 v[12:13], v[10:11], v[8:9]
	v_fma_f64 v[6:7], -v[6:7], v[12:13], v[10:11]
	v_div_fmas_f64 v[6:7], v[6:7], v[8:9], v[12:13]
	v_div_fixup_f64 v[8:9], v[6:7], v[2:3], v[4:5]
	v_fmac_f64_e32 v[2:3], v[4:5], v[8:9]
	v_div_scale_f64 v[4:5], s[8:9], v[2:3], v[2:3], 1.0
	v_rcp_f64_e32 v[6:7], v[4:5]
	s_nop 0
	v_fma_f64 v[10:11], -v[4:5], v[6:7], 1.0
	v_fmac_f64_e32 v[6:7], v[6:7], v[10:11]
	v_fma_f64 v[10:11], -v[4:5], v[6:7], 1.0
	v_fmac_f64_e32 v[6:7], v[6:7], v[10:11]
	v_div_scale_f64 v[10:11], vcc, 1.0, v[2:3], 1.0
	v_mul_f64 v[12:13], v[10:11], v[6:7]
	v_fma_f64 v[4:5], -v[4:5], v[12:13], v[10:11]
	s_nop 1
	v_div_fmas_f64 v[4:5], v[4:5], v[6:7], v[12:13]
	v_div_fixup_f64 v[6:7], v[4:5], v[2:3], 1.0
	v_xor_b32_e32 v11, 0x80000000, v7
	v_mov_b32_e32 v10, v6
	v_mul_f64 v[8:9], v[8:9], -v[6:7]
.LBB66_17:
	s_or_b64 exec, exec, s[6:7]
	scratch_store_dwordx4 v21, v[6:9], off
	scratch_load_dwordx4 v[4:7], off, s18
	v_xor_b32_e32 v13, 0x80000000, v9
	v_mov_b32_e32 v12, v8
	v_add_u32_e32 v2, 48, v20
	ds_write_b128 v20, v[10:13]
	s_waitcnt vmcnt(0)
	ds_write_b128 v20, v[4:7] offset:48
	s_waitcnt lgkmcnt(0)
	; wave barrier
	s_and_saveexec_b64 s[6:7], s[2:3]
	s_cbranch_execz .LBB66_19
; %bb.18:
	scratch_load_dwordx4 v[4:7], v21, off
	ds_read_b128 v[8:11], v2
	v_mov_b32_e32 v3, 0
	ds_read_b128 v[22:25], v3 offset:16
	s_waitcnt vmcnt(0) lgkmcnt(1)
	v_mul_f64 v[12:13], v[10:11], v[6:7]
	v_mul_f64 v[6:7], v[8:9], v[6:7]
	v_fma_f64 v[8:9], v[8:9], v[4:5], -v[12:13]
	v_fmac_f64_e32 v[6:7], v[10:11], v[4:5]
	v_add_f64 v[4:5], v[8:9], 0
	v_add_f64 v[8:9], v[6:7], 0
	s_waitcnt lgkmcnt(0)
	v_mul_f64 v[10:11], v[8:9], v[24:25]
	v_mul_f64 v[6:7], v[4:5], v[24:25]
	v_fma_f64 v[4:5], v[4:5], v[22:23], -v[10:11]
	v_fmac_f64_e32 v[6:7], v[8:9], v[22:23]
	scratch_store_dwordx4 off, v[4:7], off offset:16
.LBB66_19:
	s_or_b64 exec, exec, s[6:7]
	; wave barrier
	scratch_load_dwordx4 v[4:7], off, s19
	v_cmp_ne_u32_e32 vcc, 2, v1
	s_waitcnt vmcnt(0)
	ds_write_b128 v2, v[4:7]
	s_waitcnt lgkmcnt(0)
	; wave barrier
	s_and_saveexec_b64 s[6:7], vcc
	s_cbranch_execz .LBB66_23
; %bb.20:
	scratch_load_dwordx4 v[4:7], v21, off
	ds_read_b128 v[8:11], v2
	s_waitcnt vmcnt(0) lgkmcnt(0)
	v_mul_f64 v[2:3], v[10:11], v[6:7]
	v_mul_f64 v[6:7], v[8:9], v[6:7]
	v_fma_f64 v[2:3], v[8:9], v[4:5], -v[2:3]
	v_fmac_f64_e32 v[6:7], v[10:11], v[4:5]
	v_add_f64 v[4:5], v[2:3], 0
	v_add_f64 v[2:3], v[6:7], 0
	s_and_saveexec_b64 s[8:9], s[2:3]
	s_cbranch_execz .LBB66_22
; %bb.21:
	scratch_load_dwordx4 v[6:9], off, off offset:16
	v_mov_b32_e32 v10, 0
	ds_read_b128 v[10:13], v10 offset:64
	s_waitcnt vmcnt(0) lgkmcnt(0)
	v_mul_f64 v[20:21], v[10:11], v[8:9]
	v_mul_f64 v[8:9], v[12:13], v[8:9]
	v_fmac_f64_e32 v[20:21], v[12:13], v[6:7]
	v_fma_f64 v[6:7], v[10:11], v[6:7], -v[8:9]
	v_add_f64 v[2:3], v[2:3], v[20:21]
	v_add_f64 v[4:5], v[4:5], v[6:7]
.LBB66_22:
	s_or_b64 exec, exec, s[8:9]
	v_mov_b32_e32 v6, 0
	ds_read_b128 v[6:9], v6 offset:32
	s_waitcnt lgkmcnt(0)
	v_mul_f64 v[12:13], v[2:3], v[8:9]
	v_mul_f64 v[10:11], v[4:5], v[8:9]
	v_fma_f64 v[8:9], v[4:5], v[6:7], -v[12:13]
	v_fmac_f64_e32 v[10:11], v[2:3], v[6:7]
	scratch_store_dwordx4 off, v[8:11], off offset:32
.LBB66_23:
	s_or_b64 exec, exec, s[6:7]
	s_mov_b64 s[6:7], -1
	; wave barrier
.LBB66_24:
	s_and_b64 vcc, exec, s[6:7]
	s_cbranch_vccz .LBB66_26
; %bb.25:
	s_lshl_b64 s[2:3], s[4:5], 2
	s_add_u32 s2, s10, s2
	s_addc_u32 s3, s11, s3
	v_mov_b32_e32 v2, 0
	global_load_dword v2, v2, s[2:3]
	s_waitcnt vmcnt(0)
	v_cmp_ne_u32_e32 vcc, 0, v2
	s_cbranch_vccz .LBB66_27
.LBB66_26:
	s_endpgm
.LBB66_27:
	v_lshl_add_u32 v6, v1, 4, 48
	v_cmp_eq_u32_e32 vcc, 2, v1
	s_and_saveexec_b64 s[2:3], vcc
	s_cbranch_execz .LBB66_29
; %bb.28:
	scratch_load_dwordx4 v[2:5], off, s18
	v_mov_b32_e32 v8, 0
	v_mov_b32_e32 v9, v8
	;; [unrolled: 1-line block ×4, first 2 shown]
	scratch_store_dwordx4 off, v[8:11], off offset:16
	s_waitcnt vmcnt(1)
	ds_write_b128 v6, v[2:5]
.LBB66_29:
	s_or_b64 exec, exec, s[2:3]
	s_waitcnt lgkmcnt(0)
	; wave barrier
	scratch_load_dwordx4 v[8:11], off, off offset:32
	scratch_load_dwordx4 v[20:23], off, off offset:16
	v_mov_b32_e32 v2, 0
	ds_read_b128 v[24:27], v2 offset:80
	v_cmp_ne_u32_e32 vcc, 0, v1
	s_waitcnt vmcnt(1) lgkmcnt(0)
	v_mul_f64 v[4:5], v[24:25], v[10:11]
	v_mul_f64 v[10:11], v[26:27], v[10:11]
	v_fmac_f64_e32 v[4:5], v[26:27], v[8:9]
	v_fma_f64 v[8:9], v[24:25], v[8:9], -v[10:11]
	v_add_f64 v[4:5], v[4:5], 0
	v_add_f64 v[8:9], v[8:9], 0
	s_waitcnt vmcnt(0)
	v_add_f64 v[8:9], v[20:21], -v[8:9]
	v_add_f64 v[10:11], v[22:23], -v[4:5]
	scratch_store_dwordx4 off, v[8:11], off offset:16
	s_and_saveexec_b64 s[2:3], vcc
	s_cbranch_execz .LBB66_31
; %bb.30:
	scratch_load_dwordx4 v[8:11], off, off
	v_mov_b32_e32 v3, v2
	v_mov_b32_e32 v4, v2
	;; [unrolled: 1-line block ×3, first 2 shown]
	scratch_store_dwordx4 off, v[2:5], off
	s_waitcnt vmcnt(1)
	ds_write_b128 v6, v[8:11]
.LBB66_31:
	s_or_b64 exec, exec, s[2:3]
	s_waitcnt lgkmcnt(0)
	; wave barrier
	scratch_load_dwordx4 v[4:7], off, off offset:16
	scratch_load_dwordx4 v[8:11], off, off offset:32
	scratch_load_dwordx4 v[20:23], off, off
	ds_read_b128 v[24:27], v2 offset:64
	ds_read_b128 v[28:31], v2 offset:80
	s_and_b64 vcc, exec, s[14:15]
	s_waitcnt vmcnt(2) lgkmcnt(1)
	v_mul_f64 v[2:3], v[24:25], v[6:7]
	v_mul_f64 v[6:7], v[26:27], v[6:7]
	s_waitcnt vmcnt(1) lgkmcnt(0)
	v_mul_f64 v[12:13], v[28:29], v[10:11]
	v_mul_f64 v[10:11], v[30:31], v[10:11]
	v_fmac_f64_e32 v[2:3], v[26:27], v[4:5]
	v_fma_f64 v[4:5], v[24:25], v[4:5], -v[6:7]
	v_fmac_f64_e32 v[12:13], v[30:31], v[8:9]
	v_fma_f64 v[6:7], v[28:29], v[8:9], -v[10:11]
	v_add_f64 v[2:3], v[2:3], 0
	v_add_f64 v[4:5], v[4:5], 0
	;; [unrolled: 1-line block ×4, first 2 shown]
	s_waitcnt vmcnt(0)
	v_add_f64 v[2:3], v[20:21], -v[2:3]
	v_add_f64 v[4:5], v[22:23], -v[8:9]
	scratch_store_dwordx4 off, v[2:5], off
	s_cbranch_vccz .LBB66_36
; %bb.32:
	s_nop 0
	v_mov_b32_e32 v2, 0
	global_load_dword v3, v2, s[12:13] offset:4
	s_load_dwordx2 s[2:3], s[0:1], 0x4
	v_bfe_u32 v4, v0, 10, 10
	v_bfe_u32 v0, v0, 20, 10
	s_waitcnt lgkmcnt(0)
	s_lshr_b32 s0, s2, 16
	s_mul_i32 s0, s0, s3
	v_mul_u32_u24_e32 v1, s0, v1
	v_mul_u32_u24_e32 v4, s3, v4
	v_add3_u32 v0, v1, v4, v0
	v_mov_b32_e32 v1, 0x68
	v_lshl_add_u32 v0, v0, 4, v1
	s_waitcnt vmcnt(0)
	v_readfirstlane_b32 s0, v3
	s_add_i32 s0, s0, -1
	s_cmp_lg_u32 s0, 1
	s_cbranch_scc0 .LBB66_34
; %bb.33:
	s_lshl_b32 s0, s0, 4
	scratch_load_dwordx4 v[4:7], off, s18
	scratch_load_dwordx4 v[8:11], off, s0
	s_waitcnt vmcnt(1)
	ds_write2_b64 v0, v[4:5], v[6:7] offset1:1
	s_waitcnt vmcnt(0)
	scratch_store_dwordx4 off, v[8:11], s18
	scratch_store_dwordx4 off, v[4:7], s0
.LBB66_34:
	global_load_dword v1, v2, s[12:13]
	s_waitcnt vmcnt(0)
	v_readfirstlane_b32 s0, v1
	s_add_i32 s0, s0, -1
	s_cmp_eq_u32 s0, 0
	s_cbranch_scc1 .LBB66_36
; %bb.35:
	s_lshl_b32 s0, s0, 4
	scratch_load_dwordx4 v[2:5], off, off
	scratch_load_dwordx4 v[6:9], off, s0
	s_waitcnt vmcnt(1)
	ds_write2_b64 v0, v[2:3], v[4:5] offset1:1
	s_waitcnt vmcnt(0)
	scratch_store_dwordx4 off, v[6:9], off
	scratch_store_dwordx4 off, v[2:5], s0
.LBB66_36:
	scratch_load_dwordx4 v[0:3], off, off
	s_nop 0
	scratch_load_dwordx4 v[4:7], off, s18
	scratch_load_dwordx4 v[8:11], off, s19
	s_waitcnt vmcnt(2)
	flat_store_dwordx4 v[14:15], v[0:3]
	s_waitcnt vmcnt(0)
	flat_store_dwordx4 v[16:17], v[4:7]
	flat_store_dwordx4 v[18:19], v[8:11]
	s_endpgm
	.section	.rodata,"a",@progbits
	.p2align	6, 0x0
	.amdhsa_kernel _ZN9rocsolver6v33100L18getri_kernel_smallILi3E19rocblas_complex_numIdEPKPS3_EEvT1_iilPiilS8_bb
		.amdhsa_group_segment_fixed_size 1128
		.amdhsa_private_segment_fixed_size 64
		.amdhsa_kernarg_size 60
		.amdhsa_user_sgpr_count 4
		.amdhsa_user_sgpr_dispatch_ptr 1
		.amdhsa_user_sgpr_queue_ptr 0
		.amdhsa_user_sgpr_kernarg_segment_ptr 1
		.amdhsa_user_sgpr_dispatch_id 0
		.amdhsa_user_sgpr_kernarg_preload_length 0
		.amdhsa_user_sgpr_kernarg_preload_offset 0
		.amdhsa_user_sgpr_private_segment_size 0
		.amdhsa_uses_dynamic_stack 0
		.amdhsa_enable_private_segment 1
		.amdhsa_system_sgpr_workgroup_id_x 1
		.amdhsa_system_sgpr_workgroup_id_y 0
		.amdhsa_system_sgpr_workgroup_id_z 0
		.amdhsa_system_sgpr_workgroup_info 0
		.amdhsa_system_vgpr_workitem_id 2
		.amdhsa_next_free_vgpr 32
		.amdhsa_next_free_sgpr 20
		.amdhsa_accum_offset 32
		.amdhsa_reserve_vcc 1
		.amdhsa_float_round_mode_32 0
		.amdhsa_float_round_mode_16_64 0
		.amdhsa_float_denorm_mode_32 3
		.amdhsa_float_denorm_mode_16_64 3
		.amdhsa_dx10_clamp 1
		.amdhsa_ieee_mode 1
		.amdhsa_fp16_overflow 0
		.amdhsa_tg_split 0
		.amdhsa_exception_fp_ieee_invalid_op 0
		.amdhsa_exception_fp_denorm_src 0
		.amdhsa_exception_fp_ieee_div_zero 0
		.amdhsa_exception_fp_ieee_overflow 0
		.amdhsa_exception_fp_ieee_underflow 0
		.amdhsa_exception_fp_ieee_inexact 0
		.amdhsa_exception_int_div_zero 0
	.end_amdhsa_kernel
	.section	.text._ZN9rocsolver6v33100L18getri_kernel_smallILi3E19rocblas_complex_numIdEPKPS3_EEvT1_iilPiilS8_bb,"axG",@progbits,_ZN9rocsolver6v33100L18getri_kernel_smallILi3E19rocblas_complex_numIdEPKPS3_EEvT1_iilPiilS8_bb,comdat
.Lfunc_end66:
	.size	_ZN9rocsolver6v33100L18getri_kernel_smallILi3E19rocblas_complex_numIdEPKPS3_EEvT1_iilPiilS8_bb, .Lfunc_end66-_ZN9rocsolver6v33100L18getri_kernel_smallILi3E19rocblas_complex_numIdEPKPS3_EEvT1_iilPiilS8_bb
                                        ; -- End function
	.set _ZN9rocsolver6v33100L18getri_kernel_smallILi3E19rocblas_complex_numIdEPKPS3_EEvT1_iilPiilS8_bb.num_vgpr, 32
	.set _ZN9rocsolver6v33100L18getri_kernel_smallILi3E19rocblas_complex_numIdEPKPS3_EEvT1_iilPiilS8_bb.num_agpr, 0
	.set _ZN9rocsolver6v33100L18getri_kernel_smallILi3E19rocblas_complex_numIdEPKPS3_EEvT1_iilPiilS8_bb.numbered_sgpr, 20
	.set _ZN9rocsolver6v33100L18getri_kernel_smallILi3E19rocblas_complex_numIdEPKPS3_EEvT1_iilPiilS8_bb.num_named_barrier, 0
	.set _ZN9rocsolver6v33100L18getri_kernel_smallILi3E19rocblas_complex_numIdEPKPS3_EEvT1_iilPiilS8_bb.private_seg_size, 64
	.set _ZN9rocsolver6v33100L18getri_kernel_smallILi3E19rocblas_complex_numIdEPKPS3_EEvT1_iilPiilS8_bb.uses_vcc, 1
	.set _ZN9rocsolver6v33100L18getri_kernel_smallILi3E19rocblas_complex_numIdEPKPS3_EEvT1_iilPiilS8_bb.uses_flat_scratch, 0
	.set _ZN9rocsolver6v33100L18getri_kernel_smallILi3E19rocblas_complex_numIdEPKPS3_EEvT1_iilPiilS8_bb.has_dyn_sized_stack, 0
	.set _ZN9rocsolver6v33100L18getri_kernel_smallILi3E19rocblas_complex_numIdEPKPS3_EEvT1_iilPiilS8_bb.has_recursion, 0
	.set _ZN9rocsolver6v33100L18getri_kernel_smallILi3E19rocblas_complex_numIdEPKPS3_EEvT1_iilPiilS8_bb.has_indirect_call, 0
	.section	.AMDGPU.csdata,"",@progbits
; Kernel info:
; codeLenInByte = 2172
; TotalNumSgprs: 26
; NumVgprs: 32
; NumAgprs: 0
; TotalNumVgprs: 32
; ScratchSize: 64
; MemoryBound: 0
; FloatMode: 240
; IeeeMode: 1
; LDSByteSize: 1128 bytes/workgroup (compile time only)
; SGPRBlocks: 3
; VGPRBlocks: 3
; NumSGPRsForWavesPerEU: 26
; NumVGPRsForWavesPerEU: 32
; AccumOffset: 32
; Occupancy: 8
; WaveLimiterHint : 1
; COMPUTE_PGM_RSRC2:SCRATCH_EN: 1
; COMPUTE_PGM_RSRC2:USER_SGPR: 4
; COMPUTE_PGM_RSRC2:TRAP_HANDLER: 0
; COMPUTE_PGM_RSRC2:TGID_X_EN: 1
; COMPUTE_PGM_RSRC2:TGID_Y_EN: 0
; COMPUTE_PGM_RSRC2:TGID_Z_EN: 0
; COMPUTE_PGM_RSRC2:TIDIG_COMP_CNT: 2
; COMPUTE_PGM_RSRC3_GFX90A:ACCUM_OFFSET: 7
; COMPUTE_PGM_RSRC3_GFX90A:TG_SPLIT: 0
	.section	.text._ZN9rocsolver6v33100L18getri_kernel_smallILi4E19rocblas_complex_numIdEPKPS3_EEvT1_iilPiilS8_bb,"axG",@progbits,_ZN9rocsolver6v33100L18getri_kernel_smallILi4E19rocblas_complex_numIdEPKPS3_EEvT1_iilPiilS8_bb,comdat
	.globl	_ZN9rocsolver6v33100L18getri_kernel_smallILi4E19rocblas_complex_numIdEPKPS3_EEvT1_iilPiilS8_bb ; -- Begin function _ZN9rocsolver6v33100L18getri_kernel_smallILi4E19rocblas_complex_numIdEPKPS3_EEvT1_iilPiilS8_bb
	.p2align	8
	.type	_ZN9rocsolver6v33100L18getri_kernel_smallILi4E19rocblas_complex_numIdEPKPS3_EEvT1_iilPiilS8_bb,@function
_ZN9rocsolver6v33100L18getri_kernel_smallILi4E19rocblas_complex_numIdEPKPS3_EEvT1_iilPiilS8_bb: ; @_ZN9rocsolver6v33100L18getri_kernel_smallILi4E19rocblas_complex_numIdEPKPS3_EEvT1_iilPiilS8_bb
; %bb.0:
	v_cmp_gt_u32_e32 vcc, 4, v0
	s_and_saveexec_b64 s[4:5], vcc
	s_cbranch_execz .LBB67_30
; %bb.1:
	s_load_dword s14, s[0:1], 0x38
	s_load_dwordx2 s[8:9], s[0:1], 0x0
	s_load_dwordx4 s[4:7], s[0:1], 0x28
	s_waitcnt lgkmcnt(0)
	s_bitcmp1_b32 s14, 8
	s_cselect_b64 s[10:11], -1, 0
	s_ashr_i32 s3, s2, 31
	s_lshl_b64 s[12:13], s[2:3], 3
	s_add_u32 s8, s8, s12
	s_addc_u32 s9, s9, s13
	s_load_dwordx2 s[12:13], s[8:9], 0x0
	s_bfe_u32 s8, s14, 0x10008
	s_cmp_eq_u32 s8, 0
                                        ; implicit-def: $sgpr8_sgpr9
	s_cbranch_scc1 .LBB67_3
; %bb.2:
	s_load_dword s8, s[0:1], 0x20
	s_load_dwordx2 s[14:15], s[0:1], 0x18
	s_mul_i32 s9, s4, s3
	s_mul_hi_u32 s16, s4, s2
	s_add_i32 s16, s16, s9
	s_mul_i32 s5, s5, s2
	s_add_i32 s5, s16, s5
	s_mul_i32 s4, s4, s2
	s_waitcnt lgkmcnt(0)
	s_ashr_i32 s9, s8, 31
	s_lshl_b64 s[4:5], s[4:5], 2
	s_add_u32 s14, s14, s4
	s_addc_u32 s15, s15, s5
	s_lshl_b64 s[4:5], s[8:9], 2
	s_add_u32 s8, s14, s4
	s_addc_u32 s9, s15, s5
.LBB67_3:
	s_load_dwordx2 s[4:5], s[0:1], 0x8
	s_load_dword s14, s[0:1], 0x38
	v_lshlrev_b32_e32 v22, 4, v0
	v_mov_b32_e32 v23, 0
	s_mov_b32 s17, 32
	s_waitcnt lgkmcnt(0)
	s_ashr_i32 s1, s4, 31
	s_mov_b32 s0, s4
	s_lshl_b64 s[0:1], s[0:1], 4
	s_add_u32 s0, s12, s0
	s_addc_u32 s1, s13, s1
	s_add_i32 s4, s5, s5
	v_add_u32_e32 v10, s4, v0
	v_ashrrev_i32_e32 v11, 31, v10
	v_lshl_add_u64 v[18:19], v[10:11], 4, s[0:1]
	v_add_u32_e32 v10, s5, v10
	v_lshl_add_u64 v[14:15], s[0:1], 0, v[22:23]
	s_ashr_i32 s13, s5, 31
	s_mov_b32 s12, s5
	v_ashrrev_i32_e32 v11, 31, v10
	v_lshl_add_u64 v[16:17], s[12:13], 4, v[14:15]
	flat_load_dwordx4 v[2:5], v[14:15]
	flat_load_dwordx4 v[6:9], v[16:17]
	v_lshl_add_u64 v[20:21], v[10:11], 4, s[0:1]
	flat_load_dwordx4 v[10:13], v[18:19]
	flat_load_dwordx4 v[24:27], v[20:21]
	s_mov_b32 s16, 48
	s_mov_b32 s18, 64
	s_bitcmp0_b32 s14, 0
	s_mov_b64 s[4:5], -1
	s_waitcnt vmcnt(0) lgkmcnt(0)
	scratch_store_dwordx4 off, v[2:5], off offset:16
	scratch_store_dwordx4 off, v[6:9], off offset:32
	;; [unrolled: 1-line block ×4, first 2 shown]
	s_cbranch_scc1 .LBB67_28
; %bb.4:
	v_cmp_eq_u32_e64 s[0:1], 0, v0
	s_and_saveexec_b64 s[4:5], s[0:1]
; %bb.5:
	v_mov_b32_e32 v1, 0
	ds_write_b32 v1, v1 offset:128
; %bb.6:
	s_or_b64 exec, exec, s[4:5]
	s_waitcnt lgkmcnt(0)
	; wave barrier
	scratch_load_dwordx4 v[2:5], v22, off offset:16
	s_waitcnt vmcnt(0)
	v_cmp_eq_f64_e32 vcc, 0, v[2:3]
	v_cmp_eq_f64_e64 s[4:5], 0, v[4:5]
	s_and_b64 s[4:5], vcc, s[4:5]
	s_and_saveexec_b64 s[12:13], s[4:5]
	s_cbranch_execz .LBB67_10
; %bb.7:
	v_mov_b32_e32 v1, 0
	ds_read_b32 v3, v1 offset:128
	v_add_u32_e32 v2, 1, v0
	s_waitcnt lgkmcnt(0)
	v_readfirstlane_b32 s4, v3
	s_cmp_eq_u32 s4, 0
	s_cselect_b64 s[14:15], -1, 0
	v_cmp_gt_i32_e32 vcc, s4, v2
	s_or_b64 s[14:15], s[14:15], vcc
	s_and_b64 exec, exec, s[14:15]
	s_cbranch_execz .LBB67_10
; %bb.8:
	s_mov_b64 s[14:15], 0
	v_mov_b32_e32 v3, s4
.LBB67_9:                               ; =>This Inner Loop Header: Depth=1
	ds_cmpst_rtn_b32 v3, v1, v3, v2 offset:128
	s_waitcnt lgkmcnt(0)
	v_cmp_ne_u32_e32 vcc, 0, v3
	v_cmp_le_i32_e64 s[4:5], v3, v2
	s_and_b64 s[4:5], vcc, s[4:5]
	s_and_b64 s[4:5], exec, s[4:5]
	s_or_b64 s[14:15], s[4:5], s[14:15]
	s_andn2_b64 exec, exec, s[14:15]
	s_cbranch_execnz .LBB67_9
.LBB67_10:
	s_or_b64 exec, exec, s[12:13]
	v_mov_b32_e32 v2, 0
	; wave barrier
	ds_read_b32 v1, v2 offset:128
	s_and_saveexec_b64 s[4:5], s[0:1]
	s_cbranch_execz .LBB67_12
; %bb.11:
	s_lshl_b64 s[12:13], s[2:3], 2
	s_add_u32 s12, s6, s12
	s_addc_u32 s13, s7, s13
	s_waitcnt lgkmcnt(0)
	global_store_dword v2, v1, s[12:13]
.LBB67_12:
	s_or_b64 exec, exec, s[4:5]
	s_waitcnt lgkmcnt(0)
	v_cmp_ne_u32_e32 vcc, 0, v1
	s_mov_b64 s[4:5], 0
	s_cbranch_vccnz .LBB67_28
; %bb.13:
	v_add_u32_e32 v1, 16, v22
	scratch_load_dwordx4 v[2:5], v1, off
                                        ; implicit-def: $vgpr6_vgpr7
                                        ; implicit-def: $vgpr10_vgpr11
	s_waitcnt vmcnt(0)
	v_cmp_ngt_f64_e64 s[4:5], |v[2:3]|, |v[4:5]|
	s_and_saveexec_b64 s[12:13], s[4:5]
	s_xor_b64 s[4:5], exec, s[12:13]
	s_cbranch_execz .LBB67_15
; %bb.14:
	v_div_scale_f64 v[6:7], s[12:13], v[4:5], v[4:5], v[2:3]
	v_rcp_f64_e32 v[8:9], v[6:7]
	v_div_scale_f64 v[10:11], vcc, v[2:3], v[4:5], v[2:3]
	v_fma_f64 v[12:13], -v[6:7], v[8:9], 1.0
	v_fmac_f64_e32 v[8:9], v[8:9], v[12:13]
	v_fma_f64 v[12:13], -v[6:7], v[8:9], 1.0
	v_fmac_f64_e32 v[8:9], v[8:9], v[12:13]
	v_mul_f64 v[12:13], v[10:11], v[8:9]
	v_fma_f64 v[6:7], -v[6:7], v[12:13], v[10:11]
	v_div_fmas_f64 v[6:7], v[6:7], v[8:9], v[12:13]
	v_div_fixup_f64 v[6:7], v[6:7], v[4:5], v[2:3]
	v_fmac_f64_e32 v[4:5], v[2:3], v[6:7]
	v_div_scale_f64 v[2:3], s[12:13], v[4:5], v[4:5], 1.0
	v_rcp_f64_e32 v[8:9], v[2:3]
	s_nop 0
	v_fma_f64 v[10:11], -v[2:3], v[8:9], 1.0
	v_fmac_f64_e32 v[8:9], v[8:9], v[10:11]
	v_fma_f64 v[10:11], -v[2:3], v[8:9], 1.0
	v_fmac_f64_e32 v[8:9], v[8:9], v[10:11]
	v_div_scale_f64 v[10:11], vcc, 1.0, v[4:5], 1.0
	v_mul_f64 v[12:13], v[10:11], v[8:9]
	v_fma_f64 v[2:3], -v[2:3], v[12:13], v[10:11]
	s_nop 1
	v_div_fmas_f64 v[2:3], v[2:3], v[8:9], v[12:13]
	v_div_fixup_f64 v[8:9], v[2:3], v[4:5], 1.0
	v_mul_f64 v[6:7], v[6:7], v[8:9]
	v_xor_b32_e32 v9, 0x80000000, v9
	v_xor_b32_e32 v11, 0x80000000, v7
	v_mov_b32_e32 v10, v6
                                        ; implicit-def: $vgpr2_vgpr3
.LBB67_15:
	s_andn2_saveexec_b64 s[4:5], s[4:5]
	s_cbranch_execz .LBB67_17
; %bb.16:
	v_div_scale_f64 v[6:7], s[12:13], v[2:3], v[2:3], v[4:5]
	v_rcp_f64_e32 v[8:9], v[6:7]
	v_div_scale_f64 v[10:11], vcc, v[4:5], v[2:3], v[4:5]
	v_fma_f64 v[12:13], -v[6:7], v[8:9], 1.0
	v_fmac_f64_e32 v[8:9], v[8:9], v[12:13]
	v_fma_f64 v[12:13], -v[6:7], v[8:9], 1.0
	v_fmac_f64_e32 v[8:9], v[8:9], v[12:13]
	v_mul_f64 v[12:13], v[10:11], v[8:9]
	v_fma_f64 v[6:7], -v[6:7], v[12:13], v[10:11]
	v_div_fmas_f64 v[6:7], v[6:7], v[8:9], v[12:13]
	v_div_fixup_f64 v[8:9], v[6:7], v[2:3], v[4:5]
	v_fmac_f64_e32 v[2:3], v[4:5], v[8:9]
	v_div_scale_f64 v[4:5], s[12:13], v[2:3], v[2:3], 1.0
	v_rcp_f64_e32 v[6:7], v[4:5]
	s_nop 0
	v_fma_f64 v[10:11], -v[4:5], v[6:7], 1.0
	v_fmac_f64_e32 v[6:7], v[6:7], v[10:11]
	v_fma_f64 v[10:11], -v[4:5], v[6:7], 1.0
	v_fmac_f64_e32 v[6:7], v[6:7], v[10:11]
	v_div_scale_f64 v[10:11], vcc, 1.0, v[2:3], 1.0
	v_mul_f64 v[12:13], v[10:11], v[6:7]
	v_fma_f64 v[4:5], -v[4:5], v[12:13], v[10:11]
	s_nop 1
	v_div_fmas_f64 v[4:5], v[4:5], v[6:7], v[12:13]
	v_div_fixup_f64 v[6:7], v[4:5], v[2:3], 1.0
	v_xor_b32_e32 v11, 0x80000000, v7
	v_mov_b32_e32 v10, v6
	v_mul_f64 v[8:9], v[8:9], -v[6:7]
.LBB67_17:
	s_or_b64 exec, exec, s[4:5]
	scratch_store_dwordx4 v1, v[6:9], off
	scratch_load_dwordx4 v[2:5], off, s17
	v_xor_b32_e32 v13, 0x80000000, v9
	v_mov_b32_e32 v12, v8
	v_add_u32_e32 v6, 64, v22
	ds_write_b128 v22, v[10:13]
	s_waitcnt vmcnt(0)
	ds_write_b128 v22, v[2:5] offset:64
	s_waitcnt lgkmcnt(0)
	; wave barrier
	s_and_saveexec_b64 s[4:5], s[0:1]
	s_cbranch_execz .LBB67_19
; %bb.18:
	scratch_load_dwordx4 v[2:5], v1, off
	ds_read_b128 v[8:11], v6
	v_mov_b32_e32 v7, 0
	ds_read_b128 v[24:27], v7 offset:16
	s_waitcnt vmcnt(0) lgkmcnt(1)
	v_mul_f64 v[12:13], v[10:11], v[4:5]
	v_mul_f64 v[4:5], v[8:9], v[4:5]
	v_fma_f64 v[8:9], v[8:9], v[2:3], -v[12:13]
	v_fmac_f64_e32 v[4:5], v[10:11], v[2:3]
	v_add_f64 v[2:3], v[8:9], 0
	v_add_f64 v[8:9], v[4:5], 0
	s_waitcnt lgkmcnt(0)
	v_mul_f64 v[10:11], v[8:9], v[26:27]
	v_mul_f64 v[4:5], v[2:3], v[26:27]
	v_fma_f64 v[2:3], v[2:3], v[24:25], -v[10:11]
	v_fmac_f64_e32 v[4:5], v[8:9], v[24:25]
	scratch_store_dwordx4 off, v[2:5], off offset:32
.LBB67_19:
	s_or_b64 exec, exec, s[4:5]
	; wave barrier
	scratch_load_dwordx4 v[2:5], off, s16
	v_cmp_gt_u32_e32 vcc, 2, v0
	s_waitcnt vmcnt(0)
	ds_write_b128 v6, v[2:5]
	s_waitcnt lgkmcnt(0)
	; wave barrier
	s_and_saveexec_b64 s[4:5], vcc
	s_cbranch_execz .LBB67_23
; %bb.20:
	scratch_load_dwordx4 v[2:5], v1, off
	ds_read_b128 v[8:11], v6
	s_waitcnt vmcnt(0) lgkmcnt(0)
	v_mul_f64 v[12:13], v[10:11], v[4:5]
	v_mul_f64 v[24:25], v[8:9], v[4:5]
	v_fma_f64 v[4:5], v[8:9], v[2:3], -v[12:13]
	v_fmac_f64_e32 v[24:25], v[10:11], v[2:3]
	v_add_f64 v[4:5], v[4:5], 0
	v_add_f64 v[2:3], v[24:25], 0
	s_and_saveexec_b64 s[12:13], s[0:1]
	s_cbranch_execz .LBB67_22
; %bb.21:
	scratch_load_dwordx4 v[8:11], off, off offset:32
	v_mov_b32_e32 v1, 0
	ds_read_b128 v[24:27], v1 offset:80
	s_waitcnt vmcnt(0) lgkmcnt(0)
	v_mul_f64 v[12:13], v[24:25], v[10:11]
	v_mul_f64 v[10:11], v[26:27], v[10:11]
	v_fmac_f64_e32 v[12:13], v[26:27], v[8:9]
	v_fma_f64 v[8:9], v[24:25], v[8:9], -v[10:11]
	v_add_f64 v[2:3], v[2:3], v[12:13]
	v_add_f64 v[4:5], v[4:5], v[8:9]
.LBB67_22:
	s_or_b64 exec, exec, s[12:13]
	v_mov_b32_e32 v1, 0
	ds_read_b128 v[8:11], v1 offset:32
	s_waitcnt lgkmcnt(0)
	v_mul_f64 v[24:25], v[2:3], v[10:11]
	v_mul_f64 v[12:13], v[4:5], v[10:11]
	v_fma_f64 v[10:11], v[4:5], v[8:9], -v[24:25]
	v_fmac_f64_e32 v[12:13], v[2:3], v[8:9]
	scratch_store_dwordx4 off, v[10:13], off offset:48
.LBB67_23:
	s_or_b64 exec, exec, s[4:5]
	; wave barrier
	scratch_load_dwordx4 v[2:5], off, s18
	v_cmp_ne_u32_e32 vcc, 3, v0
	s_waitcnt vmcnt(0)
	ds_write_b128 v6, v[2:5]
	s_waitcnt lgkmcnt(0)
	; wave barrier
	s_and_saveexec_b64 s[0:1], vcc
	s_cbranch_execz .LBB67_27
; %bb.24:
	v_add_u32_e32 v1, -1, v0
	v_add_u32_e32 v7, 16, v22
	v_mov_b64_e32 v[2:3], 0
	s_mov_b64 s[4:5], 0
	v_mov_b64_e32 v[4:5], 0
.LBB67_25:                              ; =>This Inner Loop Header: Depth=1
	scratch_load_dwordx4 v[8:11], v7, off
	ds_read_b128 v[22:25], v6
	v_add_u32_e32 v1, 1, v1
	v_cmp_lt_u32_e32 vcc, 1, v1
	v_add_u32_e32 v6, 16, v6
	v_add_u32_e32 v7, 16, v7
	s_or_b64 s[4:5], vcc, s[4:5]
	s_waitcnt vmcnt(0) lgkmcnt(0)
	v_mul_f64 v[12:13], v[24:25], v[10:11]
	v_mul_f64 v[10:11], v[22:23], v[10:11]
	v_fma_f64 v[12:13], v[22:23], v[8:9], -v[12:13]
	v_fmac_f64_e32 v[10:11], v[24:25], v[8:9]
	v_add_f64 v[4:5], v[4:5], v[12:13]
	v_add_f64 v[2:3], v[2:3], v[10:11]
	s_andn2_b64 exec, exec, s[4:5]
	s_cbranch_execnz .LBB67_25
; %bb.26:
	s_or_b64 exec, exec, s[4:5]
	v_mov_b32_e32 v1, 0
	ds_read_b128 v[6:9], v1 offset:48
	s_waitcnt lgkmcnt(0)
	v_mul_f64 v[12:13], v[2:3], v[8:9]
	v_mul_f64 v[10:11], v[4:5], v[8:9]
	v_fma_f64 v[8:9], v[4:5], v[6:7], -v[12:13]
	v_fmac_f64_e32 v[10:11], v[2:3], v[6:7]
	scratch_store_dwordx4 off, v[8:11], off offset:64
.LBB67_27:
	s_or_b64 exec, exec, s[0:1]
	s_mov_b64 s[4:5], -1
	; wave barrier
.LBB67_28:
	s_and_b64 vcc, exec, s[4:5]
	s_cbranch_vccz .LBB67_30
; %bb.29:
	s_lshl_b64 s[0:1], s[2:3], 2
	s_add_u32 s0, s6, s0
	s_addc_u32 s1, s7, s1
	v_mov_b32_e32 v1, 0
	global_load_dword v1, v1, s[0:1]
	s_waitcnt vmcnt(0)
	v_cmp_ne_u32_e32 vcc, 0, v1
	s_cbranch_vccz .LBB67_31
.LBB67_30:
	s_endpgm
.LBB67_31:
	v_lshl_add_u32 v1, v0, 4, 64
	v_cmp_eq_u32_e32 vcc, 3, v0
	s_and_saveexec_b64 s[0:1], vcc
	s_cbranch_execz .LBB67_33
; %bb.32:
	scratch_load_dwordx4 v[2:5], off, s16
	v_mov_b32_e32 v6, 0
	v_mov_b32_e32 v7, v6
	;; [unrolled: 1-line block ×4, first 2 shown]
	scratch_store_dwordx4 off, v[6:9], off offset:48
	s_waitcnt vmcnt(1)
	ds_write_b128 v1, v[2:5]
.LBB67_33:
	s_or_b64 exec, exec, s[0:1]
	s_waitcnt lgkmcnt(0)
	; wave barrier
	scratch_load_dwordx4 v[4:7], off, off offset:64
	scratch_load_dwordx4 v[8:11], off, off offset:48
	v_mov_b32_e32 v2, 0
	ds_read_b128 v[22:25], v2 offset:112
	v_cmp_lt_u32_e32 vcc, 1, v0
	s_waitcnt vmcnt(1) lgkmcnt(0)
	v_mul_f64 v[12:13], v[22:23], v[6:7]
	v_mul_f64 v[6:7], v[24:25], v[6:7]
	v_fmac_f64_e32 v[12:13], v[24:25], v[4:5]
	v_fma_f64 v[4:5], v[22:23], v[4:5], -v[6:7]
	v_add_f64 v[6:7], v[12:13], 0
	v_add_f64 v[4:5], v[4:5], 0
	s_waitcnt vmcnt(0)
	v_add_f64 v[4:5], v[8:9], -v[4:5]
	v_add_f64 v[6:7], v[10:11], -v[6:7]
	scratch_store_dwordx4 off, v[4:7], off offset:48
	s_and_saveexec_b64 s[0:1], vcc
	s_cbranch_execz .LBB67_35
; %bb.34:
	scratch_load_dwordx4 v[6:9], off, s17
	v_mov_b32_e32 v3, v2
	v_mov_b32_e32 v4, v2
	;; [unrolled: 1-line block ×3, first 2 shown]
	scratch_store_dwordx4 off, v[2:5], off offset:32
	s_waitcnt vmcnt(1)
	ds_write_b128 v1, v[6:9]
.LBB67_35:
	s_or_b64 exec, exec, s[0:1]
	s_waitcnt lgkmcnt(0)
	; wave barrier
	scratch_load_dwordx4 v[4:7], off, off offset:48
	scratch_load_dwordx4 v[8:11], off, off offset:64
	;; [unrolled: 1-line block ×3, first 2 shown]
	ds_read_b128 v[26:29], v2 offset:96
	ds_read_b128 v[30:33], v2 offset:112
	v_cmp_ne_u32_e32 vcc, 0, v0
	s_waitcnt vmcnt(2) lgkmcnt(1)
	v_mul_f64 v[2:3], v[26:27], v[6:7]
	v_mul_f64 v[6:7], v[28:29], v[6:7]
	s_waitcnt vmcnt(1) lgkmcnt(0)
	v_mul_f64 v[12:13], v[30:31], v[10:11]
	v_mul_f64 v[10:11], v[32:33], v[10:11]
	v_fmac_f64_e32 v[2:3], v[28:29], v[4:5]
	v_fma_f64 v[4:5], v[26:27], v[4:5], -v[6:7]
	v_fmac_f64_e32 v[12:13], v[32:33], v[8:9]
	v_fma_f64 v[6:7], v[30:31], v[8:9], -v[10:11]
	v_add_f64 v[2:3], v[2:3], 0
	v_add_f64 v[4:5], v[4:5], 0
	v_add_f64 v[8:9], v[2:3], v[12:13]
	v_add_f64 v[2:3], v[4:5], v[6:7]
	s_waitcnt vmcnt(0)
	v_add_f64 v[2:3], v[22:23], -v[2:3]
	v_add_f64 v[4:5], v[24:25], -v[8:9]
	scratch_store_dwordx4 off, v[2:5], off offset:32
	s_and_saveexec_b64 s[0:1], vcc
	s_cbranch_execz .LBB67_37
; %bb.36:
	scratch_load_dwordx4 v[2:5], off, off offset:16
	v_mov_b32_e32 v6, 0
	v_mov_b32_e32 v7, v6
	;; [unrolled: 1-line block ×4, first 2 shown]
	scratch_store_dwordx4 off, v[6:9], off offset:16
	s_waitcnt vmcnt(1)
	ds_write_b128 v1, v[2:5]
.LBB67_37:
	s_or_b64 exec, exec, s[0:1]
	s_waitcnt lgkmcnt(0)
	; wave barrier
	scratch_load_dwordx4 v[2:5], off, off offset:32
	scratch_load_dwordx4 v[6:9], off, off offset:48
	;; [unrolled: 1-line block ×4, first 2 shown]
	v_mov_b32_e32 v0, 0
	ds_read_b128 v[26:29], v0 offset:80
	ds_read_b128 v[30:33], v0 offset:96
	;; [unrolled: 1-line block ×3, first 2 shown]
	s_and_b64 vcc, exec, s[10:11]
	s_waitcnt vmcnt(3) lgkmcnt(2)
	v_mul_f64 v[38:39], v[26:27], v[4:5]
	v_mul_f64 v[4:5], v[28:29], v[4:5]
	s_waitcnt vmcnt(2) lgkmcnt(1)
	v_mul_f64 v[40:41], v[30:31], v[8:9]
	v_mul_f64 v[8:9], v[32:33], v[8:9]
	v_fmac_f64_e32 v[38:39], v[28:29], v[2:3]
	v_fma_f64 v[2:3], v[26:27], v[2:3], -v[4:5]
	s_waitcnt vmcnt(1) lgkmcnt(0)
	v_mul_f64 v[42:43], v[34:35], v[12:13]
	v_mul_f64 v[12:13], v[36:37], v[12:13]
	v_fmac_f64_e32 v[40:41], v[32:33], v[6:7]
	v_fma_f64 v[4:5], v[30:31], v[6:7], -v[8:9]
	v_add_f64 v[8:9], v[38:39], 0
	v_add_f64 v[2:3], v[2:3], 0
	v_fmac_f64_e32 v[42:43], v[36:37], v[10:11]
	v_fma_f64 v[6:7], v[34:35], v[10:11], -v[12:13]
	v_add_f64 v[8:9], v[8:9], v[40:41]
	v_add_f64 v[2:3], v[2:3], v[4:5]
	;; [unrolled: 1-line block ×4, first 2 shown]
	s_waitcnt vmcnt(0)
	v_add_f64 v[2:3], v[22:23], -v[2:3]
	v_add_f64 v[4:5], v[24:25], -v[4:5]
	scratch_store_dwordx4 off, v[2:5], off offset:16
	s_cbranch_vccz .LBB67_44
; %bb.38:
	global_load_dword v0, v0, s[8:9] offset:8
	s_waitcnt vmcnt(0)
	v_readfirstlane_b32 s0, v0
	s_add_i32 s0, s0, -1
	s_cmp_lg_u32 s0, 2
	s_cbranch_scc0 .LBB67_40
; %bb.39:
	s_lshl_b32 s0, s0, 4
	s_add_i32 s0, s0, 16
	scratch_load_dwordx4 v[0:3], off, s0
	scratch_load_dwordx4 v[4:7], off, s16
	s_waitcnt vmcnt(1)
	scratch_store_dwordx4 off, v[0:3], s16
	s_waitcnt vmcnt(1)
	scratch_store_dwordx4 off, v[4:7], s0
.LBB67_40:
	v_mov_b32_e32 v0, 0
	global_load_dword v1, v0, s[8:9] offset:4
	s_waitcnt vmcnt(0)
	v_readfirstlane_b32 s0, v1
	s_add_i32 s0, s0, -1
	s_cmp_eq_u32 s0, 1
	s_cbranch_scc1 .LBB67_42
; %bb.41:
	s_lshl_b32 s0, s0, 4
	s_add_i32 s0, s0, 16
	scratch_load_dwordx4 v[2:5], off, s0
	scratch_load_dwordx4 v[6:9], off, s17
	s_waitcnt vmcnt(1)
	scratch_store_dwordx4 off, v[2:5], s17
	s_waitcnt vmcnt(1)
	scratch_store_dwordx4 off, v[6:9], s0
.LBB67_42:
	global_load_dword v0, v0, s[8:9]
	s_waitcnt vmcnt(0)
	v_readfirstlane_b32 s0, v0
	s_add_i32 s0, s0, -1
	s_cmp_eq_u32 s0, 0
	s_cbranch_scc1 .LBB67_44
; %bb.43:
	s_lshl_b32 s0, s0, 4
	s_add_i32 s0, s0, 16
	scratch_load_dwordx4 v[0:3], off, s0
	scratch_load_dwordx4 v[4:7], off, off offset:16
	s_waitcnt vmcnt(1)
	scratch_store_dwordx4 off, v[0:3], off offset:16
	s_waitcnt vmcnt(1)
	scratch_store_dwordx4 off, v[4:7], s0
.LBB67_44:
	scratch_load_dwordx4 v[0:3], off, off offset:16
	s_nop 0
	scratch_load_dwordx4 v[4:7], off, s17
	scratch_load_dwordx4 v[8:11], off, s16
	;; [unrolled: 1-line block ×3, first 2 shown]
	s_waitcnt vmcnt(3)
	flat_store_dwordx4 v[14:15], v[0:3]
	s_waitcnt vmcnt(0)
	flat_store_dwordx4 v[16:17], v[4:7]
	flat_store_dwordx4 v[18:19], v[8:11]
	;; [unrolled: 1-line block ×3, first 2 shown]
	s_endpgm
	.section	.rodata,"a",@progbits
	.p2align	6, 0x0
	.amdhsa_kernel _ZN9rocsolver6v33100L18getri_kernel_smallILi4E19rocblas_complex_numIdEPKPS3_EEvT1_iilPiilS8_bb
		.amdhsa_group_segment_fixed_size 136
		.amdhsa_private_segment_fixed_size 96
		.amdhsa_kernarg_size 60
		.amdhsa_user_sgpr_count 2
		.amdhsa_user_sgpr_dispatch_ptr 0
		.amdhsa_user_sgpr_queue_ptr 0
		.amdhsa_user_sgpr_kernarg_segment_ptr 1
		.amdhsa_user_sgpr_dispatch_id 0
		.amdhsa_user_sgpr_kernarg_preload_length 0
		.amdhsa_user_sgpr_kernarg_preload_offset 0
		.amdhsa_user_sgpr_private_segment_size 0
		.amdhsa_uses_dynamic_stack 0
		.amdhsa_enable_private_segment 1
		.amdhsa_system_sgpr_workgroup_id_x 1
		.amdhsa_system_sgpr_workgroup_id_y 0
		.amdhsa_system_sgpr_workgroup_id_z 0
		.amdhsa_system_sgpr_workgroup_info 0
		.amdhsa_system_vgpr_workitem_id 0
		.amdhsa_next_free_vgpr 44
		.amdhsa_next_free_sgpr 19
		.amdhsa_accum_offset 44
		.amdhsa_reserve_vcc 1
		.amdhsa_float_round_mode_32 0
		.amdhsa_float_round_mode_16_64 0
		.amdhsa_float_denorm_mode_32 3
		.amdhsa_float_denorm_mode_16_64 3
		.amdhsa_dx10_clamp 1
		.amdhsa_ieee_mode 1
		.amdhsa_fp16_overflow 0
		.amdhsa_tg_split 0
		.amdhsa_exception_fp_ieee_invalid_op 0
		.amdhsa_exception_fp_denorm_src 0
		.amdhsa_exception_fp_ieee_div_zero 0
		.amdhsa_exception_fp_ieee_overflow 0
		.amdhsa_exception_fp_ieee_underflow 0
		.amdhsa_exception_fp_ieee_inexact 0
		.amdhsa_exception_int_div_zero 0
	.end_amdhsa_kernel
	.section	.text._ZN9rocsolver6v33100L18getri_kernel_smallILi4E19rocblas_complex_numIdEPKPS3_EEvT1_iilPiilS8_bb,"axG",@progbits,_ZN9rocsolver6v33100L18getri_kernel_smallILi4E19rocblas_complex_numIdEPKPS3_EEvT1_iilPiilS8_bb,comdat
.Lfunc_end67:
	.size	_ZN9rocsolver6v33100L18getri_kernel_smallILi4E19rocblas_complex_numIdEPKPS3_EEvT1_iilPiilS8_bb, .Lfunc_end67-_ZN9rocsolver6v33100L18getri_kernel_smallILi4E19rocblas_complex_numIdEPKPS3_EEvT1_iilPiilS8_bb
                                        ; -- End function
	.set _ZN9rocsolver6v33100L18getri_kernel_smallILi4E19rocblas_complex_numIdEPKPS3_EEvT1_iilPiilS8_bb.num_vgpr, 44
	.set _ZN9rocsolver6v33100L18getri_kernel_smallILi4E19rocblas_complex_numIdEPKPS3_EEvT1_iilPiilS8_bb.num_agpr, 0
	.set _ZN9rocsolver6v33100L18getri_kernel_smallILi4E19rocblas_complex_numIdEPKPS3_EEvT1_iilPiilS8_bb.numbered_sgpr, 19
	.set _ZN9rocsolver6v33100L18getri_kernel_smallILi4E19rocblas_complex_numIdEPKPS3_EEvT1_iilPiilS8_bb.num_named_barrier, 0
	.set _ZN9rocsolver6v33100L18getri_kernel_smallILi4E19rocblas_complex_numIdEPKPS3_EEvT1_iilPiilS8_bb.private_seg_size, 96
	.set _ZN9rocsolver6v33100L18getri_kernel_smallILi4E19rocblas_complex_numIdEPKPS3_EEvT1_iilPiilS8_bb.uses_vcc, 1
	.set _ZN9rocsolver6v33100L18getri_kernel_smallILi4E19rocblas_complex_numIdEPKPS3_EEvT1_iilPiilS8_bb.uses_flat_scratch, 0
	.set _ZN9rocsolver6v33100L18getri_kernel_smallILi4E19rocblas_complex_numIdEPKPS3_EEvT1_iilPiilS8_bb.has_dyn_sized_stack, 0
	.set _ZN9rocsolver6v33100L18getri_kernel_smallILi4E19rocblas_complex_numIdEPKPS3_EEvT1_iilPiilS8_bb.has_recursion, 0
	.set _ZN9rocsolver6v33100L18getri_kernel_smallILi4E19rocblas_complex_numIdEPKPS3_EEvT1_iilPiilS8_bb.has_indirect_call, 0
	.section	.AMDGPU.csdata,"",@progbits
; Kernel info:
; codeLenInByte = 2716
; TotalNumSgprs: 25
; NumVgprs: 44
; NumAgprs: 0
; TotalNumVgprs: 44
; ScratchSize: 96
; MemoryBound: 0
; FloatMode: 240
; IeeeMode: 1
; LDSByteSize: 136 bytes/workgroup (compile time only)
; SGPRBlocks: 3
; VGPRBlocks: 5
; NumSGPRsForWavesPerEU: 25
; NumVGPRsForWavesPerEU: 44
; AccumOffset: 44
; Occupancy: 8
; WaveLimiterHint : 1
; COMPUTE_PGM_RSRC2:SCRATCH_EN: 1
; COMPUTE_PGM_RSRC2:USER_SGPR: 2
; COMPUTE_PGM_RSRC2:TRAP_HANDLER: 0
; COMPUTE_PGM_RSRC2:TGID_X_EN: 1
; COMPUTE_PGM_RSRC2:TGID_Y_EN: 0
; COMPUTE_PGM_RSRC2:TGID_Z_EN: 0
; COMPUTE_PGM_RSRC2:TIDIG_COMP_CNT: 0
; COMPUTE_PGM_RSRC3_GFX90A:ACCUM_OFFSET: 10
; COMPUTE_PGM_RSRC3_GFX90A:TG_SPLIT: 0
	.section	.text._ZN9rocsolver6v33100L18getri_kernel_smallILi5E19rocblas_complex_numIdEPKPS3_EEvT1_iilPiilS8_bb,"axG",@progbits,_ZN9rocsolver6v33100L18getri_kernel_smallILi5E19rocblas_complex_numIdEPKPS3_EEvT1_iilPiilS8_bb,comdat
	.globl	_ZN9rocsolver6v33100L18getri_kernel_smallILi5E19rocblas_complex_numIdEPKPS3_EEvT1_iilPiilS8_bb ; -- Begin function _ZN9rocsolver6v33100L18getri_kernel_smallILi5E19rocblas_complex_numIdEPKPS3_EEvT1_iilPiilS8_bb
	.p2align	8
	.type	_ZN9rocsolver6v33100L18getri_kernel_smallILi5E19rocblas_complex_numIdEPKPS3_EEvT1_iilPiilS8_bb,@function
_ZN9rocsolver6v33100L18getri_kernel_smallILi5E19rocblas_complex_numIdEPKPS3_EEvT1_iilPiilS8_bb: ; @_ZN9rocsolver6v33100L18getri_kernel_smallILi5E19rocblas_complex_numIdEPKPS3_EEvT1_iilPiilS8_bb
; %bb.0:
	v_and_b32_e32 v1, 0x3ff, v0
	v_cmp_gt_u32_e32 vcc, 5, v1
	s_and_saveexec_b64 s[6:7], vcc
	s_cbranch_execz .LBB68_34
; %bb.1:
	s_load_dword s16, s[2:3], 0x38
	s_load_dwordx2 s[6:7], s[2:3], 0x0
	s_load_dwordx4 s[8:11], s[2:3], 0x28
	s_waitcnt lgkmcnt(0)
	s_bitcmp1_b32 s16, 8
	s_cselect_b64 s[14:15], -1, 0
	s_ashr_i32 s5, s4, 31
	s_lshl_b64 s[12:13], s[4:5], 3
	s_add_u32 s6, s6, s12
	s_addc_u32 s7, s7, s13
	s_load_dwordx2 s[6:7], s[6:7], 0x0
	s_bfe_u32 s12, s16, 0x10008
	s_cmp_eq_u32 s12, 0
                                        ; implicit-def: $sgpr12_sgpr13
	s_cbranch_scc1 .LBB68_3
; %bb.2:
	s_load_dword s12, s[2:3], 0x20
	s_load_dwordx2 s[16:17], s[2:3], 0x18
	s_mul_i32 s13, s8, s5
	s_mul_hi_u32 s18, s8, s4
	s_add_i32 s18, s18, s13
	s_mul_i32 s9, s9, s4
	s_add_i32 s9, s18, s9
	s_mul_i32 s8, s8, s4
	s_waitcnt lgkmcnt(0)
	s_ashr_i32 s13, s12, 31
	s_lshl_b64 s[8:9], s[8:9], 2
	s_add_u32 s16, s16, s8
	s_addc_u32 s17, s17, s9
	s_lshl_b64 s[8:9], s[12:13], 2
	s_add_u32 s12, s16, s8
	s_addc_u32 s13, s17, s9
.LBB68_3:
	s_load_dwordx2 s[8:9], s[2:3], 0x8
	s_load_dword s16, s[2:3], 0x38
	v_lshlrev_b32_e32 v24, 4, v1
	v_mov_b32_e32 v25, 0
	s_mov_b32 s21, 16
	s_waitcnt lgkmcnt(0)
	s_ashr_i32 s3, s8, 31
	s_mov_b32 s2, s8
	s_lshl_b64 s[2:3], s[2:3], 4
	s_add_u32 s2, s6, s2
	s_addc_u32 s3, s7, s3
	v_lshl_add_u64 v[14:15], s[2:3], 0, v[24:25]
	flat_load_dwordx4 v[2:5], v[14:15]
	s_mov_b32 s6, s9
	s_ashr_i32 s7, s9, 31
	v_lshl_add_u64 v[16:17], s[6:7], 4, v[14:15]
	s_add_i32 s6, s9, s9
	v_add_u32_e32 v6, s6, v1
	v_ashrrev_i32_e32 v7, 31, v6
	v_lshl_add_u64 v[18:19], v[6:7], 4, s[2:3]
	v_add_u32_e32 v6, s9, v6
	v_ashrrev_i32_e32 v7, 31, v6
	v_lshl_add_u64 v[20:21], v[6:7], 4, s[2:3]
	;; [unrolled: 3-line block ×3, first 2 shown]
	s_mov_b32 s20, 32
	s_mov_b32 s19, 48
	;; [unrolled: 1-line block ×3, first 2 shown]
	s_bitcmp0_b32 s16, 0
	s_mov_b64 s[6:7], -1
	s_waitcnt vmcnt(0) lgkmcnt(0)
	scratch_store_dwordx4 off, v[2:5], off
	flat_load_dwordx4 v[2:5], v[16:17]
	s_waitcnt vmcnt(0) lgkmcnt(0)
	scratch_store_dwordx4 off, v[2:5], off offset:16
	flat_load_dwordx4 v[2:5], v[18:19]
	s_waitcnt vmcnt(0) lgkmcnt(0)
	scratch_store_dwordx4 off, v[2:5], off offset:32
	;; [unrolled: 3-line block ×4, first 2 shown]
	s_cbranch_scc1 .LBB68_32
; %bb.4:
	v_cmp_eq_u32_e64 s[2:3], 0, v1
	s_and_saveexec_b64 s[6:7], s[2:3]
; %bb.5:
	v_mov_b32_e32 v2, 0
	ds_write_b32 v2, v2 offset:160
; %bb.6:
	s_or_b64 exec, exec, s[6:7]
	s_waitcnt lgkmcnt(0)
	; wave barrier
	scratch_load_dwordx4 v[2:5], v24, off
	s_waitcnt vmcnt(0)
	v_cmp_eq_f64_e32 vcc, 0, v[2:3]
	v_cmp_eq_f64_e64 s[6:7], 0, v[4:5]
	s_and_b64 s[6:7], vcc, s[6:7]
	s_and_saveexec_b64 s[8:9], s[6:7]
	s_cbranch_execz .LBB68_10
; %bb.7:
	v_mov_b32_e32 v2, 0
	ds_read_b32 v4, v2 offset:160
	v_add_u32_e32 v3, 1, v1
	s_waitcnt lgkmcnt(0)
	v_readfirstlane_b32 s6, v4
	s_cmp_eq_u32 s6, 0
	s_cselect_b64 s[16:17], -1, 0
	v_cmp_gt_i32_e32 vcc, s6, v3
	s_or_b64 s[16:17], s[16:17], vcc
	s_and_b64 exec, exec, s[16:17]
	s_cbranch_execz .LBB68_10
; %bb.8:
	s_mov_b64 s[16:17], 0
	v_mov_b32_e32 v4, s6
.LBB68_9:                               ; =>This Inner Loop Header: Depth=1
	ds_cmpst_rtn_b32 v4, v2, v4, v3 offset:160
	s_waitcnt lgkmcnt(0)
	v_cmp_ne_u32_e32 vcc, 0, v4
	v_cmp_le_i32_e64 s[6:7], v4, v3
	s_and_b64 s[6:7], vcc, s[6:7]
	s_and_b64 s[6:7], exec, s[6:7]
	s_or_b64 s[16:17], s[6:7], s[16:17]
	s_andn2_b64 exec, exec, s[16:17]
	s_cbranch_execnz .LBB68_9
.LBB68_10:
	s_or_b64 exec, exec, s[8:9]
	v_mov_b32_e32 v3, 0
	; wave barrier
	ds_read_b32 v2, v3 offset:160
	s_and_saveexec_b64 s[6:7], s[2:3]
	s_cbranch_execz .LBB68_12
; %bb.11:
	s_lshl_b64 s[8:9], s[4:5], 2
	s_add_u32 s8, s10, s8
	s_addc_u32 s9, s11, s9
	s_waitcnt lgkmcnt(0)
	global_store_dword v3, v2, s[8:9]
.LBB68_12:
	s_or_b64 exec, exec, s[6:7]
	s_waitcnt lgkmcnt(0)
	v_cmp_ne_u32_e32 vcc, 0, v2
	s_mov_b64 s[6:7], 0
	s_cbranch_vccnz .LBB68_32
; %bb.13:
	v_mov_b32_e32 v25, v24
	scratch_load_dwordx4 v[2:5], v25, off
                                        ; implicit-def: $vgpr6_vgpr7
                                        ; implicit-def: $vgpr10_vgpr11
	s_waitcnt vmcnt(0)
	v_cmp_ngt_f64_e64 s[6:7], |v[2:3]|, |v[4:5]|
	s_and_saveexec_b64 s[8:9], s[6:7]
	s_xor_b64 s[6:7], exec, s[8:9]
	s_cbranch_execz .LBB68_15
; %bb.14:
	v_div_scale_f64 v[6:7], s[8:9], v[4:5], v[4:5], v[2:3]
	v_rcp_f64_e32 v[8:9], v[6:7]
	v_div_scale_f64 v[10:11], vcc, v[2:3], v[4:5], v[2:3]
	v_fma_f64 v[12:13], -v[6:7], v[8:9], 1.0
	v_fmac_f64_e32 v[8:9], v[8:9], v[12:13]
	v_fma_f64 v[12:13], -v[6:7], v[8:9], 1.0
	v_fmac_f64_e32 v[8:9], v[8:9], v[12:13]
	v_mul_f64 v[12:13], v[10:11], v[8:9]
	v_fma_f64 v[6:7], -v[6:7], v[12:13], v[10:11]
	v_div_fmas_f64 v[6:7], v[6:7], v[8:9], v[12:13]
	v_div_fixup_f64 v[6:7], v[6:7], v[4:5], v[2:3]
	v_fmac_f64_e32 v[4:5], v[2:3], v[6:7]
	v_div_scale_f64 v[2:3], s[8:9], v[4:5], v[4:5], 1.0
	v_rcp_f64_e32 v[8:9], v[2:3]
	s_nop 0
	v_fma_f64 v[10:11], -v[2:3], v[8:9], 1.0
	v_fmac_f64_e32 v[8:9], v[8:9], v[10:11]
	v_fma_f64 v[10:11], -v[2:3], v[8:9], 1.0
	v_fmac_f64_e32 v[8:9], v[8:9], v[10:11]
	v_div_scale_f64 v[10:11], vcc, 1.0, v[4:5], 1.0
	v_mul_f64 v[12:13], v[10:11], v[8:9]
	v_fma_f64 v[2:3], -v[2:3], v[12:13], v[10:11]
	s_nop 1
	v_div_fmas_f64 v[2:3], v[2:3], v[8:9], v[12:13]
	v_div_fixup_f64 v[8:9], v[2:3], v[4:5], 1.0
	v_mul_f64 v[6:7], v[6:7], v[8:9]
	v_xor_b32_e32 v9, 0x80000000, v9
	v_xor_b32_e32 v11, 0x80000000, v7
	v_mov_b32_e32 v10, v6
                                        ; implicit-def: $vgpr2_vgpr3
.LBB68_15:
	s_andn2_saveexec_b64 s[6:7], s[6:7]
	s_cbranch_execz .LBB68_17
; %bb.16:
	v_div_scale_f64 v[6:7], s[8:9], v[2:3], v[2:3], v[4:5]
	v_rcp_f64_e32 v[8:9], v[6:7]
	v_div_scale_f64 v[10:11], vcc, v[4:5], v[2:3], v[4:5]
	v_fma_f64 v[12:13], -v[6:7], v[8:9], 1.0
	v_fmac_f64_e32 v[8:9], v[8:9], v[12:13]
	v_fma_f64 v[12:13], -v[6:7], v[8:9], 1.0
	v_fmac_f64_e32 v[8:9], v[8:9], v[12:13]
	v_mul_f64 v[12:13], v[10:11], v[8:9]
	v_fma_f64 v[6:7], -v[6:7], v[12:13], v[10:11]
	v_div_fmas_f64 v[6:7], v[6:7], v[8:9], v[12:13]
	v_div_fixup_f64 v[8:9], v[6:7], v[2:3], v[4:5]
	v_fmac_f64_e32 v[2:3], v[4:5], v[8:9]
	v_div_scale_f64 v[4:5], s[8:9], v[2:3], v[2:3], 1.0
	v_rcp_f64_e32 v[6:7], v[4:5]
	s_nop 0
	v_fma_f64 v[10:11], -v[4:5], v[6:7], 1.0
	v_fmac_f64_e32 v[6:7], v[6:7], v[10:11]
	v_fma_f64 v[10:11], -v[4:5], v[6:7], 1.0
	v_fmac_f64_e32 v[6:7], v[6:7], v[10:11]
	v_div_scale_f64 v[10:11], vcc, 1.0, v[2:3], 1.0
	v_mul_f64 v[12:13], v[10:11], v[6:7]
	v_fma_f64 v[4:5], -v[4:5], v[12:13], v[10:11]
	s_nop 1
	v_div_fmas_f64 v[4:5], v[4:5], v[6:7], v[12:13]
	v_div_fixup_f64 v[6:7], v[4:5], v[2:3], 1.0
	v_xor_b32_e32 v11, 0x80000000, v7
	v_mov_b32_e32 v10, v6
	v_mul_f64 v[8:9], v[8:9], -v[6:7]
.LBB68_17:
	s_or_b64 exec, exec, s[6:7]
	scratch_store_dwordx4 v25, v[6:9], off
	scratch_load_dwordx4 v[2:5], off, s21
	v_xor_b32_e32 v13, 0x80000000, v9
	v_mov_b32_e32 v12, v8
	v_add_u32_e32 v6, 0x50, v24
	ds_write_b128 v24, v[10:13]
	s_waitcnt vmcnt(0)
	ds_write_b128 v24, v[2:5] offset:80
	s_waitcnt lgkmcnt(0)
	; wave barrier
	s_and_saveexec_b64 s[6:7], s[2:3]
	s_cbranch_execz .LBB68_19
; %bb.18:
	scratch_load_dwordx4 v[2:5], v25, off
	ds_read_b128 v[8:11], v6
	v_mov_b32_e32 v7, 0
	ds_read_b128 v[26:29], v7 offset:16
	s_waitcnt vmcnt(0) lgkmcnt(1)
	v_mul_f64 v[12:13], v[10:11], v[4:5]
	v_mul_f64 v[4:5], v[8:9], v[4:5]
	v_fma_f64 v[8:9], v[8:9], v[2:3], -v[12:13]
	v_fmac_f64_e32 v[4:5], v[10:11], v[2:3]
	v_add_f64 v[2:3], v[8:9], 0
	v_add_f64 v[8:9], v[4:5], 0
	s_waitcnt lgkmcnt(0)
	v_mul_f64 v[10:11], v[8:9], v[28:29]
	v_mul_f64 v[4:5], v[2:3], v[28:29]
	v_fma_f64 v[2:3], v[2:3], v[26:27], -v[10:11]
	v_fmac_f64_e32 v[4:5], v[8:9], v[26:27]
	scratch_store_dwordx4 off, v[2:5], off offset:16
.LBB68_19:
	s_or_b64 exec, exec, s[6:7]
	; wave barrier
	scratch_load_dwordx4 v[2:5], off, s20
	v_cmp_gt_u32_e32 vcc, 2, v1
	s_waitcnt vmcnt(0)
	ds_write_b128 v6, v[2:5]
	s_waitcnt lgkmcnt(0)
	; wave barrier
	s_and_saveexec_b64 s[6:7], vcc
	s_cbranch_execz .LBB68_23
; %bb.20:
	scratch_load_dwordx4 v[2:5], v25, off
	ds_read_b128 v[8:11], v6
	s_waitcnt vmcnt(0) lgkmcnt(0)
	v_mul_f64 v[12:13], v[10:11], v[4:5]
	v_mul_f64 v[26:27], v[8:9], v[4:5]
	v_fma_f64 v[4:5], v[8:9], v[2:3], -v[12:13]
	v_fmac_f64_e32 v[26:27], v[10:11], v[2:3]
	v_add_f64 v[4:5], v[4:5], 0
	v_add_f64 v[2:3], v[26:27], 0
	s_and_saveexec_b64 s[8:9], s[2:3]
	s_cbranch_execz .LBB68_22
; %bb.21:
	scratch_load_dwordx4 v[8:11], off, off offset:16
	v_mov_b32_e32 v7, 0
	ds_read_b128 v[26:29], v7 offset:96
	s_waitcnt vmcnt(0) lgkmcnt(0)
	v_mul_f64 v[12:13], v[26:27], v[10:11]
	v_mul_f64 v[10:11], v[28:29], v[10:11]
	v_fmac_f64_e32 v[12:13], v[28:29], v[8:9]
	v_fma_f64 v[8:9], v[26:27], v[8:9], -v[10:11]
	v_add_f64 v[2:3], v[2:3], v[12:13]
	v_add_f64 v[4:5], v[4:5], v[8:9]
.LBB68_22:
	s_or_b64 exec, exec, s[8:9]
	v_mov_b32_e32 v7, 0
	ds_read_b128 v[8:11], v7 offset:32
	s_waitcnt lgkmcnt(0)
	v_mul_f64 v[26:27], v[2:3], v[10:11]
	v_mul_f64 v[12:13], v[4:5], v[10:11]
	v_fma_f64 v[10:11], v[4:5], v[8:9], -v[26:27]
	v_fmac_f64_e32 v[12:13], v[2:3], v[8:9]
	scratch_store_dwordx4 off, v[10:13], off offset:32
.LBB68_23:
	s_or_b64 exec, exec, s[6:7]
	; wave barrier
	scratch_load_dwordx4 v[2:5], off, s19
	v_cmp_gt_u32_e32 vcc, 3, v1
	v_add_u32_e32 v7, -1, v1
	s_waitcnt vmcnt(0)
	ds_write_b128 v6, v[2:5]
	s_waitcnt lgkmcnt(0)
	; wave barrier
	s_and_saveexec_b64 s[2:3], vcc
	s_cbranch_execz .LBB68_27
; %bb.24:
	v_add_u32_e32 v8, -1, v1
	v_add_u32_e32 v9, 0x50, v24
	v_mov_b32_e32 v10, v24
	v_mov_b64_e32 v[2:3], 0
	s_mov_b64 s[6:7], 0
	v_mov_b64_e32 v[4:5], 0
.LBB68_25:                              ; =>This Inner Loop Header: Depth=1
	scratch_load_dwordx4 v[26:29], v10, off
	ds_read_b128 v[30:33], v9
	v_add_u32_e32 v8, 1, v8
	v_cmp_lt_u32_e32 vcc, 1, v8
	v_add_u32_e32 v9, 16, v9
	v_add_u32_e32 v10, 16, v10
	s_or_b64 s[6:7], vcc, s[6:7]
	s_waitcnt vmcnt(0) lgkmcnt(0)
	v_mul_f64 v[12:13], v[32:33], v[28:29]
	v_mul_f64 v[28:29], v[30:31], v[28:29]
	v_fma_f64 v[12:13], v[30:31], v[26:27], -v[12:13]
	v_fmac_f64_e32 v[28:29], v[32:33], v[26:27]
	v_add_f64 v[4:5], v[4:5], v[12:13]
	v_add_f64 v[2:3], v[2:3], v[28:29]
	s_andn2_b64 exec, exec, s[6:7]
	s_cbranch_execnz .LBB68_25
; %bb.26:
	s_or_b64 exec, exec, s[6:7]
	v_mov_b32_e32 v8, 0
	ds_read_b128 v[8:11], v8 offset:48
	s_waitcnt lgkmcnt(0)
	v_mul_f64 v[26:27], v[2:3], v[10:11]
	v_mul_f64 v[12:13], v[4:5], v[10:11]
	v_fma_f64 v[10:11], v[4:5], v[8:9], -v[26:27]
	v_fmac_f64_e32 v[12:13], v[2:3], v[8:9]
	scratch_store_dwordx4 off, v[10:13], off offset:48
.LBB68_27:
	s_or_b64 exec, exec, s[2:3]
	; wave barrier
	scratch_load_dwordx4 v[2:5], off, s18
	v_cmp_ne_u32_e32 vcc, 4, v1
	s_waitcnt vmcnt(0)
	ds_write_b128 v6, v[2:5]
	s_waitcnt lgkmcnt(0)
	; wave barrier
	s_and_saveexec_b64 s[2:3], vcc
	s_cbranch_execz .LBB68_31
; %bb.28:
	v_add_u32_e32 v6, 0x50, v24
	v_mov_b32_e32 v8, v24
	v_mov_b64_e32 v[2:3], 0
	s_mov_b64 s[6:7], 0
	v_mov_b64_e32 v[4:5], 0
.LBB68_29:                              ; =>This Inner Loop Header: Depth=1
	scratch_load_dwordx4 v[10:13], v8, off
	ds_read_b128 v[24:27], v6
	v_add_u32_e32 v7, 1, v7
	v_cmp_lt_u32_e32 vcc, 2, v7
	v_add_u32_e32 v6, 16, v6
	v_add_u32_e32 v8, 16, v8
	s_or_b64 s[6:7], vcc, s[6:7]
	s_waitcnt vmcnt(0) lgkmcnt(0)
	v_mul_f64 v[28:29], v[26:27], v[12:13]
	v_mul_f64 v[12:13], v[24:25], v[12:13]
	v_fma_f64 v[24:25], v[24:25], v[10:11], -v[28:29]
	v_fmac_f64_e32 v[12:13], v[26:27], v[10:11]
	v_add_f64 v[4:5], v[4:5], v[24:25]
	v_add_f64 v[2:3], v[2:3], v[12:13]
	s_andn2_b64 exec, exec, s[6:7]
	s_cbranch_execnz .LBB68_29
; %bb.30:
	s_or_b64 exec, exec, s[6:7]
	v_mov_b32_e32 v6, 0
	ds_read_b128 v[6:9], v6 offset:64
	s_waitcnt lgkmcnt(0)
	v_mul_f64 v[12:13], v[2:3], v[8:9]
	v_mul_f64 v[10:11], v[4:5], v[8:9]
	v_fma_f64 v[8:9], v[4:5], v[6:7], -v[12:13]
	v_fmac_f64_e32 v[10:11], v[2:3], v[6:7]
	scratch_store_dwordx4 off, v[8:11], off offset:64
.LBB68_31:
	s_or_b64 exec, exec, s[2:3]
	s_mov_b64 s[6:7], -1
	; wave barrier
.LBB68_32:
	s_and_b64 vcc, exec, s[6:7]
	s_cbranch_vccz .LBB68_34
; %bb.33:
	s_lshl_b64 s[2:3], s[4:5], 2
	s_add_u32 s2, s10, s2
	s_addc_u32 s3, s11, s3
	v_mov_b32_e32 v2, 0
	global_load_dword v2, v2, s[2:3]
	s_waitcnt vmcnt(0)
	v_cmp_ne_u32_e32 vcc, 0, v2
	s_cbranch_vccz .LBB68_35
.LBB68_34:
	s_endpgm
.LBB68_35:
	v_mov_b32_e32 v2, 0x50
	v_lshl_add_u32 v6, v1, 4, v2
	v_cmp_eq_u32_e32 vcc, 4, v1
	s_and_saveexec_b64 s[2:3], vcc
	s_cbranch_execz .LBB68_37
; %bb.36:
	scratch_load_dwordx4 v[2:5], off, s19
	v_mov_b32_e32 v8, 0
	v_mov_b32_e32 v9, v8
	v_mov_b32_e32 v10, v8
	v_mov_b32_e32 v11, v8
	scratch_store_dwordx4 off, v[8:11], off offset:48
	s_waitcnt vmcnt(1)
	ds_write_b128 v6, v[2:5]
.LBB68_37:
	s_or_b64 exec, exec, s[2:3]
	s_waitcnt lgkmcnt(0)
	; wave barrier
	scratch_load_dwordx4 v[8:11], off, off offset:64
	scratch_load_dwordx4 v[24:27], off, off offset:48
	v_mov_b32_e32 v2, 0
	ds_read_b128 v[28:31], v2 offset:144
	v_cmp_lt_u32_e32 vcc, 2, v1
	s_waitcnt vmcnt(1) lgkmcnt(0)
	v_mul_f64 v[4:5], v[28:29], v[10:11]
	v_mul_f64 v[10:11], v[30:31], v[10:11]
	v_fmac_f64_e32 v[4:5], v[30:31], v[8:9]
	v_fma_f64 v[8:9], v[28:29], v[8:9], -v[10:11]
	v_add_f64 v[4:5], v[4:5], 0
	v_add_f64 v[8:9], v[8:9], 0
	s_waitcnt vmcnt(0)
	v_add_f64 v[8:9], v[24:25], -v[8:9]
	v_add_f64 v[10:11], v[26:27], -v[4:5]
	scratch_store_dwordx4 off, v[8:11], off offset:48
	s_and_saveexec_b64 s[2:3], vcc
	s_cbranch_execz .LBB68_39
; %bb.38:
	scratch_load_dwordx4 v[8:11], off, s20
	v_mov_b32_e32 v3, v2
	v_mov_b32_e32 v4, v2
	;; [unrolled: 1-line block ×3, first 2 shown]
	scratch_store_dwordx4 off, v[2:5], off offset:32
	s_waitcnt vmcnt(1)
	ds_write_b128 v6, v[8:11]
.LBB68_39:
	s_or_b64 exec, exec, s[2:3]
	s_waitcnt lgkmcnt(0)
	; wave barrier
	scratch_load_dwordx4 v[8:11], off, off offset:48
	scratch_load_dwordx4 v[24:27], off, off offset:64
	;; [unrolled: 1-line block ×3, first 2 shown]
	ds_read_b128 v[32:35], v2 offset:128
	ds_read_b128 v[2:5], v2 offset:144
	v_cmp_lt_u32_e32 vcc, 1, v1
	s_waitcnt vmcnt(2) lgkmcnt(1)
	v_mul_f64 v[12:13], v[32:33], v[10:11]
	s_waitcnt vmcnt(1) lgkmcnt(0)
	v_mul_f64 v[36:37], v[2:3], v[26:27]
	v_mul_f64 v[10:11], v[34:35], v[10:11]
	;; [unrolled: 1-line block ×3, first 2 shown]
	v_fmac_f64_e32 v[12:13], v[34:35], v[8:9]
	v_fmac_f64_e32 v[36:37], v[4:5], v[24:25]
	v_fma_f64 v[4:5], v[32:33], v[8:9], -v[10:11]
	v_fma_f64 v[2:3], v[2:3], v[24:25], -v[26:27]
	v_add_f64 v[8:9], v[12:13], 0
	v_add_f64 v[4:5], v[4:5], 0
	;; [unrolled: 1-line block ×4, first 2 shown]
	s_waitcnt vmcnt(0)
	v_add_f64 v[2:3], v[28:29], -v[2:3]
	v_add_f64 v[4:5], v[30:31], -v[8:9]
	scratch_store_dwordx4 off, v[2:5], off offset:32
	s_and_saveexec_b64 s[2:3], vcc
	s_cbranch_execz .LBB68_41
; %bb.40:
	scratch_load_dwordx4 v[2:5], off, s21
	v_mov_b32_e32 v8, 0
	v_mov_b32_e32 v9, v8
	;; [unrolled: 1-line block ×4, first 2 shown]
	scratch_store_dwordx4 off, v[8:11], off offset:16
	s_waitcnt vmcnt(1)
	ds_write_b128 v6, v[2:5]
.LBB68_41:
	s_or_b64 exec, exec, s[2:3]
	s_waitcnt lgkmcnt(0)
	; wave barrier
	scratch_load_dwordx4 v[8:11], off, off offset:32
	scratch_load_dwordx4 v[24:27], off, off offset:48
	;; [unrolled: 1-line block ×4, first 2 shown]
	v_mov_b32_e32 v2, 0
	ds_read_b128 v[36:39], v2 offset:112
	ds_read_b128 v[40:43], v2 offset:128
	;; [unrolled: 1-line block ×3, first 2 shown]
	v_cmp_ne_u32_e32 vcc, 0, v1
	s_waitcnt vmcnt(3) lgkmcnt(2)
	v_mul_f64 v[4:5], v[36:37], v[10:11]
	v_mul_f64 v[10:11], v[38:39], v[10:11]
	s_waitcnt vmcnt(2) lgkmcnt(1)
	v_mul_f64 v[12:13], v[40:41], v[26:27]
	v_mul_f64 v[26:27], v[42:43], v[26:27]
	v_fmac_f64_e32 v[4:5], v[38:39], v[8:9]
	v_fma_f64 v[8:9], v[36:37], v[8:9], -v[10:11]
	s_waitcnt vmcnt(1) lgkmcnt(0)
	v_mul_f64 v[48:49], v[44:45], v[30:31]
	v_mul_f64 v[30:31], v[46:47], v[30:31]
	v_fmac_f64_e32 v[12:13], v[42:43], v[24:25]
	v_fma_f64 v[10:11], v[40:41], v[24:25], -v[26:27]
	v_add_f64 v[4:5], v[4:5], 0
	v_add_f64 v[8:9], v[8:9], 0
	v_fmac_f64_e32 v[48:49], v[46:47], v[28:29]
	v_fma_f64 v[24:25], v[44:45], v[28:29], -v[30:31]
	v_add_f64 v[4:5], v[4:5], v[12:13]
	v_add_f64 v[8:9], v[8:9], v[10:11]
	v_add_f64 v[4:5], v[4:5], v[48:49]
	v_add_f64 v[8:9], v[8:9], v[24:25]
	s_waitcnt vmcnt(0)
	v_add_f64 v[8:9], v[32:33], -v[8:9]
	v_add_f64 v[10:11], v[34:35], -v[4:5]
	scratch_store_dwordx4 off, v[8:11], off offset:16
	s_and_saveexec_b64 s[2:3], vcc
	s_cbranch_execz .LBB68_43
; %bb.42:
	scratch_load_dwordx4 v[8:11], off, off
	v_mov_b32_e32 v3, v2
	v_mov_b32_e32 v4, v2
	;; [unrolled: 1-line block ×3, first 2 shown]
	scratch_store_dwordx4 off, v[2:5], off
	s_waitcnt vmcnt(1)
	ds_write_b128 v6, v[8:11]
.LBB68_43:
	s_or_b64 exec, exec, s[2:3]
	s_waitcnt lgkmcnt(0)
	; wave barrier
	scratch_load_dwordx4 v[4:7], off, off offset:16
	scratch_load_dwordx4 v[8:11], off, off offset:32
	scratch_load_dwordx4 v[24:27], off, off offset:48
	scratch_load_dwordx4 v[28:31], off, off offset:64
	scratch_load_dwordx4 v[32:35], off, off
	ds_read_b128 v[36:39], v2 offset:96
	ds_read_b128 v[40:43], v2 offset:112
	;; [unrolled: 1-line block ×4, first 2 shown]
	s_and_b64 vcc, exec, s[14:15]
	s_waitcnt vmcnt(4) lgkmcnt(3)
	v_mul_f64 v[2:3], v[36:37], v[6:7]
	v_mul_f64 v[6:7], v[38:39], v[6:7]
	s_waitcnt vmcnt(3) lgkmcnt(2)
	v_mul_f64 v[12:13], v[40:41], v[10:11]
	v_mul_f64 v[10:11], v[42:43], v[10:11]
	v_fmac_f64_e32 v[2:3], v[38:39], v[4:5]
	v_fma_f64 v[4:5], v[36:37], v[4:5], -v[6:7]
	s_waitcnt vmcnt(2) lgkmcnt(1)
	v_mul_f64 v[52:53], v[44:45], v[26:27]
	v_mul_f64 v[26:27], v[46:47], v[26:27]
	v_fmac_f64_e32 v[12:13], v[42:43], v[8:9]
	v_fma_f64 v[6:7], v[40:41], v[8:9], -v[10:11]
	v_add_f64 v[2:3], v[2:3], 0
	v_add_f64 v[4:5], v[4:5], 0
	s_waitcnt vmcnt(1) lgkmcnt(0)
	v_mul_f64 v[54:55], v[48:49], v[30:31]
	v_mul_f64 v[30:31], v[50:51], v[30:31]
	v_fmac_f64_e32 v[52:53], v[46:47], v[24:25]
	v_fma_f64 v[8:9], v[44:45], v[24:25], -v[26:27]
	v_add_f64 v[2:3], v[2:3], v[12:13]
	v_add_f64 v[4:5], v[4:5], v[6:7]
	v_fmac_f64_e32 v[54:55], v[50:51], v[28:29]
	v_fma_f64 v[10:11], v[48:49], v[28:29], -v[30:31]
	v_add_f64 v[2:3], v[2:3], v[52:53]
	v_add_f64 v[4:5], v[4:5], v[8:9]
	v_add_f64 v[6:7], v[2:3], v[54:55]
	v_add_f64 v[2:3], v[4:5], v[10:11]
	s_waitcnt vmcnt(0)
	v_add_f64 v[2:3], v[32:33], -v[2:3]
	v_add_f64 v[4:5], v[34:35], -v[6:7]
	scratch_store_dwordx4 off, v[2:5], off
	s_cbranch_vccz .LBB68_52
; %bb.44:
	s_nop 0
	v_mov_b32_e32 v2, 0
	global_load_dword v3, v2, s[12:13] offset:12
	s_load_dwordx2 s[2:3], s[0:1], 0x4
	v_bfe_u32 v4, v0, 10, 10
	v_bfe_u32 v0, v0, 20, 10
	s_waitcnt lgkmcnt(0)
	s_lshr_b32 s0, s2, 16
	s_mul_i32 s0, s0, s3
	v_mul_u32_u24_e32 v1, s0, v1
	v_mul_u32_u24_e32 v4, s3, v4
	v_add3_u32 v0, v1, v4, v0
	v_mov_b32_e32 v1, 0xa8
	v_lshl_add_u32 v0, v0, 4, v1
	s_waitcnt vmcnt(0)
	v_readfirstlane_b32 s0, v3
	s_add_i32 s0, s0, -1
	s_cmp_lg_u32 s0, 3
	s_cbranch_scc0 .LBB68_46
; %bb.45:
	s_lshl_b32 s0, s0, 4
	scratch_load_dwordx4 v[4:7], off, s19
	scratch_load_dwordx4 v[8:11], off, s0
	s_waitcnt vmcnt(1)
	ds_write2_b64 v0, v[4:5], v[6:7] offset1:1
	s_waitcnt vmcnt(0)
	scratch_store_dwordx4 off, v[8:11], s19
	scratch_store_dwordx4 off, v[4:7], s0
.LBB68_46:
	global_load_dword v1, v2, s[12:13] offset:8
	s_waitcnt vmcnt(0)
	v_readfirstlane_b32 s0, v1
	s_add_i32 s0, s0, -1
	s_cmp_eq_u32 s0, 2
	s_cbranch_scc1 .LBB68_48
; %bb.47:
	s_lshl_b32 s0, s0, 4
	scratch_load_dwordx4 v[2:5], off, s20
	scratch_load_dwordx4 v[6:9], off, s0
	s_waitcnt vmcnt(1)
	ds_write2_b64 v0, v[2:3], v[4:5] offset1:1
	s_waitcnt vmcnt(0)
	scratch_store_dwordx4 off, v[6:9], s20
	scratch_store_dwordx4 off, v[2:5], s0
.LBB68_48:
	v_mov_b32_e32 v1, 0
	global_load_dword v2, v1, s[12:13] offset:4
	s_waitcnt vmcnt(0)
	v_readfirstlane_b32 s0, v2
	s_add_i32 s0, s0, -1
	s_cmp_eq_u32 s0, 1
	s_cbranch_scc1 .LBB68_50
; %bb.49:
	s_lshl_b32 s0, s0, 4
	scratch_load_dwordx4 v[2:5], off, s21
	scratch_load_dwordx4 v[6:9], off, s0
	s_waitcnt vmcnt(1)
	ds_write2_b64 v0, v[2:3], v[4:5] offset1:1
	s_waitcnt vmcnt(0)
	scratch_store_dwordx4 off, v[6:9], s21
	scratch_store_dwordx4 off, v[2:5], s0
.LBB68_50:
	global_load_dword v1, v1, s[12:13]
	s_waitcnt vmcnt(0)
	v_readfirstlane_b32 s0, v1
	s_add_i32 s0, s0, -1
	s_cmp_eq_u32 s0, 0
	s_cbranch_scc1 .LBB68_52
; %bb.51:
	s_lshl_b32 s0, s0, 4
	scratch_load_dwordx4 v[2:5], off, off
	scratch_load_dwordx4 v[6:9], off, s0
	s_waitcnt vmcnt(1)
	ds_write2_b64 v0, v[2:3], v[4:5] offset1:1
	s_waitcnt vmcnt(0)
	scratch_store_dwordx4 off, v[6:9], off
	scratch_store_dwordx4 off, v[2:5], s0
.LBB68_52:
	scratch_load_dwordx4 v[0:3], off, off
	s_waitcnt vmcnt(0)
	flat_store_dwordx4 v[14:15], v[0:3]
	scratch_load_dwordx4 v[0:3], off, s21
	s_waitcnt vmcnt(0)
	flat_store_dwordx4 v[16:17], v[0:3]
	scratch_load_dwordx4 v[0:3], off, s20
	s_waitcnt vmcnt(0)
	flat_store_dwordx4 v[18:19], v[0:3]
	scratch_load_dwordx4 v[0:3], off, s19
	s_waitcnt vmcnt(0)
	flat_store_dwordx4 v[20:21], v[0:3]
	scratch_load_dwordx4 v[0:3], off, s18
	s_waitcnt vmcnt(0)
	flat_store_dwordx4 v[22:23], v[0:3]
	s_endpgm
	.section	.rodata,"a",@progbits
	.p2align	6, 0x0
	.amdhsa_kernel _ZN9rocsolver6v33100L18getri_kernel_smallILi5E19rocblas_complex_numIdEPKPS3_EEvT1_iilPiilS8_bb
		.amdhsa_group_segment_fixed_size 1192
		.amdhsa_private_segment_fixed_size 96
		.amdhsa_kernarg_size 60
		.amdhsa_user_sgpr_count 4
		.amdhsa_user_sgpr_dispatch_ptr 1
		.amdhsa_user_sgpr_queue_ptr 0
		.amdhsa_user_sgpr_kernarg_segment_ptr 1
		.amdhsa_user_sgpr_dispatch_id 0
		.amdhsa_user_sgpr_kernarg_preload_length 0
		.amdhsa_user_sgpr_kernarg_preload_offset 0
		.amdhsa_user_sgpr_private_segment_size 0
		.amdhsa_uses_dynamic_stack 0
		.amdhsa_enable_private_segment 1
		.amdhsa_system_sgpr_workgroup_id_x 1
		.amdhsa_system_sgpr_workgroup_id_y 0
		.amdhsa_system_sgpr_workgroup_id_z 0
		.amdhsa_system_sgpr_workgroup_info 0
		.amdhsa_system_vgpr_workitem_id 2
		.amdhsa_next_free_vgpr 56
		.amdhsa_next_free_sgpr 22
		.amdhsa_accum_offset 56
		.amdhsa_reserve_vcc 1
		.amdhsa_float_round_mode_32 0
		.amdhsa_float_round_mode_16_64 0
		.amdhsa_float_denorm_mode_32 3
		.amdhsa_float_denorm_mode_16_64 3
		.amdhsa_dx10_clamp 1
		.amdhsa_ieee_mode 1
		.amdhsa_fp16_overflow 0
		.amdhsa_tg_split 0
		.amdhsa_exception_fp_ieee_invalid_op 0
		.amdhsa_exception_fp_denorm_src 0
		.amdhsa_exception_fp_ieee_div_zero 0
		.amdhsa_exception_fp_ieee_overflow 0
		.amdhsa_exception_fp_ieee_underflow 0
		.amdhsa_exception_fp_ieee_inexact 0
		.amdhsa_exception_int_div_zero 0
	.end_amdhsa_kernel
	.section	.text._ZN9rocsolver6v33100L18getri_kernel_smallILi5E19rocblas_complex_numIdEPKPS3_EEvT1_iilPiilS8_bb,"axG",@progbits,_ZN9rocsolver6v33100L18getri_kernel_smallILi5E19rocblas_complex_numIdEPKPS3_EEvT1_iilPiilS8_bb,comdat
.Lfunc_end68:
	.size	_ZN9rocsolver6v33100L18getri_kernel_smallILi5E19rocblas_complex_numIdEPKPS3_EEvT1_iilPiilS8_bb, .Lfunc_end68-_ZN9rocsolver6v33100L18getri_kernel_smallILi5E19rocblas_complex_numIdEPKPS3_EEvT1_iilPiilS8_bb
                                        ; -- End function
	.set _ZN9rocsolver6v33100L18getri_kernel_smallILi5E19rocblas_complex_numIdEPKPS3_EEvT1_iilPiilS8_bb.num_vgpr, 56
	.set _ZN9rocsolver6v33100L18getri_kernel_smallILi5E19rocblas_complex_numIdEPKPS3_EEvT1_iilPiilS8_bb.num_agpr, 0
	.set _ZN9rocsolver6v33100L18getri_kernel_smallILi5E19rocblas_complex_numIdEPKPS3_EEvT1_iilPiilS8_bb.numbered_sgpr, 22
	.set _ZN9rocsolver6v33100L18getri_kernel_smallILi5E19rocblas_complex_numIdEPKPS3_EEvT1_iilPiilS8_bb.num_named_barrier, 0
	.set _ZN9rocsolver6v33100L18getri_kernel_smallILi5E19rocblas_complex_numIdEPKPS3_EEvT1_iilPiilS8_bb.private_seg_size, 96
	.set _ZN9rocsolver6v33100L18getri_kernel_smallILi5E19rocblas_complex_numIdEPKPS3_EEvT1_iilPiilS8_bb.uses_vcc, 1
	.set _ZN9rocsolver6v33100L18getri_kernel_smallILi5E19rocblas_complex_numIdEPKPS3_EEvT1_iilPiilS8_bb.uses_flat_scratch, 0
	.set _ZN9rocsolver6v33100L18getri_kernel_smallILi5E19rocblas_complex_numIdEPKPS3_EEvT1_iilPiilS8_bb.has_dyn_sized_stack, 0
	.set _ZN9rocsolver6v33100L18getri_kernel_smallILi5E19rocblas_complex_numIdEPKPS3_EEvT1_iilPiilS8_bb.has_recursion, 0
	.set _ZN9rocsolver6v33100L18getri_kernel_smallILi5E19rocblas_complex_numIdEPKPS3_EEvT1_iilPiilS8_bb.has_indirect_call, 0
	.section	.AMDGPU.csdata,"",@progbits
; Kernel info:
; codeLenInByte = 3556
; TotalNumSgprs: 28
; NumVgprs: 56
; NumAgprs: 0
; TotalNumVgprs: 56
; ScratchSize: 96
; MemoryBound: 0
; FloatMode: 240
; IeeeMode: 1
; LDSByteSize: 1192 bytes/workgroup (compile time only)
; SGPRBlocks: 3
; VGPRBlocks: 6
; NumSGPRsForWavesPerEU: 28
; NumVGPRsForWavesPerEU: 56
; AccumOffset: 56
; Occupancy: 8
; WaveLimiterHint : 1
; COMPUTE_PGM_RSRC2:SCRATCH_EN: 1
; COMPUTE_PGM_RSRC2:USER_SGPR: 4
; COMPUTE_PGM_RSRC2:TRAP_HANDLER: 0
; COMPUTE_PGM_RSRC2:TGID_X_EN: 1
; COMPUTE_PGM_RSRC2:TGID_Y_EN: 0
; COMPUTE_PGM_RSRC2:TGID_Z_EN: 0
; COMPUTE_PGM_RSRC2:TIDIG_COMP_CNT: 2
; COMPUTE_PGM_RSRC3_GFX90A:ACCUM_OFFSET: 13
; COMPUTE_PGM_RSRC3_GFX90A:TG_SPLIT: 0
	.section	.text._ZN9rocsolver6v33100L18getri_kernel_smallILi6E19rocblas_complex_numIdEPKPS3_EEvT1_iilPiilS8_bb,"axG",@progbits,_ZN9rocsolver6v33100L18getri_kernel_smallILi6E19rocblas_complex_numIdEPKPS3_EEvT1_iilPiilS8_bb,comdat
	.globl	_ZN9rocsolver6v33100L18getri_kernel_smallILi6E19rocblas_complex_numIdEPKPS3_EEvT1_iilPiilS8_bb ; -- Begin function _ZN9rocsolver6v33100L18getri_kernel_smallILi6E19rocblas_complex_numIdEPKPS3_EEvT1_iilPiilS8_bb
	.p2align	8
	.type	_ZN9rocsolver6v33100L18getri_kernel_smallILi6E19rocblas_complex_numIdEPKPS3_EEvT1_iilPiilS8_bb,@function
_ZN9rocsolver6v33100L18getri_kernel_smallILi6E19rocblas_complex_numIdEPKPS3_EEvT1_iilPiilS8_bb: ; @_ZN9rocsolver6v33100L18getri_kernel_smallILi6E19rocblas_complex_numIdEPKPS3_EEvT1_iilPiilS8_bb
; %bb.0:
	v_and_b32_e32 v1, 0x3ff, v0
	v_cmp_gt_u32_e32 vcc, 6, v1
	s_and_saveexec_b64 s[6:7], vcc
	s_cbranch_execz .LBB69_38
; %bb.1:
	s_load_dword s16, s[2:3], 0x38
	s_load_dwordx2 s[6:7], s[2:3], 0x0
	s_load_dwordx4 s[8:11], s[2:3], 0x28
	s_waitcnt lgkmcnt(0)
	s_bitcmp1_b32 s16, 8
	s_cselect_b64 s[14:15], -1, 0
	s_ashr_i32 s5, s4, 31
	s_lshl_b64 s[12:13], s[4:5], 3
	s_add_u32 s6, s6, s12
	s_addc_u32 s7, s7, s13
	s_load_dwordx2 s[6:7], s[6:7], 0x0
	s_bfe_u32 s12, s16, 0x10008
	s_cmp_eq_u32 s12, 0
                                        ; implicit-def: $sgpr12_sgpr13
	s_cbranch_scc1 .LBB69_3
; %bb.2:
	s_load_dword s12, s[2:3], 0x20
	s_load_dwordx2 s[16:17], s[2:3], 0x18
	s_mul_i32 s13, s8, s5
	s_mul_hi_u32 s18, s8, s4
	s_add_i32 s18, s18, s13
	s_mul_i32 s9, s9, s4
	s_add_i32 s9, s18, s9
	s_mul_i32 s8, s8, s4
	s_waitcnt lgkmcnt(0)
	s_ashr_i32 s13, s12, 31
	s_lshl_b64 s[8:9], s[8:9], 2
	s_add_u32 s16, s16, s8
	s_addc_u32 s17, s17, s9
	s_lshl_b64 s[8:9], s[12:13], 2
	s_add_u32 s12, s16, s8
	s_addc_u32 s13, s17, s9
.LBB69_3:
	s_load_dwordx2 s[8:9], s[2:3], 0x8
	s_load_dword s16, s[2:3], 0x38
	v_lshlrev_b32_e32 v26, 4, v1
	v_mov_b32_e32 v27, 0
	s_movk_i32 s18, 0x50
	s_waitcnt lgkmcnt(0)
	s_ashr_i32 s3, s8, 31
	s_mov_b32 s2, s8
	s_lshl_b64 s[2:3], s[2:3], 4
	s_add_u32 s2, s6, s2
	s_addc_u32 s3, s7, s3
	v_lshl_add_u64 v[14:15], s[2:3], 0, v[26:27]
	flat_load_dwordx4 v[2:5], v[14:15]
	s_mov_b32 s6, s9
	s_ashr_i32 s7, s9, 31
	v_lshl_add_u64 v[16:17], s[6:7], 4, v[14:15]
	s_add_i32 s6, s9, s9
	v_add_u32_e32 v6, s6, v1
	v_ashrrev_i32_e32 v7, 31, v6
	v_lshl_add_u64 v[18:19], v[6:7], 4, s[2:3]
	v_add_u32_e32 v6, s9, v6
	v_ashrrev_i32_e32 v7, 31, v6
	v_lshl_add_u64 v[20:21], v[6:7], 4, s[2:3]
	v_add_u32_e32 v6, s9, v6
	v_ashrrev_i32_e32 v7, 31, v6
	v_lshl_add_u64 v[22:23], v[6:7], 4, s[2:3]
	v_add_u32_e32 v6, s9, v6
	v_ashrrev_i32_e32 v7, 31, v6
	v_lshl_add_u64 v[24:25], v[6:7], 4, s[2:3]
	s_mov_b32 s22, 16
	s_mov_b32 s21, 32
	;; [unrolled: 1-line block ×4, first 2 shown]
	s_bitcmp0_b32 s16, 0
	s_mov_b64 s[6:7], -1
	s_waitcnt vmcnt(0) lgkmcnt(0)
	scratch_store_dwordx4 off, v[2:5], off
	flat_load_dwordx4 v[2:5], v[16:17]
	s_waitcnt vmcnt(0) lgkmcnt(0)
	scratch_store_dwordx4 off, v[2:5], off offset:16
	flat_load_dwordx4 v[2:5], v[18:19]
	s_waitcnt vmcnt(0) lgkmcnt(0)
	scratch_store_dwordx4 off, v[2:5], off offset:32
	;; [unrolled: 3-line block ×5, first 2 shown]
	s_cbranch_scc1 .LBB69_36
; %bb.4:
	v_cmp_eq_u32_e64 s[2:3], 0, v1
	s_and_saveexec_b64 s[6:7], s[2:3]
; %bb.5:
	v_mov_b32_e32 v2, 0
	ds_write_b32 v2, v2 offset:192
; %bb.6:
	s_or_b64 exec, exec, s[6:7]
	s_waitcnt lgkmcnt(0)
	; wave barrier
	scratch_load_dwordx4 v[2:5], v26, off
	s_waitcnt vmcnt(0)
	v_cmp_eq_f64_e32 vcc, 0, v[2:3]
	v_cmp_eq_f64_e64 s[6:7], 0, v[4:5]
	s_and_b64 s[6:7], vcc, s[6:7]
	s_and_saveexec_b64 s[8:9], s[6:7]
	s_cbranch_execz .LBB69_10
; %bb.7:
	v_mov_b32_e32 v2, 0
	ds_read_b32 v4, v2 offset:192
	v_add_u32_e32 v3, 1, v1
	s_waitcnt lgkmcnt(0)
	v_readfirstlane_b32 s6, v4
	s_cmp_eq_u32 s6, 0
	s_cselect_b64 s[16:17], -1, 0
	v_cmp_gt_i32_e32 vcc, s6, v3
	s_or_b64 s[16:17], s[16:17], vcc
	s_and_b64 exec, exec, s[16:17]
	s_cbranch_execz .LBB69_10
; %bb.8:
	s_mov_b64 s[16:17], 0
	v_mov_b32_e32 v4, s6
.LBB69_9:                               ; =>This Inner Loop Header: Depth=1
	ds_cmpst_rtn_b32 v4, v2, v4, v3 offset:192
	s_waitcnt lgkmcnt(0)
	v_cmp_ne_u32_e32 vcc, 0, v4
	v_cmp_le_i32_e64 s[6:7], v4, v3
	s_and_b64 s[6:7], vcc, s[6:7]
	s_and_b64 s[6:7], exec, s[6:7]
	s_or_b64 s[16:17], s[6:7], s[16:17]
	s_andn2_b64 exec, exec, s[16:17]
	s_cbranch_execnz .LBB69_9
.LBB69_10:
	s_or_b64 exec, exec, s[8:9]
	v_mov_b32_e32 v3, 0
	; wave barrier
	ds_read_b32 v2, v3 offset:192
	s_and_saveexec_b64 s[6:7], s[2:3]
	s_cbranch_execz .LBB69_12
; %bb.11:
	s_lshl_b64 s[8:9], s[4:5], 2
	s_add_u32 s8, s10, s8
	s_addc_u32 s9, s11, s9
	s_waitcnt lgkmcnt(0)
	global_store_dword v3, v2, s[8:9]
.LBB69_12:
	s_or_b64 exec, exec, s[6:7]
	s_waitcnt lgkmcnt(0)
	v_cmp_ne_u32_e32 vcc, 0, v2
	s_mov_b64 s[6:7], 0
	s_cbranch_vccnz .LBB69_36
; %bb.13:
	v_mov_b32_e32 v27, v26
	scratch_load_dwordx4 v[2:5], v27, off
                                        ; implicit-def: $vgpr6_vgpr7
                                        ; implicit-def: $vgpr10_vgpr11
	s_waitcnt vmcnt(0)
	v_cmp_ngt_f64_e64 s[6:7], |v[2:3]|, |v[4:5]|
	s_and_saveexec_b64 s[8:9], s[6:7]
	s_xor_b64 s[6:7], exec, s[8:9]
	s_cbranch_execz .LBB69_15
; %bb.14:
	v_div_scale_f64 v[6:7], s[8:9], v[4:5], v[4:5], v[2:3]
	v_rcp_f64_e32 v[8:9], v[6:7]
	v_div_scale_f64 v[10:11], vcc, v[2:3], v[4:5], v[2:3]
	v_fma_f64 v[12:13], -v[6:7], v[8:9], 1.0
	v_fmac_f64_e32 v[8:9], v[8:9], v[12:13]
	v_fma_f64 v[12:13], -v[6:7], v[8:9], 1.0
	v_fmac_f64_e32 v[8:9], v[8:9], v[12:13]
	v_mul_f64 v[12:13], v[10:11], v[8:9]
	v_fma_f64 v[6:7], -v[6:7], v[12:13], v[10:11]
	v_div_fmas_f64 v[6:7], v[6:7], v[8:9], v[12:13]
	v_div_fixup_f64 v[6:7], v[6:7], v[4:5], v[2:3]
	v_fmac_f64_e32 v[4:5], v[2:3], v[6:7]
	v_div_scale_f64 v[2:3], s[8:9], v[4:5], v[4:5], 1.0
	v_rcp_f64_e32 v[8:9], v[2:3]
	s_nop 0
	v_fma_f64 v[10:11], -v[2:3], v[8:9], 1.0
	v_fmac_f64_e32 v[8:9], v[8:9], v[10:11]
	v_fma_f64 v[10:11], -v[2:3], v[8:9], 1.0
	v_fmac_f64_e32 v[8:9], v[8:9], v[10:11]
	v_div_scale_f64 v[10:11], vcc, 1.0, v[4:5], 1.0
	v_mul_f64 v[12:13], v[10:11], v[8:9]
	v_fma_f64 v[2:3], -v[2:3], v[12:13], v[10:11]
	s_nop 1
	v_div_fmas_f64 v[2:3], v[2:3], v[8:9], v[12:13]
	v_div_fixup_f64 v[8:9], v[2:3], v[4:5], 1.0
	v_mul_f64 v[6:7], v[6:7], v[8:9]
	v_xor_b32_e32 v9, 0x80000000, v9
	v_xor_b32_e32 v11, 0x80000000, v7
	v_mov_b32_e32 v10, v6
                                        ; implicit-def: $vgpr2_vgpr3
.LBB69_15:
	s_andn2_saveexec_b64 s[6:7], s[6:7]
	s_cbranch_execz .LBB69_17
; %bb.16:
	v_div_scale_f64 v[6:7], s[8:9], v[2:3], v[2:3], v[4:5]
	v_rcp_f64_e32 v[8:9], v[6:7]
	v_div_scale_f64 v[10:11], vcc, v[4:5], v[2:3], v[4:5]
	v_fma_f64 v[12:13], -v[6:7], v[8:9], 1.0
	v_fmac_f64_e32 v[8:9], v[8:9], v[12:13]
	v_fma_f64 v[12:13], -v[6:7], v[8:9], 1.0
	v_fmac_f64_e32 v[8:9], v[8:9], v[12:13]
	v_mul_f64 v[12:13], v[10:11], v[8:9]
	v_fma_f64 v[6:7], -v[6:7], v[12:13], v[10:11]
	v_div_fmas_f64 v[6:7], v[6:7], v[8:9], v[12:13]
	v_div_fixup_f64 v[8:9], v[6:7], v[2:3], v[4:5]
	v_fmac_f64_e32 v[2:3], v[4:5], v[8:9]
	v_div_scale_f64 v[4:5], s[8:9], v[2:3], v[2:3], 1.0
	v_rcp_f64_e32 v[6:7], v[4:5]
	s_nop 0
	v_fma_f64 v[10:11], -v[4:5], v[6:7], 1.0
	v_fmac_f64_e32 v[6:7], v[6:7], v[10:11]
	v_fma_f64 v[10:11], -v[4:5], v[6:7], 1.0
	v_fmac_f64_e32 v[6:7], v[6:7], v[10:11]
	v_div_scale_f64 v[10:11], vcc, 1.0, v[2:3], 1.0
	v_mul_f64 v[12:13], v[10:11], v[6:7]
	v_fma_f64 v[4:5], -v[4:5], v[12:13], v[10:11]
	s_nop 1
	v_div_fmas_f64 v[4:5], v[4:5], v[6:7], v[12:13]
	v_div_fixup_f64 v[6:7], v[4:5], v[2:3], 1.0
	v_xor_b32_e32 v11, 0x80000000, v7
	v_mov_b32_e32 v10, v6
	v_mul_f64 v[8:9], v[8:9], -v[6:7]
.LBB69_17:
	s_or_b64 exec, exec, s[6:7]
	scratch_store_dwordx4 v27, v[6:9], off
	scratch_load_dwordx4 v[2:5], off, s22
	v_xor_b32_e32 v13, 0x80000000, v9
	v_mov_b32_e32 v12, v8
	v_add_u32_e32 v6, 0x60, v26
	ds_write_b128 v26, v[10:13]
	s_waitcnt vmcnt(0)
	ds_write_b128 v26, v[2:5] offset:96
	s_waitcnt lgkmcnt(0)
	; wave barrier
	s_and_saveexec_b64 s[6:7], s[2:3]
	s_cbranch_execz .LBB69_19
; %bb.18:
	scratch_load_dwordx4 v[2:5], v27, off
	ds_read_b128 v[8:11], v6
	v_mov_b32_e32 v7, 0
	ds_read_b128 v[28:31], v7 offset:16
	s_waitcnt vmcnt(0) lgkmcnt(1)
	v_mul_f64 v[12:13], v[10:11], v[4:5]
	v_mul_f64 v[4:5], v[8:9], v[4:5]
	v_fma_f64 v[8:9], v[8:9], v[2:3], -v[12:13]
	v_fmac_f64_e32 v[4:5], v[10:11], v[2:3]
	v_add_f64 v[2:3], v[8:9], 0
	v_add_f64 v[8:9], v[4:5], 0
	s_waitcnt lgkmcnt(0)
	v_mul_f64 v[10:11], v[8:9], v[30:31]
	v_mul_f64 v[4:5], v[2:3], v[30:31]
	v_fma_f64 v[2:3], v[2:3], v[28:29], -v[10:11]
	v_fmac_f64_e32 v[4:5], v[8:9], v[28:29]
	scratch_store_dwordx4 off, v[2:5], off offset:16
.LBB69_19:
	s_or_b64 exec, exec, s[6:7]
	; wave barrier
	scratch_load_dwordx4 v[2:5], off, s21
	v_cmp_gt_u32_e32 vcc, 2, v1
	s_waitcnt vmcnt(0)
	ds_write_b128 v6, v[2:5]
	s_waitcnt lgkmcnt(0)
	; wave barrier
	s_and_saveexec_b64 s[6:7], vcc
	s_cbranch_execz .LBB69_23
; %bb.20:
	scratch_load_dwordx4 v[2:5], v27, off
	ds_read_b128 v[8:11], v6
	s_waitcnt vmcnt(0) lgkmcnt(0)
	v_mul_f64 v[12:13], v[10:11], v[4:5]
	v_mul_f64 v[28:29], v[8:9], v[4:5]
	v_fma_f64 v[4:5], v[8:9], v[2:3], -v[12:13]
	v_fmac_f64_e32 v[28:29], v[10:11], v[2:3]
	v_add_f64 v[4:5], v[4:5], 0
	v_add_f64 v[2:3], v[28:29], 0
	s_and_saveexec_b64 s[8:9], s[2:3]
	s_cbranch_execz .LBB69_22
; %bb.21:
	scratch_load_dwordx4 v[8:11], off, off offset:16
	v_mov_b32_e32 v7, 0
	ds_read_b128 v[28:31], v7 offset:112
	s_waitcnt vmcnt(0) lgkmcnt(0)
	v_mul_f64 v[12:13], v[28:29], v[10:11]
	v_mul_f64 v[10:11], v[30:31], v[10:11]
	v_fmac_f64_e32 v[12:13], v[30:31], v[8:9]
	v_fma_f64 v[8:9], v[28:29], v[8:9], -v[10:11]
	v_add_f64 v[2:3], v[2:3], v[12:13]
	v_add_f64 v[4:5], v[4:5], v[8:9]
.LBB69_22:
	s_or_b64 exec, exec, s[8:9]
	v_mov_b32_e32 v7, 0
	ds_read_b128 v[8:11], v7 offset:32
	s_waitcnt lgkmcnt(0)
	v_mul_f64 v[28:29], v[2:3], v[10:11]
	v_mul_f64 v[12:13], v[4:5], v[10:11]
	v_fma_f64 v[10:11], v[4:5], v[8:9], -v[28:29]
	v_fmac_f64_e32 v[12:13], v[2:3], v[8:9]
	scratch_store_dwordx4 off, v[10:13], off offset:32
.LBB69_23:
	s_or_b64 exec, exec, s[6:7]
	; wave barrier
	scratch_load_dwordx4 v[2:5], off, s20
	v_cmp_gt_u32_e32 vcc, 3, v1
	v_add_u32_e32 v7, -1, v1
	s_waitcnt vmcnt(0)
	ds_write_b128 v6, v[2:5]
	s_waitcnt lgkmcnt(0)
	; wave barrier
	s_and_saveexec_b64 s[2:3], vcc
	s_cbranch_execz .LBB69_27
; %bb.24:
	v_add_u32_e32 v8, -1, v1
	v_add_u32_e32 v9, 0x60, v26
	v_mov_b32_e32 v10, v26
	v_mov_b64_e32 v[2:3], 0
	s_mov_b64 s[6:7], 0
	v_mov_b64_e32 v[4:5], 0
.LBB69_25:                              ; =>This Inner Loop Header: Depth=1
	scratch_load_dwordx4 v[28:31], v10, off
	ds_read_b128 v[32:35], v9
	v_add_u32_e32 v8, 1, v8
	v_cmp_lt_u32_e32 vcc, 1, v8
	v_add_u32_e32 v9, 16, v9
	v_add_u32_e32 v10, 16, v10
	s_or_b64 s[6:7], vcc, s[6:7]
	s_waitcnt vmcnt(0) lgkmcnt(0)
	v_mul_f64 v[12:13], v[34:35], v[30:31]
	v_mul_f64 v[30:31], v[32:33], v[30:31]
	v_fma_f64 v[12:13], v[32:33], v[28:29], -v[12:13]
	v_fmac_f64_e32 v[30:31], v[34:35], v[28:29]
	v_add_f64 v[4:5], v[4:5], v[12:13]
	v_add_f64 v[2:3], v[2:3], v[30:31]
	s_andn2_b64 exec, exec, s[6:7]
	s_cbranch_execnz .LBB69_25
; %bb.26:
	s_or_b64 exec, exec, s[6:7]
	v_mov_b32_e32 v8, 0
	ds_read_b128 v[8:11], v8 offset:48
	s_waitcnt lgkmcnt(0)
	v_mul_f64 v[28:29], v[2:3], v[10:11]
	v_mul_f64 v[12:13], v[4:5], v[10:11]
	v_fma_f64 v[10:11], v[4:5], v[8:9], -v[28:29]
	v_fmac_f64_e32 v[12:13], v[2:3], v[8:9]
	scratch_store_dwordx4 off, v[10:13], off offset:48
.LBB69_27:
	s_or_b64 exec, exec, s[2:3]
	; wave barrier
	scratch_load_dwordx4 v[2:5], off, s19
	v_cmp_gt_u32_e32 vcc, 4, v1
	s_waitcnt vmcnt(0)
	ds_write_b128 v6, v[2:5]
	s_waitcnt lgkmcnt(0)
	; wave barrier
	s_and_saveexec_b64 s[2:3], vcc
	s_cbranch_execz .LBB69_31
; %bb.28:
	v_add_u32_e32 v8, -1, v1
	v_add_u32_e32 v9, 0x60, v26
	v_mov_b32_e32 v10, v26
	v_mov_b64_e32 v[2:3], 0
	s_mov_b64 s[6:7], 0
	v_mov_b64_e32 v[4:5], 0
.LBB69_29:                              ; =>This Inner Loop Header: Depth=1
	scratch_load_dwordx4 v[28:31], v10, off
	ds_read_b128 v[32:35], v9
	v_add_u32_e32 v8, 1, v8
	v_cmp_lt_u32_e32 vcc, 2, v8
	v_add_u32_e32 v9, 16, v9
	v_add_u32_e32 v10, 16, v10
	s_or_b64 s[6:7], vcc, s[6:7]
	s_waitcnt vmcnt(0) lgkmcnt(0)
	v_mul_f64 v[12:13], v[34:35], v[30:31]
	v_mul_f64 v[30:31], v[32:33], v[30:31]
	v_fma_f64 v[12:13], v[32:33], v[28:29], -v[12:13]
	v_fmac_f64_e32 v[30:31], v[34:35], v[28:29]
	v_add_f64 v[4:5], v[4:5], v[12:13]
	v_add_f64 v[2:3], v[2:3], v[30:31]
	s_andn2_b64 exec, exec, s[6:7]
	s_cbranch_execnz .LBB69_29
; %bb.30:
	s_or_b64 exec, exec, s[6:7]
	v_mov_b32_e32 v8, 0
	ds_read_b128 v[8:11], v8 offset:64
	s_waitcnt lgkmcnt(0)
	v_mul_f64 v[28:29], v[2:3], v[10:11]
	v_mul_f64 v[12:13], v[4:5], v[10:11]
	v_fma_f64 v[10:11], v[4:5], v[8:9], -v[28:29]
	v_fmac_f64_e32 v[12:13], v[2:3], v[8:9]
	scratch_store_dwordx4 off, v[10:13], off offset:64
.LBB69_31:
	s_or_b64 exec, exec, s[2:3]
	; wave barrier
	scratch_load_dwordx4 v[2:5], off, s18
	v_cmp_ne_u32_e32 vcc, 5, v1
	s_waitcnt vmcnt(0)
	ds_write_b128 v6, v[2:5]
	s_waitcnt lgkmcnt(0)
	; wave barrier
	s_and_saveexec_b64 s[2:3], vcc
	s_cbranch_execz .LBB69_35
; %bb.32:
	v_add_u32_e32 v6, 0x60, v26
	v_mov_b32_e32 v8, v26
	v_mov_b64_e32 v[2:3], 0
	s_mov_b64 s[6:7], 0
	v_mov_b64_e32 v[4:5], 0
.LBB69_33:                              ; =>This Inner Loop Header: Depth=1
	scratch_load_dwordx4 v[10:13], v8, off
	ds_read_b128 v[26:29], v6
	v_add_u32_e32 v7, 1, v7
	v_cmp_lt_u32_e32 vcc, 3, v7
	v_add_u32_e32 v6, 16, v6
	v_add_u32_e32 v8, 16, v8
	s_or_b64 s[6:7], vcc, s[6:7]
	s_waitcnt vmcnt(0) lgkmcnt(0)
	v_mul_f64 v[30:31], v[28:29], v[12:13]
	v_mul_f64 v[12:13], v[26:27], v[12:13]
	v_fma_f64 v[26:27], v[26:27], v[10:11], -v[30:31]
	v_fmac_f64_e32 v[12:13], v[28:29], v[10:11]
	v_add_f64 v[4:5], v[4:5], v[26:27]
	v_add_f64 v[2:3], v[2:3], v[12:13]
	s_andn2_b64 exec, exec, s[6:7]
	s_cbranch_execnz .LBB69_33
; %bb.34:
	s_or_b64 exec, exec, s[6:7]
	v_mov_b32_e32 v6, 0
	ds_read_b128 v[6:9], v6 offset:80
	s_waitcnt lgkmcnt(0)
	v_mul_f64 v[12:13], v[2:3], v[8:9]
	v_mul_f64 v[10:11], v[4:5], v[8:9]
	v_fma_f64 v[8:9], v[4:5], v[6:7], -v[12:13]
	v_fmac_f64_e32 v[10:11], v[2:3], v[6:7]
	scratch_store_dwordx4 off, v[8:11], off offset:80
.LBB69_35:
	s_or_b64 exec, exec, s[2:3]
	s_mov_b64 s[6:7], -1
	; wave barrier
.LBB69_36:
	s_and_b64 vcc, exec, s[6:7]
	s_cbranch_vccz .LBB69_38
; %bb.37:
	s_lshl_b64 s[2:3], s[4:5], 2
	s_add_u32 s2, s10, s2
	s_addc_u32 s3, s11, s3
	v_mov_b32_e32 v2, 0
	global_load_dword v2, v2, s[2:3]
	s_waitcnt vmcnt(0)
	v_cmp_ne_u32_e32 vcc, 0, v2
	s_cbranch_vccz .LBB69_39
.LBB69_38:
	s_endpgm
.LBB69_39:
	v_mov_b32_e32 v2, 0x60
	v_lshl_add_u32 v6, v1, 4, v2
	v_cmp_eq_u32_e32 vcc, 5, v1
	s_and_saveexec_b64 s[2:3], vcc
	s_cbranch_execz .LBB69_41
; %bb.40:
	scratch_load_dwordx4 v[2:5], off, s19
	v_mov_b32_e32 v8, 0
	v_mov_b32_e32 v9, v8
	;; [unrolled: 1-line block ×4, first 2 shown]
	scratch_store_dwordx4 off, v[8:11], off offset:64
	s_waitcnt vmcnt(1)
	ds_write_b128 v6, v[2:5]
.LBB69_41:
	s_or_b64 exec, exec, s[2:3]
	s_waitcnt lgkmcnt(0)
	; wave barrier
	scratch_load_dwordx4 v[8:11], off, off offset:80
	scratch_load_dwordx4 v[26:29], off, off offset:64
	v_mov_b32_e32 v2, 0
	ds_read_b128 v[30:33], v2 offset:176
	v_cmp_lt_u32_e32 vcc, 3, v1
	s_waitcnt vmcnt(1) lgkmcnt(0)
	v_mul_f64 v[4:5], v[30:31], v[10:11]
	v_mul_f64 v[10:11], v[32:33], v[10:11]
	v_fmac_f64_e32 v[4:5], v[32:33], v[8:9]
	v_fma_f64 v[8:9], v[30:31], v[8:9], -v[10:11]
	v_add_f64 v[4:5], v[4:5], 0
	v_add_f64 v[8:9], v[8:9], 0
	s_waitcnt vmcnt(0)
	v_add_f64 v[8:9], v[26:27], -v[8:9]
	v_add_f64 v[10:11], v[28:29], -v[4:5]
	scratch_store_dwordx4 off, v[8:11], off offset:64
	s_and_saveexec_b64 s[2:3], vcc
	s_cbranch_execz .LBB69_43
; %bb.42:
	scratch_load_dwordx4 v[8:11], off, s20
	v_mov_b32_e32 v3, v2
	v_mov_b32_e32 v4, v2
	;; [unrolled: 1-line block ×3, first 2 shown]
	scratch_store_dwordx4 off, v[2:5], off offset:48
	s_waitcnt vmcnt(1)
	ds_write_b128 v6, v[8:11]
.LBB69_43:
	s_or_b64 exec, exec, s[2:3]
	s_waitcnt lgkmcnt(0)
	; wave barrier
	scratch_load_dwordx4 v[8:11], off, off offset:64
	scratch_load_dwordx4 v[26:29], off, off offset:80
	;; [unrolled: 1-line block ×3, first 2 shown]
	ds_read_b128 v[34:37], v2 offset:160
	ds_read_b128 v[2:5], v2 offset:176
	v_cmp_lt_u32_e32 vcc, 2, v1
	s_waitcnt vmcnt(2) lgkmcnt(1)
	v_mul_f64 v[12:13], v[34:35], v[10:11]
	s_waitcnt vmcnt(1) lgkmcnt(0)
	v_mul_f64 v[38:39], v[2:3], v[28:29]
	v_mul_f64 v[10:11], v[36:37], v[10:11]
	;; [unrolled: 1-line block ×3, first 2 shown]
	v_fmac_f64_e32 v[12:13], v[36:37], v[8:9]
	v_fmac_f64_e32 v[38:39], v[4:5], v[26:27]
	v_fma_f64 v[4:5], v[34:35], v[8:9], -v[10:11]
	v_fma_f64 v[2:3], v[2:3], v[26:27], -v[28:29]
	v_add_f64 v[8:9], v[12:13], 0
	v_add_f64 v[4:5], v[4:5], 0
	;; [unrolled: 1-line block ×4, first 2 shown]
	s_waitcnt vmcnt(0)
	v_add_f64 v[2:3], v[30:31], -v[2:3]
	v_add_f64 v[4:5], v[32:33], -v[8:9]
	scratch_store_dwordx4 off, v[2:5], off offset:48
	s_and_saveexec_b64 s[2:3], vcc
	s_cbranch_execz .LBB69_45
; %bb.44:
	scratch_load_dwordx4 v[2:5], off, s21
	v_mov_b32_e32 v8, 0
	v_mov_b32_e32 v9, v8
	;; [unrolled: 1-line block ×4, first 2 shown]
	scratch_store_dwordx4 off, v[8:11], off offset:32
	s_waitcnt vmcnt(1)
	ds_write_b128 v6, v[2:5]
.LBB69_45:
	s_or_b64 exec, exec, s[2:3]
	s_waitcnt lgkmcnt(0)
	; wave barrier
	scratch_load_dwordx4 v[8:11], off, off offset:48
	scratch_load_dwordx4 v[26:29], off, off offset:64
	;; [unrolled: 1-line block ×4, first 2 shown]
	v_mov_b32_e32 v2, 0
	ds_read_b128 v[38:41], v2 offset:144
	ds_read_b128 v[42:45], v2 offset:160
	;; [unrolled: 1-line block ×3, first 2 shown]
	v_cmp_lt_u32_e32 vcc, 1, v1
	s_waitcnt vmcnt(3) lgkmcnt(2)
	v_mul_f64 v[4:5], v[38:39], v[10:11]
	v_mul_f64 v[10:11], v[40:41], v[10:11]
	s_waitcnt vmcnt(2) lgkmcnt(1)
	v_mul_f64 v[12:13], v[42:43], v[28:29]
	v_mul_f64 v[28:29], v[44:45], v[28:29]
	v_fmac_f64_e32 v[4:5], v[40:41], v[8:9]
	v_fma_f64 v[8:9], v[38:39], v[8:9], -v[10:11]
	s_waitcnt vmcnt(1) lgkmcnt(0)
	v_mul_f64 v[50:51], v[46:47], v[32:33]
	v_mul_f64 v[32:33], v[48:49], v[32:33]
	v_fmac_f64_e32 v[12:13], v[44:45], v[26:27]
	v_fma_f64 v[10:11], v[42:43], v[26:27], -v[28:29]
	v_add_f64 v[4:5], v[4:5], 0
	v_add_f64 v[8:9], v[8:9], 0
	v_fmac_f64_e32 v[50:51], v[48:49], v[30:31]
	v_fma_f64 v[26:27], v[46:47], v[30:31], -v[32:33]
	v_add_f64 v[4:5], v[4:5], v[12:13]
	v_add_f64 v[8:9], v[8:9], v[10:11]
	;; [unrolled: 1-line block ×4, first 2 shown]
	s_waitcnt vmcnt(0)
	v_add_f64 v[8:9], v[34:35], -v[8:9]
	v_add_f64 v[10:11], v[36:37], -v[4:5]
	scratch_store_dwordx4 off, v[8:11], off offset:32
	s_and_saveexec_b64 s[2:3], vcc
	s_cbranch_execz .LBB69_47
; %bb.46:
	scratch_load_dwordx4 v[8:11], off, s22
	v_mov_b32_e32 v3, v2
	v_mov_b32_e32 v4, v2
	;; [unrolled: 1-line block ×3, first 2 shown]
	scratch_store_dwordx4 off, v[2:5], off offset:16
	s_waitcnt vmcnt(1)
	ds_write_b128 v6, v[8:11]
.LBB69_47:
	s_or_b64 exec, exec, s[2:3]
	s_waitcnt lgkmcnt(0)
	; wave barrier
	scratch_load_dwordx4 v[8:11], off, off offset:32
	scratch_load_dwordx4 v[26:29], off, off offset:48
	;; [unrolled: 1-line block ×5, first 2 shown]
	ds_read_b128 v[42:45], v2 offset:128
	ds_read_b128 v[46:49], v2 offset:144
	ds_read_b128 v[50:53], v2 offset:160
	ds_read_b128 v[2:5], v2 offset:176
	v_cmp_ne_u32_e32 vcc, 0, v1
	s_waitcnt vmcnt(4) lgkmcnt(3)
	v_mul_f64 v[12:13], v[42:43], v[10:11]
	v_mul_f64 v[10:11], v[44:45], v[10:11]
	s_waitcnt vmcnt(3) lgkmcnt(2)
	v_mul_f64 v[54:55], v[46:47], v[28:29]
	s_waitcnt vmcnt(1) lgkmcnt(0)
	v_mul_f64 v[58:59], v[2:3], v[36:37]
	v_mul_f64 v[28:29], v[48:49], v[28:29]
	;; [unrolled: 1-line block ×3, first 2 shown]
	v_fmac_f64_e32 v[12:13], v[44:45], v[8:9]
	v_fmac_f64_e32 v[58:59], v[4:5], v[34:35]
	v_fma_f64 v[4:5], v[42:43], v[8:9], -v[10:11]
	v_mul_f64 v[56:57], v[50:51], v[32:33]
	v_mul_f64 v[32:33], v[52:53], v[32:33]
	v_fmac_f64_e32 v[54:55], v[48:49], v[26:27]
	v_fma_f64 v[8:9], v[46:47], v[26:27], -v[28:29]
	v_add_f64 v[12:13], v[12:13], 0
	v_add_f64 v[4:5], v[4:5], 0
	v_fmac_f64_e32 v[56:57], v[52:53], v[30:31]
	v_fma_f64 v[10:11], v[50:51], v[30:31], -v[32:33]
	v_add_f64 v[12:13], v[12:13], v[54:55]
	v_add_f64 v[4:5], v[4:5], v[8:9]
	v_fma_f64 v[2:3], v[2:3], v[34:35], -v[36:37]
	v_add_f64 v[8:9], v[12:13], v[56:57]
	v_add_f64 v[4:5], v[4:5], v[10:11]
	;; [unrolled: 1-line block ×4, first 2 shown]
	s_waitcnt vmcnt(0)
	v_add_f64 v[2:3], v[38:39], -v[2:3]
	v_add_f64 v[4:5], v[40:41], -v[8:9]
	scratch_store_dwordx4 off, v[2:5], off offset:16
	s_and_saveexec_b64 s[2:3], vcc
	s_cbranch_execz .LBB69_49
; %bb.48:
	scratch_load_dwordx4 v[2:5], off, off
	v_mov_b32_e32 v8, 0
	v_mov_b32_e32 v9, v8
	;; [unrolled: 1-line block ×4, first 2 shown]
	scratch_store_dwordx4 off, v[8:11], off
	s_waitcnt vmcnt(1)
	ds_write_b128 v6, v[2:5]
.LBB69_49:
	s_or_b64 exec, exec, s[2:3]
	s_waitcnt lgkmcnt(0)
	; wave barrier
	scratch_load_dwordx4 v[4:7], off, off offset:16
	scratch_load_dwordx4 v[8:11], off, off offset:32
	;; [unrolled: 1-line block ×5, first 2 shown]
	scratch_load_dwordx4 v[38:41], off, off
	v_mov_b32_e32 v2, 0
	ds_read_b128 v[42:45], v2 offset:112
	ds_read_b128 v[46:49], v2 offset:128
	;; [unrolled: 1-line block ×5, first 2 shown]
	s_and_b64 vcc, exec, s[14:15]
	s_waitcnt vmcnt(5) lgkmcnt(4)
	v_mul_f64 v[12:13], v[42:43], v[6:7]
	v_mul_f64 v[6:7], v[44:45], v[6:7]
	s_waitcnt vmcnt(4) lgkmcnt(3)
	v_mul_f64 v[62:63], v[46:47], v[10:11]
	v_mul_f64 v[10:11], v[48:49], v[10:11]
	v_fmac_f64_e32 v[12:13], v[44:45], v[4:5]
	v_fma_f64 v[4:5], v[42:43], v[4:5], -v[6:7]
	s_waitcnt vmcnt(3) lgkmcnt(2)
	v_mul_f64 v[64:65], v[50:51], v[28:29]
	v_mul_f64 v[28:29], v[52:53], v[28:29]
	v_fmac_f64_e32 v[62:63], v[48:49], v[8:9]
	v_fma_f64 v[6:7], v[46:47], v[8:9], -v[10:11]
	v_add_f64 v[12:13], v[12:13], 0
	v_add_f64 v[4:5], v[4:5], 0
	s_waitcnt vmcnt(2) lgkmcnt(1)
	v_mul_f64 v[66:67], v[54:55], v[32:33]
	v_mul_f64 v[32:33], v[56:57], v[32:33]
	v_fmac_f64_e32 v[64:65], v[52:53], v[26:27]
	v_fma_f64 v[8:9], v[50:51], v[26:27], -v[28:29]
	v_add_f64 v[12:13], v[12:13], v[62:63]
	v_add_f64 v[4:5], v[4:5], v[6:7]
	;; [unrolled: 7-line block ×3, first 2 shown]
	v_fmac_f64_e32 v[68:69], v[60:61], v[34:35]
	v_fma_f64 v[26:27], v[58:59], v[34:35], -v[36:37]
	v_add_f64 v[6:7], v[6:7], v[66:67]
	v_add_f64 v[4:5], v[4:5], v[10:11]
	;; [unrolled: 1-line block ×4, first 2 shown]
	s_waitcnt vmcnt(0)
	v_add_f64 v[4:5], v[38:39], -v[4:5]
	v_add_f64 v[6:7], v[40:41], -v[6:7]
	scratch_store_dwordx4 off, v[4:7], off
	s_cbranch_vccz .LBB69_60
; %bb.50:
	global_load_dword v2, v2, s[12:13] offset:16
	s_load_dwordx2 s[2:3], s[0:1], 0x4
	v_bfe_u32 v3, v0, 10, 10
	v_bfe_u32 v0, v0, 20, 10
	s_waitcnt lgkmcnt(0)
	s_lshr_b32 s0, s2, 16
	s_mul_i32 s0, s0, s3
	v_mul_u32_u24_e32 v1, s0, v1
	v_mul_u32_u24_e32 v3, s3, v3
	v_add3_u32 v0, v1, v3, v0
	v_mov_b32_e32 v1, 0xc8
	v_lshl_add_u32 v0, v0, 4, v1
	s_waitcnt vmcnt(0)
	v_readfirstlane_b32 s0, v2
	s_add_i32 s0, s0, -1
	s_cmp_lg_u32 s0, 4
	s_cbranch_scc0 .LBB69_52
; %bb.51:
	s_lshl_b32 s0, s0, 4
	scratch_load_dwordx4 v[2:5], off, s19
	scratch_load_dwordx4 v[6:9], off, s0
	s_waitcnt vmcnt(1)
	ds_write2_b64 v0, v[2:3], v[4:5] offset1:1
	s_waitcnt vmcnt(0)
	scratch_store_dwordx4 off, v[6:9], s19
	scratch_store_dwordx4 off, v[2:5], s0
.LBB69_52:
	v_mov_b32_e32 v1, 0
	global_load_dword v2, v1, s[12:13] offset:12
	s_waitcnt vmcnt(0)
	v_readfirstlane_b32 s0, v2
	s_add_i32 s0, s0, -1
	s_cmp_eq_u32 s0, 3
	s_cbranch_scc1 .LBB69_54
; %bb.53:
	s_lshl_b32 s0, s0, 4
	scratch_load_dwordx4 v[2:5], off, s20
	scratch_load_dwordx4 v[6:9], off, s0
	s_waitcnt vmcnt(1)
	ds_write2_b64 v0, v[2:3], v[4:5] offset1:1
	s_waitcnt vmcnt(0)
	scratch_store_dwordx4 off, v[6:9], s20
	scratch_store_dwordx4 off, v[2:5], s0
.LBB69_54:
	global_load_dword v1, v1, s[12:13] offset:8
	s_waitcnt vmcnt(0)
	v_readfirstlane_b32 s0, v1
	s_add_i32 s0, s0, -1
	s_cmp_eq_u32 s0, 2
	s_cbranch_scc1 .LBB69_56
; %bb.55:
	s_lshl_b32 s0, s0, 4
	scratch_load_dwordx4 v[2:5], off, s21
	scratch_load_dwordx4 v[6:9], off, s0
	s_waitcnt vmcnt(1)
	ds_write2_b64 v0, v[2:3], v[4:5] offset1:1
	s_waitcnt vmcnt(0)
	scratch_store_dwordx4 off, v[6:9], s21
	scratch_store_dwordx4 off, v[2:5], s0
.LBB69_56:
	v_mov_b32_e32 v1, 0
	global_load_dword v2, v1, s[12:13] offset:4
	s_waitcnt vmcnt(0)
	v_readfirstlane_b32 s0, v2
	s_add_i32 s0, s0, -1
	s_cmp_eq_u32 s0, 1
	s_cbranch_scc1 .LBB69_58
; %bb.57:
	s_lshl_b32 s0, s0, 4
	scratch_load_dwordx4 v[2:5], off, s22
	scratch_load_dwordx4 v[6:9], off, s0
	s_waitcnt vmcnt(1)
	ds_write2_b64 v0, v[2:3], v[4:5] offset1:1
	s_waitcnt vmcnt(0)
	scratch_store_dwordx4 off, v[6:9], s22
	scratch_store_dwordx4 off, v[2:5], s0
.LBB69_58:
	global_load_dword v1, v1, s[12:13]
	s_waitcnt vmcnt(0)
	v_readfirstlane_b32 s0, v1
	s_add_i32 s0, s0, -1
	s_cmp_eq_u32 s0, 0
	s_cbranch_scc1 .LBB69_60
; %bb.59:
	s_lshl_b32 s0, s0, 4
	scratch_load_dwordx4 v[2:5], off, off
	scratch_load_dwordx4 v[6:9], off, s0
	s_waitcnt vmcnt(1)
	ds_write2_b64 v0, v[2:3], v[4:5] offset1:1
	s_waitcnt vmcnt(0)
	scratch_store_dwordx4 off, v[6:9], off
	scratch_store_dwordx4 off, v[2:5], s0
.LBB69_60:
	scratch_load_dwordx4 v[0:3], off, off
	s_waitcnt vmcnt(0)
	flat_store_dwordx4 v[14:15], v[0:3]
	scratch_load_dwordx4 v[0:3], off, s22
	s_waitcnt vmcnt(0)
	flat_store_dwordx4 v[16:17], v[0:3]
	scratch_load_dwordx4 v[0:3], off, s21
	;; [unrolled: 3-line block ×5, first 2 shown]
	s_waitcnt vmcnt(0)
	flat_store_dwordx4 v[24:25], v[0:3]
	s_endpgm
	.section	.rodata,"a",@progbits
	.p2align	6, 0x0
	.amdhsa_kernel _ZN9rocsolver6v33100L18getri_kernel_smallILi6E19rocblas_complex_numIdEPKPS3_EEvT1_iilPiilS8_bb
		.amdhsa_group_segment_fixed_size 1224
		.amdhsa_private_segment_fixed_size 112
		.amdhsa_kernarg_size 60
		.amdhsa_user_sgpr_count 4
		.amdhsa_user_sgpr_dispatch_ptr 1
		.amdhsa_user_sgpr_queue_ptr 0
		.amdhsa_user_sgpr_kernarg_segment_ptr 1
		.amdhsa_user_sgpr_dispatch_id 0
		.amdhsa_user_sgpr_kernarg_preload_length 0
		.amdhsa_user_sgpr_kernarg_preload_offset 0
		.amdhsa_user_sgpr_private_segment_size 0
		.amdhsa_uses_dynamic_stack 0
		.amdhsa_enable_private_segment 1
		.amdhsa_system_sgpr_workgroup_id_x 1
		.amdhsa_system_sgpr_workgroup_id_y 0
		.amdhsa_system_sgpr_workgroup_id_z 0
		.amdhsa_system_sgpr_workgroup_info 0
		.amdhsa_system_vgpr_workitem_id 2
		.amdhsa_next_free_vgpr 70
		.amdhsa_next_free_sgpr 23
		.amdhsa_accum_offset 72
		.amdhsa_reserve_vcc 1
		.amdhsa_float_round_mode_32 0
		.amdhsa_float_round_mode_16_64 0
		.amdhsa_float_denorm_mode_32 3
		.amdhsa_float_denorm_mode_16_64 3
		.amdhsa_dx10_clamp 1
		.amdhsa_ieee_mode 1
		.amdhsa_fp16_overflow 0
		.amdhsa_tg_split 0
		.amdhsa_exception_fp_ieee_invalid_op 0
		.amdhsa_exception_fp_denorm_src 0
		.amdhsa_exception_fp_ieee_div_zero 0
		.amdhsa_exception_fp_ieee_overflow 0
		.amdhsa_exception_fp_ieee_underflow 0
		.amdhsa_exception_fp_ieee_inexact 0
		.amdhsa_exception_int_div_zero 0
	.end_amdhsa_kernel
	.section	.text._ZN9rocsolver6v33100L18getri_kernel_smallILi6E19rocblas_complex_numIdEPKPS3_EEvT1_iilPiilS8_bb,"axG",@progbits,_ZN9rocsolver6v33100L18getri_kernel_smallILi6E19rocblas_complex_numIdEPKPS3_EEvT1_iilPiilS8_bb,comdat
.Lfunc_end69:
	.size	_ZN9rocsolver6v33100L18getri_kernel_smallILi6E19rocblas_complex_numIdEPKPS3_EEvT1_iilPiilS8_bb, .Lfunc_end69-_ZN9rocsolver6v33100L18getri_kernel_smallILi6E19rocblas_complex_numIdEPKPS3_EEvT1_iilPiilS8_bb
                                        ; -- End function
	.set _ZN9rocsolver6v33100L18getri_kernel_smallILi6E19rocblas_complex_numIdEPKPS3_EEvT1_iilPiilS8_bb.num_vgpr, 70
	.set _ZN9rocsolver6v33100L18getri_kernel_smallILi6E19rocblas_complex_numIdEPKPS3_EEvT1_iilPiilS8_bb.num_agpr, 0
	.set _ZN9rocsolver6v33100L18getri_kernel_smallILi6E19rocblas_complex_numIdEPKPS3_EEvT1_iilPiilS8_bb.numbered_sgpr, 23
	.set _ZN9rocsolver6v33100L18getri_kernel_smallILi6E19rocblas_complex_numIdEPKPS3_EEvT1_iilPiilS8_bb.num_named_barrier, 0
	.set _ZN9rocsolver6v33100L18getri_kernel_smallILi6E19rocblas_complex_numIdEPKPS3_EEvT1_iilPiilS8_bb.private_seg_size, 112
	.set _ZN9rocsolver6v33100L18getri_kernel_smallILi6E19rocblas_complex_numIdEPKPS3_EEvT1_iilPiilS8_bb.uses_vcc, 1
	.set _ZN9rocsolver6v33100L18getri_kernel_smallILi6E19rocblas_complex_numIdEPKPS3_EEvT1_iilPiilS8_bb.uses_flat_scratch, 0
	.set _ZN9rocsolver6v33100L18getri_kernel_smallILi6E19rocblas_complex_numIdEPKPS3_EEvT1_iilPiilS8_bb.has_dyn_sized_stack, 0
	.set _ZN9rocsolver6v33100L18getri_kernel_smallILi6E19rocblas_complex_numIdEPKPS3_EEvT1_iilPiilS8_bb.has_recursion, 0
	.set _ZN9rocsolver6v33100L18getri_kernel_smallILi6E19rocblas_complex_numIdEPKPS3_EEvT1_iilPiilS8_bb.has_indirect_call, 0
	.section	.AMDGPU.csdata,"",@progbits
; Kernel info:
; codeLenInByte = 4328
; TotalNumSgprs: 29
; NumVgprs: 70
; NumAgprs: 0
; TotalNumVgprs: 70
; ScratchSize: 112
; MemoryBound: 0
; FloatMode: 240
; IeeeMode: 1
; LDSByteSize: 1224 bytes/workgroup (compile time only)
; SGPRBlocks: 3
; VGPRBlocks: 8
; NumSGPRsForWavesPerEU: 29
; NumVGPRsForWavesPerEU: 70
; AccumOffset: 72
; Occupancy: 7
; WaveLimiterHint : 1
; COMPUTE_PGM_RSRC2:SCRATCH_EN: 1
; COMPUTE_PGM_RSRC2:USER_SGPR: 4
; COMPUTE_PGM_RSRC2:TRAP_HANDLER: 0
; COMPUTE_PGM_RSRC2:TGID_X_EN: 1
; COMPUTE_PGM_RSRC2:TGID_Y_EN: 0
; COMPUTE_PGM_RSRC2:TGID_Z_EN: 0
; COMPUTE_PGM_RSRC2:TIDIG_COMP_CNT: 2
; COMPUTE_PGM_RSRC3_GFX90A:ACCUM_OFFSET: 17
; COMPUTE_PGM_RSRC3_GFX90A:TG_SPLIT: 0
	.section	.text._ZN9rocsolver6v33100L18getri_kernel_smallILi7E19rocblas_complex_numIdEPKPS3_EEvT1_iilPiilS8_bb,"axG",@progbits,_ZN9rocsolver6v33100L18getri_kernel_smallILi7E19rocblas_complex_numIdEPKPS3_EEvT1_iilPiilS8_bb,comdat
	.globl	_ZN9rocsolver6v33100L18getri_kernel_smallILi7E19rocblas_complex_numIdEPKPS3_EEvT1_iilPiilS8_bb ; -- Begin function _ZN9rocsolver6v33100L18getri_kernel_smallILi7E19rocblas_complex_numIdEPKPS3_EEvT1_iilPiilS8_bb
	.p2align	8
	.type	_ZN9rocsolver6v33100L18getri_kernel_smallILi7E19rocblas_complex_numIdEPKPS3_EEvT1_iilPiilS8_bb,@function
_ZN9rocsolver6v33100L18getri_kernel_smallILi7E19rocblas_complex_numIdEPKPS3_EEvT1_iilPiilS8_bb: ; @_ZN9rocsolver6v33100L18getri_kernel_smallILi7E19rocblas_complex_numIdEPKPS3_EEvT1_iilPiilS8_bb
; %bb.0:
	v_and_b32_e32 v1, 0x3ff, v0
	v_cmp_gt_u32_e32 vcc, 7, v1
	s_and_saveexec_b64 s[6:7], vcc
	s_cbranch_execz .LBB70_42
; %bb.1:
	s_load_dword s16, s[2:3], 0x38
	s_load_dwordx2 s[6:7], s[2:3], 0x0
	s_load_dwordx4 s[8:11], s[2:3], 0x28
	s_waitcnt lgkmcnt(0)
	s_bitcmp1_b32 s16, 8
	s_cselect_b64 s[14:15], -1, 0
	s_ashr_i32 s5, s4, 31
	s_lshl_b64 s[12:13], s[4:5], 3
	s_add_u32 s6, s6, s12
	s_addc_u32 s7, s7, s13
	s_load_dwordx2 s[6:7], s[6:7], 0x0
	s_bfe_u32 s12, s16, 0x10008
	s_cmp_eq_u32 s12, 0
                                        ; implicit-def: $sgpr12_sgpr13
	s_cbranch_scc1 .LBB70_3
; %bb.2:
	s_load_dword s12, s[2:3], 0x20
	s_load_dwordx2 s[16:17], s[2:3], 0x18
	s_mul_i32 s13, s8, s5
	s_mul_hi_u32 s18, s8, s4
	s_add_i32 s18, s18, s13
	s_mul_i32 s9, s9, s4
	s_add_i32 s9, s18, s9
	s_mul_i32 s8, s8, s4
	s_waitcnt lgkmcnt(0)
	s_ashr_i32 s13, s12, 31
	s_lshl_b64 s[8:9], s[8:9], 2
	s_add_u32 s16, s16, s8
	s_addc_u32 s17, s17, s9
	s_lshl_b64 s[8:9], s[12:13], 2
	s_add_u32 s12, s16, s8
	s_addc_u32 s13, s17, s9
.LBB70_3:
	s_load_dwordx2 s[8:9], s[2:3], 0x8
	s_load_dword s16, s[2:3], 0x38
	v_lshlrev_b32_e32 v28, 4, v1
	v_mov_b32_e32 v29, 0
	s_movk_i32 s19, 0x50
	s_waitcnt lgkmcnt(0)
	s_ashr_i32 s3, s8, 31
	s_mov_b32 s2, s8
	s_lshl_b64 s[2:3], s[2:3], 4
	s_add_u32 s2, s6, s2
	s_addc_u32 s3, s7, s3
	v_lshl_add_u64 v[14:15], s[2:3], 0, v[28:29]
	flat_load_dwordx4 v[2:5], v[14:15]
	s_mov_b32 s6, s9
	s_ashr_i32 s7, s9, 31
	v_lshl_add_u64 v[16:17], s[6:7], 4, v[14:15]
	s_add_i32 s6, s9, s9
	v_add_u32_e32 v6, s6, v1
	v_ashrrev_i32_e32 v7, 31, v6
	v_lshl_add_u64 v[18:19], v[6:7], 4, s[2:3]
	v_add_u32_e32 v6, s9, v6
	v_ashrrev_i32_e32 v7, 31, v6
	v_lshl_add_u64 v[20:21], v[6:7], 4, s[2:3]
	;; [unrolled: 3-line block ×5, first 2 shown]
	s_movk_i32 s18, 0x60
	s_mov_b32 s23, 16
	s_mov_b32 s22, 32
	;; [unrolled: 1-line block ×4, first 2 shown]
	s_bitcmp0_b32 s16, 0
	s_mov_b64 s[6:7], -1
	s_waitcnt vmcnt(0) lgkmcnt(0)
	scratch_store_dwordx4 off, v[2:5], off
	flat_load_dwordx4 v[2:5], v[16:17]
	s_waitcnt vmcnt(0) lgkmcnt(0)
	scratch_store_dwordx4 off, v[2:5], off offset:16
	flat_load_dwordx4 v[2:5], v[18:19]
	s_waitcnt vmcnt(0) lgkmcnt(0)
	scratch_store_dwordx4 off, v[2:5], off offset:32
	;; [unrolled: 3-line block ×6, first 2 shown]
	s_cbranch_scc1 .LBB70_40
; %bb.4:
	v_cmp_eq_u32_e64 s[2:3], 0, v1
	s_and_saveexec_b64 s[6:7], s[2:3]
; %bb.5:
	v_mov_b32_e32 v2, 0
	ds_write_b32 v2, v2 offset:224
; %bb.6:
	s_or_b64 exec, exec, s[6:7]
	s_waitcnt lgkmcnt(0)
	; wave barrier
	scratch_load_dwordx4 v[2:5], v28, off
	s_waitcnt vmcnt(0)
	v_cmp_eq_f64_e32 vcc, 0, v[2:3]
	v_cmp_eq_f64_e64 s[6:7], 0, v[4:5]
	s_and_b64 s[6:7], vcc, s[6:7]
	s_and_saveexec_b64 s[8:9], s[6:7]
	s_cbranch_execz .LBB70_10
; %bb.7:
	v_mov_b32_e32 v2, 0
	ds_read_b32 v4, v2 offset:224
	v_add_u32_e32 v3, 1, v1
	s_waitcnt lgkmcnt(0)
	v_readfirstlane_b32 s6, v4
	s_cmp_eq_u32 s6, 0
	s_cselect_b64 s[16:17], -1, 0
	v_cmp_gt_i32_e32 vcc, s6, v3
	s_or_b64 s[16:17], s[16:17], vcc
	s_and_b64 exec, exec, s[16:17]
	s_cbranch_execz .LBB70_10
; %bb.8:
	s_mov_b64 s[16:17], 0
	v_mov_b32_e32 v4, s6
.LBB70_9:                               ; =>This Inner Loop Header: Depth=1
	ds_cmpst_rtn_b32 v4, v2, v4, v3 offset:224
	s_waitcnt lgkmcnt(0)
	v_cmp_ne_u32_e32 vcc, 0, v4
	v_cmp_le_i32_e64 s[6:7], v4, v3
	s_and_b64 s[6:7], vcc, s[6:7]
	s_and_b64 s[6:7], exec, s[6:7]
	s_or_b64 s[16:17], s[6:7], s[16:17]
	s_andn2_b64 exec, exec, s[16:17]
	s_cbranch_execnz .LBB70_9
.LBB70_10:
	s_or_b64 exec, exec, s[8:9]
	v_mov_b32_e32 v3, 0
	; wave barrier
	ds_read_b32 v2, v3 offset:224
	s_and_saveexec_b64 s[6:7], s[2:3]
	s_cbranch_execz .LBB70_12
; %bb.11:
	s_lshl_b64 s[8:9], s[4:5], 2
	s_add_u32 s8, s10, s8
	s_addc_u32 s9, s11, s9
	s_waitcnt lgkmcnt(0)
	global_store_dword v3, v2, s[8:9]
.LBB70_12:
	s_or_b64 exec, exec, s[6:7]
	s_waitcnt lgkmcnt(0)
	v_cmp_ne_u32_e32 vcc, 0, v2
	s_mov_b64 s[6:7], 0
	s_cbranch_vccnz .LBB70_40
; %bb.13:
	v_mov_b32_e32 v29, v28
	scratch_load_dwordx4 v[2:5], v29, off
                                        ; implicit-def: $vgpr6_vgpr7
                                        ; implicit-def: $vgpr10_vgpr11
	s_waitcnt vmcnt(0)
	v_cmp_ngt_f64_e64 s[6:7], |v[2:3]|, |v[4:5]|
	s_and_saveexec_b64 s[8:9], s[6:7]
	s_xor_b64 s[6:7], exec, s[8:9]
	s_cbranch_execz .LBB70_15
; %bb.14:
	v_div_scale_f64 v[6:7], s[8:9], v[4:5], v[4:5], v[2:3]
	v_rcp_f64_e32 v[8:9], v[6:7]
	v_div_scale_f64 v[10:11], vcc, v[2:3], v[4:5], v[2:3]
	v_fma_f64 v[12:13], -v[6:7], v[8:9], 1.0
	v_fmac_f64_e32 v[8:9], v[8:9], v[12:13]
	v_fma_f64 v[12:13], -v[6:7], v[8:9], 1.0
	v_fmac_f64_e32 v[8:9], v[8:9], v[12:13]
	v_mul_f64 v[12:13], v[10:11], v[8:9]
	v_fma_f64 v[6:7], -v[6:7], v[12:13], v[10:11]
	v_div_fmas_f64 v[6:7], v[6:7], v[8:9], v[12:13]
	v_div_fixup_f64 v[6:7], v[6:7], v[4:5], v[2:3]
	v_fmac_f64_e32 v[4:5], v[2:3], v[6:7]
	v_div_scale_f64 v[2:3], s[8:9], v[4:5], v[4:5], 1.0
	v_rcp_f64_e32 v[8:9], v[2:3]
	s_nop 0
	v_fma_f64 v[10:11], -v[2:3], v[8:9], 1.0
	v_fmac_f64_e32 v[8:9], v[8:9], v[10:11]
	v_fma_f64 v[10:11], -v[2:3], v[8:9], 1.0
	v_fmac_f64_e32 v[8:9], v[8:9], v[10:11]
	v_div_scale_f64 v[10:11], vcc, 1.0, v[4:5], 1.0
	v_mul_f64 v[12:13], v[10:11], v[8:9]
	v_fma_f64 v[2:3], -v[2:3], v[12:13], v[10:11]
	s_nop 1
	v_div_fmas_f64 v[2:3], v[2:3], v[8:9], v[12:13]
	v_div_fixup_f64 v[8:9], v[2:3], v[4:5], 1.0
	v_mul_f64 v[6:7], v[6:7], v[8:9]
	v_xor_b32_e32 v9, 0x80000000, v9
	v_xor_b32_e32 v11, 0x80000000, v7
	v_mov_b32_e32 v10, v6
                                        ; implicit-def: $vgpr2_vgpr3
.LBB70_15:
	s_andn2_saveexec_b64 s[6:7], s[6:7]
	s_cbranch_execz .LBB70_17
; %bb.16:
	v_div_scale_f64 v[6:7], s[8:9], v[2:3], v[2:3], v[4:5]
	v_rcp_f64_e32 v[8:9], v[6:7]
	v_div_scale_f64 v[10:11], vcc, v[4:5], v[2:3], v[4:5]
	v_fma_f64 v[12:13], -v[6:7], v[8:9], 1.0
	v_fmac_f64_e32 v[8:9], v[8:9], v[12:13]
	v_fma_f64 v[12:13], -v[6:7], v[8:9], 1.0
	v_fmac_f64_e32 v[8:9], v[8:9], v[12:13]
	v_mul_f64 v[12:13], v[10:11], v[8:9]
	v_fma_f64 v[6:7], -v[6:7], v[12:13], v[10:11]
	v_div_fmas_f64 v[6:7], v[6:7], v[8:9], v[12:13]
	v_div_fixup_f64 v[8:9], v[6:7], v[2:3], v[4:5]
	v_fmac_f64_e32 v[2:3], v[4:5], v[8:9]
	v_div_scale_f64 v[4:5], s[8:9], v[2:3], v[2:3], 1.0
	v_rcp_f64_e32 v[6:7], v[4:5]
	s_nop 0
	v_fma_f64 v[10:11], -v[4:5], v[6:7], 1.0
	v_fmac_f64_e32 v[6:7], v[6:7], v[10:11]
	v_fma_f64 v[10:11], -v[4:5], v[6:7], 1.0
	v_fmac_f64_e32 v[6:7], v[6:7], v[10:11]
	v_div_scale_f64 v[10:11], vcc, 1.0, v[2:3], 1.0
	v_mul_f64 v[12:13], v[10:11], v[6:7]
	v_fma_f64 v[4:5], -v[4:5], v[12:13], v[10:11]
	s_nop 1
	v_div_fmas_f64 v[4:5], v[4:5], v[6:7], v[12:13]
	v_div_fixup_f64 v[6:7], v[4:5], v[2:3], 1.0
	v_xor_b32_e32 v11, 0x80000000, v7
	v_mov_b32_e32 v10, v6
	v_mul_f64 v[8:9], v[8:9], -v[6:7]
.LBB70_17:
	s_or_b64 exec, exec, s[6:7]
	scratch_store_dwordx4 v29, v[6:9], off
	scratch_load_dwordx4 v[2:5], off, s23
	v_xor_b32_e32 v13, 0x80000000, v9
	v_mov_b32_e32 v12, v8
	v_add_u32_e32 v6, 0x70, v28
	ds_write_b128 v28, v[10:13]
	s_waitcnt vmcnt(0)
	ds_write_b128 v28, v[2:5] offset:112
	s_waitcnt lgkmcnt(0)
	; wave barrier
	s_and_saveexec_b64 s[6:7], s[2:3]
	s_cbranch_execz .LBB70_19
; %bb.18:
	scratch_load_dwordx4 v[2:5], v29, off
	ds_read_b128 v[8:11], v6
	v_mov_b32_e32 v7, 0
	ds_read_b128 v[30:33], v7 offset:16
	s_waitcnt vmcnt(0) lgkmcnt(1)
	v_mul_f64 v[12:13], v[10:11], v[4:5]
	v_mul_f64 v[4:5], v[8:9], v[4:5]
	v_fma_f64 v[8:9], v[8:9], v[2:3], -v[12:13]
	v_fmac_f64_e32 v[4:5], v[10:11], v[2:3]
	v_add_f64 v[2:3], v[8:9], 0
	v_add_f64 v[8:9], v[4:5], 0
	s_waitcnt lgkmcnt(0)
	v_mul_f64 v[10:11], v[8:9], v[32:33]
	v_mul_f64 v[4:5], v[2:3], v[32:33]
	v_fma_f64 v[2:3], v[2:3], v[30:31], -v[10:11]
	v_fmac_f64_e32 v[4:5], v[8:9], v[30:31]
	scratch_store_dwordx4 off, v[2:5], off offset:16
.LBB70_19:
	s_or_b64 exec, exec, s[6:7]
	; wave barrier
	scratch_load_dwordx4 v[2:5], off, s22
	v_cmp_gt_u32_e32 vcc, 2, v1
	s_waitcnt vmcnt(0)
	ds_write_b128 v6, v[2:5]
	s_waitcnt lgkmcnt(0)
	; wave barrier
	s_and_saveexec_b64 s[6:7], vcc
	s_cbranch_execz .LBB70_23
; %bb.20:
	scratch_load_dwordx4 v[2:5], v29, off
	ds_read_b128 v[8:11], v6
	s_waitcnt vmcnt(0) lgkmcnt(0)
	v_mul_f64 v[12:13], v[10:11], v[4:5]
	v_mul_f64 v[30:31], v[8:9], v[4:5]
	v_fma_f64 v[4:5], v[8:9], v[2:3], -v[12:13]
	v_fmac_f64_e32 v[30:31], v[10:11], v[2:3]
	v_add_f64 v[4:5], v[4:5], 0
	v_add_f64 v[2:3], v[30:31], 0
	s_and_saveexec_b64 s[8:9], s[2:3]
	s_cbranch_execz .LBB70_22
; %bb.21:
	scratch_load_dwordx4 v[8:11], off, off offset:16
	v_mov_b32_e32 v7, 0
	ds_read_b128 v[30:33], v7 offset:128
	s_waitcnt vmcnt(0) lgkmcnt(0)
	v_mul_f64 v[12:13], v[30:31], v[10:11]
	v_mul_f64 v[10:11], v[32:33], v[10:11]
	v_fmac_f64_e32 v[12:13], v[32:33], v[8:9]
	v_fma_f64 v[8:9], v[30:31], v[8:9], -v[10:11]
	v_add_f64 v[2:3], v[2:3], v[12:13]
	v_add_f64 v[4:5], v[4:5], v[8:9]
.LBB70_22:
	s_or_b64 exec, exec, s[8:9]
	v_mov_b32_e32 v7, 0
	ds_read_b128 v[8:11], v7 offset:32
	s_waitcnt lgkmcnt(0)
	v_mul_f64 v[30:31], v[2:3], v[10:11]
	v_mul_f64 v[12:13], v[4:5], v[10:11]
	v_fma_f64 v[10:11], v[4:5], v[8:9], -v[30:31]
	v_fmac_f64_e32 v[12:13], v[2:3], v[8:9]
	scratch_store_dwordx4 off, v[10:13], off offset:32
.LBB70_23:
	s_or_b64 exec, exec, s[6:7]
	; wave barrier
	scratch_load_dwordx4 v[2:5], off, s21
	v_cmp_gt_u32_e32 vcc, 3, v1
	v_add_u32_e32 v7, -1, v1
	s_waitcnt vmcnt(0)
	ds_write_b128 v6, v[2:5]
	s_waitcnt lgkmcnt(0)
	; wave barrier
	s_and_saveexec_b64 s[2:3], vcc
	s_cbranch_execz .LBB70_27
; %bb.24:
	v_add_u32_e32 v8, -1, v1
	v_add_u32_e32 v9, 0x70, v28
	v_mov_b32_e32 v10, v28
	v_mov_b64_e32 v[2:3], 0
	s_mov_b64 s[6:7], 0
	v_mov_b64_e32 v[4:5], 0
.LBB70_25:                              ; =>This Inner Loop Header: Depth=1
	scratch_load_dwordx4 v[30:33], v10, off
	ds_read_b128 v[34:37], v9
	v_add_u32_e32 v8, 1, v8
	v_cmp_lt_u32_e32 vcc, 1, v8
	v_add_u32_e32 v9, 16, v9
	v_add_u32_e32 v10, 16, v10
	s_or_b64 s[6:7], vcc, s[6:7]
	s_waitcnt vmcnt(0) lgkmcnt(0)
	v_mul_f64 v[12:13], v[36:37], v[32:33]
	v_mul_f64 v[32:33], v[34:35], v[32:33]
	v_fma_f64 v[12:13], v[34:35], v[30:31], -v[12:13]
	v_fmac_f64_e32 v[32:33], v[36:37], v[30:31]
	v_add_f64 v[4:5], v[4:5], v[12:13]
	v_add_f64 v[2:3], v[2:3], v[32:33]
	s_andn2_b64 exec, exec, s[6:7]
	s_cbranch_execnz .LBB70_25
; %bb.26:
	s_or_b64 exec, exec, s[6:7]
	v_mov_b32_e32 v8, 0
	ds_read_b128 v[8:11], v8 offset:48
	s_waitcnt lgkmcnt(0)
	v_mul_f64 v[30:31], v[2:3], v[10:11]
	v_mul_f64 v[12:13], v[4:5], v[10:11]
	v_fma_f64 v[10:11], v[4:5], v[8:9], -v[30:31]
	v_fmac_f64_e32 v[12:13], v[2:3], v[8:9]
	scratch_store_dwordx4 off, v[10:13], off offset:48
.LBB70_27:
	s_or_b64 exec, exec, s[2:3]
	; wave barrier
	scratch_load_dwordx4 v[2:5], off, s20
	v_cmp_gt_u32_e32 vcc, 4, v1
	s_waitcnt vmcnt(0)
	ds_write_b128 v6, v[2:5]
	s_waitcnt lgkmcnt(0)
	; wave barrier
	s_and_saveexec_b64 s[2:3], vcc
	s_cbranch_execz .LBB70_31
; %bb.28:
	v_add_u32_e32 v8, -1, v1
	v_add_u32_e32 v9, 0x70, v28
	v_mov_b32_e32 v10, v28
	v_mov_b64_e32 v[2:3], 0
	s_mov_b64 s[6:7], 0
	v_mov_b64_e32 v[4:5], 0
.LBB70_29:                              ; =>This Inner Loop Header: Depth=1
	scratch_load_dwordx4 v[30:33], v10, off
	ds_read_b128 v[34:37], v9
	v_add_u32_e32 v8, 1, v8
	v_cmp_lt_u32_e32 vcc, 2, v8
	v_add_u32_e32 v9, 16, v9
	v_add_u32_e32 v10, 16, v10
	s_or_b64 s[6:7], vcc, s[6:7]
	s_waitcnt vmcnt(0) lgkmcnt(0)
	v_mul_f64 v[12:13], v[36:37], v[32:33]
	v_mul_f64 v[32:33], v[34:35], v[32:33]
	v_fma_f64 v[12:13], v[34:35], v[30:31], -v[12:13]
	v_fmac_f64_e32 v[32:33], v[36:37], v[30:31]
	v_add_f64 v[4:5], v[4:5], v[12:13]
	v_add_f64 v[2:3], v[2:3], v[32:33]
	s_andn2_b64 exec, exec, s[6:7]
	s_cbranch_execnz .LBB70_29
; %bb.30:
	s_or_b64 exec, exec, s[6:7]
	v_mov_b32_e32 v8, 0
	ds_read_b128 v[8:11], v8 offset:64
	s_waitcnt lgkmcnt(0)
	v_mul_f64 v[30:31], v[2:3], v[10:11]
	v_mul_f64 v[12:13], v[4:5], v[10:11]
	v_fma_f64 v[10:11], v[4:5], v[8:9], -v[30:31]
	v_fmac_f64_e32 v[12:13], v[2:3], v[8:9]
	scratch_store_dwordx4 off, v[10:13], off offset:64
.LBB70_31:
	s_or_b64 exec, exec, s[2:3]
	; wave barrier
	scratch_load_dwordx4 v[2:5], off, s19
	v_cmp_gt_u32_e32 vcc, 5, v1
	s_waitcnt vmcnt(0)
	ds_write_b128 v6, v[2:5]
	s_waitcnt lgkmcnt(0)
	; wave barrier
	s_and_saveexec_b64 s[2:3], vcc
	s_cbranch_execz .LBB70_35
; %bb.32:
	v_add_u32_e32 v8, -1, v1
	v_add_u32_e32 v9, 0x70, v28
	v_mov_b32_e32 v10, v28
	v_mov_b64_e32 v[2:3], 0
	s_mov_b64 s[6:7], 0
	v_mov_b64_e32 v[4:5], 0
.LBB70_33:                              ; =>This Inner Loop Header: Depth=1
	scratch_load_dwordx4 v[30:33], v10, off
	ds_read_b128 v[34:37], v9
	v_add_u32_e32 v8, 1, v8
	v_cmp_lt_u32_e32 vcc, 3, v8
	v_add_u32_e32 v9, 16, v9
	v_add_u32_e32 v10, 16, v10
	s_or_b64 s[6:7], vcc, s[6:7]
	s_waitcnt vmcnt(0) lgkmcnt(0)
	v_mul_f64 v[12:13], v[36:37], v[32:33]
	v_mul_f64 v[32:33], v[34:35], v[32:33]
	v_fma_f64 v[12:13], v[34:35], v[30:31], -v[12:13]
	v_fmac_f64_e32 v[32:33], v[36:37], v[30:31]
	v_add_f64 v[4:5], v[4:5], v[12:13]
	v_add_f64 v[2:3], v[2:3], v[32:33]
	s_andn2_b64 exec, exec, s[6:7]
	s_cbranch_execnz .LBB70_33
; %bb.34:
	s_or_b64 exec, exec, s[6:7]
	v_mov_b32_e32 v8, 0
	ds_read_b128 v[8:11], v8 offset:80
	s_waitcnt lgkmcnt(0)
	v_mul_f64 v[30:31], v[2:3], v[10:11]
	v_mul_f64 v[12:13], v[4:5], v[10:11]
	v_fma_f64 v[10:11], v[4:5], v[8:9], -v[30:31]
	v_fmac_f64_e32 v[12:13], v[2:3], v[8:9]
	scratch_store_dwordx4 off, v[10:13], off offset:80
.LBB70_35:
	s_or_b64 exec, exec, s[2:3]
	; wave barrier
	scratch_load_dwordx4 v[2:5], off, s18
	v_cmp_ne_u32_e32 vcc, 6, v1
	s_waitcnt vmcnt(0)
	ds_write_b128 v6, v[2:5]
	s_waitcnt lgkmcnt(0)
	; wave barrier
	s_and_saveexec_b64 s[2:3], vcc
	s_cbranch_execz .LBB70_39
; %bb.36:
	v_add_u32_e32 v6, 0x70, v28
	v_mov_b32_e32 v8, v28
	v_mov_b64_e32 v[2:3], 0
	s_mov_b64 s[6:7], 0
	v_mov_b64_e32 v[4:5], 0
.LBB70_37:                              ; =>This Inner Loop Header: Depth=1
	scratch_load_dwordx4 v[10:13], v8, off
	ds_read_b128 v[28:31], v6
	v_add_u32_e32 v7, 1, v7
	v_cmp_lt_u32_e32 vcc, 4, v7
	v_add_u32_e32 v6, 16, v6
	v_add_u32_e32 v8, 16, v8
	s_or_b64 s[6:7], vcc, s[6:7]
	s_waitcnt vmcnt(0) lgkmcnt(0)
	v_mul_f64 v[32:33], v[30:31], v[12:13]
	v_mul_f64 v[12:13], v[28:29], v[12:13]
	v_fma_f64 v[28:29], v[28:29], v[10:11], -v[32:33]
	v_fmac_f64_e32 v[12:13], v[30:31], v[10:11]
	v_add_f64 v[4:5], v[4:5], v[28:29]
	v_add_f64 v[2:3], v[2:3], v[12:13]
	s_andn2_b64 exec, exec, s[6:7]
	s_cbranch_execnz .LBB70_37
; %bb.38:
	s_or_b64 exec, exec, s[6:7]
	v_mov_b32_e32 v6, 0
	ds_read_b128 v[6:9], v6 offset:96
	s_waitcnt lgkmcnt(0)
	v_mul_f64 v[12:13], v[2:3], v[8:9]
	v_mul_f64 v[10:11], v[4:5], v[8:9]
	v_fma_f64 v[8:9], v[4:5], v[6:7], -v[12:13]
	v_fmac_f64_e32 v[10:11], v[2:3], v[6:7]
	scratch_store_dwordx4 off, v[8:11], off offset:96
.LBB70_39:
	s_or_b64 exec, exec, s[2:3]
	s_mov_b64 s[6:7], -1
	; wave barrier
.LBB70_40:
	s_and_b64 vcc, exec, s[6:7]
	s_cbranch_vccz .LBB70_42
; %bb.41:
	s_lshl_b64 s[2:3], s[4:5], 2
	s_add_u32 s2, s10, s2
	s_addc_u32 s3, s11, s3
	v_mov_b32_e32 v2, 0
	global_load_dword v2, v2, s[2:3]
	s_waitcnt vmcnt(0)
	v_cmp_ne_u32_e32 vcc, 0, v2
	s_cbranch_vccz .LBB70_43
.LBB70_42:
	s_endpgm
.LBB70_43:
	v_mov_b32_e32 v2, 0x70
	v_lshl_add_u32 v6, v1, 4, v2
	v_cmp_eq_u32_e32 vcc, 6, v1
	s_and_saveexec_b64 s[2:3], vcc
	s_cbranch_execz .LBB70_45
; %bb.44:
	scratch_load_dwordx4 v[2:5], off, s19
	v_mov_b32_e32 v8, 0
	v_mov_b32_e32 v9, v8
	;; [unrolled: 1-line block ×4, first 2 shown]
	scratch_store_dwordx4 off, v[8:11], off offset:80
	s_waitcnt vmcnt(1)
	ds_write_b128 v6, v[2:5]
.LBB70_45:
	s_or_b64 exec, exec, s[2:3]
	s_waitcnt lgkmcnt(0)
	; wave barrier
	scratch_load_dwordx4 v[8:11], off, off offset:96
	scratch_load_dwordx4 v[28:31], off, off offset:80
	v_mov_b32_e32 v2, 0
	ds_read_b128 v[32:35], v2 offset:208
	v_cmp_lt_u32_e32 vcc, 4, v1
	s_waitcnt vmcnt(1) lgkmcnt(0)
	v_mul_f64 v[4:5], v[32:33], v[10:11]
	v_mul_f64 v[10:11], v[34:35], v[10:11]
	v_fmac_f64_e32 v[4:5], v[34:35], v[8:9]
	v_fma_f64 v[8:9], v[32:33], v[8:9], -v[10:11]
	v_add_f64 v[4:5], v[4:5], 0
	v_add_f64 v[8:9], v[8:9], 0
	s_waitcnt vmcnt(0)
	v_add_f64 v[8:9], v[28:29], -v[8:9]
	v_add_f64 v[10:11], v[30:31], -v[4:5]
	scratch_store_dwordx4 off, v[8:11], off offset:80
	s_and_saveexec_b64 s[2:3], vcc
	s_cbranch_execz .LBB70_47
; %bb.46:
	scratch_load_dwordx4 v[8:11], off, s20
	v_mov_b32_e32 v3, v2
	v_mov_b32_e32 v4, v2
	;; [unrolled: 1-line block ×3, first 2 shown]
	scratch_store_dwordx4 off, v[2:5], off offset:64
	s_waitcnt vmcnt(1)
	ds_write_b128 v6, v[8:11]
.LBB70_47:
	s_or_b64 exec, exec, s[2:3]
	s_waitcnt lgkmcnt(0)
	; wave barrier
	scratch_load_dwordx4 v[8:11], off, off offset:80
	scratch_load_dwordx4 v[28:31], off, off offset:96
	;; [unrolled: 1-line block ×3, first 2 shown]
	ds_read_b128 v[36:39], v2 offset:192
	ds_read_b128 v[2:5], v2 offset:208
	v_cmp_lt_u32_e32 vcc, 3, v1
	s_waitcnt vmcnt(2) lgkmcnt(1)
	v_mul_f64 v[12:13], v[36:37], v[10:11]
	s_waitcnt vmcnt(1) lgkmcnt(0)
	v_mul_f64 v[40:41], v[2:3], v[30:31]
	v_mul_f64 v[10:11], v[38:39], v[10:11]
	;; [unrolled: 1-line block ×3, first 2 shown]
	v_fmac_f64_e32 v[12:13], v[38:39], v[8:9]
	v_fmac_f64_e32 v[40:41], v[4:5], v[28:29]
	v_fma_f64 v[4:5], v[36:37], v[8:9], -v[10:11]
	v_fma_f64 v[2:3], v[2:3], v[28:29], -v[30:31]
	v_add_f64 v[8:9], v[12:13], 0
	v_add_f64 v[4:5], v[4:5], 0
	;; [unrolled: 1-line block ×4, first 2 shown]
	s_waitcnt vmcnt(0)
	v_add_f64 v[2:3], v[32:33], -v[2:3]
	v_add_f64 v[4:5], v[34:35], -v[8:9]
	scratch_store_dwordx4 off, v[2:5], off offset:64
	s_and_saveexec_b64 s[2:3], vcc
	s_cbranch_execz .LBB70_49
; %bb.48:
	scratch_load_dwordx4 v[2:5], off, s21
	v_mov_b32_e32 v8, 0
	v_mov_b32_e32 v9, v8
	;; [unrolled: 1-line block ×4, first 2 shown]
	scratch_store_dwordx4 off, v[8:11], off offset:48
	s_waitcnt vmcnt(1)
	ds_write_b128 v6, v[2:5]
.LBB70_49:
	s_or_b64 exec, exec, s[2:3]
	s_waitcnt lgkmcnt(0)
	; wave barrier
	scratch_load_dwordx4 v[8:11], off, off offset:64
	scratch_load_dwordx4 v[28:31], off, off offset:80
	;; [unrolled: 1-line block ×4, first 2 shown]
	v_mov_b32_e32 v2, 0
	ds_read_b128 v[40:43], v2 offset:176
	ds_read_b128 v[44:47], v2 offset:192
	;; [unrolled: 1-line block ×3, first 2 shown]
	v_cmp_lt_u32_e32 vcc, 2, v1
	s_waitcnt vmcnt(3) lgkmcnt(2)
	v_mul_f64 v[4:5], v[40:41], v[10:11]
	v_mul_f64 v[10:11], v[42:43], v[10:11]
	s_waitcnt vmcnt(2) lgkmcnt(1)
	v_mul_f64 v[12:13], v[44:45], v[30:31]
	v_mul_f64 v[30:31], v[46:47], v[30:31]
	v_fmac_f64_e32 v[4:5], v[42:43], v[8:9]
	v_fma_f64 v[8:9], v[40:41], v[8:9], -v[10:11]
	s_waitcnt vmcnt(1) lgkmcnt(0)
	v_mul_f64 v[52:53], v[48:49], v[34:35]
	v_mul_f64 v[34:35], v[50:51], v[34:35]
	v_fmac_f64_e32 v[12:13], v[46:47], v[28:29]
	v_fma_f64 v[10:11], v[44:45], v[28:29], -v[30:31]
	v_add_f64 v[4:5], v[4:5], 0
	v_add_f64 v[8:9], v[8:9], 0
	v_fmac_f64_e32 v[52:53], v[50:51], v[32:33]
	v_fma_f64 v[28:29], v[48:49], v[32:33], -v[34:35]
	v_add_f64 v[4:5], v[4:5], v[12:13]
	v_add_f64 v[8:9], v[8:9], v[10:11]
	;; [unrolled: 1-line block ×4, first 2 shown]
	s_waitcnt vmcnt(0)
	v_add_f64 v[8:9], v[36:37], -v[8:9]
	v_add_f64 v[10:11], v[38:39], -v[4:5]
	scratch_store_dwordx4 off, v[8:11], off offset:48
	s_and_saveexec_b64 s[2:3], vcc
	s_cbranch_execz .LBB70_51
; %bb.50:
	scratch_load_dwordx4 v[8:11], off, s22
	v_mov_b32_e32 v3, v2
	v_mov_b32_e32 v4, v2
	;; [unrolled: 1-line block ×3, first 2 shown]
	scratch_store_dwordx4 off, v[2:5], off offset:32
	s_waitcnt vmcnt(1)
	ds_write_b128 v6, v[8:11]
.LBB70_51:
	s_or_b64 exec, exec, s[2:3]
	s_waitcnt lgkmcnt(0)
	; wave barrier
	scratch_load_dwordx4 v[8:11], off, off offset:48
	scratch_load_dwordx4 v[28:31], off, off offset:64
	scratch_load_dwordx4 v[32:35], off, off offset:80
	scratch_load_dwordx4 v[36:39], off, off offset:96
	scratch_load_dwordx4 v[40:43], off, off offset:32
	ds_read_b128 v[44:47], v2 offset:160
	ds_read_b128 v[48:51], v2 offset:176
	;; [unrolled: 1-line block ×4, first 2 shown]
	v_cmp_lt_u32_e32 vcc, 1, v1
	s_waitcnt vmcnt(4) lgkmcnt(3)
	v_mul_f64 v[12:13], v[44:45], v[10:11]
	v_mul_f64 v[10:11], v[46:47], v[10:11]
	s_waitcnt vmcnt(3) lgkmcnt(2)
	v_mul_f64 v[56:57], v[48:49], v[30:31]
	s_waitcnt vmcnt(1) lgkmcnt(0)
	v_mul_f64 v[60:61], v[2:3], v[38:39]
	v_mul_f64 v[30:31], v[50:51], v[30:31]
	;; [unrolled: 1-line block ×3, first 2 shown]
	v_fmac_f64_e32 v[12:13], v[46:47], v[8:9]
	v_fmac_f64_e32 v[60:61], v[4:5], v[36:37]
	v_fma_f64 v[4:5], v[44:45], v[8:9], -v[10:11]
	v_mul_f64 v[58:59], v[52:53], v[34:35]
	v_mul_f64 v[34:35], v[54:55], v[34:35]
	v_fmac_f64_e32 v[56:57], v[50:51], v[28:29]
	v_fma_f64 v[8:9], v[48:49], v[28:29], -v[30:31]
	v_add_f64 v[12:13], v[12:13], 0
	v_add_f64 v[4:5], v[4:5], 0
	v_fmac_f64_e32 v[58:59], v[54:55], v[32:33]
	v_fma_f64 v[10:11], v[52:53], v[32:33], -v[34:35]
	v_add_f64 v[12:13], v[12:13], v[56:57]
	v_add_f64 v[4:5], v[4:5], v[8:9]
	v_fma_f64 v[2:3], v[2:3], v[36:37], -v[38:39]
	v_add_f64 v[8:9], v[12:13], v[58:59]
	v_add_f64 v[4:5], v[4:5], v[10:11]
	;; [unrolled: 1-line block ×4, first 2 shown]
	s_waitcnt vmcnt(0)
	v_add_f64 v[2:3], v[40:41], -v[2:3]
	v_add_f64 v[4:5], v[42:43], -v[8:9]
	scratch_store_dwordx4 off, v[2:5], off offset:32
	s_and_saveexec_b64 s[2:3], vcc
	s_cbranch_execz .LBB70_53
; %bb.52:
	scratch_load_dwordx4 v[2:5], off, s23
	v_mov_b32_e32 v8, 0
	v_mov_b32_e32 v9, v8
	;; [unrolled: 1-line block ×4, first 2 shown]
	scratch_store_dwordx4 off, v[8:11], off offset:16
	s_waitcnt vmcnt(1)
	ds_write_b128 v6, v[2:5]
.LBB70_53:
	s_or_b64 exec, exec, s[2:3]
	s_waitcnt lgkmcnt(0)
	; wave barrier
	scratch_load_dwordx4 v[8:11], off, off offset:32
	scratch_load_dwordx4 v[28:31], off, off offset:48
	;; [unrolled: 1-line block ×6, first 2 shown]
	v_mov_b32_e32 v2, 0
	ds_read_b128 v[48:51], v2 offset:144
	ds_read_b128 v[52:55], v2 offset:160
	;; [unrolled: 1-line block ×5, first 2 shown]
	v_cmp_ne_u32_e32 vcc, 0, v1
	s_waitcnt vmcnt(5) lgkmcnt(4)
	v_mul_f64 v[4:5], v[48:49], v[10:11]
	v_mul_f64 v[10:11], v[50:51], v[10:11]
	s_waitcnt vmcnt(4) lgkmcnt(3)
	v_mul_f64 v[12:13], v[52:53], v[30:31]
	v_mul_f64 v[30:31], v[54:55], v[30:31]
	v_fmac_f64_e32 v[4:5], v[50:51], v[8:9]
	v_fma_f64 v[8:9], v[48:49], v[8:9], -v[10:11]
	s_waitcnt vmcnt(3) lgkmcnt(2)
	v_mul_f64 v[68:69], v[56:57], v[34:35]
	v_mul_f64 v[34:35], v[58:59], v[34:35]
	v_fmac_f64_e32 v[12:13], v[54:55], v[28:29]
	v_fma_f64 v[10:11], v[52:53], v[28:29], -v[30:31]
	v_add_f64 v[4:5], v[4:5], 0
	v_add_f64 v[8:9], v[8:9], 0
	s_waitcnt vmcnt(2) lgkmcnt(1)
	v_mul_f64 v[70:71], v[60:61], v[38:39]
	v_mul_f64 v[38:39], v[62:63], v[38:39]
	v_fmac_f64_e32 v[68:69], v[58:59], v[32:33]
	v_fma_f64 v[28:29], v[56:57], v[32:33], -v[34:35]
	v_add_f64 v[4:5], v[4:5], v[12:13]
	v_add_f64 v[8:9], v[8:9], v[10:11]
	;; [unrolled: 7-line block ×3, first 2 shown]
	v_fmac_f64_e32 v[72:73], v[66:67], v[40:41]
	v_fma_f64 v[32:33], v[64:65], v[40:41], -v[42:43]
	v_add_f64 v[4:5], v[4:5], v[70:71]
	v_add_f64 v[8:9], v[8:9], v[30:31]
	;; [unrolled: 1-line block ×4, first 2 shown]
	s_waitcnt vmcnt(0)
	v_add_f64 v[8:9], v[44:45], -v[8:9]
	v_add_f64 v[10:11], v[46:47], -v[4:5]
	scratch_store_dwordx4 off, v[8:11], off offset:16
	s_and_saveexec_b64 s[2:3], vcc
	s_cbranch_execz .LBB70_55
; %bb.54:
	scratch_load_dwordx4 v[8:11], off, off
	v_mov_b32_e32 v3, v2
	v_mov_b32_e32 v4, v2
	;; [unrolled: 1-line block ×3, first 2 shown]
	scratch_store_dwordx4 off, v[2:5], off
	s_waitcnt vmcnt(1)
	ds_write_b128 v6, v[8:11]
.LBB70_55:
	s_or_b64 exec, exec, s[2:3]
	s_waitcnt lgkmcnt(0)
	; wave barrier
	scratch_load_dwordx4 v[4:7], off, off offset:16
	scratch_load_dwordx4 v[8:11], off, off offset:32
	;; [unrolled: 1-line block ×6, first 2 shown]
	scratch_load_dwordx4 v[44:47], off, off
	ds_read_b128 v[48:51], v2 offset:128
	ds_read_b128 v[52:55], v2 offset:144
	;; [unrolled: 1-line block ×6, first 2 shown]
	s_and_b64 vcc, exec, s[14:15]
	s_waitcnt vmcnt(6) lgkmcnt(5)
	v_mul_f64 v[2:3], v[48:49], v[6:7]
	v_mul_f64 v[6:7], v[50:51], v[6:7]
	s_waitcnt vmcnt(5) lgkmcnt(4)
	v_mul_f64 v[12:13], v[52:53], v[10:11]
	v_mul_f64 v[10:11], v[54:55], v[10:11]
	v_fmac_f64_e32 v[2:3], v[50:51], v[4:5]
	v_fma_f64 v[4:5], v[48:49], v[4:5], -v[6:7]
	s_waitcnt vmcnt(4) lgkmcnt(3)
	v_mul_f64 v[72:73], v[56:57], v[30:31]
	v_mul_f64 v[30:31], v[58:59], v[30:31]
	v_fmac_f64_e32 v[12:13], v[54:55], v[8:9]
	v_fma_f64 v[6:7], v[52:53], v[8:9], -v[10:11]
	v_add_f64 v[2:3], v[2:3], 0
	v_add_f64 v[4:5], v[4:5], 0
	s_waitcnt vmcnt(3) lgkmcnt(2)
	v_mul_f64 v[74:75], v[60:61], v[34:35]
	v_mul_f64 v[34:35], v[62:63], v[34:35]
	v_fmac_f64_e32 v[72:73], v[58:59], v[28:29]
	v_fma_f64 v[8:9], v[56:57], v[28:29], -v[30:31]
	v_add_f64 v[2:3], v[2:3], v[12:13]
	v_add_f64 v[4:5], v[4:5], v[6:7]
	;; [unrolled: 7-line block ×4, first 2 shown]
	v_fmac_f64_e32 v[78:79], v[70:71], v[40:41]
	v_fma_f64 v[30:31], v[68:69], v[40:41], -v[42:43]
	v_add_f64 v[2:3], v[2:3], v[76:77]
	v_add_f64 v[4:5], v[4:5], v[28:29]
	;; [unrolled: 1-line block ×4, first 2 shown]
	s_waitcnt vmcnt(0)
	v_add_f64 v[2:3], v[44:45], -v[2:3]
	v_add_f64 v[4:5], v[46:47], -v[6:7]
	scratch_store_dwordx4 off, v[2:5], off
	s_cbranch_vccz .LBB70_68
; %bb.56:
	s_nop 0
	v_mov_b32_e32 v2, 0
	global_load_dword v3, v2, s[12:13] offset:20
	s_load_dwordx2 s[2:3], s[0:1], 0x4
	v_bfe_u32 v4, v0, 10, 10
	v_bfe_u32 v0, v0, 20, 10
	s_waitcnt lgkmcnt(0)
	s_lshr_b32 s0, s2, 16
	s_mul_i32 s0, s0, s3
	v_mul_u32_u24_e32 v1, s0, v1
	v_mul_u32_u24_e32 v4, s3, v4
	v_add3_u32 v0, v1, v4, v0
	v_mov_b32_e32 v1, 0xe8
	v_lshl_add_u32 v0, v0, 4, v1
	s_waitcnt vmcnt(0)
	v_readfirstlane_b32 s0, v3
	s_add_i32 s0, s0, -1
	s_cmp_lg_u32 s0, 5
	s_cbranch_scc0 .LBB70_58
; %bb.57:
	s_lshl_b32 s0, s0, 4
	scratch_load_dwordx4 v[4:7], off, s19
	scratch_load_dwordx4 v[8:11], off, s0
	s_waitcnt vmcnt(1)
	ds_write2_b64 v0, v[4:5], v[6:7] offset1:1
	s_waitcnt vmcnt(0)
	scratch_store_dwordx4 off, v[8:11], s19
	scratch_store_dwordx4 off, v[4:7], s0
.LBB70_58:
	global_load_dword v1, v2, s[12:13] offset:16
	s_waitcnt vmcnt(0)
	v_readfirstlane_b32 s0, v1
	s_add_i32 s0, s0, -1
	s_cmp_eq_u32 s0, 4
	s_cbranch_scc1 .LBB70_60
; %bb.59:
	s_lshl_b32 s0, s0, 4
	scratch_load_dwordx4 v[2:5], off, s20
	scratch_load_dwordx4 v[6:9], off, s0
	s_waitcnt vmcnt(1)
	ds_write2_b64 v0, v[2:3], v[4:5] offset1:1
	s_waitcnt vmcnt(0)
	scratch_store_dwordx4 off, v[6:9], s20
	scratch_store_dwordx4 off, v[2:5], s0
.LBB70_60:
	v_mov_b32_e32 v1, 0
	global_load_dword v2, v1, s[12:13] offset:12
	s_waitcnt vmcnt(0)
	v_readfirstlane_b32 s0, v2
	s_add_i32 s0, s0, -1
	s_cmp_eq_u32 s0, 3
	s_cbranch_scc1 .LBB70_62
; %bb.61:
	s_lshl_b32 s0, s0, 4
	scratch_load_dwordx4 v[2:5], off, s21
	scratch_load_dwordx4 v[6:9], off, s0
	s_waitcnt vmcnt(1)
	ds_write2_b64 v0, v[2:3], v[4:5] offset1:1
	s_waitcnt vmcnt(0)
	scratch_store_dwordx4 off, v[6:9], s21
	scratch_store_dwordx4 off, v[2:5], s0
.LBB70_62:
	global_load_dword v1, v1, s[12:13] offset:8
	s_waitcnt vmcnt(0)
	v_readfirstlane_b32 s0, v1
	s_add_i32 s0, s0, -1
	s_cmp_eq_u32 s0, 2
	s_cbranch_scc1 .LBB70_64
; %bb.63:
	s_lshl_b32 s0, s0, 4
	scratch_load_dwordx4 v[2:5], off, s22
	scratch_load_dwordx4 v[6:9], off, s0
	s_waitcnt vmcnt(1)
	ds_write2_b64 v0, v[2:3], v[4:5] offset1:1
	s_waitcnt vmcnt(0)
	scratch_store_dwordx4 off, v[6:9], s22
	scratch_store_dwordx4 off, v[2:5], s0
.LBB70_64:
	v_mov_b32_e32 v1, 0
	global_load_dword v2, v1, s[12:13] offset:4
	s_waitcnt vmcnt(0)
	v_readfirstlane_b32 s0, v2
	s_add_i32 s0, s0, -1
	s_cmp_eq_u32 s0, 1
	s_cbranch_scc1 .LBB70_66
; %bb.65:
	s_lshl_b32 s0, s0, 4
	scratch_load_dwordx4 v[2:5], off, s23
	scratch_load_dwordx4 v[6:9], off, s0
	s_waitcnt vmcnt(1)
	ds_write2_b64 v0, v[2:3], v[4:5] offset1:1
	s_waitcnt vmcnt(0)
	scratch_store_dwordx4 off, v[6:9], s23
	scratch_store_dwordx4 off, v[2:5], s0
.LBB70_66:
	global_load_dword v1, v1, s[12:13]
	s_waitcnt vmcnt(0)
	v_readfirstlane_b32 s0, v1
	s_add_i32 s0, s0, -1
	s_cmp_eq_u32 s0, 0
	s_cbranch_scc1 .LBB70_68
; %bb.67:
	s_lshl_b32 s0, s0, 4
	scratch_load_dwordx4 v[2:5], off, off
	scratch_load_dwordx4 v[6:9], off, s0
	s_waitcnt vmcnt(1)
	ds_write2_b64 v0, v[2:3], v[4:5] offset1:1
	s_waitcnt vmcnt(0)
	scratch_store_dwordx4 off, v[6:9], off
	scratch_store_dwordx4 off, v[2:5], s0
.LBB70_68:
	scratch_load_dwordx4 v[0:3], off, off
	s_waitcnt vmcnt(0)
	flat_store_dwordx4 v[14:15], v[0:3]
	scratch_load_dwordx4 v[0:3], off, s23
	s_waitcnt vmcnt(0)
	flat_store_dwordx4 v[16:17], v[0:3]
	scratch_load_dwordx4 v[0:3], off, s22
	;; [unrolled: 3-line block ×6, first 2 shown]
	s_waitcnt vmcnt(0)
	flat_store_dwordx4 v[26:27], v[0:3]
	s_endpgm
	.section	.rodata,"a",@progbits
	.p2align	6, 0x0
	.amdhsa_kernel _ZN9rocsolver6v33100L18getri_kernel_smallILi7E19rocblas_complex_numIdEPKPS3_EEvT1_iilPiilS8_bb
		.amdhsa_group_segment_fixed_size 1256
		.amdhsa_private_segment_fixed_size 128
		.amdhsa_kernarg_size 60
		.amdhsa_user_sgpr_count 4
		.amdhsa_user_sgpr_dispatch_ptr 1
		.amdhsa_user_sgpr_queue_ptr 0
		.amdhsa_user_sgpr_kernarg_segment_ptr 1
		.amdhsa_user_sgpr_dispatch_id 0
		.amdhsa_user_sgpr_kernarg_preload_length 0
		.amdhsa_user_sgpr_kernarg_preload_offset 0
		.amdhsa_user_sgpr_private_segment_size 0
		.amdhsa_uses_dynamic_stack 0
		.amdhsa_enable_private_segment 1
		.amdhsa_system_sgpr_workgroup_id_x 1
		.amdhsa_system_sgpr_workgroup_id_y 0
		.amdhsa_system_sgpr_workgroup_id_z 0
		.amdhsa_system_sgpr_workgroup_info 0
		.amdhsa_system_vgpr_workitem_id 2
		.amdhsa_next_free_vgpr 80
		.amdhsa_next_free_sgpr 24
		.amdhsa_accum_offset 80
		.amdhsa_reserve_vcc 1
		.amdhsa_float_round_mode_32 0
		.amdhsa_float_round_mode_16_64 0
		.amdhsa_float_denorm_mode_32 3
		.amdhsa_float_denorm_mode_16_64 3
		.amdhsa_dx10_clamp 1
		.amdhsa_ieee_mode 1
		.amdhsa_fp16_overflow 0
		.amdhsa_tg_split 0
		.amdhsa_exception_fp_ieee_invalid_op 0
		.amdhsa_exception_fp_denorm_src 0
		.amdhsa_exception_fp_ieee_div_zero 0
		.amdhsa_exception_fp_ieee_overflow 0
		.amdhsa_exception_fp_ieee_underflow 0
		.amdhsa_exception_fp_ieee_inexact 0
		.amdhsa_exception_int_div_zero 0
	.end_amdhsa_kernel
	.section	.text._ZN9rocsolver6v33100L18getri_kernel_smallILi7E19rocblas_complex_numIdEPKPS3_EEvT1_iilPiilS8_bb,"axG",@progbits,_ZN9rocsolver6v33100L18getri_kernel_smallILi7E19rocblas_complex_numIdEPKPS3_EEvT1_iilPiilS8_bb,comdat
.Lfunc_end70:
	.size	_ZN9rocsolver6v33100L18getri_kernel_smallILi7E19rocblas_complex_numIdEPKPS3_EEvT1_iilPiilS8_bb, .Lfunc_end70-_ZN9rocsolver6v33100L18getri_kernel_smallILi7E19rocblas_complex_numIdEPKPS3_EEvT1_iilPiilS8_bb
                                        ; -- End function
	.set _ZN9rocsolver6v33100L18getri_kernel_smallILi7E19rocblas_complex_numIdEPKPS3_EEvT1_iilPiilS8_bb.num_vgpr, 80
	.set _ZN9rocsolver6v33100L18getri_kernel_smallILi7E19rocblas_complex_numIdEPKPS3_EEvT1_iilPiilS8_bb.num_agpr, 0
	.set _ZN9rocsolver6v33100L18getri_kernel_smallILi7E19rocblas_complex_numIdEPKPS3_EEvT1_iilPiilS8_bb.numbered_sgpr, 24
	.set _ZN9rocsolver6v33100L18getri_kernel_smallILi7E19rocblas_complex_numIdEPKPS3_EEvT1_iilPiilS8_bb.num_named_barrier, 0
	.set _ZN9rocsolver6v33100L18getri_kernel_smallILi7E19rocblas_complex_numIdEPKPS3_EEvT1_iilPiilS8_bb.private_seg_size, 128
	.set _ZN9rocsolver6v33100L18getri_kernel_smallILi7E19rocblas_complex_numIdEPKPS3_EEvT1_iilPiilS8_bb.uses_vcc, 1
	.set _ZN9rocsolver6v33100L18getri_kernel_smallILi7E19rocblas_complex_numIdEPKPS3_EEvT1_iilPiilS8_bb.uses_flat_scratch, 0
	.set _ZN9rocsolver6v33100L18getri_kernel_smallILi7E19rocblas_complex_numIdEPKPS3_EEvT1_iilPiilS8_bb.has_dyn_sized_stack, 0
	.set _ZN9rocsolver6v33100L18getri_kernel_smallILi7E19rocblas_complex_numIdEPKPS3_EEvT1_iilPiilS8_bb.has_recursion, 0
	.set _ZN9rocsolver6v33100L18getri_kernel_smallILi7E19rocblas_complex_numIdEPKPS3_EEvT1_iilPiilS8_bb.has_indirect_call, 0
	.section	.AMDGPU.csdata,"",@progbits
; Kernel info:
; codeLenInByte = 5172
; TotalNumSgprs: 30
; NumVgprs: 80
; NumAgprs: 0
; TotalNumVgprs: 80
; ScratchSize: 128
; MemoryBound: 0
; FloatMode: 240
; IeeeMode: 1
; LDSByteSize: 1256 bytes/workgroup (compile time only)
; SGPRBlocks: 3
; VGPRBlocks: 9
; NumSGPRsForWavesPerEU: 30
; NumVGPRsForWavesPerEU: 80
; AccumOffset: 80
; Occupancy: 6
; WaveLimiterHint : 1
; COMPUTE_PGM_RSRC2:SCRATCH_EN: 1
; COMPUTE_PGM_RSRC2:USER_SGPR: 4
; COMPUTE_PGM_RSRC2:TRAP_HANDLER: 0
; COMPUTE_PGM_RSRC2:TGID_X_EN: 1
; COMPUTE_PGM_RSRC2:TGID_Y_EN: 0
; COMPUTE_PGM_RSRC2:TGID_Z_EN: 0
; COMPUTE_PGM_RSRC2:TIDIG_COMP_CNT: 2
; COMPUTE_PGM_RSRC3_GFX90A:ACCUM_OFFSET: 19
; COMPUTE_PGM_RSRC3_GFX90A:TG_SPLIT: 0
	.section	.text._ZN9rocsolver6v33100L18getri_kernel_smallILi8E19rocblas_complex_numIdEPKPS3_EEvT1_iilPiilS8_bb,"axG",@progbits,_ZN9rocsolver6v33100L18getri_kernel_smallILi8E19rocblas_complex_numIdEPKPS3_EEvT1_iilPiilS8_bb,comdat
	.globl	_ZN9rocsolver6v33100L18getri_kernel_smallILi8E19rocblas_complex_numIdEPKPS3_EEvT1_iilPiilS8_bb ; -- Begin function _ZN9rocsolver6v33100L18getri_kernel_smallILi8E19rocblas_complex_numIdEPKPS3_EEvT1_iilPiilS8_bb
	.p2align	8
	.type	_ZN9rocsolver6v33100L18getri_kernel_smallILi8E19rocblas_complex_numIdEPKPS3_EEvT1_iilPiilS8_bb,@function
_ZN9rocsolver6v33100L18getri_kernel_smallILi8E19rocblas_complex_numIdEPKPS3_EEvT1_iilPiilS8_bb: ; @_ZN9rocsolver6v33100L18getri_kernel_smallILi8E19rocblas_complex_numIdEPKPS3_EEvT1_iilPiilS8_bb
; %bb.0:
	v_and_b32_e32 v1, 0x3ff, v0
	v_cmp_gt_u32_e32 vcc, 8, v1
	s_and_saveexec_b64 s[6:7], vcc
	s_cbranch_execz .LBB71_46
; %bb.1:
	s_load_dword s16, s[2:3], 0x38
	s_load_dwordx2 s[6:7], s[2:3], 0x0
	s_load_dwordx4 s[8:11], s[2:3], 0x28
	s_waitcnt lgkmcnt(0)
	s_bitcmp1_b32 s16, 8
	s_cselect_b64 s[14:15], -1, 0
	s_ashr_i32 s5, s4, 31
	s_lshl_b64 s[12:13], s[4:5], 3
	s_add_u32 s6, s6, s12
	s_addc_u32 s7, s7, s13
	s_load_dwordx2 s[6:7], s[6:7], 0x0
	s_bfe_u32 s12, s16, 0x10008
	s_cmp_eq_u32 s12, 0
                                        ; implicit-def: $sgpr12_sgpr13
	s_cbranch_scc1 .LBB71_3
; %bb.2:
	s_load_dword s12, s[2:3], 0x20
	s_load_dwordx2 s[16:17], s[2:3], 0x18
	s_mul_i32 s13, s8, s5
	s_mul_hi_u32 s18, s8, s4
	s_add_i32 s18, s18, s13
	s_mul_i32 s9, s9, s4
	s_add_i32 s9, s18, s9
	s_mul_i32 s8, s8, s4
	s_waitcnt lgkmcnt(0)
	s_ashr_i32 s13, s12, 31
	s_lshl_b64 s[8:9], s[8:9], 2
	s_add_u32 s16, s16, s8
	s_addc_u32 s17, s17, s9
	s_lshl_b64 s[8:9], s[12:13], 2
	s_add_u32 s12, s16, s8
	s_addc_u32 s13, s17, s9
.LBB71_3:
	s_load_dwordx2 s[8:9], s[2:3], 0x8
	s_load_dword s16, s[2:3], 0x38
	v_lshlrev_b32_e32 v30, 4, v1
	v_mov_b32_e32 v31, 0
	s_movk_i32 s20, 0x50
	s_waitcnt lgkmcnt(0)
	s_ashr_i32 s3, s8, 31
	s_mov_b32 s2, s8
	s_lshl_b64 s[2:3], s[2:3], 4
	s_add_u32 s2, s6, s2
	s_addc_u32 s3, s7, s3
	v_lshl_add_u64 v[14:15], s[2:3], 0, v[30:31]
	flat_load_dwordx4 v[2:5], v[14:15]
	s_mov_b32 s6, s9
	s_ashr_i32 s7, s9, 31
	v_lshl_add_u64 v[16:17], s[6:7], 4, v[14:15]
	s_add_i32 s6, s9, s9
	v_add_u32_e32 v6, s6, v1
	v_ashrrev_i32_e32 v7, 31, v6
	v_lshl_add_u64 v[18:19], v[6:7], 4, s[2:3]
	v_add_u32_e32 v6, s9, v6
	v_ashrrev_i32_e32 v7, 31, v6
	v_lshl_add_u64 v[20:21], v[6:7], 4, s[2:3]
	;; [unrolled: 3-line block ×6, first 2 shown]
	s_movk_i32 s19, 0x60
	s_movk_i32 s18, 0x70
	s_mov_b32 s24, 16
	s_mov_b32 s23, 32
	s_mov_b32 s22, 48
	s_mov_b32 s21, 64
	s_bitcmp0_b32 s16, 0
	s_mov_b64 s[6:7], -1
	s_waitcnt vmcnt(0) lgkmcnt(0)
	scratch_store_dwordx4 off, v[2:5], off
	flat_load_dwordx4 v[2:5], v[16:17]
	s_waitcnt vmcnt(0) lgkmcnt(0)
	scratch_store_dwordx4 off, v[2:5], off offset:16
	flat_load_dwordx4 v[2:5], v[18:19]
	s_waitcnt vmcnt(0) lgkmcnt(0)
	scratch_store_dwordx4 off, v[2:5], off offset:32
	;; [unrolled: 3-line block ×7, first 2 shown]
	s_cbranch_scc1 .LBB71_44
; %bb.4:
	v_cmp_eq_u32_e64 s[2:3], 0, v1
	s_and_saveexec_b64 s[6:7], s[2:3]
; %bb.5:
	v_mov_b32_e32 v2, 0
	ds_write_b32 v2, v2 offset:256
; %bb.6:
	s_or_b64 exec, exec, s[6:7]
	s_waitcnt lgkmcnt(0)
	; wave barrier
	scratch_load_dwordx4 v[2:5], v30, off
	s_waitcnt vmcnt(0)
	v_cmp_eq_f64_e32 vcc, 0, v[2:3]
	v_cmp_eq_f64_e64 s[6:7], 0, v[4:5]
	s_and_b64 s[6:7], vcc, s[6:7]
	s_and_saveexec_b64 s[8:9], s[6:7]
	s_cbranch_execz .LBB71_10
; %bb.7:
	v_mov_b32_e32 v2, 0
	ds_read_b32 v4, v2 offset:256
	v_add_u32_e32 v3, 1, v1
	s_waitcnt lgkmcnt(0)
	v_readfirstlane_b32 s6, v4
	s_cmp_eq_u32 s6, 0
	s_cselect_b64 s[16:17], -1, 0
	v_cmp_gt_i32_e32 vcc, s6, v3
	s_or_b64 s[16:17], s[16:17], vcc
	s_and_b64 exec, exec, s[16:17]
	s_cbranch_execz .LBB71_10
; %bb.8:
	s_mov_b64 s[16:17], 0
	v_mov_b32_e32 v4, s6
.LBB71_9:                               ; =>This Inner Loop Header: Depth=1
	ds_cmpst_rtn_b32 v4, v2, v4, v3 offset:256
	s_waitcnt lgkmcnt(0)
	v_cmp_ne_u32_e32 vcc, 0, v4
	v_cmp_le_i32_e64 s[6:7], v4, v3
	s_and_b64 s[6:7], vcc, s[6:7]
	s_and_b64 s[6:7], exec, s[6:7]
	s_or_b64 s[16:17], s[6:7], s[16:17]
	s_andn2_b64 exec, exec, s[16:17]
	s_cbranch_execnz .LBB71_9
.LBB71_10:
	s_or_b64 exec, exec, s[8:9]
	v_mov_b32_e32 v3, 0
	; wave barrier
	ds_read_b32 v2, v3 offset:256
	s_and_saveexec_b64 s[6:7], s[2:3]
	s_cbranch_execz .LBB71_12
; %bb.11:
	s_lshl_b64 s[8:9], s[4:5], 2
	s_add_u32 s8, s10, s8
	s_addc_u32 s9, s11, s9
	s_waitcnt lgkmcnt(0)
	global_store_dword v3, v2, s[8:9]
.LBB71_12:
	s_or_b64 exec, exec, s[6:7]
	s_waitcnt lgkmcnt(0)
	v_cmp_ne_u32_e32 vcc, 0, v2
	s_mov_b64 s[6:7], 0
	s_cbranch_vccnz .LBB71_44
; %bb.13:
	v_mov_b32_e32 v31, v30
	scratch_load_dwordx4 v[2:5], v31, off
                                        ; implicit-def: $vgpr6_vgpr7
                                        ; implicit-def: $vgpr10_vgpr11
	s_waitcnt vmcnt(0)
	v_cmp_ngt_f64_e64 s[6:7], |v[2:3]|, |v[4:5]|
	s_and_saveexec_b64 s[8:9], s[6:7]
	s_xor_b64 s[6:7], exec, s[8:9]
	s_cbranch_execz .LBB71_15
; %bb.14:
	v_div_scale_f64 v[6:7], s[8:9], v[4:5], v[4:5], v[2:3]
	v_rcp_f64_e32 v[8:9], v[6:7]
	v_div_scale_f64 v[10:11], vcc, v[2:3], v[4:5], v[2:3]
	v_fma_f64 v[12:13], -v[6:7], v[8:9], 1.0
	v_fmac_f64_e32 v[8:9], v[8:9], v[12:13]
	v_fma_f64 v[12:13], -v[6:7], v[8:9], 1.0
	v_fmac_f64_e32 v[8:9], v[8:9], v[12:13]
	v_mul_f64 v[12:13], v[10:11], v[8:9]
	v_fma_f64 v[6:7], -v[6:7], v[12:13], v[10:11]
	v_div_fmas_f64 v[6:7], v[6:7], v[8:9], v[12:13]
	v_div_fixup_f64 v[6:7], v[6:7], v[4:5], v[2:3]
	v_fmac_f64_e32 v[4:5], v[2:3], v[6:7]
	v_div_scale_f64 v[2:3], s[8:9], v[4:5], v[4:5], 1.0
	v_rcp_f64_e32 v[8:9], v[2:3]
	s_nop 0
	v_fma_f64 v[10:11], -v[2:3], v[8:9], 1.0
	v_fmac_f64_e32 v[8:9], v[8:9], v[10:11]
	v_fma_f64 v[10:11], -v[2:3], v[8:9], 1.0
	v_fmac_f64_e32 v[8:9], v[8:9], v[10:11]
	v_div_scale_f64 v[10:11], vcc, 1.0, v[4:5], 1.0
	v_mul_f64 v[12:13], v[10:11], v[8:9]
	v_fma_f64 v[2:3], -v[2:3], v[12:13], v[10:11]
	s_nop 1
	v_div_fmas_f64 v[2:3], v[2:3], v[8:9], v[12:13]
	v_div_fixup_f64 v[8:9], v[2:3], v[4:5], 1.0
	v_mul_f64 v[6:7], v[6:7], v[8:9]
	v_xor_b32_e32 v9, 0x80000000, v9
	v_xor_b32_e32 v11, 0x80000000, v7
	v_mov_b32_e32 v10, v6
                                        ; implicit-def: $vgpr2_vgpr3
.LBB71_15:
	s_andn2_saveexec_b64 s[6:7], s[6:7]
	s_cbranch_execz .LBB71_17
; %bb.16:
	v_div_scale_f64 v[6:7], s[8:9], v[2:3], v[2:3], v[4:5]
	v_rcp_f64_e32 v[8:9], v[6:7]
	v_div_scale_f64 v[10:11], vcc, v[4:5], v[2:3], v[4:5]
	v_fma_f64 v[12:13], -v[6:7], v[8:9], 1.0
	v_fmac_f64_e32 v[8:9], v[8:9], v[12:13]
	v_fma_f64 v[12:13], -v[6:7], v[8:9], 1.0
	v_fmac_f64_e32 v[8:9], v[8:9], v[12:13]
	v_mul_f64 v[12:13], v[10:11], v[8:9]
	v_fma_f64 v[6:7], -v[6:7], v[12:13], v[10:11]
	v_div_fmas_f64 v[6:7], v[6:7], v[8:9], v[12:13]
	v_div_fixup_f64 v[8:9], v[6:7], v[2:3], v[4:5]
	v_fmac_f64_e32 v[2:3], v[4:5], v[8:9]
	v_div_scale_f64 v[4:5], s[8:9], v[2:3], v[2:3], 1.0
	v_rcp_f64_e32 v[6:7], v[4:5]
	s_nop 0
	v_fma_f64 v[10:11], -v[4:5], v[6:7], 1.0
	v_fmac_f64_e32 v[6:7], v[6:7], v[10:11]
	v_fma_f64 v[10:11], -v[4:5], v[6:7], 1.0
	v_fmac_f64_e32 v[6:7], v[6:7], v[10:11]
	v_div_scale_f64 v[10:11], vcc, 1.0, v[2:3], 1.0
	v_mul_f64 v[12:13], v[10:11], v[6:7]
	v_fma_f64 v[4:5], -v[4:5], v[12:13], v[10:11]
	s_nop 1
	v_div_fmas_f64 v[4:5], v[4:5], v[6:7], v[12:13]
	v_div_fixup_f64 v[6:7], v[4:5], v[2:3], 1.0
	v_xor_b32_e32 v11, 0x80000000, v7
	v_mov_b32_e32 v10, v6
	v_mul_f64 v[8:9], v[8:9], -v[6:7]
.LBB71_17:
	s_or_b64 exec, exec, s[6:7]
	scratch_store_dwordx4 v31, v[6:9], off
	scratch_load_dwordx4 v[2:5], off, s24
	v_xor_b32_e32 v13, 0x80000000, v9
	v_mov_b32_e32 v12, v8
	v_add_u32_e32 v6, 0x80, v30
	ds_write_b128 v30, v[10:13]
	s_waitcnt vmcnt(0)
	ds_write_b128 v30, v[2:5] offset:128
	s_waitcnt lgkmcnt(0)
	; wave barrier
	s_and_saveexec_b64 s[6:7], s[2:3]
	s_cbranch_execz .LBB71_19
; %bb.18:
	scratch_load_dwordx4 v[2:5], v31, off
	ds_read_b128 v[8:11], v6
	v_mov_b32_e32 v7, 0
	ds_read_b128 v[32:35], v7 offset:16
	s_waitcnt vmcnt(0) lgkmcnt(1)
	v_mul_f64 v[12:13], v[10:11], v[4:5]
	v_mul_f64 v[4:5], v[8:9], v[4:5]
	v_fma_f64 v[8:9], v[8:9], v[2:3], -v[12:13]
	v_fmac_f64_e32 v[4:5], v[10:11], v[2:3]
	v_add_f64 v[2:3], v[8:9], 0
	v_add_f64 v[8:9], v[4:5], 0
	s_waitcnt lgkmcnt(0)
	v_mul_f64 v[10:11], v[8:9], v[34:35]
	v_mul_f64 v[4:5], v[2:3], v[34:35]
	v_fma_f64 v[2:3], v[2:3], v[32:33], -v[10:11]
	v_fmac_f64_e32 v[4:5], v[8:9], v[32:33]
	scratch_store_dwordx4 off, v[2:5], off offset:16
.LBB71_19:
	s_or_b64 exec, exec, s[6:7]
	; wave barrier
	scratch_load_dwordx4 v[2:5], off, s23
	v_cmp_gt_u32_e32 vcc, 2, v1
	s_waitcnt vmcnt(0)
	ds_write_b128 v6, v[2:5]
	s_waitcnt lgkmcnt(0)
	; wave barrier
	s_and_saveexec_b64 s[6:7], vcc
	s_cbranch_execz .LBB71_23
; %bb.20:
	scratch_load_dwordx4 v[2:5], v31, off
	ds_read_b128 v[8:11], v6
	s_waitcnt vmcnt(0) lgkmcnt(0)
	v_mul_f64 v[12:13], v[10:11], v[4:5]
	v_mul_f64 v[32:33], v[8:9], v[4:5]
	v_fma_f64 v[4:5], v[8:9], v[2:3], -v[12:13]
	v_fmac_f64_e32 v[32:33], v[10:11], v[2:3]
	v_add_f64 v[4:5], v[4:5], 0
	v_add_f64 v[2:3], v[32:33], 0
	s_and_saveexec_b64 s[8:9], s[2:3]
	s_cbranch_execz .LBB71_22
; %bb.21:
	scratch_load_dwordx4 v[8:11], off, off offset:16
	v_mov_b32_e32 v7, 0
	ds_read_b128 v[32:35], v7 offset:144
	s_waitcnt vmcnt(0) lgkmcnt(0)
	v_mul_f64 v[12:13], v[32:33], v[10:11]
	v_mul_f64 v[10:11], v[34:35], v[10:11]
	v_fmac_f64_e32 v[12:13], v[34:35], v[8:9]
	v_fma_f64 v[8:9], v[32:33], v[8:9], -v[10:11]
	v_add_f64 v[2:3], v[2:3], v[12:13]
	v_add_f64 v[4:5], v[4:5], v[8:9]
.LBB71_22:
	s_or_b64 exec, exec, s[8:9]
	v_mov_b32_e32 v7, 0
	ds_read_b128 v[8:11], v7 offset:32
	s_waitcnt lgkmcnt(0)
	v_mul_f64 v[32:33], v[2:3], v[10:11]
	v_mul_f64 v[12:13], v[4:5], v[10:11]
	v_fma_f64 v[10:11], v[4:5], v[8:9], -v[32:33]
	v_fmac_f64_e32 v[12:13], v[2:3], v[8:9]
	scratch_store_dwordx4 off, v[10:13], off offset:32
.LBB71_23:
	s_or_b64 exec, exec, s[6:7]
	; wave barrier
	scratch_load_dwordx4 v[2:5], off, s22
	v_cmp_gt_u32_e32 vcc, 3, v1
	v_add_u32_e32 v7, -1, v1
	s_waitcnt vmcnt(0)
	ds_write_b128 v6, v[2:5]
	s_waitcnt lgkmcnt(0)
	; wave barrier
	s_and_saveexec_b64 s[2:3], vcc
	s_cbranch_execz .LBB71_27
; %bb.24:
	v_add_u32_e32 v8, -1, v1
	v_add_u32_e32 v9, 0x80, v30
	v_mov_b32_e32 v10, v30
	v_mov_b64_e32 v[2:3], 0
	s_mov_b64 s[6:7], 0
	v_mov_b64_e32 v[4:5], 0
.LBB71_25:                              ; =>This Inner Loop Header: Depth=1
	scratch_load_dwordx4 v[32:35], v10, off
	ds_read_b128 v[36:39], v9
	v_add_u32_e32 v8, 1, v8
	v_cmp_lt_u32_e32 vcc, 1, v8
	v_add_u32_e32 v9, 16, v9
	v_add_u32_e32 v10, 16, v10
	s_or_b64 s[6:7], vcc, s[6:7]
	s_waitcnt vmcnt(0) lgkmcnt(0)
	v_mul_f64 v[12:13], v[38:39], v[34:35]
	v_mul_f64 v[34:35], v[36:37], v[34:35]
	v_fma_f64 v[12:13], v[36:37], v[32:33], -v[12:13]
	v_fmac_f64_e32 v[34:35], v[38:39], v[32:33]
	v_add_f64 v[4:5], v[4:5], v[12:13]
	v_add_f64 v[2:3], v[2:3], v[34:35]
	s_andn2_b64 exec, exec, s[6:7]
	s_cbranch_execnz .LBB71_25
; %bb.26:
	s_or_b64 exec, exec, s[6:7]
	v_mov_b32_e32 v8, 0
	ds_read_b128 v[8:11], v8 offset:48
	s_waitcnt lgkmcnt(0)
	v_mul_f64 v[32:33], v[2:3], v[10:11]
	v_mul_f64 v[12:13], v[4:5], v[10:11]
	v_fma_f64 v[10:11], v[4:5], v[8:9], -v[32:33]
	v_fmac_f64_e32 v[12:13], v[2:3], v[8:9]
	scratch_store_dwordx4 off, v[10:13], off offset:48
.LBB71_27:
	s_or_b64 exec, exec, s[2:3]
	; wave barrier
	scratch_load_dwordx4 v[2:5], off, s21
	v_cmp_gt_u32_e32 vcc, 4, v1
	s_waitcnt vmcnt(0)
	ds_write_b128 v6, v[2:5]
	s_waitcnt lgkmcnt(0)
	; wave barrier
	s_and_saveexec_b64 s[2:3], vcc
	s_cbranch_execz .LBB71_31
; %bb.28:
	v_add_u32_e32 v8, -1, v1
	v_add_u32_e32 v9, 0x80, v30
	v_mov_b32_e32 v10, v30
	v_mov_b64_e32 v[2:3], 0
	s_mov_b64 s[6:7], 0
	v_mov_b64_e32 v[4:5], 0
.LBB71_29:                              ; =>This Inner Loop Header: Depth=1
	scratch_load_dwordx4 v[32:35], v10, off
	ds_read_b128 v[36:39], v9
	v_add_u32_e32 v8, 1, v8
	v_cmp_lt_u32_e32 vcc, 2, v8
	v_add_u32_e32 v9, 16, v9
	v_add_u32_e32 v10, 16, v10
	s_or_b64 s[6:7], vcc, s[6:7]
	s_waitcnt vmcnt(0) lgkmcnt(0)
	v_mul_f64 v[12:13], v[38:39], v[34:35]
	v_mul_f64 v[34:35], v[36:37], v[34:35]
	v_fma_f64 v[12:13], v[36:37], v[32:33], -v[12:13]
	v_fmac_f64_e32 v[34:35], v[38:39], v[32:33]
	v_add_f64 v[4:5], v[4:5], v[12:13]
	v_add_f64 v[2:3], v[2:3], v[34:35]
	s_andn2_b64 exec, exec, s[6:7]
	s_cbranch_execnz .LBB71_29
; %bb.30:
	s_or_b64 exec, exec, s[6:7]
	v_mov_b32_e32 v8, 0
	ds_read_b128 v[8:11], v8 offset:64
	s_waitcnt lgkmcnt(0)
	v_mul_f64 v[32:33], v[2:3], v[10:11]
	v_mul_f64 v[12:13], v[4:5], v[10:11]
	v_fma_f64 v[10:11], v[4:5], v[8:9], -v[32:33]
	v_fmac_f64_e32 v[12:13], v[2:3], v[8:9]
	scratch_store_dwordx4 off, v[10:13], off offset:64
.LBB71_31:
	s_or_b64 exec, exec, s[2:3]
	; wave barrier
	scratch_load_dwordx4 v[2:5], off, s20
	v_cmp_gt_u32_e32 vcc, 5, v1
	;; [unrolled: 45-line block ×3, first 2 shown]
	s_waitcnt vmcnt(0)
	ds_write_b128 v6, v[2:5]
	s_waitcnt lgkmcnt(0)
	; wave barrier
	s_and_saveexec_b64 s[2:3], vcc
	s_cbranch_execz .LBB71_39
; %bb.36:
	v_add_u32_e32 v8, -1, v1
	v_add_u32_e32 v9, 0x80, v30
	v_mov_b32_e32 v10, v30
	v_mov_b64_e32 v[2:3], 0
	s_mov_b64 s[6:7], 0
	v_mov_b64_e32 v[4:5], 0
.LBB71_37:                              ; =>This Inner Loop Header: Depth=1
	scratch_load_dwordx4 v[32:35], v10, off
	ds_read_b128 v[36:39], v9
	v_add_u32_e32 v8, 1, v8
	v_cmp_lt_u32_e32 vcc, 4, v8
	v_add_u32_e32 v9, 16, v9
	v_add_u32_e32 v10, 16, v10
	s_or_b64 s[6:7], vcc, s[6:7]
	s_waitcnt vmcnt(0) lgkmcnt(0)
	v_mul_f64 v[12:13], v[38:39], v[34:35]
	v_mul_f64 v[34:35], v[36:37], v[34:35]
	v_fma_f64 v[12:13], v[36:37], v[32:33], -v[12:13]
	v_fmac_f64_e32 v[34:35], v[38:39], v[32:33]
	v_add_f64 v[4:5], v[4:5], v[12:13]
	v_add_f64 v[2:3], v[2:3], v[34:35]
	s_andn2_b64 exec, exec, s[6:7]
	s_cbranch_execnz .LBB71_37
; %bb.38:
	s_or_b64 exec, exec, s[6:7]
	v_mov_b32_e32 v8, 0
	ds_read_b128 v[8:11], v8 offset:96
	s_waitcnt lgkmcnt(0)
	v_mul_f64 v[32:33], v[2:3], v[10:11]
	v_mul_f64 v[12:13], v[4:5], v[10:11]
	v_fma_f64 v[10:11], v[4:5], v[8:9], -v[32:33]
	v_fmac_f64_e32 v[12:13], v[2:3], v[8:9]
	scratch_store_dwordx4 off, v[10:13], off offset:96
.LBB71_39:
	s_or_b64 exec, exec, s[2:3]
	; wave barrier
	scratch_load_dwordx4 v[2:5], off, s18
	v_cmp_ne_u32_e32 vcc, 7, v1
	s_waitcnt vmcnt(0)
	ds_write_b128 v6, v[2:5]
	s_waitcnt lgkmcnt(0)
	; wave barrier
	s_and_saveexec_b64 s[2:3], vcc
	s_cbranch_execz .LBB71_43
; %bb.40:
	v_add_u32_e32 v6, 0x80, v30
	v_mov_b32_e32 v8, v30
	v_mov_b64_e32 v[2:3], 0
	s_mov_b64 s[6:7], 0
	v_mov_b64_e32 v[4:5], 0
.LBB71_41:                              ; =>This Inner Loop Header: Depth=1
	scratch_load_dwordx4 v[10:13], v8, off
	ds_read_b128 v[30:33], v6
	v_add_u32_e32 v7, 1, v7
	v_cmp_lt_u32_e32 vcc, 5, v7
	v_add_u32_e32 v6, 16, v6
	v_add_u32_e32 v8, 16, v8
	s_or_b64 s[6:7], vcc, s[6:7]
	s_waitcnt vmcnt(0) lgkmcnt(0)
	v_mul_f64 v[34:35], v[32:33], v[12:13]
	v_mul_f64 v[12:13], v[30:31], v[12:13]
	v_fma_f64 v[30:31], v[30:31], v[10:11], -v[34:35]
	v_fmac_f64_e32 v[12:13], v[32:33], v[10:11]
	v_add_f64 v[4:5], v[4:5], v[30:31]
	v_add_f64 v[2:3], v[2:3], v[12:13]
	s_andn2_b64 exec, exec, s[6:7]
	s_cbranch_execnz .LBB71_41
; %bb.42:
	s_or_b64 exec, exec, s[6:7]
	v_mov_b32_e32 v6, 0
	ds_read_b128 v[6:9], v6 offset:112
	s_waitcnt lgkmcnt(0)
	v_mul_f64 v[12:13], v[2:3], v[8:9]
	v_mul_f64 v[10:11], v[4:5], v[8:9]
	v_fma_f64 v[8:9], v[4:5], v[6:7], -v[12:13]
	v_fmac_f64_e32 v[10:11], v[2:3], v[6:7]
	scratch_store_dwordx4 off, v[8:11], off offset:112
.LBB71_43:
	s_or_b64 exec, exec, s[2:3]
	s_mov_b64 s[6:7], -1
	; wave barrier
.LBB71_44:
	s_and_b64 vcc, exec, s[6:7]
	s_cbranch_vccz .LBB71_46
; %bb.45:
	s_lshl_b64 s[2:3], s[4:5], 2
	s_add_u32 s2, s10, s2
	s_addc_u32 s3, s11, s3
	v_mov_b32_e32 v2, 0
	global_load_dword v2, v2, s[2:3]
	s_waitcnt vmcnt(0)
	v_cmp_ne_u32_e32 vcc, 0, v2
	s_cbranch_vccz .LBB71_47
.LBB71_46:
	s_endpgm
.LBB71_47:
	v_mov_b32_e32 v2, 0x80
	v_lshl_add_u32 v6, v1, 4, v2
	v_cmp_eq_u32_e32 vcc, 7, v1
	s_and_saveexec_b64 s[2:3], vcc
	s_cbranch_execz .LBB71_49
; %bb.48:
	scratch_load_dwordx4 v[2:5], off, s19
	v_mov_b32_e32 v8, 0
	v_mov_b32_e32 v9, v8
	v_mov_b32_e32 v10, v8
	v_mov_b32_e32 v11, v8
	scratch_store_dwordx4 off, v[8:11], off offset:96
	s_waitcnt vmcnt(1)
	ds_write_b128 v6, v[2:5]
.LBB71_49:
	s_or_b64 exec, exec, s[2:3]
	s_waitcnt lgkmcnt(0)
	; wave barrier
	scratch_load_dwordx4 v[8:11], off, off offset:112
	scratch_load_dwordx4 v[30:33], off, off offset:96
	v_mov_b32_e32 v2, 0
	ds_read_b128 v[34:37], v2 offset:240
	v_cmp_lt_u32_e32 vcc, 5, v1
	s_waitcnt vmcnt(1) lgkmcnt(0)
	v_mul_f64 v[4:5], v[34:35], v[10:11]
	v_mul_f64 v[10:11], v[36:37], v[10:11]
	v_fmac_f64_e32 v[4:5], v[36:37], v[8:9]
	v_fma_f64 v[8:9], v[34:35], v[8:9], -v[10:11]
	v_add_f64 v[4:5], v[4:5], 0
	v_add_f64 v[8:9], v[8:9], 0
	s_waitcnt vmcnt(0)
	v_add_f64 v[8:9], v[30:31], -v[8:9]
	v_add_f64 v[10:11], v[32:33], -v[4:5]
	scratch_store_dwordx4 off, v[8:11], off offset:96
	s_and_saveexec_b64 s[2:3], vcc
	s_cbranch_execz .LBB71_51
; %bb.50:
	scratch_load_dwordx4 v[8:11], off, s20
	v_mov_b32_e32 v3, v2
	v_mov_b32_e32 v4, v2
	;; [unrolled: 1-line block ×3, first 2 shown]
	scratch_store_dwordx4 off, v[2:5], off offset:80
	s_waitcnt vmcnt(1)
	ds_write_b128 v6, v[8:11]
.LBB71_51:
	s_or_b64 exec, exec, s[2:3]
	s_waitcnt lgkmcnt(0)
	; wave barrier
	scratch_load_dwordx4 v[8:11], off, off offset:96
	scratch_load_dwordx4 v[30:33], off, off offset:112
	;; [unrolled: 1-line block ×3, first 2 shown]
	ds_read_b128 v[38:41], v2 offset:224
	ds_read_b128 v[2:5], v2 offset:240
	v_cmp_lt_u32_e32 vcc, 4, v1
	s_waitcnt vmcnt(2) lgkmcnt(1)
	v_mul_f64 v[12:13], v[38:39], v[10:11]
	s_waitcnt vmcnt(1) lgkmcnt(0)
	v_mul_f64 v[42:43], v[2:3], v[32:33]
	v_mul_f64 v[10:11], v[40:41], v[10:11]
	;; [unrolled: 1-line block ×3, first 2 shown]
	v_fmac_f64_e32 v[12:13], v[40:41], v[8:9]
	v_fmac_f64_e32 v[42:43], v[4:5], v[30:31]
	v_fma_f64 v[4:5], v[38:39], v[8:9], -v[10:11]
	v_fma_f64 v[2:3], v[2:3], v[30:31], -v[32:33]
	v_add_f64 v[8:9], v[12:13], 0
	v_add_f64 v[4:5], v[4:5], 0
	;; [unrolled: 1-line block ×4, first 2 shown]
	s_waitcnt vmcnt(0)
	v_add_f64 v[2:3], v[34:35], -v[2:3]
	v_add_f64 v[4:5], v[36:37], -v[8:9]
	scratch_store_dwordx4 off, v[2:5], off offset:80
	s_and_saveexec_b64 s[2:3], vcc
	s_cbranch_execz .LBB71_53
; %bb.52:
	scratch_load_dwordx4 v[2:5], off, s21
	v_mov_b32_e32 v8, 0
	v_mov_b32_e32 v9, v8
	;; [unrolled: 1-line block ×4, first 2 shown]
	scratch_store_dwordx4 off, v[8:11], off offset:64
	s_waitcnt vmcnt(1)
	ds_write_b128 v6, v[2:5]
.LBB71_53:
	s_or_b64 exec, exec, s[2:3]
	s_waitcnt lgkmcnt(0)
	; wave barrier
	scratch_load_dwordx4 v[8:11], off, off offset:80
	scratch_load_dwordx4 v[30:33], off, off offset:96
	;; [unrolled: 1-line block ×4, first 2 shown]
	v_mov_b32_e32 v2, 0
	ds_read_b128 v[42:45], v2 offset:208
	ds_read_b128 v[46:49], v2 offset:224
	;; [unrolled: 1-line block ×3, first 2 shown]
	v_cmp_lt_u32_e32 vcc, 3, v1
	s_waitcnt vmcnt(3) lgkmcnt(2)
	v_mul_f64 v[4:5], v[42:43], v[10:11]
	v_mul_f64 v[10:11], v[44:45], v[10:11]
	s_waitcnt vmcnt(2) lgkmcnt(1)
	v_mul_f64 v[12:13], v[46:47], v[32:33]
	v_mul_f64 v[32:33], v[48:49], v[32:33]
	v_fmac_f64_e32 v[4:5], v[44:45], v[8:9]
	v_fma_f64 v[8:9], v[42:43], v[8:9], -v[10:11]
	s_waitcnt vmcnt(1) lgkmcnt(0)
	v_mul_f64 v[54:55], v[50:51], v[36:37]
	v_mul_f64 v[36:37], v[52:53], v[36:37]
	v_fmac_f64_e32 v[12:13], v[48:49], v[30:31]
	v_fma_f64 v[10:11], v[46:47], v[30:31], -v[32:33]
	v_add_f64 v[4:5], v[4:5], 0
	v_add_f64 v[8:9], v[8:9], 0
	v_fmac_f64_e32 v[54:55], v[52:53], v[34:35]
	v_fma_f64 v[30:31], v[50:51], v[34:35], -v[36:37]
	v_add_f64 v[4:5], v[4:5], v[12:13]
	v_add_f64 v[8:9], v[8:9], v[10:11]
	;; [unrolled: 1-line block ×4, first 2 shown]
	s_waitcnt vmcnt(0)
	v_add_f64 v[8:9], v[38:39], -v[8:9]
	v_add_f64 v[10:11], v[40:41], -v[4:5]
	scratch_store_dwordx4 off, v[8:11], off offset:64
	s_and_saveexec_b64 s[2:3], vcc
	s_cbranch_execz .LBB71_55
; %bb.54:
	scratch_load_dwordx4 v[8:11], off, s22
	v_mov_b32_e32 v3, v2
	v_mov_b32_e32 v4, v2
	;; [unrolled: 1-line block ×3, first 2 shown]
	scratch_store_dwordx4 off, v[2:5], off offset:48
	s_waitcnt vmcnt(1)
	ds_write_b128 v6, v[8:11]
.LBB71_55:
	s_or_b64 exec, exec, s[2:3]
	s_waitcnt lgkmcnt(0)
	; wave barrier
	scratch_load_dwordx4 v[8:11], off, off offset:64
	scratch_load_dwordx4 v[30:33], off, off offset:80
	;; [unrolled: 1-line block ×5, first 2 shown]
	ds_read_b128 v[46:49], v2 offset:192
	ds_read_b128 v[50:53], v2 offset:208
	;; [unrolled: 1-line block ×4, first 2 shown]
	v_cmp_lt_u32_e32 vcc, 2, v1
	s_waitcnt vmcnt(4) lgkmcnt(3)
	v_mul_f64 v[12:13], v[46:47], v[10:11]
	v_mul_f64 v[10:11], v[48:49], v[10:11]
	s_waitcnt vmcnt(3) lgkmcnt(2)
	v_mul_f64 v[58:59], v[50:51], v[32:33]
	s_waitcnt vmcnt(1) lgkmcnt(0)
	v_mul_f64 v[62:63], v[2:3], v[40:41]
	v_mul_f64 v[32:33], v[52:53], v[32:33]
	;; [unrolled: 1-line block ×3, first 2 shown]
	v_fmac_f64_e32 v[12:13], v[48:49], v[8:9]
	v_fmac_f64_e32 v[62:63], v[4:5], v[38:39]
	v_fma_f64 v[4:5], v[46:47], v[8:9], -v[10:11]
	v_mul_f64 v[60:61], v[54:55], v[36:37]
	v_mul_f64 v[36:37], v[56:57], v[36:37]
	v_fmac_f64_e32 v[58:59], v[52:53], v[30:31]
	v_fma_f64 v[8:9], v[50:51], v[30:31], -v[32:33]
	v_add_f64 v[12:13], v[12:13], 0
	v_add_f64 v[4:5], v[4:5], 0
	v_fmac_f64_e32 v[60:61], v[56:57], v[34:35]
	v_fma_f64 v[10:11], v[54:55], v[34:35], -v[36:37]
	v_add_f64 v[12:13], v[12:13], v[58:59]
	v_add_f64 v[4:5], v[4:5], v[8:9]
	v_fma_f64 v[2:3], v[2:3], v[38:39], -v[40:41]
	v_add_f64 v[8:9], v[12:13], v[60:61]
	v_add_f64 v[4:5], v[4:5], v[10:11]
	;; [unrolled: 1-line block ×4, first 2 shown]
	s_waitcnt vmcnt(0)
	v_add_f64 v[2:3], v[42:43], -v[2:3]
	v_add_f64 v[4:5], v[44:45], -v[8:9]
	scratch_store_dwordx4 off, v[2:5], off offset:48
	s_and_saveexec_b64 s[2:3], vcc
	s_cbranch_execz .LBB71_57
; %bb.56:
	scratch_load_dwordx4 v[2:5], off, s23
	v_mov_b32_e32 v8, 0
	v_mov_b32_e32 v9, v8
	;; [unrolled: 1-line block ×4, first 2 shown]
	scratch_store_dwordx4 off, v[8:11], off offset:32
	s_waitcnt vmcnt(1)
	ds_write_b128 v6, v[2:5]
.LBB71_57:
	s_or_b64 exec, exec, s[2:3]
	s_waitcnt lgkmcnt(0)
	; wave barrier
	scratch_load_dwordx4 v[8:11], off, off offset:48
	scratch_load_dwordx4 v[30:33], off, off offset:64
	;; [unrolled: 1-line block ×6, first 2 shown]
	v_mov_b32_e32 v2, 0
	ds_read_b128 v[50:53], v2 offset:176
	ds_read_b128 v[54:57], v2 offset:192
	;; [unrolled: 1-line block ×5, first 2 shown]
	v_cmp_lt_u32_e32 vcc, 1, v1
	s_waitcnt vmcnt(5) lgkmcnt(4)
	v_mul_f64 v[4:5], v[50:51], v[10:11]
	v_mul_f64 v[10:11], v[52:53], v[10:11]
	s_waitcnt vmcnt(4) lgkmcnt(3)
	v_mul_f64 v[12:13], v[54:55], v[32:33]
	v_mul_f64 v[32:33], v[56:57], v[32:33]
	v_fmac_f64_e32 v[4:5], v[52:53], v[8:9]
	v_fma_f64 v[8:9], v[50:51], v[8:9], -v[10:11]
	s_waitcnt vmcnt(3) lgkmcnt(2)
	v_mul_f64 v[70:71], v[58:59], v[36:37]
	v_mul_f64 v[36:37], v[60:61], v[36:37]
	v_fmac_f64_e32 v[12:13], v[56:57], v[30:31]
	v_fma_f64 v[10:11], v[54:55], v[30:31], -v[32:33]
	v_add_f64 v[4:5], v[4:5], 0
	v_add_f64 v[8:9], v[8:9], 0
	s_waitcnt vmcnt(2) lgkmcnt(1)
	v_mul_f64 v[72:73], v[62:63], v[40:41]
	v_mul_f64 v[40:41], v[64:65], v[40:41]
	v_fmac_f64_e32 v[70:71], v[60:61], v[34:35]
	v_fma_f64 v[30:31], v[58:59], v[34:35], -v[36:37]
	v_add_f64 v[4:5], v[4:5], v[12:13]
	v_add_f64 v[8:9], v[8:9], v[10:11]
	;; [unrolled: 7-line block ×3, first 2 shown]
	v_fmac_f64_e32 v[74:75], v[68:69], v[42:43]
	v_fma_f64 v[34:35], v[66:67], v[42:43], -v[44:45]
	v_add_f64 v[4:5], v[4:5], v[72:73]
	v_add_f64 v[8:9], v[8:9], v[32:33]
	;; [unrolled: 1-line block ×4, first 2 shown]
	s_waitcnt vmcnt(0)
	v_add_f64 v[8:9], v[46:47], -v[8:9]
	v_add_f64 v[10:11], v[48:49], -v[4:5]
	scratch_store_dwordx4 off, v[8:11], off offset:32
	s_and_saveexec_b64 s[2:3], vcc
	s_cbranch_execz .LBB71_59
; %bb.58:
	scratch_load_dwordx4 v[8:11], off, s24
	v_mov_b32_e32 v3, v2
	v_mov_b32_e32 v4, v2
	;; [unrolled: 1-line block ×3, first 2 shown]
	scratch_store_dwordx4 off, v[2:5], off offset:16
	s_waitcnt vmcnt(1)
	ds_write_b128 v6, v[8:11]
.LBB71_59:
	s_or_b64 exec, exec, s[2:3]
	s_waitcnt lgkmcnt(0)
	; wave barrier
	scratch_load_dwordx4 v[8:11], off, off offset:32
	scratch_load_dwordx4 v[30:33], off, off offset:48
	;; [unrolled: 1-line block ×7, first 2 shown]
	ds_read_b128 v[54:57], v2 offset:160
	ds_read_b128 v[58:61], v2 offset:176
	;; [unrolled: 1-line block ×6, first 2 shown]
	v_cmp_ne_u32_e32 vcc, 0, v1
	s_waitcnt vmcnt(6) lgkmcnt(5)
	v_mul_f64 v[12:13], v[54:55], v[10:11]
	v_mul_f64 v[10:11], v[56:57], v[10:11]
	s_waitcnt vmcnt(5) lgkmcnt(4)
	v_mul_f64 v[74:75], v[58:59], v[32:33]
	v_mul_f64 v[32:33], v[60:61], v[32:33]
	v_fmac_f64_e32 v[12:13], v[56:57], v[8:9]
	s_waitcnt vmcnt(1) lgkmcnt(0)
	v_mul_f64 v[82:83], v[2:3], v[48:49]
	v_fma_f64 v[8:9], v[54:55], v[8:9], -v[10:11]
	v_mul_f64 v[76:77], v[62:63], v[36:37]
	v_mul_f64 v[36:37], v[64:65], v[36:37]
	;; [unrolled: 1-line block ×3, first 2 shown]
	v_fmac_f64_e32 v[74:75], v[60:61], v[30:31]
	v_fmac_f64_e32 v[82:83], v[4:5], v[46:47]
	v_fma_f64 v[4:5], v[58:59], v[30:31], -v[32:33]
	v_add_f64 v[12:13], v[12:13], 0
	v_add_f64 v[8:9], v[8:9], 0
	v_mul_f64 v[78:79], v[66:67], v[40:41]
	v_mul_f64 v[40:41], v[68:69], v[40:41]
	v_fmac_f64_e32 v[76:77], v[64:65], v[34:35]
	v_fma_f64 v[10:11], v[62:63], v[34:35], -v[36:37]
	v_add_f64 v[12:13], v[12:13], v[74:75]
	v_add_f64 v[4:5], v[8:9], v[4:5]
	v_mul_f64 v[80:81], v[70:71], v[44:45]
	v_mul_f64 v[44:45], v[72:73], v[44:45]
	v_fmac_f64_e32 v[78:79], v[68:69], v[38:39]
	v_fma_f64 v[30:31], v[66:67], v[38:39], -v[40:41]
	v_add_f64 v[8:9], v[12:13], v[76:77]
	v_add_f64 v[4:5], v[4:5], v[10:11]
	v_fmac_f64_e32 v[80:81], v[72:73], v[42:43]
	v_fma_f64 v[32:33], v[70:71], v[42:43], -v[44:45]
	v_add_f64 v[8:9], v[8:9], v[78:79]
	v_add_f64 v[4:5], v[4:5], v[30:31]
	v_fma_f64 v[2:3], v[2:3], v[46:47], -v[48:49]
	v_add_f64 v[8:9], v[8:9], v[80:81]
	v_add_f64 v[4:5], v[4:5], v[32:33]
	;; [unrolled: 1-line block ×4, first 2 shown]
	s_waitcnt vmcnt(0)
	v_add_f64 v[2:3], v[50:51], -v[2:3]
	v_add_f64 v[4:5], v[52:53], -v[8:9]
	scratch_store_dwordx4 off, v[2:5], off offset:16
	s_and_saveexec_b64 s[2:3], vcc
	s_cbranch_execz .LBB71_61
; %bb.60:
	scratch_load_dwordx4 v[2:5], off, off
	v_mov_b32_e32 v8, 0
	v_mov_b32_e32 v9, v8
	;; [unrolled: 1-line block ×4, first 2 shown]
	scratch_store_dwordx4 off, v[8:11], off
	s_waitcnt vmcnt(1)
	ds_write_b128 v6, v[2:5]
.LBB71_61:
	s_or_b64 exec, exec, s[2:3]
	s_waitcnt lgkmcnt(0)
	; wave barrier
	scratch_load_dwordx4 v[4:7], off, off offset:16
	scratch_load_dwordx4 v[8:11], off, off offset:32
	;; [unrolled: 1-line block ×7, first 2 shown]
	scratch_load_dwordx4 v[50:53], off, off
	v_mov_b32_e32 v2, 0
	ds_read_b128 v[54:57], v2 offset:144
	ds_read_b128 v[58:61], v2 offset:160
	;; [unrolled: 1-line block ×7, first 2 shown]
	s_and_b64 vcc, exec, s[14:15]
	s_waitcnt vmcnt(7) lgkmcnt(6)
	v_mul_f64 v[12:13], v[54:55], v[6:7]
	v_mul_f64 v[6:7], v[56:57], v[6:7]
	s_waitcnt vmcnt(6) lgkmcnt(5)
	v_mul_f64 v[82:83], v[58:59], v[10:11]
	v_mul_f64 v[10:11], v[60:61], v[10:11]
	v_fmac_f64_e32 v[12:13], v[56:57], v[4:5]
	v_fma_f64 v[4:5], v[54:55], v[4:5], -v[6:7]
	s_waitcnt vmcnt(5) lgkmcnt(4)
	v_mul_f64 v[84:85], v[62:63], v[32:33]
	v_mul_f64 v[32:33], v[64:65], v[32:33]
	v_fmac_f64_e32 v[82:83], v[60:61], v[8:9]
	v_fma_f64 v[6:7], v[58:59], v[8:9], -v[10:11]
	v_add_f64 v[12:13], v[12:13], 0
	v_add_f64 v[4:5], v[4:5], 0
	s_waitcnt vmcnt(4) lgkmcnt(3)
	v_mul_f64 v[86:87], v[66:67], v[36:37]
	v_mul_f64 v[36:37], v[68:69], v[36:37]
	v_fmac_f64_e32 v[84:85], v[64:65], v[30:31]
	v_fma_f64 v[8:9], v[62:63], v[30:31], -v[32:33]
	v_add_f64 v[12:13], v[12:13], v[82:83]
	v_add_f64 v[4:5], v[4:5], v[6:7]
	;; [unrolled: 7-line block ×5, first 2 shown]
	v_fmac_f64_e32 v[92:93], v[80:81], v[46:47]
	v_fma_f64 v[34:35], v[78:79], v[46:47], -v[48:49]
	v_add_f64 v[6:7], v[6:7], v[90:91]
	v_add_f64 v[4:5], v[4:5], v[32:33]
	;; [unrolled: 1-line block ×4, first 2 shown]
	s_waitcnt vmcnt(0)
	v_add_f64 v[4:5], v[50:51], -v[4:5]
	v_add_f64 v[6:7], v[52:53], -v[6:7]
	scratch_store_dwordx4 off, v[4:7], off
	s_cbranch_vccz .LBB71_76
; %bb.62:
	global_load_dword v2, v2, s[12:13] offset:24
	s_load_dwordx2 s[2:3], s[0:1], 0x4
	v_bfe_u32 v3, v0, 10, 10
	v_bfe_u32 v0, v0, 20, 10
	s_waitcnt lgkmcnt(0)
	s_lshr_b32 s0, s2, 16
	s_mul_i32 s0, s0, s3
	v_mul_u32_u24_e32 v1, s0, v1
	v_mul_u32_u24_e32 v3, s3, v3
	v_add3_u32 v0, v1, v3, v0
	v_mov_b32_e32 v1, 0x108
	v_lshl_add_u32 v0, v0, 4, v1
	s_waitcnt vmcnt(0)
	v_readfirstlane_b32 s0, v2
	s_add_i32 s0, s0, -1
	s_cmp_lg_u32 s0, 6
	s_cbranch_scc0 .LBB71_64
; %bb.63:
	s_lshl_b32 s0, s0, 4
	scratch_load_dwordx4 v[2:5], off, s19
	scratch_load_dwordx4 v[6:9], off, s0
	s_waitcnt vmcnt(1)
	ds_write2_b64 v0, v[2:3], v[4:5] offset1:1
	s_waitcnt vmcnt(0)
	scratch_store_dwordx4 off, v[6:9], s19
	scratch_store_dwordx4 off, v[2:5], s0
.LBB71_64:
	v_mov_b32_e32 v1, 0
	global_load_dword v2, v1, s[12:13] offset:20
	s_waitcnt vmcnt(0)
	v_readfirstlane_b32 s0, v2
	s_add_i32 s0, s0, -1
	s_cmp_eq_u32 s0, 5
	s_cbranch_scc1 .LBB71_66
; %bb.65:
	s_lshl_b32 s0, s0, 4
	scratch_load_dwordx4 v[2:5], off, s20
	scratch_load_dwordx4 v[6:9], off, s0
	s_waitcnt vmcnt(1)
	ds_write2_b64 v0, v[2:3], v[4:5] offset1:1
	s_waitcnt vmcnt(0)
	scratch_store_dwordx4 off, v[6:9], s20
	scratch_store_dwordx4 off, v[2:5], s0
.LBB71_66:
	global_load_dword v1, v1, s[12:13] offset:16
	s_waitcnt vmcnt(0)
	v_readfirstlane_b32 s0, v1
	s_add_i32 s0, s0, -1
	s_cmp_eq_u32 s0, 4
	s_cbranch_scc1 .LBB71_68
; %bb.67:
	s_lshl_b32 s0, s0, 4
	scratch_load_dwordx4 v[2:5], off, s21
	scratch_load_dwordx4 v[6:9], off, s0
	s_waitcnt vmcnt(1)
	ds_write2_b64 v0, v[2:3], v[4:5] offset1:1
	s_waitcnt vmcnt(0)
	scratch_store_dwordx4 off, v[6:9], s21
	scratch_store_dwordx4 off, v[2:5], s0
.LBB71_68:
	v_mov_b32_e32 v1, 0
	global_load_dword v2, v1, s[12:13] offset:12
	s_waitcnt vmcnt(0)
	v_readfirstlane_b32 s0, v2
	s_add_i32 s0, s0, -1
	s_cmp_eq_u32 s0, 3
	s_cbranch_scc1 .LBB71_70
; %bb.69:
	s_lshl_b32 s0, s0, 4
	scratch_load_dwordx4 v[2:5], off, s22
	scratch_load_dwordx4 v[6:9], off, s0
	s_waitcnt vmcnt(1)
	ds_write2_b64 v0, v[2:3], v[4:5] offset1:1
	s_waitcnt vmcnt(0)
	scratch_store_dwordx4 off, v[6:9], s22
	scratch_store_dwordx4 off, v[2:5], s0
.LBB71_70:
	global_load_dword v1, v1, s[12:13] offset:8
	s_waitcnt vmcnt(0)
	v_readfirstlane_b32 s0, v1
	s_add_i32 s0, s0, -1
	s_cmp_eq_u32 s0, 2
	s_cbranch_scc1 .LBB71_72
; %bb.71:
	s_lshl_b32 s0, s0, 4
	scratch_load_dwordx4 v[2:5], off, s23
	scratch_load_dwordx4 v[6:9], off, s0
	s_waitcnt vmcnt(1)
	ds_write2_b64 v0, v[2:3], v[4:5] offset1:1
	s_waitcnt vmcnt(0)
	scratch_store_dwordx4 off, v[6:9], s23
	scratch_store_dwordx4 off, v[2:5], s0
.LBB71_72:
	v_mov_b32_e32 v1, 0
	global_load_dword v2, v1, s[12:13] offset:4
	s_waitcnt vmcnt(0)
	v_readfirstlane_b32 s0, v2
	s_add_i32 s0, s0, -1
	s_cmp_eq_u32 s0, 1
	s_cbranch_scc1 .LBB71_74
; %bb.73:
	s_lshl_b32 s0, s0, 4
	scratch_load_dwordx4 v[2:5], off, s24
	scratch_load_dwordx4 v[6:9], off, s0
	s_waitcnt vmcnt(1)
	ds_write2_b64 v0, v[2:3], v[4:5] offset1:1
	s_waitcnt vmcnt(0)
	scratch_store_dwordx4 off, v[6:9], s24
	scratch_store_dwordx4 off, v[2:5], s0
.LBB71_74:
	global_load_dword v1, v1, s[12:13]
	s_waitcnt vmcnt(0)
	v_readfirstlane_b32 s0, v1
	s_add_i32 s0, s0, -1
	s_cmp_eq_u32 s0, 0
	s_cbranch_scc1 .LBB71_76
; %bb.75:
	s_lshl_b32 s0, s0, 4
	scratch_load_dwordx4 v[2:5], off, off
	scratch_load_dwordx4 v[6:9], off, s0
	s_waitcnt vmcnt(1)
	ds_write2_b64 v0, v[2:3], v[4:5] offset1:1
	s_waitcnt vmcnt(0)
	scratch_store_dwordx4 off, v[6:9], off
	scratch_store_dwordx4 off, v[2:5], s0
.LBB71_76:
	scratch_load_dwordx4 v[0:3], off, off
	s_waitcnt vmcnt(0)
	flat_store_dwordx4 v[14:15], v[0:3]
	scratch_load_dwordx4 v[0:3], off, s24
	s_waitcnt vmcnt(0)
	flat_store_dwordx4 v[16:17], v[0:3]
	scratch_load_dwordx4 v[0:3], off, s23
	;; [unrolled: 3-line block ×7, first 2 shown]
	s_waitcnt vmcnt(0)
	flat_store_dwordx4 v[28:29], v[0:3]
	s_endpgm
	.section	.rodata,"a",@progbits
	.p2align	6, 0x0
	.amdhsa_kernel _ZN9rocsolver6v33100L18getri_kernel_smallILi8E19rocblas_complex_numIdEPKPS3_EEvT1_iilPiilS8_bb
		.amdhsa_group_segment_fixed_size 1288
		.amdhsa_private_segment_fixed_size 144
		.amdhsa_kernarg_size 60
		.amdhsa_user_sgpr_count 4
		.amdhsa_user_sgpr_dispatch_ptr 1
		.amdhsa_user_sgpr_queue_ptr 0
		.amdhsa_user_sgpr_kernarg_segment_ptr 1
		.amdhsa_user_sgpr_dispatch_id 0
		.amdhsa_user_sgpr_kernarg_preload_length 0
		.amdhsa_user_sgpr_kernarg_preload_offset 0
		.amdhsa_user_sgpr_private_segment_size 0
		.amdhsa_uses_dynamic_stack 0
		.amdhsa_enable_private_segment 1
		.amdhsa_system_sgpr_workgroup_id_x 1
		.amdhsa_system_sgpr_workgroup_id_y 0
		.amdhsa_system_sgpr_workgroup_id_z 0
		.amdhsa_system_sgpr_workgroup_info 0
		.amdhsa_system_vgpr_workitem_id 2
		.amdhsa_next_free_vgpr 94
		.amdhsa_next_free_sgpr 25
		.amdhsa_accum_offset 96
		.amdhsa_reserve_vcc 1
		.amdhsa_float_round_mode_32 0
		.amdhsa_float_round_mode_16_64 0
		.amdhsa_float_denorm_mode_32 3
		.amdhsa_float_denorm_mode_16_64 3
		.amdhsa_dx10_clamp 1
		.amdhsa_ieee_mode 1
		.amdhsa_fp16_overflow 0
		.amdhsa_tg_split 0
		.amdhsa_exception_fp_ieee_invalid_op 0
		.amdhsa_exception_fp_denorm_src 0
		.amdhsa_exception_fp_ieee_div_zero 0
		.amdhsa_exception_fp_ieee_overflow 0
		.amdhsa_exception_fp_ieee_underflow 0
		.amdhsa_exception_fp_ieee_inexact 0
		.amdhsa_exception_int_div_zero 0
	.end_amdhsa_kernel
	.section	.text._ZN9rocsolver6v33100L18getri_kernel_smallILi8E19rocblas_complex_numIdEPKPS3_EEvT1_iilPiilS8_bb,"axG",@progbits,_ZN9rocsolver6v33100L18getri_kernel_smallILi8E19rocblas_complex_numIdEPKPS3_EEvT1_iilPiilS8_bb,comdat
.Lfunc_end71:
	.size	_ZN9rocsolver6v33100L18getri_kernel_smallILi8E19rocblas_complex_numIdEPKPS3_EEvT1_iilPiilS8_bb, .Lfunc_end71-_ZN9rocsolver6v33100L18getri_kernel_smallILi8E19rocblas_complex_numIdEPKPS3_EEvT1_iilPiilS8_bb
                                        ; -- End function
	.set _ZN9rocsolver6v33100L18getri_kernel_smallILi8E19rocblas_complex_numIdEPKPS3_EEvT1_iilPiilS8_bb.num_vgpr, 94
	.set _ZN9rocsolver6v33100L18getri_kernel_smallILi8E19rocblas_complex_numIdEPKPS3_EEvT1_iilPiilS8_bb.num_agpr, 0
	.set _ZN9rocsolver6v33100L18getri_kernel_smallILi8E19rocblas_complex_numIdEPKPS3_EEvT1_iilPiilS8_bb.numbered_sgpr, 25
	.set _ZN9rocsolver6v33100L18getri_kernel_smallILi8E19rocblas_complex_numIdEPKPS3_EEvT1_iilPiilS8_bb.num_named_barrier, 0
	.set _ZN9rocsolver6v33100L18getri_kernel_smallILi8E19rocblas_complex_numIdEPKPS3_EEvT1_iilPiilS8_bb.private_seg_size, 144
	.set _ZN9rocsolver6v33100L18getri_kernel_smallILi8E19rocblas_complex_numIdEPKPS3_EEvT1_iilPiilS8_bb.uses_vcc, 1
	.set _ZN9rocsolver6v33100L18getri_kernel_smallILi8E19rocblas_complex_numIdEPKPS3_EEvT1_iilPiilS8_bb.uses_flat_scratch, 0
	.set _ZN9rocsolver6v33100L18getri_kernel_smallILi8E19rocblas_complex_numIdEPKPS3_EEvT1_iilPiilS8_bb.has_dyn_sized_stack, 0
	.set _ZN9rocsolver6v33100L18getri_kernel_smallILi8E19rocblas_complex_numIdEPKPS3_EEvT1_iilPiilS8_bb.has_recursion, 0
	.set _ZN9rocsolver6v33100L18getri_kernel_smallILi8E19rocblas_complex_numIdEPKPS3_EEvT1_iilPiilS8_bb.has_indirect_call, 0
	.section	.AMDGPU.csdata,"",@progbits
; Kernel info:
; codeLenInByte = 6064
; TotalNumSgprs: 31
; NumVgprs: 94
; NumAgprs: 0
; TotalNumVgprs: 94
; ScratchSize: 144
; MemoryBound: 0
; FloatMode: 240
; IeeeMode: 1
; LDSByteSize: 1288 bytes/workgroup (compile time only)
; SGPRBlocks: 3
; VGPRBlocks: 11
; NumSGPRsForWavesPerEU: 31
; NumVGPRsForWavesPerEU: 94
; AccumOffset: 96
; Occupancy: 5
; WaveLimiterHint : 1
; COMPUTE_PGM_RSRC2:SCRATCH_EN: 1
; COMPUTE_PGM_RSRC2:USER_SGPR: 4
; COMPUTE_PGM_RSRC2:TRAP_HANDLER: 0
; COMPUTE_PGM_RSRC2:TGID_X_EN: 1
; COMPUTE_PGM_RSRC2:TGID_Y_EN: 0
; COMPUTE_PGM_RSRC2:TGID_Z_EN: 0
; COMPUTE_PGM_RSRC2:TIDIG_COMP_CNT: 2
; COMPUTE_PGM_RSRC3_GFX90A:ACCUM_OFFSET: 23
; COMPUTE_PGM_RSRC3_GFX90A:TG_SPLIT: 0
	.section	.text._ZN9rocsolver6v33100L18getri_kernel_smallILi9E19rocblas_complex_numIdEPKPS3_EEvT1_iilPiilS8_bb,"axG",@progbits,_ZN9rocsolver6v33100L18getri_kernel_smallILi9E19rocblas_complex_numIdEPKPS3_EEvT1_iilPiilS8_bb,comdat
	.globl	_ZN9rocsolver6v33100L18getri_kernel_smallILi9E19rocblas_complex_numIdEPKPS3_EEvT1_iilPiilS8_bb ; -- Begin function _ZN9rocsolver6v33100L18getri_kernel_smallILi9E19rocblas_complex_numIdEPKPS3_EEvT1_iilPiilS8_bb
	.p2align	8
	.type	_ZN9rocsolver6v33100L18getri_kernel_smallILi9E19rocblas_complex_numIdEPKPS3_EEvT1_iilPiilS8_bb,@function
_ZN9rocsolver6v33100L18getri_kernel_smallILi9E19rocblas_complex_numIdEPKPS3_EEvT1_iilPiilS8_bb: ; @_ZN9rocsolver6v33100L18getri_kernel_smallILi9E19rocblas_complex_numIdEPKPS3_EEvT1_iilPiilS8_bb
; %bb.0:
	v_and_b32_e32 v1, 0x3ff, v0
	v_cmp_gt_u32_e32 vcc, 9, v1
	s_and_saveexec_b64 s[6:7], vcc
	s_cbranch_execz .LBB72_50
; %bb.1:
	s_load_dword s16, s[2:3], 0x38
	s_load_dwordx2 s[6:7], s[2:3], 0x0
	s_load_dwordx4 s[8:11], s[2:3], 0x28
	s_waitcnt lgkmcnt(0)
	s_bitcmp1_b32 s16, 8
	s_cselect_b64 s[14:15], -1, 0
	s_ashr_i32 s5, s4, 31
	s_lshl_b64 s[12:13], s[4:5], 3
	s_add_u32 s6, s6, s12
	s_addc_u32 s7, s7, s13
	s_load_dwordx2 s[6:7], s[6:7], 0x0
	s_bfe_u32 s12, s16, 0x10008
	s_cmp_eq_u32 s12, 0
                                        ; implicit-def: $sgpr12_sgpr13
	s_cbranch_scc1 .LBB72_3
; %bb.2:
	s_load_dword s12, s[2:3], 0x20
	s_load_dwordx2 s[16:17], s[2:3], 0x18
	s_mul_i32 s13, s8, s5
	s_mul_hi_u32 s18, s8, s4
	s_add_i32 s18, s18, s13
	s_mul_i32 s9, s9, s4
	s_add_i32 s9, s18, s9
	s_mul_i32 s8, s8, s4
	s_waitcnt lgkmcnt(0)
	s_ashr_i32 s13, s12, 31
	s_lshl_b64 s[8:9], s[8:9], 2
	s_add_u32 s16, s16, s8
	s_addc_u32 s17, s17, s9
	s_lshl_b64 s[8:9], s[12:13], 2
	s_add_u32 s12, s16, s8
	s_addc_u32 s13, s17, s9
.LBB72_3:
	s_load_dwordx2 s[8:9], s[2:3], 0x8
	s_load_dword s16, s[2:3], 0x38
	v_lshlrev_b32_e32 v32, 4, v1
	v_mov_b32_e32 v33, 0
	s_movk_i32 s21, 0x50
	s_waitcnt lgkmcnt(0)
	s_ashr_i32 s3, s8, 31
	s_mov_b32 s2, s8
	s_lshl_b64 s[2:3], s[2:3], 4
	s_add_u32 s2, s6, s2
	s_addc_u32 s3, s7, s3
	v_lshl_add_u64 v[14:15], s[2:3], 0, v[32:33]
	flat_load_dwordx4 v[2:5], v[14:15]
	s_mov_b32 s6, s9
	s_ashr_i32 s7, s9, 31
	v_lshl_add_u64 v[16:17], s[6:7], 4, v[14:15]
	s_add_i32 s6, s9, s9
	v_add_u32_e32 v6, s6, v1
	v_ashrrev_i32_e32 v7, 31, v6
	v_lshl_add_u64 v[18:19], v[6:7], 4, s[2:3]
	v_add_u32_e32 v6, s9, v6
	v_ashrrev_i32_e32 v7, 31, v6
	v_lshl_add_u64 v[20:21], v[6:7], 4, s[2:3]
	;; [unrolled: 3-line block ×7, first 2 shown]
	s_movk_i32 s20, 0x60
	s_movk_i32 s19, 0x70
	;; [unrolled: 1-line block ×3, first 2 shown]
	s_mov_b32 s25, 16
	s_mov_b32 s24, 32
	;; [unrolled: 1-line block ×4, first 2 shown]
	s_bitcmp0_b32 s16, 0
	s_mov_b64 s[6:7], -1
	s_waitcnt vmcnt(0) lgkmcnt(0)
	scratch_store_dwordx4 off, v[2:5], off
	flat_load_dwordx4 v[2:5], v[16:17]
	s_waitcnt vmcnt(0) lgkmcnt(0)
	scratch_store_dwordx4 off, v[2:5], off offset:16
	flat_load_dwordx4 v[2:5], v[18:19]
	s_waitcnt vmcnt(0) lgkmcnt(0)
	scratch_store_dwordx4 off, v[2:5], off offset:32
	;; [unrolled: 3-line block ×8, first 2 shown]
	s_cbranch_scc1 .LBB72_48
; %bb.4:
	v_cmp_eq_u32_e64 s[2:3], 0, v1
	s_and_saveexec_b64 s[6:7], s[2:3]
; %bb.5:
	v_mov_b32_e32 v2, 0
	ds_write_b32 v2, v2 offset:288
; %bb.6:
	s_or_b64 exec, exec, s[6:7]
	s_waitcnt lgkmcnt(0)
	; wave barrier
	scratch_load_dwordx4 v[2:5], v32, off
	s_waitcnt vmcnt(0)
	v_cmp_eq_f64_e32 vcc, 0, v[2:3]
	v_cmp_eq_f64_e64 s[6:7], 0, v[4:5]
	s_and_b64 s[6:7], vcc, s[6:7]
	s_and_saveexec_b64 s[8:9], s[6:7]
	s_cbranch_execz .LBB72_10
; %bb.7:
	v_mov_b32_e32 v2, 0
	ds_read_b32 v4, v2 offset:288
	v_add_u32_e32 v3, 1, v1
	s_waitcnt lgkmcnt(0)
	v_readfirstlane_b32 s6, v4
	s_cmp_eq_u32 s6, 0
	s_cselect_b64 s[16:17], -1, 0
	v_cmp_gt_i32_e32 vcc, s6, v3
	s_or_b64 s[16:17], s[16:17], vcc
	s_and_b64 exec, exec, s[16:17]
	s_cbranch_execz .LBB72_10
; %bb.8:
	s_mov_b64 s[16:17], 0
	v_mov_b32_e32 v4, s6
.LBB72_9:                               ; =>This Inner Loop Header: Depth=1
	ds_cmpst_rtn_b32 v4, v2, v4, v3 offset:288
	s_waitcnt lgkmcnt(0)
	v_cmp_ne_u32_e32 vcc, 0, v4
	v_cmp_le_i32_e64 s[6:7], v4, v3
	s_and_b64 s[6:7], vcc, s[6:7]
	s_and_b64 s[6:7], exec, s[6:7]
	s_or_b64 s[16:17], s[6:7], s[16:17]
	s_andn2_b64 exec, exec, s[16:17]
	s_cbranch_execnz .LBB72_9
.LBB72_10:
	s_or_b64 exec, exec, s[8:9]
	v_mov_b32_e32 v3, 0
	; wave barrier
	ds_read_b32 v2, v3 offset:288
	s_and_saveexec_b64 s[6:7], s[2:3]
	s_cbranch_execz .LBB72_12
; %bb.11:
	s_lshl_b64 s[8:9], s[4:5], 2
	s_add_u32 s8, s10, s8
	s_addc_u32 s9, s11, s9
	s_waitcnt lgkmcnt(0)
	global_store_dword v3, v2, s[8:9]
.LBB72_12:
	s_or_b64 exec, exec, s[6:7]
	s_waitcnt lgkmcnt(0)
	v_cmp_ne_u32_e32 vcc, 0, v2
	s_mov_b64 s[6:7], 0
	s_cbranch_vccnz .LBB72_48
; %bb.13:
	v_mov_b32_e32 v33, v32
	scratch_load_dwordx4 v[2:5], v33, off
                                        ; implicit-def: $vgpr6_vgpr7
                                        ; implicit-def: $vgpr10_vgpr11
	s_waitcnt vmcnt(0)
	v_cmp_ngt_f64_e64 s[6:7], |v[2:3]|, |v[4:5]|
	s_and_saveexec_b64 s[8:9], s[6:7]
	s_xor_b64 s[6:7], exec, s[8:9]
	s_cbranch_execz .LBB72_15
; %bb.14:
	v_div_scale_f64 v[6:7], s[8:9], v[4:5], v[4:5], v[2:3]
	v_rcp_f64_e32 v[8:9], v[6:7]
	v_div_scale_f64 v[10:11], vcc, v[2:3], v[4:5], v[2:3]
	v_fma_f64 v[12:13], -v[6:7], v[8:9], 1.0
	v_fmac_f64_e32 v[8:9], v[8:9], v[12:13]
	v_fma_f64 v[12:13], -v[6:7], v[8:9], 1.0
	v_fmac_f64_e32 v[8:9], v[8:9], v[12:13]
	v_mul_f64 v[12:13], v[10:11], v[8:9]
	v_fma_f64 v[6:7], -v[6:7], v[12:13], v[10:11]
	v_div_fmas_f64 v[6:7], v[6:7], v[8:9], v[12:13]
	v_div_fixup_f64 v[6:7], v[6:7], v[4:5], v[2:3]
	v_fmac_f64_e32 v[4:5], v[2:3], v[6:7]
	v_div_scale_f64 v[2:3], s[8:9], v[4:5], v[4:5], 1.0
	v_rcp_f64_e32 v[8:9], v[2:3]
	s_nop 0
	v_fma_f64 v[10:11], -v[2:3], v[8:9], 1.0
	v_fmac_f64_e32 v[8:9], v[8:9], v[10:11]
	v_fma_f64 v[10:11], -v[2:3], v[8:9], 1.0
	v_fmac_f64_e32 v[8:9], v[8:9], v[10:11]
	v_div_scale_f64 v[10:11], vcc, 1.0, v[4:5], 1.0
	v_mul_f64 v[12:13], v[10:11], v[8:9]
	v_fma_f64 v[2:3], -v[2:3], v[12:13], v[10:11]
	s_nop 1
	v_div_fmas_f64 v[2:3], v[2:3], v[8:9], v[12:13]
	v_div_fixup_f64 v[8:9], v[2:3], v[4:5], 1.0
	v_mul_f64 v[6:7], v[6:7], v[8:9]
	v_xor_b32_e32 v9, 0x80000000, v9
	v_xor_b32_e32 v11, 0x80000000, v7
	v_mov_b32_e32 v10, v6
                                        ; implicit-def: $vgpr2_vgpr3
.LBB72_15:
	s_andn2_saveexec_b64 s[6:7], s[6:7]
	s_cbranch_execz .LBB72_17
; %bb.16:
	v_div_scale_f64 v[6:7], s[8:9], v[2:3], v[2:3], v[4:5]
	v_rcp_f64_e32 v[8:9], v[6:7]
	v_div_scale_f64 v[10:11], vcc, v[4:5], v[2:3], v[4:5]
	v_fma_f64 v[12:13], -v[6:7], v[8:9], 1.0
	v_fmac_f64_e32 v[8:9], v[8:9], v[12:13]
	v_fma_f64 v[12:13], -v[6:7], v[8:9], 1.0
	v_fmac_f64_e32 v[8:9], v[8:9], v[12:13]
	v_mul_f64 v[12:13], v[10:11], v[8:9]
	v_fma_f64 v[6:7], -v[6:7], v[12:13], v[10:11]
	v_div_fmas_f64 v[6:7], v[6:7], v[8:9], v[12:13]
	v_div_fixup_f64 v[8:9], v[6:7], v[2:3], v[4:5]
	v_fmac_f64_e32 v[2:3], v[4:5], v[8:9]
	v_div_scale_f64 v[4:5], s[8:9], v[2:3], v[2:3], 1.0
	v_rcp_f64_e32 v[6:7], v[4:5]
	s_nop 0
	v_fma_f64 v[10:11], -v[4:5], v[6:7], 1.0
	v_fmac_f64_e32 v[6:7], v[6:7], v[10:11]
	v_fma_f64 v[10:11], -v[4:5], v[6:7], 1.0
	v_fmac_f64_e32 v[6:7], v[6:7], v[10:11]
	v_div_scale_f64 v[10:11], vcc, 1.0, v[2:3], 1.0
	v_mul_f64 v[12:13], v[10:11], v[6:7]
	v_fma_f64 v[4:5], -v[4:5], v[12:13], v[10:11]
	s_nop 1
	v_div_fmas_f64 v[4:5], v[4:5], v[6:7], v[12:13]
	v_div_fixup_f64 v[6:7], v[4:5], v[2:3], 1.0
	v_xor_b32_e32 v11, 0x80000000, v7
	v_mov_b32_e32 v10, v6
	v_mul_f64 v[8:9], v[8:9], -v[6:7]
.LBB72_17:
	s_or_b64 exec, exec, s[6:7]
	scratch_store_dwordx4 v33, v[6:9], off
	scratch_load_dwordx4 v[2:5], off, s25
	v_xor_b32_e32 v13, 0x80000000, v9
	v_mov_b32_e32 v12, v8
	v_add_u32_e32 v6, 0x90, v32
	ds_write_b128 v32, v[10:13]
	s_waitcnt vmcnt(0)
	ds_write_b128 v32, v[2:5] offset:144
	s_waitcnt lgkmcnt(0)
	; wave barrier
	s_and_saveexec_b64 s[6:7], s[2:3]
	s_cbranch_execz .LBB72_19
; %bb.18:
	scratch_load_dwordx4 v[2:5], v33, off
	ds_read_b128 v[8:11], v6
	v_mov_b32_e32 v7, 0
	ds_read_b128 v[34:37], v7 offset:16
	s_waitcnt vmcnt(0) lgkmcnt(1)
	v_mul_f64 v[12:13], v[10:11], v[4:5]
	v_mul_f64 v[4:5], v[8:9], v[4:5]
	v_fma_f64 v[8:9], v[8:9], v[2:3], -v[12:13]
	v_fmac_f64_e32 v[4:5], v[10:11], v[2:3]
	v_add_f64 v[2:3], v[8:9], 0
	v_add_f64 v[8:9], v[4:5], 0
	s_waitcnt lgkmcnt(0)
	v_mul_f64 v[10:11], v[8:9], v[36:37]
	v_mul_f64 v[4:5], v[2:3], v[36:37]
	v_fma_f64 v[2:3], v[2:3], v[34:35], -v[10:11]
	v_fmac_f64_e32 v[4:5], v[8:9], v[34:35]
	scratch_store_dwordx4 off, v[2:5], off offset:16
.LBB72_19:
	s_or_b64 exec, exec, s[6:7]
	; wave barrier
	scratch_load_dwordx4 v[2:5], off, s24
	v_cmp_gt_u32_e32 vcc, 2, v1
	s_waitcnt vmcnt(0)
	ds_write_b128 v6, v[2:5]
	s_waitcnt lgkmcnt(0)
	; wave barrier
	s_and_saveexec_b64 s[6:7], vcc
	s_cbranch_execz .LBB72_23
; %bb.20:
	scratch_load_dwordx4 v[2:5], v33, off
	ds_read_b128 v[8:11], v6
	s_waitcnt vmcnt(0) lgkmcnt(0)
	v_mul_f64 v[12:13], v[10:11], v[4:5]
	v_mul_f64 v[34:35], v[8:9], v[4:5]
	v_fma_f64 v[4:5], v[8:9], v[2:3], -v[12:13]
	v_fmac_f64_e32 v[34:35], v[10:11], v[2:3]
	v_add_f64 v[4:5], v[4:5], 0
	v_add_f64 v[2:3], v[34:35], 0
	s_and_saveexec_b64 s[8:9], s[2:3]
	s_cbranch_execz .LBB72_22
; %bb.21:
	scratch_load_dwordx4 v[8:11], off, off offset:16
	v_mov_b32_e32 v7, 0
	ds_read_b128 v[34:37], v7 offset:160
	s_waitcnt vmcnt(0) lgkmcnt(0)
	v_mul_f64 v[12:13], v[34:35], v[10:11]
	v_mul_f64 v[10:11], v[36:37], v[10:11]
	v_fmac_f64_e32 v[12:13], v[36:37], v[8:9]
	v_fma_f64 v[8:9], v[34:35], v[8:9], -v[10:11]
	v_add_f64 v[2:3], v[2:3], v[12:13]
	v_add_f64 v[4:5], v[4:5], v[8:9]
.LBB72_22:
	s_or_b64 exec, exec, s[8:9]
	v_mov_b32_e32 v7, 0
	ds_read_b128 v[8:11], v7 offset:32
	s_waitcnt lgkmcnt(0)
	v_mul_f64 v[34:35], v[2:3], v[10:11]
	v_mul_f64 v[12:13], v[4:5], v[10:11]
	v_fma_f64 v[10:11], v[4:5], v[8:9], -v[34:35]
	v_fmac_f64_e32 v[12:13], v[2:3], v[8:9]
	scratch_store_dwordx4 off, v[10:13], off offset:32
.LBB72_23:
	s_or_b64 exec, exec, s[6:7]
	; wave barrier
	scratch_load_dwordx4 v[2:5], off, s23
	v_cmp_gt_u32_e32 vcc, 3, v1
	v_add_u32_e32 v7, -1, v1
	s_waitcnt vmcnt(0)
	ds_write_b128 v6, v[2:5]
	s_waitcnt lgkmcnt(0)
	; wave barrier
	s_and_saveexec_b64 s[2:3], vcc
	s_cbranch_execz .LBB72_27
; %bb.24:
	v_add_u32_e32 v8, -1, v1
	v_add_u32_e32 v9, 0x90, v32
	v_mov_b32_e32 v10, v32
	v_mov_b64_e32 v[2:3], 0
	s_mov_b64 s[6:7], 0
	v_mov_b64_e32 v[4:5], 0
.LBB72_25:                              ; =>This Inner Loop Header: Depth=1
	scratch_load_dwordx4 v[34:37], v10, off
	ds_read_b128 v[38:41], v9
	v_add_u32_e32 v8, 1, v8
	v_cmp_lt_u32_e32 vcc, 1, v8
	v_add_u32_e32 v9, 16, v9
	v_add_u32_e32 v10, 16, v10
	s_or_b64 s[6:7], vcc, s[6:7]
	s_waitcnt vmcnt(0) lgkmcnt(0)
	v_mul_f64 v[12:13], v[40:41], v[36:37]
	v_mul_f64 v[36:37], v[38:39], v[36:37]
	v_fma_f64 v[12:13], v[38:39], v[34:35], -v[12:13]
	v_fmac_f64_e32 v[36:37], v[40:41], v[34:35]
	v_add_f64 v[4:5], v[4:5], v[12:13]
	v_add_f64 v[2:3], v[2:3], v[36:37]
	s_andn2_b64 exec, exec, s[6:7]
	s_cbranch_execnz .LBB72_25
; %bb.26:
	s_or_b64 exec, exec, s[6:7]
	v_mov_b32_e32 v8, 0
	ds_read_b128 v[8:11], v8 offset:48
	s_waitcnt lgkmcnt(0)
	v_mul_f64 v[34:35], v[2:3], v[10:11]
	v_mul_f64 v[12:13], v[4:5], v[10:11]
	v_fma_f64 v[10:11], v[4:5], v[8:9], -v[34:35]
	v_fmac_f64_e32 v[12:13], v[2:3], v[8:9]
	scratch_store_dwordx4 off, v[10:13], off offset:48
.LBB72_27:
	s_or_b64 exec, exec, s[2:3]
	; wave barrier
	scratch_load_dwordx4 v[2:5], off, s22
	v_cmp_gt_u32_e32 vcc, 4, v1
	s_waitcnt vmcnt(0)
	ds_write_b128 v6, v[2:5]
	s_waitcnt lgkmcnt(0)
	; wave barrier
	s_and_saveexec_b64 s[2:3], vcc
	s_cbranch_execz .LBB72_31
; %bb.28:
	v_add_u32_e32 v8, -1, v1
	v_add_u32_e32 v9, 0x90, v32
	v_mov_b32_e32 v10, v32
	v_mov_b64_e32 v[2:3], 0
	s_mov_b64 s[6:7], 0
	v_mov_b64_e32 v[4:5], 0
.LBB72_29:                              ; =>This Inner Loop Header: Depth=1
	scratch_load_dwordx4 v[34:37], v10, off
	ds_read_b128 v[38:41], v9
	v_add_u32_e32 v8, 1, v8
	v_cmp_lt_u32_e32 vcc, 2, v8
	v_add_u32_e32 v9, 16, v9
	v_add_u32_e32 v10, 16, v10
	s_or_b64 s[6:7], vcc, s[6:7]
	s_waitcnt vmcnt(0) lgkmcnt(0)
	v_mul_f64 v[12:13], v[40:41], v[36:37]
	v_mul_f64 v[36:37], v[38:39], v[36:37]
	v_fma_f64 v[12:13], v[38:39], v[34:35], -v[12:13]
	v_fmac_f64_e32 v[36:37], v[40:41], v[34:35]
	v_add_f64 v[4:5], v[4:5], v[12:13]
	v_add_f64 v[2:3], v[2:3], v[36:37]
	s_andn2_b64 exec, exec, s[6:7]
	s_cbranch_execnz .LBB72_29
; %bb.30:
	s_or_b64 exec, exec, s[6:7]
	v_mov_b32_e32 v8, 0
	ds_read_b128 v[8:11], v8 offset:64
	s_waitcnt lgkmcnt(0)
	v_mul_f64 v[34:35], v[2:3], v[10:11]
	v_mul_f64 v[12:13], v[4:5], v[10:11]
	v_fma_f64 v[10:11], v[4:5], v[8:9], -v[34:35]
	v_fmac_f64_e32 v[12:13], v[2:3], v[8:9]
	scratch_store_dwordx4 off, v[10:13], off offset:64
.LBB72_31:
	s_or_b64 exec, exec, s[2:3]
	; wave barrier
	scratch_load_dwordx4 v[2:5], off, s21
	v_cmp_gt_u32_e32 vcc, 5, v1
	;; [unrolled: 45-line block ×4, first 2 shown]
	s_waitcnt vmcnt(0)
	ds_write_b128 v6, v[2:5]
	s_waitcnt lgkmcnt(0)
	; wave barrier
	s_and_saveexec_b64 s[2:3], vcc
	s_cbranch_execz .LBB72_43
; %bb.40:
	v_add_u32_e32 v8, -1, v1
	v_add_u32_e32 v9, 0x90, v32
	v_mov_b32_e32 v10, v32
	v_mov_b64_e32 v[2:3], 0
	s_mov_b64 s[6:7], 0
	v_mov_b64_e32 v[4:5], 0
.LBB72_41:                              ; =>This Inner Loop Header: Depth=1
	scratch_load_dwordx4 v[34:37], v10, off
	ds_read_b128 v[38:41], v9
	v_add_u32_e32 v8, 1, v8
	v_cmp_lt_u32_e32 vcc, 5, v8
	v_add_u32_e32 v9, 16, v9
	v_add_u32_e32 v10, 16, v10
	s_or_b64 s[6:7], vcc, s[6:7]
	s_waitcnt vmcnt(0) lgkmcnt(0)
	v_mul_f64 v[12:13], v[40:41], v[36:37]
	v_mul_f64 v[36:37], v[38:39], v[36:37]
	v_fma_f64 v[12:13], v[38:39], v[34:35], -v[12:13]
	v_fmac_f64_e32 v[36:37], v[40:41], v[34:35]
	v_add_f64 v[4:5], v[4:5], v[12:13]
	v_add_f64 v[2:3], v[2:3], v[36:37]
	s_andn2_b64 exec, exec, s[6:7]
	s_cbranch_execnz .LBB72_41
; %bb.42:
	s_or_b64 exec, exec, s[6:7]
	v_mov_b32_e32 v8, 0
	ds_read_b128 v[8:11], v8 offset:112
	s_waitcnt lgkmcnt(0)
	v_mul_f64 v[34:35], v[2:3], v[10:11]
	v_mul_f64 v[12:13], v[4:5], v[10:11]
	v_fma_f64 v[10:11], v[4:5], v[8:9], -v[34:35]
	v_fmac_f64_e32 v[12:13], v[2:3], v[8:9]
	scratch_store_dwordx4 off, v[10:13], off offset:112
.LBB72_43:
	s_or_b64 exec, exec, s[2:3]
	; wave barrier
	scratch_load_dwordx4 v[2:5], off, s18
	v_cmp_ne_u32_e32 vcc, 8, v1
	s_waitcnt vmcnt(0)
	ds_write_b128 v6, v[2:5]
	s_waitcnt lgkmcnt(0)
	; wave barrier
	s_and_saveexec_b64 s[2:3], vcc
	s_cbranch_execz .LBB72_47
; %bb.44:
	v_add_u32_e32 v6, 0x90, v32
	v_mov_b32_e32 v8, v32
	v_mov_b64_e32 v[2:3], 0
	s_mov_b64 s[6:7], 0
	v_mov_b64_e32 v[4:5], 0
.LBB72_45:                              ; =>This Inner Loop Header: Depth=1
	scratch_load_dwordx4 v[10:13], v8, off
	ds_read_b128 v[32:35], v6
	v_add_u32_e32 v7, 1, v7
	v_cmp_lt_u32_e32 vcc, 6, v7
	v_add_u32_e32 v6, 16, v6
	v_add_u32_e32 v8, 16, v8
	s_or_b64 s[6:7], vcc, s[6:7]
	s_waitcnt vmcnt(0) lgkmcnt(0)
	v_mul_f64 v[36:37], v[34:35], v[12:13]
	v_mul_f64 v[12:13], v[32:33], v[12:13]
	v_fma_f64 v[32:33], v[32:33], v[10:11], -v[36:37]
	v_fmac_f64_e32 v[12:13], v[34:35], v[10:11]
	v_add_f64 v[4:5], v[4:5], v[32:33]
	v_add_f64 v[2:3], v[2:3], v[12:13]
	s_andn2_b64 exec, exec, s[6:7]
	s_cbranch_execnz .LBB72_45
; %bb.46:
	s_or_b64 exec, exec, s[6:7]
	v_mov_b32_e32 v6, 0
	ds_read_b128 v[6:9], v6 offset:128
	s_waitcnt lgkmcnt(0)
	v_mul_f64 v[12:13], v[2:3], v[8:9]
	v_mul_f64 v[10:11], v[4:5], v[8:9]
	v_fma_f64 v[8:9], v[4:5], v[6:7], -v[12:13]
	v_fmac_f64_e32 v[10:11], v[2:3], v[6:7]
	scratch_store_dwordx4 off, v[8:11], off offset:128
.LBB72_47:
	s_or_b64 exec, exec, s[2:3]
	s_mov_b64 s[6:7], -1
	; wave barrier
.LBB72_48:
	s_and_b64 vcc, exec, s[6:7]
	s_cbranch_vccz .LBB72_50
; %bb.49:
	s_lshl_b64 s[2:3], s[4:5], 2
	s_add_u32 s2, s10, s2
	s_addc_u32 s3, s11, s3
	v_mov_b32_e32 v2, 0
	global_load_dword v2, v2, s[2:3]
	s_waitcnt vmcnt(0)
	v_cmp_ne_u32_e32 vcc, 0, v2
	s_cbranch_vccz .LBB72_51
.LBB72_50:
	s_endpgm
.LBB72_51:
	v_mov_b32_e32 v2, 0x90
	v_lshl_add_u32 v6, v1, 4, v2
	v_cmp_eq_u32_e32 vcc, 8, v1
	s_and_saveexec_b64 s[2:3], vcc
	s_cbranch_execz .LBB72_53
; %bb.52:
	scratch_load_dwordx4 v[2:5], off, s19
	v_mov_b32_e32 v8, 0
	v_mov_b32_e32 v9, v8
	;; [unrolled: 1-line block ×4, first 2 shown]
	scratch_store_dwordx4 off, v[8:11], off offset:112
	s_waitcnt vmcnt(1)
	ds_write_b128 v6, v[2:5]
.LBB72_53:
	s_or_b64 exec, exec, s[2:3]
	s_waitcnt lgkmcnt(0)
	; wave barrier
	scratch_load_dwordx4 v[8:11], off, off offset:128
	scratch_load_dwordx4 v[32:35], off, off offset:112
	v_mov_b32_e32 v2, 0
	ds_read_b128 v[36:39], v2 offset:272
	v_cmp_lt_u32_e32 vcc, 6, v1
	s_waitcnt vmcnt(1) lgkmcnt(0)
	v_mul_f64 v[4:5], v[36:37], v[10:11]
	v_mul_f64 v[10:11], v[38:39], v[10:11]
	v_fmac_f64_e32 v[4:5], v[38:39], v[8:9]
	v_fma_f64 v[8:9], v[36:37], v[8:9], -v[10:11]
	v_add_f64 v[4:5], v[4:5], 0
	v_add_f64 v[8:9], v[8:9], 0
	s_waitcnt vmcnt(0)
	v_add_f64 v[8:9], v[32:33], -v[8:9]
	v_add_f64 v[10:11], v[34:35], -v[4:5]
	scratch_store_dwordx4 off, v[8:11], off offset:112
	s_and_saveexec_b64 s[2:3], vcc
	s_cbranch_execz .LBB72_55
; %bb.54:
	scratch_load_dwordx4 v[8:11], off, s20
	v_mov_b32_e32 v3, v2
	v_mov_b32_e32 v4, v2
	;; [unrolled: 1-line block ×3, first 2 shown]
	scratch_store_dwordx4 off, v[2:5], off offset:96
	s_waitcnt vmcnt(1)
	ds_write_b128 v6, v[8:11]
.LBB72_55:
	s_or_b64 exec, exec, s[2:3]
	s_waitcnt lgkmcnt(0)
	; wave barrier
	scratch_load_dwordx4 v[8:11], off, off offset:112
	scratch_load_dwordx4 v[32:35], off, off offset:128
	;; [unrolled: 1-line block ×3, first 2 shown]
	ds_read_b128 v[40:43], v2 offset:256
	ds_read_b128 v[2:5], v2 offset:272
	v_cmp_lt_u32_e32 vcc, 5, v1
	s_waitcnt vmcnt(2) lgkmcnt(1)
	v_mul_f64 v[12:13], v[40:41], v[10:11]
	s_waitcnt vmcnt(1) lgkmcnt(0)
	v_mul_f64 v[44:45], v[2:3], v[34:35]
	v_mul_f64 v[10:11], v[42:43], v[10:11]
	;; [unrolled: 1-line block ×3, first 2 shown]
	v_fmac_f64_e32 v[12:13], v[42:43], v[8:9]
	v_fmac_f64_e32 v[44:45], v[4:5], v[32:33]
	v_fma_f64 v[4:5], v[40:41], v[8:9], -v[10:11]
	v_fma_f64 v[2:3], v[2:3], v[32:33], -v[34:35]
	v_add_f64 v[8:9], v[12:13], 0
	v_add_f64 v[4:5], v[4:5], 0
	;; [unrolled: 1-line block ×4, first 2 shown]
	s_waitcnt vmcnt(0)
	v_add_f64 v[2:3], v[36:37], -v[2:3]
	v_add_f64 v[4:5], v[38:39], -v[8:9]
	scratch_store_dwordx4 off, v[2:5], off offset:96
	s_and_saveexec_b64 s[2:3], vcc
	s_cbranch_execz .LBB72_57
; %bb.56:
	scratch_load_dwordx4 v[2:5], off, s21
	v_mov_b32_e32 v8, 0
	v_mov_b32_e32 v9, v8
	;; [unrolled: 1-line block ×4, first 2 shown]
	scratch_store_dwordx4 off, v[8:11], off offset:80
	s_waitcnt vmcnt(1)
	ds_write_b128 v6, v[2:5]
.LBB72_57:
	s_or_b64 exec, exec, s[2:3]
	s_waitcnt lgkmcnt(0)
	; wave barrier
	scratch_load_dwordx4 v[8:11], off, off offset:96
	scratch_load_dwordx4 v[32:35], off, off offset:112
	;; [unrolled: 1-line block ×4, first 2 shown]
	v_mov_b32_e32 v2, 0
	ds_read_b128 v[44:47], v2 offset:240
	ds_read_b128 v[48:51], v2 offset:256
	;; [unrolled: 1-line block ×3, first 2 shown]
	v_cmp_lt_u32_e32 vcc, 4, v1
	s_waitcnt vmcnt(3) lgkmcnt(2)
	v_mul_f64 v[4:5], v[44:45], v[10:11]
	v_mul_f64 v[10:11], v[46:47], v[10:11]
	s_waitcnt vmcnt(2) lgkmcnt(1)
	v_mul_f64 v[12:13], v[48:49], v[34:35]
	v_mul_f64 v[34:35], v[50:51], v[34:35]
	v_fmac_f64_e32 v[4:5], v[46:47], v[8:9]
	v_fma_f64 v[8:9], v[44:45], v[8:9], -v[10:11]
	s_waitcnt vmcnt(1) lgkmcnt(0)
	v_mul_f64 v[56:57], v[52:53], v[38:39]
	v_mul_f64 v[38:39], v[54:55], v[38:39]
	v_fmac_f64_e32 v[12:13], v[50:51], v[32:33]
	v_fma_f64 v[10:11], v[48:49], v[32:33], -v[34:35]
	v_add_f64 v[4:5], v[4:5], 0
	v_add_f64 v[8:9], v[8:9], 0
	v_fmac_f64_e32 v[56:57], v[54:55], v[36:37]
	v_fma_f64 v[32:33], v[52:53], v[36:37], -v[38:39]
	v_add_f64 v[4:5], v[4:5], v[12:13]
	v_add_f64 v[8:9], v[8:9], v[10:11]
	;; [unrolled: 1-line block ×4, first 2 shown]
	s_waitcnt vmcnt(0)
	v_add_f64 v[8:9], v[40:41], -v[8:9]
	v_add_f64 v[10:11], v[42:43], -v[4:5]
	scratch_store_dwordx4 off, v[8:11], off offset:80
	s_and_saveexec_b64 s[2:3], vcc
	s_cbranch_execz .LBB72_59
; %bb.58:
	scratch_load_dwordx4 v[8:11], off, s22
	v_mov_b32_e32 v3, v2
	v_mov_b32_e32 v4, v2
	;; [unrolled: 1-line block ×3, first 2 shown]
	scratch_store_dwordx4 off, v[2:5], off offset:64
	s_waitcnt vmcnt(1)
	ds_write_b128 v6, v[8:11]
.LBB72_59:
	s_or_b64 exec, exec, s[2:3]
	s_waitcnt lgkmcnt(0)
	; wave barrier
	scratch_load_dwordx4 v[8:11], off, off offset:80
	scratch_load_dwordx4 v[32:35], off, off offset:96
	;; [unrolled: 1-line block ×5, first 2 shown]
	ds_read_b128 v[48:51], v2 offset:224
	ds_read_b128 v[52:55], v2 offset:240
	;; [unrolled: 1-line block ×4, first 2 shown]
	v_cmp_lt_u32_e32 vcc, 3, v1
	s_waitcnt vmcnt(4) lgkmcnt(3)
	v_mul_f64 v[12:13], v[48:49], v[10:11]
	v_mul_f64 v[10:11], v[50:51], v[10:11]
	s_waitcnt vmcnt(3) lgkmcnt(2)
	v_mul_f64 v[60:61], v[52:53], v[34:35]
	s_waitcnt vmcnt(1) lgkmcnt(0)
	v_mul_f64 v[64:65], v[2:3], v[42:43]
	v_mul_f64 v[34:35], v[54:55], v[34:35]
	;; [unrolled: 1-line block ×3, first 2 shown]
	v_fmac_f64_e32 v[12:13], v[50:51], v[8:9]
	v_fmac_f64_e32 v[64:65], v[4:5], v[40:41]
	v_fma_f64 v[4:5], v[48:49], v[8:9], -v[10:11]
	v_mul_f64 v[62:63], v[56:57], v[38:39]
	v_mul_f64 v[38:39], v[58:59], v[38:39]
	v_fmac_f64_e32 v[60:61], v[54:55], v[32:33]
	v_fma_f64 v[8:9], v[52:53], v[32:33], -v[34:35]
	v_add_f64 v[12:13], v[12:13], 0
	v_add_f64 v[4:5], v[4:5], 0
	v_fmac_f64_e32 v[62:63], v[58:59], v[36:37]
	v_fma_f64 v[10:11], v[56:57], v[36:37], -v[38:39]
	v_add_f64 v[12:13], v[12:13], v[60:61]
	v_add_f64 v[4:5], v[4:5], v[8:9]
	v_fma_f64 v[2:3], v[2:3], v[40:41], -v[42:43]
	v_add_f64 v[8:9], v[12:13], v[62:63]
	v_add_f64 v[4:5], v[4:5], v[10:11]
	;; [unrolled: 1-line block ×4, first 2 shown]
	s_waitcnt vmcnt(0)
	v_add_f64 v[2:3], v[44:45], -v[2:3]
	v_add_f64 v[4:5], v[46:47], -v[8:9]
	scratch_store_dwordx4 off, v[2:5], off offset:64
	s_and_saveexec_b64 s[2:3], vcc
	s_cbranch_execz .LBB72_61
; %bb.60:
	scratch_load_dwordx4 v[2:5], off, s23
	v_mov_b32_e32 v8, 0
	v_mov_b32_e32 v9, v8
	;; [unrolled: 1-line block ×4, first 2 shown]
	scratch_store_dwordx4 off, v[8:11], off offset:48
	s_waitcnt vmcnt(1)
	ds_write_b128 v6, v[2:5]
.LBB72_61:
	s_or_b64 exec, exec, s[2:3]
	s_waitcnt lgkmcnt(0)
	; wave barrier
	scratch_load_dwordx4 v[8:11], off, off offset:64
	scratch_load_dwordx4 v[32:35], off, off offset:80
	;; [unrolled: 1-line block ×6, first 2 shown]
	v_mov_b32_e32 v2, 0
	ds_read_b128 v[52:55], v2 offset:208
	ds_read_b128 v[56:59], v2 offset:224
	;; [unrolled: 1-line block ×5, first 2 shown]
	v_cmp_lt_u32_e32 vcc, 2, v1
	s_waitcnt vmcnt(5) lgkmcnt(4)
	v_mul_f64 v[4:5], v[52:53], v[10:11]
	v_mul_f64 v[10:11], v[54:55], v[10:11]
	s_waitcnt vmcnt(4) lgkmcnt(3)
	v_mul_f64 v[12:13], v[56:57], v[34:35]
	v_mul_f64 v[34:35], v[58:59], v[34:35]
	v_fmac_f64_e32 v[4:5], v[54:55], v[8:9]
	v_fma_f64 v[8:9], v[52:53], v[8:9], -v[10:11]
	s_waitcnt vmcnt(3) lgkmcnt(2)
	v_mul_f64 v[72:73], v[60:61], v[38:39]
	v_mul_f64 v[38:39], v[62:63], v[38:39]
	v_fmac_f64_e32 v[12:13], v[58:59], v[32:33]
	v_fma_f64 v[10:11], v[56:57], v[32:33], -v[34:35]
	v_add_f64 v[4:5], v[4:5], 0
	v_add_f64 v[8:9], v[8:9], 0
	s_waitcnt vmcnt(2) lgkmcnt(1)
	v_mul_f64 v[74:75], v[64:65], v[42:43]
	v_mul_f64 v[42:43], v[66:67], v[42:43]
	v_fmac_f64_e32 v[72:73], v[62:63], v[36:37]
	v_fma_f64 v[32:33], v[60:61], v[36:37], -v[38:39]
	v_add_f64 v[4:5], v[4:5], v[12:13]
	v_add_f64 v[8:9], v[8:9], v[10:11]
	;; [unrolled: 7-line block ×3, first 2 shown]
	v_fmac_f64_e32 v[76:77], v[70:71], v[44:45]
	v_fma_f64 v[36:37], v[68:69], v[44:45], -v[46:47]
	v_add_f64 v[4:5], v[4:5], v[74:75]
	v_add_f64 v[8:9], v[8:9], v[34:35]
	;; [unrolled: 1-line block ×4, first 2 shown]
	s_waitcnt vmcnt(0)
	v_add_f64 v[8:9], v[48:49], -v[8:9]
	v_add_f64 v[10:11], v[50:51], -v[4:5]
	scratch_store_dwordx4 off, v[8:11], off offset:48
	s_and_saveexec_b64 s[2:3], vcc
	s_cbranch_execz .LBB72_63
; %bb.62:
	scratch_load_dwordx4 v[8:11], off, s24
	v_mov_b32_e32 v3, v2
	v_mov_b32_e32 v4, v2
	;; [unrolled: 1-line block ×3, first 2 shown]
	scratch_store_dwordx4 off, v[2:5], off offset:32
	s_waitcnt vmcnt(1)
	ds_write_b128 v6, v[8:11]
.LBB72_63:
	s_or_b64 exec, exec, s[2:3]
	s_waitcnt lgkmcnt(0)
	; wave barrier
	scratch_load_dwordx4 v[8:11], off, off offset:48
	scratch_load_dwordx4 v[32:35], off, off offset:64
	;; [unrolled: 1-line block ×7, first 2 shown]
	ds_read_b128 v[56:59], v2 offset:192
	ds_read_b128 v[60:63], v2 offset:208
	ds_read_b128 v[64:67], v2 offset:224
	ds_read_b128 v[68:71], v2 offset:240
	ds_read_b128 v[72:75], v2 offset:256
	ds_read_b128 v[2:5], v2 offset:272
	v_cmp_lt_u32_e32 vcc, 1, v1
	s_waitcnt vmcnt(6) lgkmcnt(5)
	v_mul_f64 v[12:13], v[56:57], v[10:11]
	v_mul_f64 v[10:11], v[58:59], v[10:11]
	s_waitcnt vmcnt(5) lgkmcnt(4)
	v_mul_f64 v[76:77], v[60:61], v[34:35]
	v_mul_f64 v[34:35], v[62:63], v[34:35]
	v_fmac_f64_e32 v[12:13], v[58:59], v[8:9]
	s_waitcnt vmcnt(1) lgkmcnt(0)
	v_mul_f64 v[84:85], v[2:3], v[50:51]
	v_fma_f64 v[8:9], v[56:57], v[8:9], -v[10:11]
	v_mul_f64 v[78:79], v[64:65], v[38:39]
	v_mul_f64 v[38:39], v[66:67], v[38:39]
	;; [unrolled: 1-line block ×3, first 2 shown]
	v_fmac_f64_e32 v[76:77], v[62:63], v[32:33]
	v_fmac_f64_e32 v[84:85], v[4:5], v[48:49]
	v_fma_f64 v[4:5], v[60:61], v[32:33], -v[34:35]
	v_add_f64 v[12:13], v[12:13], 0
	v_add_f64 v[8:9], v[8:9], 0
	v_mul_f64 v[80:81], v[68:69], v[42:43]
	v_mul_f64 v[42:43], v[70:71], v[42:43]
	v_fmac_f64_e32 v[78:79], v[66:67], v[36:37]
	v_fma_f64 v[10:11], v[64:65], v[36:37], -v[38:39]
	v_add_f64 v[12:13], v[12:13], v[76:77]
	v_add_f64 v[4:5], v[8:9], v[4:5]
	v_mul_f64 v[82:83], v[72:73], v[46:47]
	v_mul_f64 v[46:47], v[74:75], v[46:47]
	v_fmac_f64_e32 v[80:81], v[70:71], v[40:41]
	v_fma_f64 v[32:33], v[68:69], v[40:41], -v[42:43]
	v_add_f64 v[8:9], v[12:13], v[78:79]
	v_add_f64 v[4:5], v[4:5], v[10:11]
	v_fmac_f64_e32 v[82:83], v[74:75], v[44:45]
	v_fma_f64 v[34:35], v[72:73], v[44:45], -v[46:47]
	v_add_f64 v[8:9], v[8:9], v[80:81]
	v_add_f64 v[4:5], v[4:5], v[32:33]
	v_fma_f64 v[2:3], v[2:3], v[48:49], -v[50:51]
	v_add_f64 v[8:9], v[8:9], v[82:83]
	v_add_f64 v[4:5], v[4:5], v[34:35]
	;; [unrolled: 1-line block ×4, first 2 shown]
	s_waitcnt vmcnt(0)
	v_add_f64 v[2:3], v[52:53], -v[2:3]
	v_add_f64 v[4:5], v[54:55], -v[8:9]
	scratch_store_dwordx4 off, v[2:5], off offset:32
	s_and_saveexec_b64 s[2:3], vcc
	s_cbranch_execz .LBB72_65
; %bb.64:
	scratch_load_dwordx4 v[2:5], off, s25
	v_mov_b32_e32 v8, 0
	v_mov_b32_e32 v9, v8
	;; [unrolled: 1-line block ×4, first 2 shown]
	scratch_store_dwordx4 off, v[8:11], off offset:16
	s_waitcnt vmcnt(1)
	ds_write_b128 v6, v[2:5]
.LBB72_65:
	s_or_b64 exec, exec, s[2:3]
	s_waitcnt lgkmcnt(0)
	; wave barrier
	scratch_load_dwordx4 v[8:11], off, off offset:32
	scratch_load_dwordx4 v[32:35], off, off offset:48
	;; [unrolled: 1-line block ×8, first 2 shown]
	v_mov_b32_e32 v2, 0
	ds_read_b128 v[60:63], v2 offset:176
	ds_read_b128 v[64:67], v2 offset:192
	;; [unrolled: 1-line block ×7, first 2 shown]
	v_cmp_ne_u32_e32 vcc, 0, v1
	s_waitcnt vmcnt(7) lgkmcnt(6)
	v_mul_f64 v[4:5], v[60:61], v[10:11]
	v_mul_f64 v[10:11], v[62:63], v[10:11]
	s_waitcnt vmcnt(6) lgkmcnt(5)
	v_mul_f64 v[12:13], v[64:65], v[34:35]
	v_mul_f64 v[34:35], v[66:67], v[34:35]
	v_fmac_f64_e32 v[4:5], v[62:63], v[8:9]
	v_fma_f64 v[8:9], v[60:61], v[8:9], -v[10:11]
	s_waitcnt vmcnt(5) lgkmcnt(4)
	v_mul_f64 v[88:89], v[68:69], v[38:39]
	v_mul_f64 v[38:39], v[70:71], v[38:39]
	v_fmac_f64_e32 v[12:13], v[66:67], v[32:33]
	v_fma_f64 v[10:11], v[64:65], v[32:33], -v[34:35]
	v_add_f64 v[4:5], v[4:5], 0
	v_add_f64 v[8:9], v[8:9], 0
	s_waitcnt vmcnt(4) lgkmcnt(3)
	v_mul_f64 v[90:91], v[72:73], v[42:43]
	v_mul_f64 v[42:43], v[74:75], v[42:43]
	v_fmac_f64_e32 v[88:89], v[70:71], v[36:37]
	v_fma_f64 v[32:33], v[68:69], v[36:37], -v[38:39]
	v_add_f64 v[4:5], v[4:5], v[12:13]
	v_add_f64 v[8:9], v[8:9], v[10:11]
	;; [unrolled: 7-line block ×5, first 2 shown]
	v_fmac_f64_e32 v[96:97], v[86:87], v[52:53]
	v_fma_f64 v[40:41], v[84:85], v[52:53], -v[54:55]
	v_add_f64 v[4:5], v[4:5], v[94:95]
	v_add_f64 v[8:9], v[8:9], v[38:39]
	;; [unrolled: 1-line block ×4, first 2 shown]
	s_waitcnt vmcnt(0)
	v_add_f64 v[8:9], v[56:57], -v[8:9]
	v_add_f64 v[10:11], v[58:59], -v[4:5]
	scratch_store_dwordx4 off, v[8:11], off offset:16
	s_and_saveexec_b64 s[2:3], vcc
	s_cbranch_execz .LBB72_67
; %bb.66:
	scratch_load_dwordx4 v[8:11], off, off
	v_mov_b32_e32 v3, v2
	v_mov_b32_e32 v4, v2
	;; [unrolled: 1-line block ×3, first 2 shown]
	scratch_store_dwordx4 off, v[2:5], off
	s_waitcnt vmcnt(1)
	ds_write_b128 v6, v[8:11]
.LBB72_67:
	s_or_b64 exec, exec, s[2:3]
	s_waitcnt lgkmcnt(0)
	; wave barrier
	scratch_load_dwordx4 v[4:7], off, off offset:16
	scratch_load_dwordx4 v[8:11], off, off offset:32
	;; [unrolled: 1-line block ×8, first 2 shown]
	scratch_load_dwordx4 v[56:59], off, off
	ds_read_b128 v[60:63], v2 offset:160
	ds_read_b128 v[64:67], v2 offset:176
	;; [unrolled: 1-line block ×8, first 2 shown]
	s_and_b64 vcc, exec, s[14:15]
	s_waitcnt vmcnt(8) lgkmcnt(7)
	v_mul_f64 v[2:3], v[60:61], v[6:7]
	v_mul_f64 v[6:7], v[62:63], v[6:7]
	s_waitcnt vmcnt(7) lgkmcnt(6)
	v_mul_f64 v[12:13], v[64:65], v[10:11]
	v_mul_f64 v[10:11], v[66:67], v[10:11]
	v_fmac_f64_e32 v[2:3], v[62:63], v[4:5]
	v_fma_f64 v[4:5], v[60:61], v[4:5], -v[6:7]
	s_waitcnt vmcnt(6) lgkmcnt(5)
	v_mul_f64 v[92:93], v[68:69], v[34:35]
	v_mul_f64 v[34:35], v[70:71], v[34:35]
	v_fmac_f64_e32 v[12:13], v[66:67], v[8:9]
	v_fma_f64 v[6:7], v[64:65], v[8:9], -v[10:11]
	v_add_f64 v[2:3], v[2:3], 0
	v_add_f64 v[4:5], v[4:5], 0
	s_waitcnt vmcnt(5) lgkmcnt(4)
	v_mul_f64 v[94:95], v[72:73], v[38:39]
	v_mul_f64 v[38:39], v[74:75], v[38:39]
	v_fmac_f64_e32 v[92:93], v[70:71], v[32:33]
	v_fma_f64 v[8:9], v[68:69], v[32:33], -v[34:35]
	v_add_f64 v[2:3], v[2:3], v[12:13]
	v_add_f64 v[4:5], v[4:5], v[6:7]
	;; [unrolled: 7-line block ×6, first 2 shown]
	v_fmac_f64_e32 v[102:103], v[90:91], v[52:53]
	v_fma_f64 v[38:39], v[88:89], v[52:53], -v[54:55]
	v_add_f64 v[2:3], v[2:3], v[100:101]
	v_add_f64 v[4:5], v[4:5], v[36:37]
	;; [unrolled: 1-line block ×4, first 2 shown]
	s_waitcnt vmcnt(0)
	v_add_f64 v[2:3], v[56:57], -v[2:3]
	v_add_f64 v[4:5], v[58:59], -v[6:7]
	scratch_store_dwordx4 off, v[2:5], off
	s_cbranch_vccz .LBB72_84
; %bb.68:
	s_nop 0
	v_mov_b32_e32 v2, 0
	global_load_dword v3, v2, s[12:13] offset:28
	s_load_dwordx2 s[2:3], s[0:1], 0x4
	v_bfe_u32 v4, v0, 10, 10
	v_bfe_u32 v0, v0, 20, 10
	s_waitcnt lgkmcnt(0)
	s_lshr_b32 s0, s2, 16
	s_mul_i32 s0, s0, s3
	v_mul_u32_u24_e32 v1, s0, v1
	v_mul_u32_u24_e32 v4, s3, v4
	v_add3_u32 v0, v1, v4, v0
	v_mov_b32_e32 v1, 0x128
	v_lshl_add_u32 v0, v0, 4, v1
	s_waitcnt vmcnt(0)
	v_readfirstlane_b32 s0, v3
	s_add_i32 s0, s0, -1
	s_cmp_lg_u32 s0, 7
	s_cbranch_scc0 .LBB72_70
; %bb.69:
	s_lshl_b32 s0, s0, 4
	scratch_load_dwordx4 v[4:7], off, s19
	scratch_load_dwordx4 v[8:11], off, s0
	s_waitcnt vmcnt(1)
	ds_write2_b64 v0, v[4:5], v[6:7] offset1:1
	s_waitcnt vmcnt(0)
	scratch_store_dwordx4 off, v[8:11], s19
	scratch_store_dwordx4 off, v[4:7], s0
.LBB72_70:
	global_load_dword v1, v2, s[12:13] offset:24
	s_waitcnt vmcnt(0)
	v_readfirstlane_b32 s0, v1
	s_add_i32 s0, s0, -1
	s_cmp_eq_u32 s0, 6
	s_cbranch_scc1 .LBB72_72
; %bb.71:
	s_lshl_b32 s0, s0, 4
	scratch_load_dwordx4 v[2:5], off, s20
	scratch_load_dwordx4 v[6:9], off, s0
	s_waitcnt vmcnt(1)
	ds_write2_b64 v0, v[2:3], v[4:5] offset1:1
	s_waitcnt vmcnt(0)
	scratch_store_dwordx4 off, v[6:9], s20
	scratch_store_dwordx4 off, v[2:5], s0
.LBB72_72:
	v_mov_b32_e32 v1, 0
	global_load_dword v2, v1, s[12:13] offset:20
	s_waitcnt vmcnt(0)
	v_readfirstlane_b32 s0, v2
	s_add_i32 s0, s0, -1
	s_cmp_eq_u32 s0, 5
	s_cbranch_scc1 .LBB72_74
; %bb.73:
	s_lshl_b32 s0, s0, 4
	scratch_load_dwordx4 v[2:5], off, s21
	scratch_load_dwordx4 v[6:9], off, s0
	s_waitcnt vmcnt(1)
	ds_write2_b64 v0, v[2:3], v[4:5] offset1:1
	s_waitcnt vmcnt(0)
	scratch_store_dwordx4 off, v[6:9], s21
	scratch_store_dwordx4 off, v[2:5], s0
.LBB72_74:
	global_load_dword v1, v1, s[12:13] offset:16
	s_waitcnt vmcnt(0)
	v_readfirstlane_b32 s0, v1
	s_add_i32 s0, s0, -1
	s_cmp_eq_u32 s0, 4
	s_cbranch_scc1 .LBB72_76
; %bb.75:
	s_lshl_b32 s0, s0, 4
	scratch_load_dwordx4 v[2:5], off, s22
	scratch_load_dwordx4 v[6:9], off, s0
	s_waitcnt vmcnt(1)
	ds_write2_b64 v0, v[2:3], v[4:5] offset1:1
	s_waitcnt vmcnt(0)
	scratch_store_dwordx4 off, v[6:9], s22
	scratch_store_dwordx4 off, v[2:5], s0
.LBB72_76:
	v_mov_b32_e32 v1, 0
	global_load_dword v2, v1, s[12:13] offset:12
	s_waitcnt vmcnt(0)
	v_readfirstlane_b32 s0, v2
	s_add_i32 s0, s0, -1
	s_cmp_eq_u32 s0, 3
	s_cbranch_scc1 .LBB72_78
; %bb.77:
	s_lshl_b32 s0, s0, 4
	scratch_load_dwordx4 v[2:5], off, s23
	scratch_load_dwordx4 v[6:9], off, s0
	s_waitcnt vmcnt(1)
	ds_write2_b64 v0, v[2:3], v[4:5] offset1:1
	s_waitcnt vmcnt(0)
	scratch_store_dwordx4 off, v[6:9], s23
	scratch_store_dwordx4 off, v[2:5], s0
.LBB72_78:
	;; [unrolled: 33-line block ×3, first 2 shown]
	global_load_dword v1, v1, s[12:13]
	s_waitcnt vmcnt(0)
	v_readfirstlane_b32 s0, v1
	s_add_i32 s0, s0, -1
	s_cmp_eq_u32 s0, 0
	s_cbranch_scc1 .LBB72_84
; %bb.83:
	s_lshl_b32 s0, s0, 4
	scratch_load_dwordx4 v[2:5], off, off
	scratch_load_dwordx4 v[6:9], off, s0
	s_waitcnt vmcnt(1)
	ds_write2_b64 v0, v[2:3], v[4:5] offset1:1
	s_waitcnt vmcnt(0)
	scratch_store_dwordx4 off, v[6:9], off
	scratch_store_dwordx4 off, v[2:5], s0
.LBB72_84:
	scratch_load_dwordx4 v[0:3], off, off
	s_waitcnt vmcnt(0)
	flat_store_dwordx4 v[14:15], v[0:3]
	scratch_load_dwordx4 v[0:3], off, s25
	s_waitcnt vmcnt(0)
	flat_store_dwordx4 v[16:17], v[0:3]
	scratch_load_dwordx4 v[0:3], off, s24
	;; [unrolled: 3-line block ×8, first 2 shown]
	s_waitcnt vmcnt(0)
	flat_store_dwordx4 v[30:31], v[0:3]
	s_endpgm
	.section	.rodata,"a",@progbits
	.p2align	6, 0x0
	.amdhsa_kernel _ZN9rocsolver6v33100L18getri_kernel_smallILi9E19rocblas_complex_numIdEPKPS3_EEvT1_iilPiilS8_bb
		.amdhsa_group_segment_fixed_size 1320
		.amdhsa_private_segment_fixed_size 160
		.amdhsa_kernarg_size 60
		.amdhsa_user_sgpr_count 4
		.amdhsa_user_sgpr_dispatch_ptr 1
		.amdhsa_user_sgpr_queue_ptr 0
		.amdhsa_user_sgpr_kernarg_segment_ptr 1
		.amdhsa_user_sgpr_dispatch_id 0
		.amdhsa_user_sgpr_kernarg_preload_length 0
		.amdhsa_user_sgpr_kernarg_preload_offset 0
		.amdhsa_user_sgpr_private_segment_size 0
		.amdhsa_uses_dynamic_stack 0
		.amdhsa_enable_private_segment 1
		.amdhsa_system_sgpr_workgroup_id_x 1
		.amdhsa_system_sgpr_workgroup_id_y 0
		.amdhsa_system_sgpr_workgroup_id_z 0
		.amdhsa_system_sgpr_workgroup_info 0
		.amdhsa_system_vgpr_workitem_id 2
		.amdhsa_next_free_vgpr 104
		.amdhsa_next_free_sgpr 26
		.amdhsa_accum_offset 104
		.amdhsa_reserve_vcc 1
		.amdhsa_float_round_mode_32 0
		.amdhsa_float_round_mode_16_64 0
		.amdhsa_float_denorm_mode_32 3
		.amdhsa_float_denorm_mode_16_64 3
		.amdhsa_dx10_clamp 1
		.amdhsa_ieee_mode 1
		.amdhsa_fp16_overflow 0
		.amdhsa_tg_split 0
		.amdhsa_exception_fp_ieee_invalid_op 0
		.amdhsa_exception_fp_denorm_src 0
		.amdhsa_exception_fp_ieee_div_zero 0
		.amdhsa_exception_fp_ieee_overflow 0
		.amdhsa_exception_fp_ieee_underflow 0
		.amdhsa_exception_fp_ieee_inexact 0
		.amdhsa_exception_int_div_zero 0
	.end_amdhsa_kernel
	.section	.text._ZN9rocsolver6v33100L18getri_kernel_smallILi9E19rocblas_complex_numIdEPKPS3_EEvT1_iilPiilS8_bb,"axG",@progbits,_ZN9rocsolver6v33100L18getri_kernel_smallILi9E19rocblas_complex_numIdEPKPS3_EEvT1_iilPiilS8_bb,comdat
.Lfunc_end72:
	.size	_ZN9rocsolver6v33100L18getri_kernel_smallILi9E19rocblas_complex_numIdEPKPS3_EEvT1_iilPiilS8_bb, .Lfunc_end72-_ZN9rocsolver6v33100L18getri_kernel_smallILi9E19rocblas_complex_numIdEPKPS3_EEvT1_iilPiilS8_bb
                                        ; -- End function
	.set _ZN9rocsolver6v33100L18getri_kernel_smallILi9E19rocblas_complex_numIdEPKPS3_EEvT1_iilPiilS8_bb.num_vgpr, 104
	.set _ZN9rocsolver6v33100L18getri_kernel_smallILi9E19rocblas_complex_numIdEPKPS3_EEvT1_iilPiilS8_bb.num_agpr, 0
	.set _ZN9rocsolver6v33100L18getri_kernel_smallILi9E19rocblas_complex_numIdEPKPS3_EEvT1_iilPiilS8_bb.numbered_sgpr, 26
	.set _ZN9rocsolver6v33100L18getri_kernel_smallILi9E19rocblas_complex_numIdEPKPS3_EEvT1_iilPiilS8_bb.num_named_barrier, 0
	.set _ZN9rocsolver6v33100L18getri_kernel_smallILi9E19rocblas_complex_numIdEPKPS3_EEvT1_iilPiilS8_bb.private_seg_size, 160
	.set _ZN9rocsolver6v33100L18getri_kernel_smallILi9E19rocblas_complex_numIdEPKPS3_EEvT1_iilPiilS8_bb.uses_vcc, 1
	.set _ZN9rocsolver6v33100L18getri_kernel_smallILi9E19rocblas_complex_numIdEPKPS3_EEvT1_iilPiilS8_bb.uses_flat_scratch, 0
	.set _ZN9rocsolver6v33100L18getri_kernel_smallILi9E19rocblas_complex_numIdEPKPS3_EEvT1_iilPiilS8_bb.has_dyn_sized_stack, 0
	.set _ZN9rocsolver6v33100L18getri_kernel_smallILi9E19rocblas_complex_numIdEPKPS3_EEvT1_iilPiilS8_bb.has_recursion, 0
	.set _ZN9rocsolver6v33100L18getri_kernel_smallILi9E19rocblas_complex_numIdEPKPS3_EEvT1_iilPiilS8_bb.has_indirect_call, 0
	.section	.AMDGPU.csdata,"",@progbits
; Kernel info:
; codeLenInByte = 7036
; TotalNumSgprs: 32
; NumVgprs: 104
; NumAgprs: 0
; TotalNumVgprs: 104
; ScratchSize: 160
; MemoryBound: 0
; FloatMode: 240
; IeeeMode: 1
; LDSByteSize: 1320 bytes/workgroup (compile time only)
; SGPRBlocks: 3
; VGPRBlocks: 12
; NumSGPRsForWavesPerEU: 32
; NumVGPRsForWavesPerEU: 104
; AccumOffset: 104
; Occupancy: 4
; WaveLimiterHint : 1
; COMPUTE_PGM_RSRC2:SCRATCH_EN: 1
; COMPUTE_PGM_RSRC2:USER_SGPR: 4
; COMPUTE_PGM_RSRC2:TRAP_HANDLER: 0
; COMPUTE_PGM_RSRC2:TGID_X_EN: 1
; COMPUTE_PGM_RSRC2:TGID_Y_EN: 0
; COMPUTE_PGM_RSRC2:TGID_Z_EN: 0
; COMPUTE_PGM_RSRC2:TIDIG_COMP_CNT: 2
; COMPUTE_PGM_RSRC3_GFX90A:ACCUM_OFFSET: 25
; COMPUTE_PGM_RSRC3_GFX90A:TG_SPLIT: 0
	.section	.text._ZN9rocsolver6v33100L18getri_kernel_smallILi10E19rocblas_complex_numIdEPKPS3_EEvT1_iilPiilS8_bb,"axG",@progbits,_ZN9rocsolver6v33100L18getri_kernel_smallILi10E19rocblas_complex_numIdEPKPS3_EEvT1_iilPiilS8_bb,comdat
	.globl	_ZN9rocsolver6v33100L18getri_kernel_smallILi10E19rocblas_complex_numIdEPKPS3_EEvT1_iilPiilS8_bb ; -- Begin function _ZN9rocsolver6v33100L18getri_kernel_smallILi10E19rocblas_complex_numIdEPKPS3_EEvT1_iilPiilS8_bb
	.p2align	8
	.type	_ZN9rocsolver6v33100L18getri_kernel_smallILi10E19rocblas_complex_numIdEPKPS3_EEvT1_iilPiilS8_bb,@function
_ZN9rocsolver6v33100L18getri_kernel_smallILi10E19rocblas_complex_numIdEPKPS3_EEvT1_iilPiilS8_bb: ; @_ZN9rocsolver6v33100L18getri_kernel_smallILi10E19rocblas_complex_numIdEPKPS3_EEvT1_iilPiilS8_bb
; %bb.0:
	v_and_b32_e32 v1, 0x3ff, v0
	v_cmp_gt_u32_e32 vcc, 10, v1
	s_and_saveexec_b64 s[6:7], vcc
	s_cbranch_execz .LBB73_54
; %bb.1:
	s_load_dword s18, s[2:3], 0x38
	s_load_dwordx2 s[6:7], s[2:3], 0x0
	s_load_dwordx4 s[8:11], s[2:3], 0x28
	s_waitcnt lgkmcnt(0)
	s_bitcmp1_b32 s18, 8
	s_cselect_b64 s[14:15], -1, 0
	s_ashr_i32 s5, s4, 31
	s_lshl_b64 s[12:13], s[4:5], 3
	s_add_u32 s6, s6, s12
	s_addc_u32 s7, s7, s13
	s_load_dwordx2 s[16:17], s[6:7], 0x0
	s_bfe_u32 s6, s18, 0x10008
	s_cmp_eq_u32 s6, 0
                                        ; implicit-def: $sgpr12_sgpr13
	s_cbranch_scc1 .LBB73_3
; %bb.2:
	s_load_dword s6, s[2:3], 0x20
	s_load_dwordx2 s[12:13], s[2:3], 0x18
	s_mul_i32 s7, s8, s5
	s_mul_hi_u32 s18, s8, s4
	s_add_i32 s18, s18, s7
	s_mul_i32 s9, s9, s4
	s_add_i32 s9, s18, s9
	s_mul_i32 s8, s8, s4
	s_waitcnt lgkmcnt(0)
	s_ashr_i32 s7, s6, 31
	s_lshl_b64 s[8:9], s[8:9], 2
	s_add_u32 s8, s12, s8
	s_addc_u32 s9, s13, s9
	s_lshl_b64 s[6:7], s[6:7], 2
	s_add_u32 s12, s8, s6
	s_addc_u32 s13, s9, s7
.LBB73_3:
	s_load_dwordx2 s[6:7], s[2:3], 0x8
	s_load_dword s27, s[2:3], 0x38
	v_lshlrev_b32_e32 v34, 4, v1
	v_mov_b32_e32 v35, 0
	s_movk_i32 s22, 0x50
	s_waitcnt lgkmcnt(0)
	s_ashr_i32 s3, s6, 31
	s_mov_b32 s2, s6
	s_lshl_b64 s[2:3], s[2:3], 4
	s_add_u32 s2, s16, s2
	s_addc_u32 s3, s17, s3
	v_lshl_add_u64 v[14:15], s[2:3], 0, v[34:35]
	flat_load_dwordx4 v[2:5], v[14:15]
	s_mov_b32 s8, s7
	s_ashr_i32 s9, s7, 31
	v_lshl_add_u64 v[16:17], s[8:9], 4, v[14:15]
	s_add_i32 s6, s7, s7
	v_add_u32_e32 v6, s6, v1
	v_ashrrev_i32_e32 v7, 31, v6
	v_lshl_add_u64 v[18:19], v[6:7], 4, s[2:3]
	v_add_u32_e32 v6, s7, v6
	v_ashrrev_i32_e32 v7, 31, v6
	v_lshl_add_u64 v[20:21], v[6:7], 4, s[2:3]
	;; [unrolled: 3-line block ×8, first 2 shown]
	s_movk_i32 s21, 0x60
	s_movk_i32 s20, 0x70
	;; [unrolled: 1-line block ×4, first 2 shown]
	s_mov_b32 s26, 16
	s_mov_b32 s25, 32
	;; [unrolled: 1-line block ×4, first 2 shown]
	s_bitcmp0_b32 s27, 0
	s_mov_b64 s[6:7], -1
	s_waitcnt vmcnt(0) lgkmcnt(0)
	scratch_store_dwordx4 off, v[2:5], off
	flat_load_dwordx4 v[2:5], v[16:17]
	s_waitcnt vmcnt(0) lgkmcnt(0)
	scratch_store_dwordx4 off, v[2:5], off offset:16
	flat_load_dwordx4 v[2:5], v[18:19]
	s_waitcnt vmcnt(0) lgkmcnt(0)
	scratch_store_dwordx4 off, v[2:5], off offset:32
	;; [unrolled: 3-line block ×9, first 2 shown]
	s_cbranch_scc1 .LBB73_52
; %bb.4:
	v_cmp_eq_u32_e64 s[2:3], 0, v1
	s_and_saveexec_b64 s[6:7], s[2:3]
; %bb.5:
	v_mov_b32_e32 v2, 0
	ds_write_b32 v2, v2 offset:320
; %bb.6:
	s_or_b64 exec, exec, s[6:7]
	s_waitcnt lgkmcnt(0)
	; wave barrier
	scratch_load_dwordx4 v[2:5], v34, off
	s_waitcnt vmcnt(0)
	v_cmp_eq_f64_e32 vcc, 0, v[2:3]
	v_cmp_eq_f64_e64 s[6:7], 0, v[4:5]
	s_and_b64 s[6:7], vcc, s[6:7]
	s_and_saveexec_b64 s[8:9], s[6:7]
	s_cbranch_execz .LBB73_10
; %bb.7:
	v_mov_b32_e32 v2, 0
	ds_read_b32 v4, v2 offset:320
	v_add_u32_e32 v3, 1, v1
	s_waitcnt lgkmcnt(0)
	v_readfirstlane_b32 s6, v4
	s_cmp_eq_u32 s6, 0
	s_cselect_b64 s[16:17], -1, 0
	v_cmp_gt_i32_e32 vcc, s6, v3
	s_or_b64 s[16:17], s[16:17], vcc
	s_and_b64 exec, exec, s[16:17]
	s_cbranch_execz .LBB73_10
; %bb.8:
	s_mov_b64 s[16:17], 0
	v_mov_b32_e32 v4, s6
.LBB73_9:                               ; =>This Inner Loop Header: Depth=1
	ds_cmpst_rtn_b32 v4, v2, v4, v3 offset:320
	s_waitcnt lgkmcnt(0)
	v_cmp_ne_u32_e32 vcc, 0, v4
	v_cmp_le_i32_e64 s[6:7], v4, v3
	s_and_b64 s[6:7], vcc, s[6:7]
	s_and_b64 s[6:7], exec, s[6:7]
	s_or_b64 s[16:17], s[6:7], s[16:17]
	s_andn2_b64 exec, exec, s[16:17]
	s_cbranch_execnz .LBB73_9
.LBB73_10:
	s_or_b64 exec, exec, s[8:9]
	v_mov_b32_e32 v3, 0
	; wave barrier
	ds_read_b32 v2, v3 offset:320
	s_and_saveexec_b64 s[6:7], s[2:3]
	s_cbranch_execz .LBB73_12
; %bb.11:
	s_lshl_b64 s[8:9], s[4:5], 2
	s_add_u32 s8, s10, s8
	s_addc_u32 s9, s11, s9
	s_waitcnt lgkmcnt(0)
	global_store_dword v3, v2, s[8:9]
.LBB73_12:
	s_or_b64 exec, exec, s[6:7]
	s_waitcnt lgkmcnt(0)
	v_cmp_ne_u32_e32 vcc, 0, v2
	s_mov_b64 s[6:7], 0
	s_cbranch_vccnz .LBB73_52
; %bb.13:
	v_mov_b32_e32 v35, v34
	scratch_load_dwordx4 v[2:5], v35, off
                                        ; implicit-def: $vgpr6_vgpr7
                                        ; implicit-def: $vgpr10_vgpr11
	s_waitcnt vmcnt(0)
	v_cmp_ngt_f64_e64 s[6:7], |v[2:3]|, |v[4:5]|
	s_and_saveexec_b64 s[8:9], s[6:7]
	s_xor_b64 s[6:7], exec, s[8:9]
	s_cbranch_execz .LBB73_15
; %bb.14:
	v_div_scale_f64 v[6:7], s[8:9], v[4:5], v[4:5], v[2:3]
	v_rcp_f64_e32 v[8:9], v[6:7]
	v_div_scale_f64 v[10:11], vcc, v[2:3], v[4:5], v[2:3]
	v_fma_f64 v[12:13], -v[6:7], v[8:9], 1.0
	v_fmac_f64_e32 v[8:9], v[8:9], v[12:13]
	v_fma_f64 v[12:13], -v[6:7], v[8:9], 1.0
	v_fmac_f64_e32 v[8:9], v[8:9], v[12:13]
	v_mul_f64 v[12:13], v[10:11], v[8:9]
	v_fma_f64 v[6:7], -v[6:7], v[12:13], v[10:11]
	v_div_fmas_f64 v[6:7], v[6:7], v[8:9], v[12:13]
	v_div_fixup_f64 v[6:7], v[6:7], v[4:5], v[2:3]
	v_fmac_f64_e32 v[4:5], v[2:3], v[6:7]
	v_div_scale_f64 v[2:3], s[8:9], v[4:5], v[4:5], 1.0
	v_rcp_f64_e32 v[8:9], v[2:3]
	s_nop 0
	v_fma_f64 v[10:11], -v[2:3], v[8:9], 1.0
	v_fmac_f64_e32 v[8:9], v[8:9], v[10:11]
	v_fma_f64 v[10:11], -v[2:3], v[8:9], 1.0
	v_fmac_f64_e32 v[8:9], v[8:9], v[10:11]
	v_div_scale_f64 v[10:11], vcc, 1.0, v[4:5], 1.0
	v_mul_f64 v[12:13], v[10:11], v[8:9]
	v_fma_f64 v[2:3], -v[2:3], v[12:13], v[10:11]
	s_nop 1
	v_div_fmas_f64 v[2:3], v[2:3], v[8:9], v[12:13]
	v_div_fixup_f64 v[8:9], v[2:3], v[4:5], 1.0
	v_mul_f64 v[6:7], v[6:7], v[8:9]
	v_xor_b32_e32 v9, 0x80000000, v9
	v_xor_b32_e32 v11, 0x80000000, v7
	v_mov_b32_e32 v10, v6
                                        ; implicit-def: $vgpr2_vgpr3
.LBB73_15:
	s_andn2_saveexec_b64 s[6:7], s[6:7]
	s_cbranch_execz .LBB73_17
; %bb.16:
	v_div_scale_f64 v[6:7], s[8:9], v[2:3], v[2:3], v[4:5]
	v_rcp_f64_e32 v[8:9], v[6:7]
	v_div_scale_f64 v[10:11], vcc, v[4:5], v[2:3], v[4:5]
	v_fma_f64 v[12:13], -v[6:7], v[8:9], 1.0
	v_fmac_f64_e32 v[8:9], v[8:9], v[12:13]
	v_fma_f64 v[12:13], -v[6:7], v[8:9], 1.0
	v_fmac_f64_e32 v[8:9], v[8:9], v[12:13]
	v_mul_f64 v[12:13], v[10:11], v[8:9]
	v_fma_f64 v[6:7], -v[6:7], v[12:13], v[10:11]
	v_div_fmas_f64 v[6:7], v[6:7], v[8:9], v[12:13]
	v_div_fixup_f64 v[8:9], v[6:7], v[2:3], v[4:5]
	v_fmac_f64_e32 v[2:3], v[4:5], v[8:9]
	v_div_scale_f64 v[4:5], s[8:9], v[2:3], v[2:3], 1.0
	v_rcp_f64_e32 v[6:7], v[4:5]
	s_nop 0
	v_fma_f64 v[10:11], -v[4:5], v[6:7], 1.0
	v_fmac_f64_e32 v[6:7], v[6:7], v[10:11]
	v_fma_f64 v[10:11], -v[4:5], v[6:7], 1.0
	v_fmac_f64_e32 v[6:7], v[6:7], v[10:11]
	v_div_scale_f64 v[10:11], vcc, 1.0, v[2:3], 1.0
	v_mul_f64 v[12:13], v[10:11], v[6:7]
	v_fma_f64 v[4:5], -v[4:5], v[12:13], v[10:11]
	s_nop 1
	v_div_fmas_f64 v[4:5], v[4:5], v[6:7], v[12:13]
	v_div_fixup_f64 v[6:7], v[4:5], v[2:3], 1.0
	v_xor_b32_e32 v11, 0x80000000, v7
	v_mov_b32_e32 v10, v6
	v_mul_f64 v[8:9], v[8:9], -v[6:7]
.LBB73_17:
	s_or_b64 exec, exec, s[6:7]
	scratch_store_dwordx4 v35, v[6:9], off
	scratch_load_dwordx4 v[2:5], off, s26
	v_xor_b32_e32 v13, 0x80000000, v9
	v_mov_b32_e32 v12, v8
	v_add_u32_e32 v6, 0xa0, v34
	ds_write_b128 v34, v[10:13]
	s_waitcnt vmcnt(0)
	ds_write_b128 v34, v[2:5] offset:160
	s_waitcnt lgkmcnt(0)
	; wave barrier
	s_and_saveexec_b64 s[6:7], s[2:3]
	s_cbranch_execz .LBB73_19
; %bb.18:
	scratch_load_dwordx4 v[2:5], v35, off
	ds_read_b128 v[8:11], v6
	v_mov_b32_e32 v7, 0
	ds_read_b128 v[36:39], v7 offset:16
	s_waitcnt vmcnt(0) lgkmcnt(1)
	v_mul_f64 v[12:13], v[10:11], v[4:5]
	v_mul_f64 v[4:5], v[8:9], v[4:5]
	v_fma_f64 v[8:9], v[8:9], v[2:3], -v[12:13]
	v_fmac_f64_e32 v[4:5], v[10:11], v[2:3]
	v_add_f64 v[2:3], v[8:9], 0
	v_add_f64 v[8:9], v[4:5], 0
	s_waitcnt lgkmcnt(0)
	v_mul_f64 v[10:11], v[8:9], v[38:39]
	v_mul_f64 v[4:5], v[2:3], v[38:39]
	v_fma_f64 v[2:3], v[2:3], v[36:37], -v[10:11]
	v_fmac_f64_e32 v[4:5], v[8:9], v[36:37]
	scratch_store_dwordx4 off, v[2:5], off offset:16
.LBB73_19:
	s_or_b64 exec, exec, s[6:7]
	; wave barrier
	scratch_load_dwordx4 v[2:5], off, s25
	v_cmp_gt_u32_e32 vcc, 2, v1
	s_waitcnt vmcnt(0)
	ds_write_b128 v6, v[2:5]
	s_waitcnt lgkmcnt(0)
	; wave barrier
	s_and_saveexec_b64 s[6:7], vcc
	s_cbranch_execz .LBB73_23
; %bb.20:
	scratch_load_dwordx4 v[2:5], v35, off
	ds_read_b128 v[8:11], v6
	s_waitcnt vmcnt(0) lgkmcnt(0)
	v_mul_f64 v[12:13], v[10:11], v[4:5]
	v_mul_f64 v[36:37], v[8:9], v[4:5]
	v_fma_f64 v[4:5], v[8:9], v[2:3], -v[12:13]
	v_fmac_f64_e32 v[36:37], v[10:11], v[2:3]
	v_add_f64 v[4:5], v[4:5], 0
	v_add_f64 v[2:3], v[36:37], 0
	s_and_saveexec_b64 s[8:9], s[2:3]
	s_cbranch_execz .LBB73_22
; %bb.21:
	scratch_load_dwordx4 v[8:11], off, off offset:16
	v_mov_b32_e32 v7, 0
	ds_read_b128 v[36:39], v7 offset:176
	s_waitcnt vmcnt(0) lgkmcnt(0)
	v_mul_f64 v[12:13], v[36:37], v[10:11]
	v_mul_f64 v[10:11], v[38:39], v[10:11]
	v_fmac_f64_e32 v[12:13], v[38:39], v[8:9]
	v_fma_f64 v[8:9], v[36:37], v[8:9], -v[10:11]
	v_add_f64 v[2:3], v[2:3], v[12:13]
	v_add_f64 v[4:5], v[4:5], v[8:9]
.LBB73_22:
	s_or_b64 exec, exec, s[8:9]
	v_mov_b32_e32 v7, 0
	ds_read_b128 v[8:11], v7 offset:32
	s_waitcnt lgkmcnt(0)
	v_mul_f64 v[36:37], v[2:3], v[10:11]
	v_mul_f64 v[12:13], v[4:5], v[10:11]
	v_fma_f64 v[10:11], v[4:5], v[8:9], -v[36:37]
	v_fmac_f64_e32 v[12:13], v[2:3], v[8:9]
	scratch_store_dwordx4 off, v[10:13], off offset:32
.LBB73_23:
	s_or_b64 exec, exec, s[6:7]
	; wave barrier
	scratch_load_dwordx4 v[2:5], off, s24
	v_cmp_gt_u32_e32 vcc, 3, v1
	v_add_u32_e32 v7, -1, v1
	s_waitcnt vmcnt(0)
	ds_write_b128 v6, v[2:5]
	s_waitcnt lgkmcnt(0)
	; wave barrier
	s_and_saveexec_b64 s[2:3], vcc
	s_cbranch_execz .LBB73_27
; %bb.24:
	v_add_u32_e32 v8, -1, v1
	v_add_u32_e32 v9, 0xa0, v34
	v_mov_b32_e32 v10, v34
	v_mov_b64_e32 v[2:3], 0
	s_mov_b64 s[6:7], 0
	v_mov_b64_e32 v[4:5], 0
.LBB73_25:                              ; =>This Inner Loop Header: Depth=1
	scratch_load_dwordx4 v[36:39], v10, off
	ds_read_b128 v[40:43], v9
	v_add_u32_e32 v8, 1, v8
	v_cmp_lt_u32_e32 vcc, 1, v8
	v_add_u32_e32 v9, 16, v9
	v_add_u32_e32 v10, 16, v10
	s_or_b64 s[6:7], vcc, s[6:7]
	s_waitcnt vmcnt(0) lgkmcnt(0)
	v_mul_f64 v[12:13], v[42:43], v[38:39]
	v_mul_f64 v[38:39], v[40:41], v[38:39]
	v_fma_f64 v[12:13], v[40:41], v[36:37], -v[12:13]
	v_fmac_f64_e32 v[38:39], v[42:43], v[36:37]
	v_add_f64 v[4:5], v[4:5], v[12:13]
	v_add_f64 v[2:3], v[2:3], v[38:39]
	s_andn2_b64 exec, exec, s[6:7]
	s_cbranch_execnz .LBB73_25
; %bb.26:
	s_or_b64 exec, exec, s[6:7]
	v_mov_b32_e32 v8, 0
	ds_read_b128 v[8:11], v8 offset:48
	s_waitcnt lgkmcnt(0)
	v_mul_f64 v[36:37], v[2:3], v[10:11]
	v_mul_f64 v[12:13], v[4:5], v[10:11]
	v_fma_f64 v[10:11], v[4:5], v[8:9], -v[36:37]
	v_fmac_f64_e32 v[12:13], v[2:3], v[8:9]
	scratch_store_dwordx4 off, v[10:13], off offset:48
.LBB73_27:
	s_or_b64 exec, exec, s[2:3]
	; wave barrier
	scratch_load_dwordx4 v[2:5], off, s23
	v_cmp_gt_u32_e32 vcc, 4, v1
	s_waitcnt vmcnt(0)
	ds_write_b128 v6, v[2:5]
	s_waitcnt lgkmcnt(0)
	; wave barrier
	s_and_saveexec_b64 s[2:3], vcc
	s_cbranch_execz .LBB73_31
; %bb.28:
	v_add_u32_e32 v8, -1, v1
	v_add_u32_e32 v9, 0xa0, v34
	v_mov_b32_e32 v10, v34
	v_mov_b64_e32 v[2:3], 0
	s_mov_b64 s[6:7], 0
	v_mov_b64_e32 v[4:5], 0
.LBB73_29:                              ; =>This Inner Loop Header: Depth=1
	scratch_load_dwordx4 v[36:39], v10, off
	ds_read_b128 v[40:43], v9
	v_add_u32_e32 v8, 1, v8
	v_cmp_lt_u32_e32 vcc, 2, v8
	v_add_u32_e32 v9, 16, v9
	v_add_u32_e32 v10, 16, v10
	s_or_b64 s[6:7], vcc, s[6:7]
	s_waitcnt vmcnt(0) lgkmcnt(0)
	v_mul_f64 v[12:13], v[42:43], v[38:39]
	v_mul_f64 v[38:39], v[40:41], v[38:39]
	v_fma_f64 v[12:13], v[40:41], v[36:37], -v[12:13]
	v_fmac_f64_e32 v[38:39], v[42:43], v[36:37]
	v_add_f64 v[4:5], v[4:5], v[12:13]
	v_add_f64 v[2:3], v[2:3], v[38:39]
	s_andn2_b64 exec, exec, s[6:7]
	s_cbranch_execnz .LBB73_29
; %bb.30:
	s_or_b64 exec, exec, s[6:7]
	v_mov_b32_e32 v8, 0
	ds_read_b128 v[8:11], v8 offset:64
	s_waitcnt lgkmcnt(0)
	v_mul_f64 v[36:37], v[2:3], v[10:11]
	v_mul_f64 v[12:13], v[4:5], v[10:11]
	v_fma_f64 v[10:11], v[4:5], v[8:9], -v[36:37]
	v_fmac_f64_e32 v[12:13], v[2:3], v[8:9]
	scratch_store_dwordx4 off, v[10:13], off offset:64
.LBB73_31:
	s_or_b64 exec, exec, s[2:3]
	; wave barrier
	scratch_load_dwordx4 v[2:5], off, s22
	v_cmp_gt_u32_e32 vcc, 5, v1
	;; [unrolled: 45-line block ×5, first 2 shown]
	s_waitcnt vmcnt(0)
	ds_write_b128 v6, v[2:5]
	s_waitcnt lgkmcnt(0)
	; wave barrier
	s_and_saveexec_b64 s[2:3], vcc
	s_cbranch_execz .LBB73_47
; %bb.44:
	v_add_u32_e32 v8, -1, v1
	v_add_u32_e32 v9, 0xa0, v34
	v_mov_b32_e32 v10, v34
	v_mov_b64_e32 v[2:3], 0
	s_mov_b64 s[6:7], 0
	v_mov_b64_e32 v[4:5], 0
.LBB73_45:                              ; =>This Inner Loop Header: Depth=1
	scratch_load_dwordx4 v[36:39], v10, off
	ds_read_b128 v[40:43], v9
	v_add_u32_e32 v8, 1, v8
	v_cmp_lt_u32_e32 vcc, 6, v8
	v_add_u32_e32 v9, 16, v9
	v_add_u32_e32 v10, 16, v10
	s_or_b64 s[6:7], vcc, s[6:7]
	s_waitcnt vmcnt(0) lgkmcnt(0)
	v_mul_f64 v[12:13], v[42:43], v[38:39]
	v_mul_f64 v[38:39], v[40:41], v[38:39]
	v_fma_f64 v[12:13], v[40:41], v[36:37], -v[12:13]
	v_fmac_f64_e32 v[38:39], v[42:43], v[36:37]
	v_add_f64 v[4:5], v[4:5], v[12:13]
	v_add_f64 v[2:3], v[2:3], v[38:39]
	s_andn2_b64 exec, exec, s[6:7]
	s_cbranch_execnz .LBB73_45
; %bb.46:
	s_or_b64 exec, exec, s[6:7]
	v_mov_b32_e32 v8, 0
	ds_read_b128 v[8:11], v8 offset:128
	s_waitcnt lgkmcnt(0)
	v_mul_f64 v[36:37], v[2:3], v[10:11]
	v_mul_f64 v[12:13], v[4:5], v[10:11]
	v_fma_f64 v[10:11], v[4:5], v[8:9], -v[36:37]
	v_fmac_f64_e32 v[12:13], v[2:3], v[8:9]
	scratch_store_dwordx4 off, v[10:13], off offset:128
.LBB73_47:
	s_or_b64 exec, exec, s[2:3]
	; wave barrier
	scratch_load_dwordx4 v[2:5], off, s18
	v_cmp_ne_u32_e32 vcc, 9, v1
	s_waitcnt vmcnt(0)
	ds_write_b128 v6, v[2:5]
	s_waitcnt lgkmcnt(0)
	; wave barrier
	s_and_saveexec_b64 s[2:3], vcc
	s_cbranch_execz .LBB73_51
; %bb.48:
	v_add_u32_e32 v6, 0xa0, v34
	v_mov_b32_e32 v8, v34
	v_mov_b64_e32 v[2:3], 0
	s_mov_b64 s[6:7], 0
	v_mov_b64_e32 v[4:5], 0
.LBB73_49:                              ; =>This Inner Loop Header: Depth=1
	scratch_load_dwordx4 v[10:13], v8, off
	ds_read_b128 v[34:37], v6
	v_add_u32_e32 v7, 1, v7
	v_cmp_lt_u32_e32 vcc, 7, v7
	v_add_u32_e32 v6, 16, v6
	v_add_u32_e32 v8, 16, v8
	s_or_b64 s[6:7], vcc, s[6:7]
	s_waitcnt vmcnt(0) lgkmcnt(0)
	v_mul_f64 v[38:39], v[36:37], v[12:13]
	v_mul_f64 v[12:13], v[34:35], v[12:13]
	v_fma_f64 v[34:35], v[34:35], v[10:11], -v[38:39]
	v_fmac_f64_e32 v[12:13], v[36:37], v[10:11]
	v_add_f64 v[4:5], v[4:5], v[34:35]
	v_add_f64 v[2:3], v[2:3], v[12:13]
	s_andn2_b64 exec, exec, s[6:7]
	s_cbranch_execnz .LBB73_49
; %bb.50:
	s_or_b64 exec, exec, s[6:7]
	v_mov_b32_e32 v6, 0
	ds_read_b128 v[6:9], v6 offset:144
	s_waitcnt lgkmcnt(0)
	v_mul_f64 v[12:13], v[2:3], v[8:9]
	v_mul_f64 v[10:11], v[4:5], v[8:9]
	v_fma_f64 v[8:9], v[4:5], v[6:7], -v[12:13]
	v_fmac_f64_e32 v[10:11], v[2:3], v[6:7]
	scratch_store_dwordx4 off, v[8:11], off offset:144
.LBB73_51:
	s_or_b64 exec, exec, s[2:3]
	s_mov_b64 s[6:7], -1
	; wave barrier
.LBB73_52:
	s_and_b64 vcc, exec, s[6:7]
	s_cbranch_vccz .LBB73_54
; %bb.53:
	s_lshl_b64 s[2:3], s[4:5], 2
	s_add_u32 s2, s10, s2
	s_addc_u32 s3, s11, s3
	v_mov_b32_e32 v2, 0
	global_load_dword v2, v2, s[2:3]
	s_waitcnt vmcnt(0)
	v_cmp_ne_u32_e32 vcc, 0, v2
	s_cbranch_vccz .LBB73_55
.LBB73_54:
	s_endpgm
.LBB73_55:
	v_mov_b32_e32 v2, 0xa0
	v_lshl_add_u32 v6, v1, 4, v2
	v_cmp_eq_u32_e32 vcc, 9, v1
	s_and_saveexec_b64 s[2:3], vcc
	s_cbranch_execz .LBB73_57
; %bb.56:
	scratch_load_dwordx4 v[2:5], off, s19
	v_mov_b32_e32 v8, 0
	v_mov_b32_e32 v9, v8
	;; [unrolled: 1-line block ×4, first 2 shown]
	scratch_store_dwordx4 off, v[8:11], off offset:128
	s_waitcnt vmcnt(1)
	ds_write_b128 v6, v[2:5]
.LBB73_57:
	s_or_b64 exec, exec, s[2:3]
	s_waitcnt lgkmcnt(0)
	; wave barrier
	scratch_load_dwordx4 v[8:11], off, off offset:144
	scratch_load_dwordx4 v[34:37], off, off offset:128
	v_mov_b32_e32 v2, 0
	ds_read_b128 v[38:41], v2 offset:304
	v_cmp_lt_u32_e32 vcc, 7, v1
	s_waitcnt vmcnt(1) lgkmcnt(0)
	v_mul_f64 v[4:5], v[38:39], v[10:11]
	v_mul_f64 v[10:11], v[40:41], v[10:11]
	v_fmac_f64_e32 v[4:5], v[40:41], v[8:9]
	v_fma_f64 v[8:9], v[38:39], v[8:9], -v[10:11]
	v_add_f64 v[4:5], v[4:5], 0
	v_add_f64 v[8:9], v[8:9], 0
	s_waitcnt vmcnt(0)
	v_add_f64 v[8:9], v[34:35], -v[8:9]
	v_add_f64 v[10:11], v[36:37], -v[4:5]
	scratch_store_dwordx4 off, v[8:11], off offset:128
	s_and_saveexec_b64 s[2:3], vcc
	s_cbranch_execz .LBB73_59
; %bb.58:
	scratch_load_dwordx4 v[8:11], off, s20
	v_mov_b32_e32 v3, v2
	v_mov_b32_e32 v4, v2
	;; [unrolled: 1-line block ×3, first 2 shown]
	scratch_store_dwordx4 off, v[2:5], off offset:112
	s_waitcnt vmcnt(1)
	ds_write_b128 v6, v[8:11]
.LBB73_59:
	s_or_b64 exec, exec, s[2:3]
	s_waitcnt lgkmcnt(0)
	; wave barrier
	scratch_load_dwordx4 v[8:11], off, off offset:128
	scratch_load_dwordx4 v[34:37], off, off offset:144
	;; [unrolled: 1-line block ×3, first 2 shown]
	ds_read_b128 v[42:45], v2 offset:288
	ds_read_b128 v[2:5], v2 offset:304
	v_cmp_lt_u32_e32 vcc, 6, v1
	s_waitcnt vmcnt(2) lgkmcnt(1)
	v_mul_f64 v[12:13], v[42:43], v[10:11]
	s_waitcnt vmcnt(1) lgkmcnt(0)
	v_mul_f64 v[46:47], v[2:3], v[36:37]
	v_mul_f64 v[10:11], v[44:45], v[10:11]
	;; [unrolled: 1-line block ×3, first 2 shown]
	v_fmac_f64_e32 v[12:13], v[44:45], v[8:9]
	v_fmac_f64_e32 v[46:47], v[4:5], v[34:35]
	v_fma_f64 v[4:5], v[42:43], v[8:9], -v[10:11]
	v_fma_f64 v[2:3], v[2:3], v[34:35], -v[36:37]
	v_add_f64 v[8:9], v[12:13], 0
	v_add_f64 v[4:5], v[4:5], 0
	;; [unrolled: 1-line block ×4, first 2 shown]
	s_waitcnt vmcnt(0)
	v_add_f64 v[2:3], v[38:39], -v[2:3]
	v_add_f64 v[4:5], v[40:41], -v[8:9]
	scratch_store_dwordx4 off, v[2:5], off offset:112
	s_and_saveexec_b64 s[2:3], vcc
	s_cbranch_execz .LBB73_61
; %bb.60:
	scratch_load_dwordx4 v[2:5], off, s21
	v_mov_b32_e32 v8, 0
	v_mov_b32_e32 v9, v8
	;; [unrolled: 1-line block ×4, first 2 shown]
	scratch_store_dwordx4 off, v[8:11], off offset:96
	s_waitcnt vmcnt(1)
	ds_write_b128 v6, v[2:5]
.LBB73_61:
	s_or_b64 exec, exec, s[2:3]
	s_waitcnt lgkmcnt(0)
	; wave barrier
	scratch_load_dwordx4 v[8:11], off, off offset:112
	scratch_load_dwordx4 v[34:37], off, off offset:128
	;; [unrolled: 1-line block ×4, first 2 shown]
	v_mov_b32_e32 v2, 0
	ds_read_b128 v[46:49], v2 offset:272
	ds_read_b128 v[50:53], v2 offset:288
	ds_read_b128 v[54:57], v2 offset:304
	v_cmp_lt_u32_e32 vcc, 5, v1
	s_waitcnt vmcnt(3) lgkmcnt(2)
	v_mul_f64 v[4:5], v[46:47], v[10:11]
	v_mul_f64 v[10:11], v[48:49], v[10:11]
	s_waitcnt vmcnt(2) lgkmcnt(1)
	v_mul_f64 v[12:13], v[50:51], v[36:37]
	v_mul_f64 v[36:37], v[52:53], v[36:37]
	v_fmac_f64_e32 v[4:5], v[48:49], v[8:9]
	v_fma_f64 v[8:9], v[46:47], v[8:9], -v[10:11]
	s_waitcnt vmcnt(1) lgkmcnt(0)
	v_mul_f64 v[58:59], v[54:55], v[40:41]
	v_mul_f64 v[40:41], v[56:57], v[40:41]
	v_fmac_f64_e32 v[12:13], v[52:53], v[34:35]
	v_fma_f64 v[10:11], v[50:51], v[34:35], -v[36:37]
	v_add_f64 v[4:5], v[4:5], 0
	v_add_f64 v[8:9], v[8:9], 0
	v_fmac_f64_e32 v[58:59], v[56:57], v[38:39]
	v_fma_f64 v[34:35], v[54:55], v[38:39], -v[40:41]
	v_add_f64 v[4:5], v[4:5], v[12:13]
	v_add_f64 v[8:9], v[8:9], v[10:11]
	;; [unrolled: 1-line block ×4, first 2 shown]
	s_waitcnt vmcnt(0)
	v_add_f64 v[8:9], v[42:43], -v[8:9]
	v_add_f64 v[10:11], v[44:45], -v[4:5]
	scratch_store_dwordx4 off, v[8:11], off offset:96
	s_and_saveexec_b64 s[2:3], vcc
	s_cbranch_execz .LBB73_63
; %bb.62:
	scratch_load_dwordx4 v[8:11], off, s22
	v_mov_b32_e32 v3, v2
	v_mov_b32_e32 v4, v2
	;; [unrolled: 1-line block ×3, first 2 shown]
	scratch_store_dwordx4 off, v[2:5], off offset:80
	s_waitcnt vmcnt(1)
	ds_write_b128 v6, v[8:11]
.LBB73_63:
	s_or_b64 exec, exec, s[2:3]
	s_waitcnt lgkmcnt(0)
	; wave barrier
	scratch_load_dwordx4 v[8:11], off, off offset:96
	scratch_load_dwordx4 v[34:37], off, off offset:112
	;; [unrolled: 1-line block ×5, first 2 shown]
	ds_read_b128 v[50:53], v2 offset:256
	ds_read_b128 v[54:57], v2 offset:272
	;; [unrolled: 1-line block ×4, first 2 shown]
	v_cmp_lt_u32_e32 vcc, 4, v1
	s_waitcnt vmcnt(4) lgkmcnt(3)
	v_mul_f64 v[12:13], v[50:51], v[10:11]
	v_mul_f64 v[10:11], v[52:53], v[10:11]
	s_waitcnt vmcnt(3) lgkmcnt(2)
	v_mul_f64 v[62:63], v[54:55], v[36:37]
	s_waitcnt vmcnt(1) lgkmcnt(0)
	v_mul_f64 v[66:67], v[2:3], v[44:45]
	v_mul_f64 v[36:37], v[56:57], v[36:37]
	;; [unrolled: 1-line block ×3, first 2 shown]
	v_fmac_f64_e32 v[12:13], v[52:53], v[8:9]
	v_fmac_f64_e32 v[66:67], v[4:5], v[42:43]
	v_fma_f64 v[4:5], v[50:51], v[8:9], -v[10:11]
	v_mul_f64 v[64:65], v[58:59], v[40:41]
	v_mul_f64 v[40:41], v[60:61], v[40:41]
	v_fmac_f64_e32 v[62:63], v[56:57], v[34:35]
	v_fma_f64 v[8:9], v[54:55], v[34:35], -v[36:37]
	v_add_f64 v[12:13], v[12:13], 0
	v_add_f64 v[4:5], v[4:5], 0
	v_fmac_f64_e32 v[64:65], v[60:61], v[38:39]
	v_fma_f64 v[10:11], v[58:59], v[38:39], -v[40:41]
	v_add_f64 v[12:13], v[12:13], v[62:63]
	v_add_f64 v[4:5], v[4:5], v[8:9]
	v_fma_f64 v[2:3], v[2:3], v[42:43], -v[44:45]
	v_add_f64 v[8:9], v[12:13], v[64:65]
	v_add_f64 v[4:5], v[4:5], v[10:11]
	;; [unrolled: 1-line block ×4, first 2 shown]
	s_waitcnt vmcnt(0)
	v_add_f64 v[2:3], v[46:47], -v[2:3]
	v_add_f64 v[4:5], v[48:49], -v[8:9]
	scratch_store_dwordx4 off, v[2:5], off offset:80
	s_and_saveexec_b64 s[2:3], vcc
	s_cbranch_execz .LBB73_65
; %bb.64:
	scratch_load_dwordx4 v[2:5], off, s23
	v_mov_b32_e32 v8, 0
	v_mov_b32_e32 v9, v8
	;; [unrolled: 1-line block ×4, first 2 shown]
	scratch_store_dwordx4 off, v[8:11], off offset:64
	s_waitcnt vmcnt(1)
	ds_write_b128 v6, v[2:5]
.LBB73_65:
	s_or_b64 exec, exec, s[2:3]
	s_waitcnt lgkmcnt(0)
	; wave barrier
	scratch_load_dwordx4 v[8:11], off, off offset:80
	scratch_load_dwordx4 v[34:37], off, off offset:96
	;; [unrolled: 1-line block ×6, first 2 shown]
	v_mov_b32_e32 v2, 0
	ds_read_b128 v[54:57], v2 offset:240
	ds_read_b128 v[58:61], v2 offset:256
	;; [unrolled: 1-line block ×5, first 2 shown]
	v_cmp_lt_u32_e32 vcc, 3, v1
	s_waitcnt vmcnt(5) lgkmcnt(4)
	v_mul_f64 v[4:5], v[54:55], v[10:11]
	v_mul_f64 v[10:11], v[56:57], v[10:11]
	s_waitcnt vmcnt(4) lgkmcnt(3)
	v_mul_f64 v[12:13], v[58:59], v[36:37]
	v_mul_f64 v[36:37], v[60:61], v[36:37]
	v_fmac_f64_e32 v[4:5], v[56:57], v[8:9]
	v_fma_f64 v[8:9], v[54:55], v[8:9], -v[10:11]
	s_waitcnt vmcnt(3) lgkmcnt(2)
	v_mul_f64 v[74:75], v[62:63], v[40:41]
	v_mul_f64 v[40:41], v[64:65], v[40:41]
	v_fmac_f64_e32 v[12:13], v[60:61], v[34:35]
	v_fma_f64 v[10:11], v[58:59], v[34:35], -v[36:37]
	v_add_f64 v[4:5], v[4:5], 0
	v_add_f64 v[8:9], v[8:9], 0
	s_waitcnt vmcnt(2) lgkmcnt(1)
	v_mul_f64 v[76:77], v[66:67], v[44:45]
	v_mul_f64 v[44:45], v[68:69], v[44:45]
	v_fmac_f64_e32 v[74:75], v[64:65], v[38:39]
	v_fma_f64 v[34:35], v[62:63], v[38:39], -v[40:41]
	v_add_f64 v[4:5], v[4:5], v[12:13]
	v_add_f64 v[8:9], v[8:9], v[10:11]
	;; [unrolled: 7-line block ×3, first 2 shown]
	v_fmac_f64_e32 v[78:79], v[72:73], v[46:47]
	v_fma_f64 v[38:39], v[70:71], v[46:47], -v[48:49]
	v_add_f64 v[4:5], v[4:5], v[76:77]
	v_add_f64 v[8:9], v[8:9], v[36:37]
	;; [unrolled: 1-line block ×4, first 2 shown]
	s_waitcnt vmcnt(0)
	v_add_f64 v[8:9], v[50:51], -v[8:9]
	v_add_f64 v[10:11], v[52:53], -v[4:5]
	scratch_store_dwordx4 off, v[8:11], off offset:64
	s_and_saveexec_b64 s[2:3], vcc
	s_cbranch_execz .LBB73_67
; %bb.66:
	scratch_load_dwordx4 v[8:11], off, s24
	v_mov_b32_e32 v3, v2
	v_mov_b32_e32 v4, v2
	;; [unrolled: 1-line block ×3, first 2 shown]
	scratch_store_dwordx4 off, v[2:5], off offset:48
	s_waitcnt vmcnt(1)
	ds_write_b128 v6, v[8:11]
.LBB73_67:
	s_or_b64 exec, exec, s[2:3]
	s_waitcnt lgkmcnt(0)
	; wave barrier
	scratch_load_dwordx4 v[8:11], off, off offset:64
	scratch_load_dwordx4 v[34:37], off, off offset:80
	scratch_load_dwordx4 v[38:41], off, off offset:96
	scratch_load_dwordx4 v[42:45], off, off offset:112
	scratch_load_dwordx4 v[46:49], off, off offset:128
	scratch_load_dwordx4 v[50:53], off, off offset:144
	scratch_load_dwordx4 v[54:57], off, off offset:48
	ds_read_b128 v[58:61], v2 offset:224
	ds_read_b128 v[62:65], v2 offset:240
	;; [unrolled: 1-line block ×6, first 2 shown]
	v_cmp_lt_u32_e32 vcc, 2, v1
	s_waitcnt vmcnt(6) lgkmcnt(5)
	v_mul_f64 v[12:13], v[58:59], v[10:11]
	v_mul_f64 v[10:11], v[60:61], v[10:11]
	s_waitcnt vmcnt(5) lgkmcnt(4)
	v_mul_f64 v[78:79], v[62:63], v[36:37]
	v_mul_f64 v[36:37], v[64:65], v[36:37]
	v_fmac_f64_e32 v[12:13], v[60:61], v[8:9]
	s_waitcnt vmcnt(1) lgkmcnt(0)
	v_mul_f64 v[86:87], v[2:3], v[52:53]
	v_fma_f64 v[8:9], v[58:59], v[8:9], -v[10:11]
	v_mul_f64 v[80:81], v[66:67], v[40:41]
	v_mul_f64 v[40:41], v[68:69], v[40:41]
	;; [unrolled: 1-line block ×3, first 2 shown]
	v_fmac_f64_e32 v[78:79], v[64:65], v[34:35]
	v_fmac_f64_e32 v[86:87], v[4:5], v[50:51]
	v_fma_f64 v[4:5], v[62:63], v[34:35], -v[36:37]
	v_add_f64 v[12:13], v[12:13], 0
	v_add_f64 v[8:9], v[8:9], 0
	v_mul_f64 v[82:83], v[70:71], v[44:45]
	v_mul_f64 v[44:45], v[72:73], v[44:45]
	v_fmac_f64_e32 v[80:81], v[68:69], v[38:39]
	v_fma_f64 v[10:11], v[66:67], v[38:39], -v[40:41]
	v_add_f64 v[12:13], v[12:13], v[78:79]
	v_add_f64 v[4:5], v[8:9], v[4:5]
	v_mul_f64 v[84:85], v[74:75], v[48:49]
	v_mul_f64 v[48:49], v[76:77], v[48:49]
	v_fmac_f64_e32 v[82:83], v[72:73], v[42:43]
	v_fma_f64 v[34:35], v[70:71], v[42:43], -v[44:45]
	v_add_f64 v[8:9], v[12:13], v[80:81]
	v_add_f64 v[4:5], v[4:5], v[10:11]
	v_fmac_f64_e32 v[84:85], v[76:77], v[46:47]
	v_fma_f64 v[36:37], v[74:75], v[46:47], -v[48:49]
	v_add_f64 v[8:9], v[8:9], v[82:83]
	v_add_f64 v[4:5], v[4:5], v[34:35]
	v_fma_f64 v[2:3], v[2:3], v[50:51], -v[52:53]
	v_add_f64 v[8:9], v[8:9], v[84:85]
	v_add_f64 v[4:5], v[4:5], v[36:37]
	;; [unrolled: 1-line block ×4, first 2 shown]
	s_waitcnt vmcnt(0)
	v_add_f64 v[2:3], v[54:55], -v[2:3]
	v_add_f64 v[4:5], v[56:57], -v[8:9]
	scratch_store_dwordx4 off, v[2:5], off offset:48
	s_and_saveexec_b64 s[2:3], vcc
	s_cbranch_execz .LBB73_69
; %bb.68:
	scratch_load_dwordx4 v[2:5], off, s25
	v_mov_b32_e32 v8, 0
	v_mov_b32_e32 v9, v8
	;; [unrolled: 1-line block ×4, first 2 shown]
	scratch_store_dwordx4 off, v[8:11], off offset:32
	s_waitcnt vmcnt(1)
	ds_write_b128 v6, v[2:5]
.LBB73_69:
	s_or_b64 exec, exec, s[2:3]
	s_waitcnt lgkmcnt(0)
	; wave barrier
	scratch_load_dwordx4 v[8:11], off, off offset:48
	scratch_load_dwordx4 v[34:37], off, off offset:64
	;; [unrolled: 1-line block ×8, first 2 shown]
	v_mov_b32_e32 v2, 0
	ds_read_b128 v[62:65], v2 offset:208
	ds_read_b128 v[66:69], v2 offset:224
	;; [unrolled: 1-line block ×7, first 2 shown]
	v_cmp_lt_u32_e32 vcc, 1, v1
	s_waitcnt vmcnt(7) lgkmcnt(6)
	v_mul_f64 v[4:5], v[62:63], v[10:11]
	v_mul_f64 v[10:11], v[64:65], v[10:11]
	s_waitcnt vmcnt(6) lgkmcnt(5)
	v_mul_f64 v[12:13], v[66:67], v[36:37]
	v_mul_f64 v[36:37], v[68:69], v[36:37]
	v_fmac_f64_e32 v[4:5], v[64:65], v[8:9]
	v_fma_f64 v[8:9], v[62:63], v[8:9], -v[10:11]
	s_waitcnt vmcnt(5) lgkmcnt(4)
	v_mul_f64 v[90:91], v[70:71], v[40:41]
	v_mul_f64 v[40:41], v[72:73], v[40:41]
	v_fmac_f64_e32 v[12:13], v[68:69], v[34:35]
	v_fma_f64 v[10:11], v[66:67], v[34:35], -v[36:37]
	v_add_f64 v[4:5], v[4:5], 0
	v_add_f64 v[8:9], v[8:9], 0
	s_waitcnt vmcnt(4) lgkmcnt(3)
	v_mul_f64 v[92:93], v[74:75], v[44:45]
	v_mul_f64 v[44:45], v[76:77], v[44:45]
	v_fmac_f64_e32 v[90:91], v[72:73], v[38:39]
	v_fma_f64 v[34:35], v[70:71], v[38:39], -v[40:41]
	v_add_f64 v[4:5], v[4:5], v[12:13]
	v_add_f64 v[8:9], v[8:9], v[10:11]
	;; [unrolled: 7-line block ×5, first 2 shown]
	v_fmac_f64_e32 v[98:99], v[88:89], v[54:55]
	v_fma_f64 v[42:43], v[86:87], v[54:55], -v[56:57]
	v_add_f64 v[4:5], v[4:5], v[96:97]
	v_add_f64 v[8:9], v[8:9], v[40:41]
	;; [unrolled: 1-line block ×4, first 2 shown]
	s_waitcnt vmcnt(0)
	v_add_f64 v[8:9], v[58:59], -v[8:9]
	v_add_f64 v[10:11], v[60:61], -v[4:5]
	scratch_store_dwordx4 off, v[8:11], off offset:32
	s_and_saveexec_b64 s[2:3], vcc
	s_cbranch_execz .LBB73_71
; %bb.70:
	scratch_load_dwordx4 v[8:11], off, s26
	v_mov_b32_e32 v3, v2
	v_mov_b32_e32 v4, v2
	;; [unrolled: 1-line block ×3, first 2 shown]
	scratch_store_dwordx4 off, v[2:5], off offset:16
	s_waitcnt vmcnt(1)
	ds_write_b128 v6, v[8:11]
.LBB73_71:
	s_or_b64 exec, exec, s[2:3]
	s_waitcnt lgkmcnt(0)
	; wave barrier
	scratch_load_dwordx4 v[8:11], off, off offset:32
	scratch_load_dwordx4 v[34:37], off, off offset:48
	;; [unrolled: 1-line block ×9, first 2 shown]
	ds_read_b128 v[66:69], v2 offset:192
	ds_read_b128 v[70:73], v2 offset:208
	ds_read_b128 v[74:77], v2 offset:224
	ds_read_b128 v[78:81], v2 offset:240
	ds_read_b128 v[82:85], v2 offset:256
	ds_read_b128 v[86:89], v2 offset:272
	ds_read_b128 v[90:93], v2 offset:288
	ds_read_b128 v[2:5], v2 offset:304
	v_cmp_ne_u32_e32 vcc, 0, v1
	s_waitcnt vmcnt(8) lgkmcnt(7)
	v_mul_f64 v[12:13], v[66:67], v[10:11]
	v_mul_f64 v[10:11], v[68:69], v[10:11]
	s_waitcnt vmcnt(7) lgkmcnt(6)
	v_mul_f64 v[94:95], v[70:71], v[36:37]
	v_mul_f64 v[36:37], v[72:73], v[36:37]
	v_fmac_f64_e32 v[12:13], v[68:69], v[8:9]
	s_waitcnt vmcnt(6) lgkmcnt(5)
	v_mul_f64 v[96:97], v[74:75], v[40:41]
	v_mul_f64 v[40:41], v[76:77], v[40:41]
	s_waitcnt vmcnt(1) lgkmcnt(0)
	v_mul_f64 v[106:107], v[2:3], v[60:61]
	v_mul_f64 v[60:61], v[4:5], v[60:61]
	v_fmac_f64_e32 v[106:107], v[4:5], v[58:59]
	v_fma_f64 v[4:5], v[66:67], v[8:9], -v[10:11]
	v_fmac_f64_e32 v[94:95], v[72:73], v[34:35]
	v_fma_f64 v[8:9], v[70:71], v[34:35], -v[36:37]
	v_add_f64 v[12:13], v[12:13], 0
	v_add_f64 v[4:5], v[4:5], 0
	v_mul_f64 v[98:99], v[78:79], v[44:45]
	v_mul_f64 v[44:45], v[80:81], v[44:45]
	v_fmac_f64_e32 v[96:97], v[76:77], v[38:39]
	v_fma_f64 v[10:11], v[74:75], v[38:39], -v[40:41]
	v_add_f64 v[12:13], v[12:13], v[94:95]
	v_add_f64 v[4:5], v[4:5], v[8:9]
	v_mul_f64 v[100:101], v[82:83], v[48:49]
	v_mul_f64 v[48:49], v[84:85], v[48:49]
	;; [unrolled: 6-line block ×4, first 2 shown]
	v_fmac_f64_e32 v[102:103], v[88:89], v[50:51]
	v_fma_f64 v[38:39], v[86:87], v[50:51], -v[52:53]
	v_add_f64 v[8:9], v[8:9], v[100:101]
	v_add_f64 v[4:5], v[4:5], v[36:37]
	v_fmac_f64_e32 v[104:105], v[92:93], v[54:55]
	v_fma_f64 v[40:41], v[90:91], v[54:55], -v[56:57]
	v_add_f64 v[8:9], v[8:9], v[102:103]
	v_add_f64 v[4:5], v[4:5], v[38:39]
	v_fma_f64 v[2:3], v[2:3], v[58:59], -v[60:61]
	v_add_f64 v[8:9], v[8:9], v[104:105]
	v_add_f64 v[4:5], v[4:5], v[40:41]
	;; [unrolled: 1-line block ×4, first 2 shown]
	s_waitcnt vmcnt(0)
	v_add_f64 v[2:3], v[62:63], -v[2:3]
	v_add_f64 v[4:5], v[64:65], -v[8:9]
	scratch_store_dwordx4 off, v[2:5], off offset:16
	s_and_saveexec_b64 s[2:3], vcc
	s_cbranch_execz .LBB73_73
; %bb.72:
	scratch_load_dwordx4 v[2:5], off, off
	v_mov_b32_e32 v8, 0
	v_mov_b32_e32 v9, v8
	;; [unrolled: 1-line block ×4, first 2 shown]
	scratch_store_dwordx4 off, v[8:11], off
	s_waitcnt vmcnt(1)
	ds_write_b128 v6, v[2:5]
.LBB73_73:
	s_or_b64 exec, exec, s[2:3]
	s_waitcnt lgkmcnt(0)
	; wave barrier
	scratch_load_dwordx4 v[4:7], off, off offset:16
	scratch_load_dwordx4 v[8:11], off, off offset:32
	;; [unrolled: 1-line block ×9, first 2 shown]
	scratch_load_dwordx4 v[62:65], off, off
	v_mov_b32_e32 v2, 0
	ds_read_b128 v[66:69], v2 offset:176
	ds_read_b128 v[70:73], v2 offset:192
	;; [unrolled: 1-line block ×9, first 2 shown]
	s_and_b64 vcc, exec, s[14:15]
	s_waitcnt vmcnt(9) lgkmcnt(8)
	v_mul_f64 v[12:13], v[66:67], v[6:7]
	v_mul_f64 v[6:7], v[68:69], v[6:7]
	s_waitcnt vmcnt(8) lgkmcnt(7)
	v_mul_f64 v[102:103], v[70:71], v[10:11]
	v_mul_f64 v[10:11], v[72:73], v[10:11]
	v_fmac_f64_e32 v[12:13], v[68:69], v[4:5]
	v_fma_f64 v[4:5], v[66:67], v[4:5], -v[6:7]
	s_waitcnt vmcnt(7) lgkmcnt(6)
	v_mul_f64 v[104:105], v[74:75], v[36:37]
	v_mul_f64 v[36:37], v[76:77], v[36:37]
	v_fmac_f64_e32 v[102:103], v[72:73], v[8:9]
	v_fma_f64 v[6:7], v[70:71], v[8:9], -v[10:11]
	v_add_f64 v[12:13], v[12:13], 0
	v_add_f64 v[4:5], v[4:5], 0
	s_waitcnt vmcnt(6) lgkmcnt(5)
	v_mul_f64 v[106:107], v[78:79], v[40:41]
	v_mul_f64 v[40:41], v[80:81], v[40:41]
	v_fmac_f64_e32 v[104:105], v[76:77], v[34:35]
	v_fma_f64 v[8:9], v[74:75], v[34:35], -v[36:37]
	v_add_f64 v[12:13], v[12:13], v[102:103]
	v_add_f64 v[4:5], v[4:5], v[6:7]
	;; [unrolled: 7-line block ×7, first 2 shown]
	v_fmac_f64_e32 v[116:117], v[100:101], v[58:59]
	v_fma_f64 v[42:43], v[98:99], v[58:59], -v[60:61]
	v_add_f64 v[6:7], v[6:7], v[114:115]
	v_add_f64 v[4:5], v[4:5], v[40:41]
	v_add_f64 v[6:7], v[6:7], v[116:117]
	v_add_f64 v[4:5], v[4:5], v[42:43]
	s_waitcnt vmcnt(0)
	v_add_f64 v[4:5], v[62:63], -v[4:5]
	v_add_f64 v[6:7], v[64:65], -v[6:7]
	scratch_store_dwordx4 off, v[4:7], off
	s_cbranch_vccz .LBB73_92
; %bb.74:
	global_load_dword v2, v2, s[12:13] offset:32
	s_load_dwordx2 s[2:3], s[0:1], 0x4
	v_bfe_u32 v3, v0, 10, 10
	v_bfe_u32 v0, v0, 20, 10
	s_waitcnt lgkmcnt(0)
	s_lshr_b32 s0, s2, 16
	s_mul_i32 s0, s0, s3
	v_mul_u32_u24_e32 v1, s0, v1
	v_mul_u32_u24_e32 v3, s3, v3
	v_add3_u32 v0, v1, v3, v0
	v_mov_b32_e32 v1, 0x148
	v_lshl_add_u32 v0, v0, 4, v1
	s_waitcnt vmcnt(0)
	v_readfirstlane_b32 s0, v2
	s_add_i32 s0, s0, -1
	s_cmp_lg_u32 s0, 8
	s_cbranch_scc0 .LBB73_76
; %bb.75:
	s_lshl_b32 s0, s0, 4
	scratch_load_dwordx4 v[2:5], off, s19
	scratch_load_dwordx4 v[6:9], off, s0
	s_waitcnt vmcnt(1)
	ds_write2_b64 v0, v[2:3], v[4:5] offset1:1
	s_waitcnt vmcnt(0)
	scratch_store_dwordx4 off, v[6:9], s19
	scratch_store_dwordx4 off, v[2:5], s0
.LBB73_76:
	v_mov_b32_e32 v1, 0
	global_load_dword v2, v1, s[12:13] offset:28
	s_waitcnt vmcnt(0)
	v_readfirstlane_b32 s0, v2
	s_add_i32 s0, s0, -1
	s_cmp_eq_u32 s0, 7
	s_cbranch_scc1 .LBB73_78
; %bb.77:
	s_lshl_b32 s0, s0, 4
	scratch_load_dwordx4 v[2:5], off, s20
	scratch_load_dwordx4 v[6:9], off, s0
	s_waitcnt vmcnt(1)
	ds_write2_b64 v0, v[2:3], v[4:5] offset1:1
	s_waitcnt vmcnt(0)
	scratch_store_dwordx4 off, v[6:9], s20
	scratch_store_dwordx4 off, v[2:5], s0
.LBB73_78:
	global_load_dword v1, v1, s[12:13] offset:24
	s_waitcnt vmcnt(0)
	v_readfirstlane_b32 s0, v1
	s_add_i32 s0, s0, -1
	s_cmp_eq_u32 s0, 6
	s_cbranch_scc1 .LBB73_80
; %bb.79:
	s_lshl_b32 s0, s0, 4
	scratch_load_dwordx4 v[2:5], off, s21
	scratch_load_dwordx4 v[6:9], off, s0
	s_waitcnt vmcnt(1)
	ds_write2_b64 v0, v[2:3], v[4:5] offset1:1
	s_waitcnt vmcnt(0)
	scratch_store_dwordx4 off, v[6:9], s21
	scratch_store_dwordx4 off, v[2:5], s0
.LBB73_80:
	v_mov_b32_e32 v1, 0
	global_load_dword v2, v1, s[12:13] offset:20
	s_waitcnt vmcnt(0)
	v_readfirstlane_b32 s0, v2
	s_add_i32 s0, s0, -1
	s_cmp_eq_u32 s0, 5
	s_cbranch_scc1 .LBB73_82
; %bb.81:
	s_lshl_b32 s0, s0, 4
	scratch_load_dwordx4 v[2:5], off, s22
	scratch_load_dwordx4 v[6:9], off, s0
	s_waitcnt vmcnt(1)
	ds_write2_b64 v0, v[2:3], v[4:5] offset1:1
	s_waitcnt vmcnt(0)
	scratch_store_dwordx4 off, v[6:9], s22
	scratch_store_dwordx4 off, v[2:5], s0
.LBB73_82:
	global_load_dword v1, v1, s[12:13] offset:16
	s_waitcnt vmcnt(0)
	v_readfirstlane_b32 s0, v1
	s_add_i32 s0, s0, -1
	s_cmp_eq_u32 s0, 4
	s_cbranch_scc1 .LBB73_84
; %bb.83:
	s_lshl_b32 s0, s0, 4
	scratch_load_dwordx4 v[2:5], off, s23
	scratch_load_dwordx4 v[6:9], off, s0
	s_waitcnt vmcnt(1)
	ds_write2_b64 v0, v[2:3], v[4:5] offset1:1
	s_waitcnt vmcnt(0)
	scratch_store_dwordx4 off, v[6:9], s23
	scratch_store_dwordx4 off, v[2:5], s0
.LBB73_84:
	;; [unrolled: 33-line block ×3, first 2 shown]
	v_mov_b32_e32 v1, 0
	global_load_dword v2, v1, s[12:13] offset:4
	s_waitcnt vmcnt(0)
	v_readfirstlane_b32 s0, v2
	s_add_i32 s0, s0, -1
	s_cmp_eq_u32 s0, 1
	s_cbranch_scc1 .LBB73_90
; %bb.89:
	s_lshl_b32 s0, s0, 4
	scratch_load_dwordx4 v[2:5], off, s26
	scratch_load_dwordx4 v[6:9], off, s0
	s_waitcnt vmcnt(1)
	ds_write2_b64 v0, v[2:3], v[4:5] offset1:1
	s_waitcnt vmcnt(0)
	scratch_store_dwordx4 off, v[6:9], s26
	scratch_store_dwordx4 off, v[2:5], s0
.LBB73_90:
	global_load_dword v1, v1, s[12:13]
	s_waitcnt vmcnt(0)
	v_readfirstlane_b32 s0, v1
	s_add_i32 s0, s0, -1
	s_cmp_eq_u32 s0, 0
	s_cbranch_scc1 .LBB73_92
; %bb.91:
	s_lshl_b32 s0, s0, 4
	scratch_load_dwordx4 v[2:5], off, off
	scratch_load_dwordx4 v[6:9], off, s0
	s_waitcnt vmcnt(1)
	ds_write2_b64 v0, v[2:3], v[4:5] offset1:1
	s_waitcnt vmcnt(0)
	scratch_store_dwordx4 off, v[6:9], off
	scratch_store_dwordx4 off, v[2:5], s0
.LBB73_92:
	scratch_load_dwordx4 v[0:3], off, off
	s_waitcnt vmcnt(0)
	flat_store_dwordx4 v[14:15], v[0:3]
	scratch_load_dwordx4 v[0:3], off, s26
	s_waitcnt vmcnt(0)
	flat_store_dwordx4 v[16:17], v[0:3]
	scratch_load_dwordx4 v[0:3], off, s25
	;; [unrolled: 3-line block ×9, first 2 shown]
	s_waitcnt vmcnt(0)
	flat_store_dwordx4 v[32:33], v[0:3]
	s_endpgm
	.section	.rodata,"a",@progbits
	.p2align	6, 0x0
	.amdhsa_kernel _ZN9rocsolver6v33100L18getri_kernel_smallILi10E19rocblas_complex_numIdEPKPS3_EEvT1_iilPiilS8_bb
		.amdhsa_group_segment_fixed_size 1352
		.amdhsa_private_segment_fixed_size 176
		.amdhsa_kernarg_size 60
		.amdhsa_user_sgpr_count 4
		.amdhsa_user_sgpr_dispatch_ptr 1
		.amdhsa_user_sgpr_queue_ptr 0
		.amdhsa_user_sgpr_kernarg_segment_ptr 1
		.amdhsa_user_sgpr_dispatch_id 0
		.amdhsa_user_sgpr_kernarg_preload_length 0
		.amdhsa_user_sgpr_kernarg_preload_offset 0
		.amdhsa_user_sgpr_private_segment_size 0
		.amdhsa_uses_dynamic_stack 0
		.amdhsa_enable_private_segment 1
		.amdhsa_system_sgpr_workgroup_id_x 1
		.amdhsa_system_sgpr_workgroup_id_y 0
		.amdhsa_system_sgpr_workgroup_id_z 0
		.amdhsa_system_sgpr_workgroup_info 0
		.amdhsa_system_vgpr_workitem_id 2
		.amdhsa_next_free_vgpr 118
		.amdhsa_next_free_sgpr 28
		.amdhsa_accum_offset 120
		.amdhsa_reserve_vcc 1
		.amdhsa_float_round_mode_32 0
		.amdhsa_float_round_mode_16_64 0
		.amdhsa_float_denorm_mode_32 3
		.amdhsa_float_denorm_mode_16_64 3
		.amdhsa_dx10_clamp 1
		.amdhsa_ieee_mode 1
		.amdhsa_fp16_overflow 0
		.amdhsa_tg_split 0
		.amdhsa_exception_fp_ieee_invalid_op 0
		.amdhsa_exception_fp_denorm_src 0
		.amdhsa_exception_fp_ieee_div_zero 0
		.amdhsa_exception_fp_ieee_overflow 0
		.amdhsa_exception_fp_ieee_underflow 0
		.amdhsa_exception_fp_ieee_inexact 0
		.amdhsa_exception_int_div_zero 0
	.end_amdhsa_kernel
	.section	.text._ZN9rocsolver6v33100L18getri_kernel_smallILi10E19rocblas_complex_numIdEPKPS3_EEvT1_iilPiilS8_bb,"axG",@progbits,_ZN9rocsolver6v33100L18getri_kernel_smallILi10E19rocblas_complex_numIdEPKPS3_EEvT1_iilPiilS8_bb,comdat
.Lfunc_end73:
	.size	_ZN9rocsolver6v33100L18getri_kernel_smallILi10E19rocblas_complex_numIdEPKPS3_EEvT1_iilPiilS8_bb, .Lfunc_end73-_ZN9rocsolver6v33100L18getri_kernel_smallILi10E19rocblas_complex_numIdEPKPS3_EEvT1_iilPiilS8_bb
                                        ; -- End function
	.set _ZN9rocsolver6v33100L18getri_kernel_smallILi10E19rocblas_complex_numIdEPKPS3_EEvT1_iilPiilS8_bb.num_vgpr, 118
	.set _ZN9rocsolver6v33100L18getri_kernel_smallILi10E19rocblas_complex_numIdEPKPS3_EEvT1_iilPiilS8_bb.num_agpr, 0
	.set _ZN9rocsolver6v33100L18getri_kernel_smallILi10E19rocblas_complex_numIdEPKPS3_EEvT1_iilPiilS8_bb.numbered_sgpr, 28
	.set _ZN9rocsolver6v33100L18getri_kernel_smallILi10E19rocblas_complex_numIdEPKPS3_EEvT1_iilPiilS8_bb.num_named_barrier, 0
	.set _ZN9rocsolver6v33100L18getri_kernel_smallILi10E19rocblas_complex_numIdEPKPS3_EEvT1_iilPiilS8_bb.private_seg_size, 176
	.set _ZN9rocsolver6v33100L18getri_kernel_smallILi10E19rocblas_complex_numIdEPKPS3_EEvT1_iilPiilS8_bb.uses_vcc, 1
	.set _ZN9rocsolver6v33100L18getri_kernel_smallILi10E19rocblas_complex_numIdEPKPS3_EEvT1_iilPiilS8_bb.uses_flat_scratch, 0
	.set _ZN9rocsolver6v33100L18getri_kernel_smallILi10E19rocblas_complex_numIdEPKPS3_EEvT1_iilPiilS8_bb.has_dyn_sized_stack, 0
	.set _ZN9rocsolver6v33100L18getri_kernel_smallILi10E19rocblas_complex_numIdEPKPS3_EEvT1_iilPiilS8_bb.has_recursion, 0
	.set _ZN9rocsolver6v33100L18getri_kernel_smallILi10E19rocblas_complex_numIdEPKPS3_EEvT1_iilPiilS8_bb.has_indirect_call, 0
	.section	.AMDGPU.csdata,"",@progbits
; Kernel info:
; codeLenInByte = 8052
; TotalNumSgprs: 34
; NumVgprs: 118
; NumAgprs: 0
; TotalNumVgprs: 118
; ScratchSize: 176
; MemoryBound: 0
; FloatMode: 240
; IeeeMode: 1
; LDSByteSize: 1352 bytes/workgroup (compile time only)
; SGPRBlocks: 4
; VGPRBlocks: 14
; NumSGPRsForWavesPerEU: 34
; NumVGPRsForWavesPerEU: 118
; AccumOffset: 120
; Occupancy: 4
; WaveLimiterHint : 1
; COMPUTE_PGM_RSRC2:SCRATCH_EN: 1
; COMPUTE_PGM_RSRC2:USER_SGPR: 4
; COMPUTE_PGM_RSRC2:TRAP_HANDLER: 0
; COMPUTE_PGM_RSRC2:TGID_X_EN: 1
; COMPUTE_PGM_RSRC2:TGID_Y_EN: 0
; COMPUTE_PGM_RSRC2:TGID_Z_EN: 0
; COMPUTE_PGM_RSRC2:TIDIG_COMP_CNT: 2
; COMPUTE_PGM_RSRC3_GFX90A:ACCUM_OFFSET: 29
; COMPUTE_PGM_RSRC3_GFX90A:TG_SPLIT: 0
	.section	.text._ZN9rocsolver6v33100L18getri_kernel_smallILi11E19rocblas_complex_numIdEPKPS3_EEvT1_iilPiilS8_bb,"axG",@progbits,_ZN9rocsolver6v33100L18getri_kernel_smallILi11E19rocblas_complex_numIdEPKPS3_EEvT1_iilPiilS8_bb,comdat
	.globl	_ZN9rocsolver6v33100L18getri_kernel_smallILi11E19rocblas_complex_numIdEPKPS3_EEvT1_iilPiilS8_bb ; -- Begin function _ZN9rocsolver6v33100L18getri_kernel_smallILi11E19rocblas_complex_numIdEPKPS3_EEvT1_iilPiilS8_bb
	.p2align	8
	.type	_ZN9rocsolver6v33100L18getri_kernel_smallILi11E19rocblas_complex_numIdEPKPS3_EEvT1_iilPiilS8_bb,@function
_ZN9rocsolver6v33100L18getri_kernel_smallILi11E19rocblas_complex_numIdEPKPS3_EEvT1_iilPiilS8_bb: ; @_ZN9rocsolver6v33100L18getri_kernel_smallILi11E19rocblas_complex_numIdEPKPS3_EEvT1_iilPiilS8_bb
; %bb.0:
	v_and_b32_e32 v1, 0x3ff, v0
	v_cmp_gt_u32_e32 vcc, 11, v1
	s_and_saveexec_b64 s[6:7], vcc
	s_cbranch_execz .LBB74_58
; %bb.1:
	s_load_dword s18, s[2:3], 0x38
	s_load_dwordx2 s[6:7], s[2:3], 0x0
	s_load_dwordx4 s[8:11], s[2:3], 0x28
	s_waitcnt lgkmcnt(0)
	s_bitcmp1_b32 s18, 8
	s_cselect_b64 s[14:15], -1, 0
	s_ashr_i32 s5, s4, 31
	s_lshl_b64 s[12:13], s[4:5], 3
	s_add_u32 s6, s6, s12
	s_addc_u32 s7, s7, s13
	s_load_dwordx2 s[16:17], s[6:7], 0x0
	s_bfe_u32 s6, s18, 0x10008
	s_cmp_eq_u32 s6, 0
                                        ; implicit-def: $sgpr12_sgpr13
	s_cbranch_scc1 .LBB74_3
; %bb.2:
	s_load_dword s6, s[2:3], 0x20
	s_load_dwordx2 s[12:13], s[2:3], 0x18
	s_mul_i32 s7, s8, s5
	s_mul_hi_u32 s18, s8, s4
	s_add_i32 s18, s18, s7
	s_mul_i32 s9, s9, s4
	s_add_i32 s9, s18, s9
	s_mul_i32 s8, s8, s4
	s_waitcnt lgkmcnt(0)
	s_ashr_i32 s7, s6, 31
	s_lshl_b64 s[8:9], s[8:9], 2
	s_add_u32 s8, s12, s8
	s_addc_u32 s9, s13, s9
	s_lshl_b64 s[6:7], s[6:7], 2
	s_add_u32 s12, s8, s6
	s_addc_u32 s13, s9, s7
.LBB74_3:
	s_load_dwordx2 s[6:7], s[2:3], 0x8
	s_load_dword s28, s[2:3], 0x38
	v_lshlrev_b32_e32 v36, 4, v1
	v_mov_b32_e32 v37, 0
	s_movk_i32 s23, 0x50
	s_waitcnt lgkmcnt(0)
	s_ashr_i32 s3, s6, 31
	s_mov_b32 s2, s6
	s_lshl_b64 s[2:3], s[2:3], 4
	s_add_u32 s2, s16, s2
	s_addc_u32 s3, s17, s3
	v_lshl_add_u64 v[14:15], s[2:3], 0, v[36:37]
	flat_load_dwordx4 v[2:5], v[14:15]
	s_mov_b32 s8, s7
	s_ashr_i32 s9, s7, 31
	v_lshl_add_u64 v[16:17], s[8:9], 4, v[14:15]
	s_add_i32 s6, s7, s7
	v_add_u32_e32 v6, s6, v1
	v_ashrrev_i32_e32 v7, 31, v6
	v_lshl_add_u64 v[18:19], v[6:7], 4, s[2:3]
	v_add_u32_e32 v6, s7, v6
	v_ashrrev_i32_e32 v7, 31, v6
	v_lshl_add_u64 v[20:21], v[6:7], 4, s[2:3]
	;; [unrolled: 3-line block ×9, first 2 shown]
	s_movk_i32 s22, 0x60
	s_movk_i32 s21, 0x70
	s_movk_i32 s20, 0x80
	s_movk_i32 s19, 0x90
	s_movk_i32 s18, 0xa0
	s_mov_b32 s27, 16
	s_mov_b32 s26, 32
	;; [unrolled: 1-line block ×4, first 2 shown]
	s_bitcmp0_b32 s28, 0
	s_mov_b64 s[6:7], -1
	s_waitcnt vmcnt(0) lgkmcnt(0)
	scratch_store_dwordx4 off, v[2:5], off
	flat_load_dwordx4 v[2:5], v[16:17]
	s_waitcnt vmcnt(0) lgkmcnt(0)
	scratch_store_dwordx4 off, v[2:5], off offset:16
	flat_load_dwordx4 v[2:5], v[18:19]
	s_waitcnt vmcnt(0) lgkmcnt(0)
	scratch_store_dwordx4 off, v[2:5], off offset:32
	;; [unrolled: 3-line block ×10, first 2 shown]
	s_cbranch_scc1 .LBB74_56
; %bb.4:
	v_cmp_eq_u32_e64 s[2:3], 0, v1
	s_and_saveexec_b64 s[6:7], s[2:3]
; %bb.5:
	v_mov_b32_e32 v2, 0
	ds_write_b32 v2, v2 offset:352
; %bb.6:
	s_or_b64 exec, exec, s[6:7]
	s_waitcnt lgkmcnt(0)
	; wave barrier
	scratch_load_dwordx4 v[2:5], v36, off
	s_waitcnt vmcnt(0)
	v_cmp_eq_f64_e32 vcc, 0, v[2:3]
	v_cmp_eq_f64_e64 s[6:7], 0, v[4:5]
	s_and_b64 s[6:7], vcc, s[6:7]
	s_and_saveexec_b64 s[8:9], s[6:7]
	s_cbranch_execz .LBB74_10
; %bb.7:
	v_mov_b32_e32 v2, 0
	ds_read_b32 v4, v2 offset:352
	v_add_u32_e32 v3, 1, v1
	s_waitcnt lgkmcnt(0)
	v_readfirstlane_b32 s6, v4
	s_cmp_eq_u32 s6, 0
	s_cselect_b64 s[16:17], -1, 0
	v_cmp_gt_i32_e32 vcc, s6, v3
	s_or_b64 s[16:17], s[16:17], vcc
	s_and_b64 exec, exec, s[16:17]
	s_cbranch_execz .LBB74_10
; %bb.8:
	s_mov_b64 s[16:17], 0
	v_mov_b32_e32 v4, s6
.LBB74_9:                               ; =>This Inner Loop Header: Depth=1
	ds_cmpst_rtn_b32 v4, v2, v4, v3 offset:352
	s_waitcnt lgkmcnt(0)
	v_cmp_ne_u32_e32 vcc, 0, v4
	v_cmp_le_i32_e64 s[6:7], v4, v3
	s_and_b64 s[6:7], vcc, s[6:7]
	s_and_b64 s[6:7], exec, s[6:7]
	s_or_b64 s[16:17], s[6:7], s[16:17]
	s_andn2_b64 exec, exec, s[16:17]
	s_cbranch_execnz .LBB74_9
.LBB74_10:
	s_or_b64 exec, exec, s[8:9]
	v_mov_b32_e32 v3, 0
	; wave barrier
	ds_read_b32 v2, v3 offset:352
	s_and_saveexec_b64 s[6:7], s[2:3]
	s_cbranch_execz .LBB74_12
; %bb.11:
	s_lshl_b64 s[8:9], s[4:5], 2
	s_add_u32 s8, s10, s8
	s_addc_u32 s9, s11, s9
	s_waitcnt lgkmcnt(0)
	global_store_dword v3, v2, s[8:9]
.LBB74_12:
	s_or_b64 exec, exec, s[6:7]
	s_waitcnt lgkmcnt(0)
	v_cmp_ne_u32_e32 vcc, 0, v2
	s_mov_b64 s[6:7], 0
	s_cbranch_vccnz .LBB74_56
; %bb.13:
	v_mov_b32_e32 v37, v36
	scratch_load_dwordx4 v[2:5], v37, off
                                        ; implicit-def: $vgpr6_vgpr7
                                        ; implicit-def: $vgpr10_vgpr11
	s_waitcnt vmcnt(0)
	v_cmp_ngt_f64_e64 s[6:7], |v[2:3]|, |v[4:5]|
	s_and_saveexec_b64 s[8:9], s[6:7]
	s_xor_b64 s[6:7], exec, s[8:9]
	s_cbranch_execz .LBB74_15
; %bb.14:
	v_div_scale_f64 v[6:7], s[8:9], v[4:5], v[4:5], v[2:3]
	v_rcp_f64_e32 v[8:9], v[6:7]
	v_div_scale_f64 v[10:11], vcc, v[2:3], v[4:5], v[2:3]
	v_fma_f64 v[12:13], -v[6:7], v[8:9], 1.0
	v_fmac_f64_e32 v[8:9], v[8:9], v[12:13]
	v_fma_f64 v[12:13], -v[6:7], v[8:9], 1.0
	v_fmac_f64_e32 v[8:9], v[8:9], v[12:13]
	v_mul_f64 v[12:13], v[10:11], v[8:9]
	v_fma_f64 v[6:7], -v[6:7], v[12:13], v[10:11]
	v_div_fmas_f64 v[6:7], v[6:7], v[8:9], v[12:13]
	v_div_fixup_f64 v[6:7], v[6:7], v[4:5], v[2:3]
	v_fmac_f64_e32 v[4:5], v[2:3], v[6:7]
	v_div_scale_f64 v[2:3], s[8:9], v[4:5], v[4:5], 1.0
	v_rcp_f64_e32 v[8:9], v[2:3]
	s_nop 0
	v_fma_f64 v[10:11], -v[2:3], v[8:9], 1.0
	v_fmac_f64_e32 v[8:9], v[8:9], v[10:11]
	v_fma_f64 v[10:11], -v[2:3], v[8:9], 1.0
	v_fmac_f64_e32 v[8:9], v[8:9], v[10:11]
	v_div_scale_f64 v[10:11], vcc, 1.0, v[4:5], 1.0
	v_mul_f64 v[12:13], v[10:11], v[8:9]
	v_fma_f64 v[2:3], -v[2:3], v[12:13], v[10:11]
	s_nop 1
	v_div_fmas_f64 v[2:3], v[2:3], v[8:9], v[12:13]
	v_div_fixup_f64 v[8:9], v[2:3], v[4:5], 1.0
	v_mul_f64 v[6:7], v[6:7], v[8:9]
	v_xor_b32_e32 v9, 0x80000000, v9
	v_xor_b32_e32 v11, 0x80000000, v7
	v_mov_b32_e32 v10, v6
                                        ; implicit-def: $vgpr2_vgpr3
.LBB74_15:
	s_andn2_saveexec_b64 s[6:7], s[6:7]
	s_cbranch_execz .LBB74_17
; %bb.16:
	v_div_scale_f64 v[6:7], s[8:9], v[2:3], v[2:3], v[4:5]
	v_rcp_f64_e32 v[8:9], v[6:7]
	v_div_scale_f64 v[10:11], vcc, v[4:5], v[2:3], v[4:5]
	v_fma_f64 v[12:13], -v[6:7], v[8:9], 1.0
	v_fmac_f64_e32 v[8:9], v[8:9], v[12:13]
	v_fma_f64 v[12:13], -v[6:7], v[8:9], 1.0
	v_fmac_f64_e32 v[8:9], v[8:9], v[12:13]
	v_mul_f64 v[12:13], v[10:11], v[8:9]
	v_fma_f64 v[6:7], -v[6:7], v[12:13], v[10:11]
	v_div_fmas_f64 v[6:7], v[6:7], v[8:9], v[12:13]
	v_div_fixup_f64 v[8:9], v[6:7], v[2:3], v[4:5]
	v_fmac_f64_e32 v[2:3], v[4:5], v[8:9]
	v_div_scale_f64 v[4:5], s[8:9], v[2:3], v[2:3], 1.0
	v_rcp_f64_e32 v[6:7], v[4:5]
	s_nop 0
	v_fma_f64 v[10:11], -v[4:5], v[6:7], 1.0
	v_fmac_f64_e32 v[6:7], v[6:7], v[10:11]
	v_fma_f64 v[10:11], -v[4:5], v[6:7], 1.0
	v_fmac_f64_e32 v[6:7], v[6:7], v[10:11]
	v_div_scale_f64 v[10:11], vcc, 1.0, v[2:3], 1.0
	v_mul_f64 v[12:13], v[10:11], v[6:7]
	v_fma_f64 v[4:5], -v[4:5], v[12:13], v[10:11]
	s_nop 1
	v_div_fmas_f64 v[4:5], v[4:5], v[6:7], v[12:13]
	v_div_fixup_f64 v[6:7], v[4:5], v[2:3], 1.0
	v_xor_b32_e32 v11, 0x80000000, v7
	v_mov_b32_e32 v10, v6
	v_mul_f64 v[8:9], v[8:9], -v[6:7]
.LBB74_17:
	s_or_b64 exec, exec, s[6:7]
	scratch_store_dwordx4 v37, v[6:9], off
	scratch_load_dwordx4 v[2:5], off, s27
	v_xor_b32_e32 v13, 0x80000000, v9
	v_mov_b32_e32 v12, v8
	v_add_u32_e32 v6, 0xb0, v36
	ds_write_b128 v36, v[10:13]
	s_waitcnt vmcnt(0)
	ds_write_b128 v36, v[2:5] offset:176
	s_waitcnt lgkmcnt(0)
	; wave barrier
	s_and_saveexec_b64 s[6:7], s[2:3]
	s_cbranch_execz .LBB74_19
; %bb.18:
	scratch_load_dwordx4 v[2:5], v37, off
	ds_read_b128 v[8:11], v6
	v_mov_b32_e32 v7, 0
	ds_read_b128 v[38:41], v7 offset:16
	s_waitcnt vmcnt(0) lgkmcnt(1)
	v_mul_f64 v[12:13], v[10:11], v[4:5]
	v_mul_f64 v[4:5], v[8:9], v[4:5]
	v_fma_f64 v[8:9], v[8:9], v[2:3], -v[12:13]
	v_fmac_f64_e32 v[4:5], v[10:11], v[2:3]
	v_add_f64 v[2:3], v[8:9], 0
	v_add_f64 v[8:9], v[4:5], 0
	s_waitcnt lgkmcnt(0)
	v_mul_f64 v[10:11], v[8:9], v[40:41]
	v_mul_f64 v[4:5], v[2:3], v[40:41]
	v_fma_f64 v[2:3], v[2:3], v[38:39], -v[10:11]
	v_fmac_f64_e32 v[4:5], v[8:9], v[38:39]
	scratch_store_dwordx4 off, v[2:5], off offset:16
.LBB74_19:
	s_or_b64 exec, exec, s[6:7]
	; wave barrier
	scratch_load_dwordx4 v[2:5], off, s26
	v_cmp_gt_u32_e32 vcc, 2, v1
	s_waitcnt vmcnt(0)
	ds_write_b128 v6, v[2:5]
	s_waitcnt lgkmcnt(0)
	; wave barrier
	s_and_saveexec_b64 s[6:7], vcc
	s_cbranch_execz .LBB74_23
; %bb.20:
	scratch_load_dwordx4 v[2:5], v37, off
	ds_read_b128 v[8:11], v6
	s_waitcnt vmcnt(0) lgkmcnt(0)
	v_mul_f64 v[12:13], v[10:11], v[4:5]
	v_mul_f64 v[38:39], v[8:9], v[4:5]
	v_fma_f64 v[4:5], v[8:9], v[2:3], -v[12:13]
	v_fmac_f64_e32 v[38:39], v[10:11], v[2:3]
	v_add_f64 v[4:5], v[4:5], 0
	v_add_f64 v[2:3], v[38:39], 0
	s_and_saveexec_b64 s[8:9], s[2:3]
	s_cbranch_execz .LBB74_22
; %bb.21:
	scratch_load_dwordx4 v[8:11], off, off offset:16
	v_mov_b32_e32 v7, 0
	ds_read_b128 v[38:41], v7 offset:192
	s_waitcnt vmcnt(0) lgkmcnt(0)
	v_mul_f64 v[12:13], v[38:39], v[10:11]
	v_mul_f64 v[10:11], v[40:41], v[10:11]
	v_fmac_f64_e32 v[12:13], v[40:41], v[8:9]
	v_fma_f64 v[8:9], v[38:39], v[8:9], -v[10:11]
	v_add_f64 v[2:3], v[2:3], v[12:13]
	v_add_f64 v[4:5], v[4:5], v[8:9]
.LBB74_22:
	s_or_b64 exec, exec, s[8:9]
	v_mov_b32_e32 v7, 0
	ds_read_b128 v[8:11], v7 offset:32
	s_waitcnt lgkmcnt(0)
	v_mul_f64 v[38:39], v[2:3], v[10:11]
	v_mul_f64 v[12:13], v[4:5], v[10:11]
	v_fma_f64 v[10:11], v[4:5], v[8:9], -v[38:39]
	v_fmac_f64_e32 v[12:13], v[2:3], v[8:9]
	scratch_store_dwordx4 off, v[10:13], off offset:32
.LBB74_23:
	s_or_b64 exec, exec, s[6:7]
	; wave barrier
	scratch_load_dwordx4 v[2:5], off, s25
	v_cmp_gt_u32_e32 vcc, 3, v1
	v_add_u32_e32 v7, -1, v1
	s_waitcnt vmcnt(0)
	ds_write_b128 v6, v[2:5]
	s_waitcnt lgkmcnt(0)
	; wave barrier
	s_and_saveexec_b64 s[2:3], vcc
	s_cbranch_execz .LBB74_27
; %bb.24:
	v_add_u32_e32 v8, -1, v1
	v_add_u32_e32 v9, 0xb0, v36
	v_mov_b32_e32 v10, v36
	v_mov_b64_e32 v[2:3], 0
	s_mov_b64 s[6:7], 0
	v_mov_b64_e32 v[4:5], 0
.LBB74_25:                              ; =>This Inner Loop Header: Depth=1
	scratch_load_dwordx4 v[38:41], v10, off
	ds_read_b128 v[42:45], v9
	v_add_u32_e32 v8, 1, v8
	v_cmp_lt_u32_e32 vcc, 1, v8
	v_add_u32_e32 v9, 16, v9
	v_add_u32_e32 v10, 16, v10
	s_or_b64 s[6:7], vcc, s[6:7]
	s_waitcnt vmcnt(0) lgkmcnt(0)
	v_mul_f64 v[12:13], v[44:45], v[40:41]
	v_mul_f64 v[40:41], v[42:43], v[40:41]
	v_fma_f64 v[12:13], v[42:43], v[38:39], -v[12:13]
	v_fmac_f64_e32 v[40:41], v[44:45], v[38:39]
	v_add_f64 v[4:5], v[4:5], v[12:13]
	v_add_f64 v[2:3], v[2:3], v[40:41]
	s_andn2_b64 exec, exec, s[6:7]
	s_cbranch_execnz .LBB74_25
; %bb.26:
	s_or_b64 exec, exec, s[6:7]
	v_mov_b32_e32 v8, 0
	ds_read_b128 v[8:11], v8 offset:48
	s_waitcnt lgkmcnt(0)
	v_mul_f64 v[38:39], v[2:3], v[10:11]
	v_mul_f64 v[12:13], v[4:5], v[10:11]
	v_fma_f64 v[10:11], v[4:5], v[8:9], -v[38:39]
	v_fmac_f64_e32 v[12:13], v[2:3], v[8:9]
	scratch_store_dwordx4 off, v[10:13], off offset:48
.LBB74_27:
	s_or_b64 exec, exec, s[2:3]
	; wave barrier
	scratch_load_dwordx4 v[2:5], off, s24
	v_cmp_gt_u32_e32 vcc, 4, v1
	s_waitcnt vmcnt(0)
	ds_write_b128 v6, v[2:5]
	s_waitcnt lgkmcnt(0)
	; wave barrier
	s_and_saveexec_b64 s[2:3], vcc
	s_cbranch_execz .LBB74_31
; %bb.28:
	v_add_u32_e32 v8, -1, v1
	v_add_u32_e32 v9, 0xb0, v36
	v_mov_b32_e32 v10, v36
	v_mov_b64_e32 v[2:3], 0
	s_mov_b64 s[6:7], 0
	v_mov_b64_e32 v[4:5], 0
.LBB74_29:                              ; =>This Inner Loop Header: Depth=1
	scratch_load_dwordx4 v[38:41], v10, off
	ds_read_b128 v[42:45], v9
	v_add_u32_e32 v8, 1, v8
	v_cmp_lt_u32_e32 vcc, 2, v8
	v_add_u32_e32 v9, 16, v9
	v_add_u32_e32 v10, 16, v10
	s_or_b64 s[6:7], vcc, s[6:7]
	s_waitcnt vmcnt(0) lgkmcnt(0)
	v_mul_f64 v[12:13], v[44:45], v[40:41]
	v_mul_f64 v[40:41], v[42:43], v[40:41]
	v_fma_f64 v[12:13], v[42:43], v[38:39], -v[12:13]
	v_fmac_f64_e32 v[40:41], v[44:45], v[38:39]
	v_add_f64 v[4:5], v[4:5], v[12:13]
	v_add_f64 v[2:3], v[2:3], v[40:41]
	s_andn2_b64 exec, exec, s[6:7]
	s_cbranch_execnz .LBB74_29
; %bb.30:
	s_or_b64 exec, exec, s[6:7]
	v_mov_b32_e32 v8, 0
	ds_read_b128 v[8:11], v8 offset:64
	s_waitcnt lgkmcnt(0)
	v_mul_f64 v[38:39], v[2:3], v[10:11]
	v_mul_f64 v[12:13], v[4:5], v[10:11]
	v_fma_f64 v[10:11], v[4:5], v[8:9], -v[38:39]
	v_fmac_f64_e32 v[12:13], v[2:3], v[8:9]
	scratch_store_dwordx4 off, v[10:13], off offset:64
.LBB74_31:
	s_or_b64 exec, exec, s[2:3]
	; wave barrier
	scratch_load_dwordx4 v[2:5], off, s23
	v_cmp_gt_u32_e32 vcc, 5, v1
	;; [unrolled: 45-line block ×6, first 2 shown]
	s_waitcnt vmcnt(0)
	ds_write_b128 v6, v[2:5]
	s_waitcnt lgkmcnt(0)
	; wave barrier
	s_and_saveexec_b64 s[2:3], vcc
	s_cbranch_execz .LBB74_51
; %bb.48:
	v_add_u32_e32 v8, -1, v1
	v_add_u32_e32 v9, 0xb0, v36
	v_mov_b32_e32 v10, v36
	v_mov_b64_e32 v[2:3], 0
	s_mov_b64 s[6:7], 0
	v_mov_b64_e32 v[4:5], 0
.LBB74_49:                              ; =>This Inner Loop Header: Depth=1
	scratch_load_dwordx4 v[38:41], v10, off
	ds_read_b128 v[42:45], v9
	v_add_u32_e32 v8, 1, v8
	v_cmp_lt_u32_e32 vcc, 7, v8
	v_add_u32_e32 v9, 16, v9
	v_add_u32_e32 v10, 16, v10
	s_or_b64 s[6:7], vcc, s[6:7]
	s_waitcnt vmcnt(0) lgkmcnt(0)
	v_mul_f64 v[12:13], v[44:45], v[40:41]
	v_mul_f64 v[40:41], v[42:43], v[40:41]
	v_fma_f64 v[12:13], v[42:43], v[38:39], -v[12:13]
	v_fmac_f64_e32 v[40:41], v[44:45], v[38:39]
	v_add_f64 v[4:5], v[4:5], v[12:13]
	v_add_f64 v[2:3], v[2:3], v[40:41]
	s_andn2_b64 exec, exec, s[6:7]
	s_cbranch_execnz .LBB74_49
; %bb.50:
	s_or_b64 exec, exec, s[6:7]
	v_mov_b32_e32 v8, 0
	ds_read_b128 v[8:11], v8 offset:144
	s_waitcnt lgkmcnt(0)
	v_mul_f64 v[38:39], v[2:3], v[10:11]
	v_mul_f64 v[12:13], v[4:5], v[10:11]
	v_fma_f64 v[10:11], v[4:5], v[8:9], -v[38:39]
	v_fmac_f64_e32 v[12:13], v[2:3], v[8:9]
	scratch_store_dwordx4 off, v[10:13], off offset:144
.LBB74_51:
	s_or_b64 exec, exec, s[2:3]
	; wave barrier
	scratch_load_dwordx4 v[2:5], off, s18
	v_cmp_ne_u32_e32 vcc, 10, v1
	s_waitcnt vmcnt(0)
	ds_write_b128 v6, v[2:5]
	s_waitcnt lgkmcnt(0)
	; wave barrier
	s_and_saveexec_b64 s[2:3], vcc
	s_cbranch_execz .LBB74_55
; %bb.52:
	v_add_u32_e32 v6, 0xb0, v36
	v_mov_b32_e32 v8, v36
	v_mov_b64_e32 v[2:3], 0
	s_mov_b64 s[6:7], 0
	v_mov_b64_e32 v[4:5], 0
.LBB74_53:                              ; =>This Inner Loop Header: Depth=1
	scratch_load_dwordx4 v[10:13], v8, off
	ds_read_b128 v[36:39], v6
	v_add_u32_e32 v7, 1, v7
	v_cmp_lt_u32_e32 vcc, 8, v7
	v_add_u32_e32 v6, 16, v6
	v_add_u32_e32 v8, 16, v8
	s_or_b64 s[6:7], vcc, s[6:7]
	s_waitcnt vmcnt(0) lgkmcnt(0)
	v_mul_f64 v[40:41], v[38:39], v[12:13]
	v_mul_f64 v[12:13], v[36:37], v[12:13]
	v_fma_f64 v[36:37], v[36:37], v[10:11], -v[40:41]
	v_fmac_f64_e32 v[12:13], v[38:39], v[10:11]
	v_add_f64 v[4:5], v[4:5], v[36:37]
	v_add_f64 v[2:3], v[2:3], v[12:13]
	s_andn2_b64 exec, exec, s[6:7]
	s_cbranch_execnz .LBB74_53
; %bb.54:
	s_or_b64 exec, exec, s[6:7]
	v_mov_b32_e32 v6, 0
	ds_read_b128 v[6:9], v6 offset:160
	s_waitcnt lgkmcnt(0)
	v_mul_f64 v[12:13], v[2:3], v[8:9]
	v_mul_f64 v[10:11], v[4:5], v[8:9]
	v_fma_f64 v[8:9], v[4:5], v[6:7], -v[12:13]
	v_fmac_f64_e32 v[10:11], v[2:3], v[6:7]
	scratch_store_dwordx4 off, v[8:11], off offset:160
.LBB74_55:
	s_or_b64 exec, exec, s[2:3]
	s_mov_b64 s[6:7], -1
	; wave barrier
.LBB74_56:
	s_and_b64 vcc, exec, s[6:7]
	s_cbranch_vccz .LBB74_58
; %bb.57:
	s_lshl_b64 s[2:3], s[4:5], 2
	s_add_u32 s2, s10, s2
	s_addc_u32 s3, s11, s3
	v_mov_b32_e32 v2, 0
	global_load_dword v2, v2, s[2:3]
	s_waitcnt vmcnt(0)
	v_cmp_ne_u32_e32 vcc, 0, v2
	s_cbranch_vccz .LBB74_59
.LBB74_58:
	s_endpgm
.LBB74_59:
	v_mov_b32_e32 v2, 0xb0
	v_lshl_add_u32 v6, v1, 4, v2
	v_cmp_eq_u32_e32 vcc, 10, v1
	s_and_saveexec_b64 s[2:3], vcc
	s_cbranch_execz .LBB74_61
; %bb.60:
	scratch_load_dwordx4 v[2:5], off, s19
	v_mov_b32_e32 v8, 0
	v_mov_b32_e32 v9, v8
	;; [unrolled: 1-line block ×4, first 2 shown]
	scratch_store_dwordx4 off, v[8:11], off offset:144
	s_waitcnt vmcnt(1)
	ds_write_b128 v6, v[2:5]
.LBB74_61:
	s_or_b64 exec, exec, s[2:3]
	s_waitcnt lgkmcnt(0)
	; wave barrier
	scratch_load_dwordx4 v[8:11], off, off offset:160
	scratch_load_dwordx4 v[36:39], off, off offset:144
	v_mov_b32_e32 v2, 0
	ds_read_b128 v[40:43], v2 offset:336
	v_cmp_lt_u32_e32 vcc, 8, v1
	s_waitcnt vmcnt(1) lgkmcnt(0)
	v_mul_f64 v[4:5], v[40:41], v[10:11]
	v_mul_f64 v[10:11], v[42:43], v[10:11]
	v_fmac_f64_e32 v[4:5], v[42:43], v[8:9]
	v_fma_f64 v[8:9], v[40:41], v[8:9], -v[10:11]
	v_add_f64 v[4:5], v[4:5], 0
	v_add_f64 v[8:9], v[8:9], 0
	s_waitcnt vmcnt(0)
	v_add_f64 v[8:9], v[36:37], -v[8:9]
	v_add_f64 v[10:11], v[38:39], -v[4:5]
	scratch_store_dwordx4 off, v[8:11], off offset:144
	s_and_saveexec_b64 s[2:3], vcc
	s_cbranch_execz .LBB74_63
; %bb.62:
	scratch_load_dwordx4 v[8:11], off, s20
	v_mov_b32_e32 v3, v2
	v_mov_b32_e32 v4, v2
	;; [unrolled: 1-line block ×3, first 2 shown]
	scratch_store_dwordx4 off, v[2:5], off offset:128
	s_waitcnt vmcnt(1)
	ds_write_b128 v6, v[8:11]
.LBB74_63:
	s_or_b64 exec, exec, s[2:3]
	s_waitcnt lgkmcnt(0)
	; wave barrier
	scratch_load_dwordx4 v[8:11], off, off offset:144
	scratch_load_dwordx4 v[36:39], off, off offset:160
	;; [unrolled: 1-line block ×3, first 2 shown]
	ds_read_b128 v[44:47], v2 offset:320
	ds_read_b128 v[2:5], v2 offset:336
	v_cmp_lt_u32_e32 vcc, 7, v1
	s_waitcnt vmcnt(2) lgkmcnt(1)
	v_mul_f64 v[12:13], v[44:45], v[10:11]
	s_waitcnt vmcnt(1) lgkmcnt(0)
	v_mul_f64 v[48:49], v[2:3], v[38:39]
	v_mul_f64 v[10:11], v[46:47], v[10:11]
	v_mul_f64 v[38:39], v[4:5], v[38:39]
	v_fmac_f64_e32 v[12:13], v[46:47], v[8:9]
	v_fmac_f64_e32 v[48:49], v[4:5], v[36:37]
	v_fma_f64 v[4:5], v[44:45], v[8:9], -v[10:11]
	v_fma_f64 v[2:3], v[2:3], v[36:37], -v[38:39]
	v_add_f64 v[8:9], v[12:13], 0
	v_add_f64 v[4:5], v[4:5], 0
	;; [unrolled: 1-line block ×4, first 2 shown]
	s_waitcnt vmcnt(0)
	v_add_f64 v[2:3], v[40:41], -v[2:3]
	v_add_f64 v[4:5], v[42:43], -v[8:9]
	scratch_store_dwordx4 off, v[2:5], off offset:128
	s_and_saveexec_b64 s[2:3], vcc
	s_cbranch_execz .LBB74_65
; %bb.64:
	scratch_load_dwordx4 v[2:5], off, s21
	v_mov_b32_e32 v8, 0
	v_mov_b32_e32 v9, v8
	;; [unrolled: 1-line block ×4, first 2 shown]
	scratch_store_dwordx4 off, v[8:11], off offset:112
	s_waitcnt vmcnt(1)
	ds_write_b128 v6, v[2:5]
.LBB74_65:
	s_or_b64 exec, exec, s[2:3]
	s_waitcnt lgkmcnt(0)
	; wave barrier
	scratch_load_dwordx4 v[8:11], off, off offset:128
	scratch_load_dwordx4 v[36:39], off, off offset:144
	;; [unrolled: 1-line block ×4, first 2 shown]
	v_mov_b32_e32 v2, 0
	ds_read_b128 v[48:51], v2 offset:304
	ds_read_b128 v[52:55], v2 offset:320
	;; [unrolled: 1-line block ×3, first 2 shown]
	v_cmp_lt_u32_e32 vcc, 6, v1
	s_waitcnt vmcnt(3) lgkmcnt(2)
	v_mul_f64 v[4:5], v[48:49], v[10:11]
	v_mul_f64 v[10:11], v[50:51], v[10:11]
	s_waitcnt vmcnt(2) lgkmcnt(1)
	v_mul_f64 v[12:13], v[52:53], v[38:39]
	v_mul_f64 v[38:39], v[54:55], v[38:39]
	v_fmac_f64_e32 v[4:5], v[50:51], v[8:9]
	v_fma_f64 v[8:9], v[48:49], v[8:9], -v[10:11]
	s_waitcnt vmcnt(1) lgkmcnt(0)
	v_mul_f64 v[60:61], v[56:57], v[42:43]
	v_mul_f64 v[42:43], v[58:59], v[42:43]
	v_fmac_f64_e32 v[12:13], v[54:55], v[36:37]
	v_fma_f64 v[10:11], v[52:53], v[36:37], -v[38:39]
	v_add_f64 v[4:5], v[4:5], 0
	v_add_f64 v[8:9], v[8:9], 0
	v_fmac_f64_e32 v[60:61], v[58:59], v[40:41]
	v_fma_f64 v[36:37], v[56:57], v[40:41], -v[42:43]
	v_add_f64 v[4:5], v[4:5], v[12:13]
	v_add_f64 v[8:9], v[8:9], v[10:11]
	;; [unrolled: 1-line block ×4, first 2 shown]
	s_waitcnt vmcnt(0)
	v_add_f64 v[8:9], v[44:45], -v[8:9]
	v_add_f64 v[10:11], v[46:47], -v[4:5]
	scratch_store_dwordx4 off, v[8:11], off offset:112
	s_and_saveexec_b64 s[2:3], vcc
	s_cbranch_execz .LBB74_67
; %bb.66:
	scratch_load_dwordx4 v[8:11], off, s22
	v_mov_b32_e32 v3, v2
	v_mov_b32_e32 v4, v2
	;; [unrolled: 1-line block ×3, first 2 shown]
	scratch_store_dwordx4 off, v[2:5], off offset:96
	s_waitcnt vmcnt(1)
	ds_write_b128 v6, v[8:11]
.LBB74_67:
	s_or_b64 exec, exec, s[2:3]
	s_waitcnt lgkmcnt(0)
	; wave barrier
	scratch_load_dwordx4 v[8:11], off, off offset:112
	scratch_load_dwordx4 v[36:39], off, off offset:128
	;; [unrolled: 1-line block ×5, first 2 shown]
	ds_read_b128 v[52:55], v2 offset:288
	ds_read_b128 v[56:59], v2 offset:304
	;; [unrolled: 1-line block ×4, first 2 shown]
	v_cmp_lt_u32_e32 vcc, 5, v1
	s_waitcnt vmcnt(4) lgkmcnt(3)
	v_mul_f64 v[12:13], v[52:53], v[10:11]
	v_mul_f64 v[10:11], v[54:55], v[10:11]
	s_waitcnt vmcnt(3) lgkmcnt(2)
	v_mul_f64 v[64:65], v[56:57], v[38:39]
	s_waitcnt vmcnt(1) lgkmcnt(0)
	v_mul_f64 v[68:69], v[2:3], v[46:47]
	v_mul_f64 v[38:39], v[58:59], v[38:39]
	;; [unrolled: 1-line block ×3, first 2 shown]
	v_fmac_f64_e32 v[12:13], v[54:55], v[8:9]
	v_fmac_f64_e32 v[68:69], v[4:5], v[44:45]
	v_fma_f64 v[4:5], v[52:53], v[8:9], -v[10:11]
	v_mul_f64 v[66:67], v[60:61], v[42:43]
	v_mul_f64 v[42:43], v[62:63], v[42:43]
	v_fmac_f64_e32 v[64:65], v[58:59], v[36:37]
	v_fma_f64 v[8:9], v[56:57], v[36:37], -v[38:39]
	v_add_f64 v[12:13], v[12:13], 0
	v_add_f64 v[4:5], v[4:5], 0
	v_fmac_f64_e32 v[66:67], v[62:63], v[40:41]
	v_fma_f64 v[10:11], v[60:61], v[40:41], -v[42:43]
	v_add_f64 v[12:13], v[12:13], v[64:65]
	v_add_f64 v[4:5], v[4:5], v[8:9]
	v_fma_f64 v[2:3], v[2:3], v[44:45], -v[46:47]
	v_add_f64 v[8:9], v[12:13], v[66:67]
	v_add_f64 v[4:5], v[4:5], v[10:11]
	;; [unrolled: 1-line block ×4, first 2 shown]
	s_waitcnt vmcnt(0)
	v_add_f64 v[2:3], v[48:49], -v[2:3]
	v_add_f64 v[4:5], v[50:51], -v[8:9]
	scratch_store_dwordx4 off, v[2:5], off offset:96
	s_and_saveexec_b64 s[2:3], vcc
	s_cbranch_execz .LBB74_69
; %bb.68:
	scratch_load_dwordx4 v[2:5], off, s23
	v_mov_b32_e32 v8, 0
	v_mov_b32_e32 v9, v8
	;; [unrolled: 1-line block ×4, first 2 shown]
	scratch_store_dwordx4 off, v[8:11], off offset:80
	s_waitcnt vmcnt(1)
	ds_write_b128 v6, v[2:5]
.LBB74_69:
	s_or_b64 exec, exec, s[2:3]
	s_waitcnt lgkmcnt(0)
	; wave barrier
	scratch_load_dwordx4 v[8:11], off, off offset:96
	scratch_load_dwordx4 v[36:39], off, off offset:112
	scratch_load_dwordx4 v[40:43], off, off offset:128
	scratch_load_dwordx4 v[44:47], off, off offset:144
	scratch_load_dwordx4 v[48:51], off, off offset:160
	scratch_load_dwordx4 v[52:55], off, off offset:80
	v_mov_b32_e32 v2, 0
	ds_read_b128 v[56:59], v2 offset:272
	ds_read_b128 v[60:63], v2 offset:288
	;; [unrolled: 1-line block ×5, first 2 shown]
	v_cmp_lt_u32_e32 vcc, 4, v1
	s_waitcnt vmcnt(5) lgkmcnt(4)
	v_mul_f64 v[4:5], v[56:57], v[10:11]
	v_mul_f64 v[10:11], v[58:59], v[10:11]
	s_waitcnt vmcnt(4) lgkmcnt(3)
	v_mul_f64 v[12:13], v[60:61], v[38:39]
	v_mul_f64 v[38:39], v[62:63], v[38:39]
	v_fmac_f64_e32 v[4:5], v[58:59], v[8:9]
	v_fma_f64 v[8:9], v[56:57], v[8:9], -v[10:11]
	s_waitcnt vmcnt(3) lgkmcnt(2)
	v_mul_f64 v[76:77], v[64:65], v[42:43]
	v_mul_f64 v[42:43], v[66:67], v[42:43]
	v_fmac_f64_e32 v[12:13], v[62:63], v[36:37]
	v_fma_f64 v[10:11], v[60:61], v[36:37], -v[38:39]
	v_add_f64 v[4:5], v[4:5], 0
	v_add_f64 v[8:9], v[8:9], 0
	s_waitcnt vmcnt(2) lgkmcnt(1)
	v_mul_f64 v[78:79], v[68:69], v[46:47]
	v_mul_f64 v[46:47], v[70:71], v[46:47]
	v_fmac_f64_e32 v[76:77], v[66:67], v[40:41]
	v_fma_f64 v[36:37], v[64:65], v[40:41], -v[42:43]
	v_add_f64 v[4:5], v[4:5], v[12:13]
	v_add_f64 v[8:9], v[8:9], v[10:11]
	;; [unrolled: 7-line block ×3, first 2 shown]
	v_fmac_f64_e32 v[80:81], v[74:75], v[48:49]
	v_fma_f64 v[40:41], v[72:73], v[48:49], -v[50:51]
	v_add_f64 v[4:5], v[4:5], v[78:79]
	v_add_f64 v[8:9], v[8:9], v[38:39]
	;; [unrolled: 1-line block ×4, first 2 shown]
	s_waitcnt vmcnt(0)
	v_add_f64 v[8:9], v[52:53], -v[8:9]
	v_add_f64 v[10:11], v[54:55], -v[4:5]
	scratch_store_dwordx4 off, v[8:11], off offset:80
	s_and_saveexec_b64 s[2:3], vcc
	s_cbranch_execz .LBB74_71
; %bb.70:
	scratch_load_dwordx4 v[8:11], off, s24
	v_mov_b32_e32 v3, v2
	v_mov_b32_e32 v4, v2
	;; [unrolled: 1-line block ×3, first 2 shown]
	scratch_store_dwordx4 off, v[2:5], off offset:64
	s_waitcnt vmcnt(1)
	ds_write_b128 v6, v[8:11]
.LBB74_71:
	s_or_b64 exec, exec, s[2:3]
	s_waitcnt lgkmcnt(0)
	; wave barrier
	scratch_load_dwordx4 v[8:11], off, off offset:80
	scratch_load_dwordx4 v[36:39], off, off offset:96
	scratch_load_dwordx4 v[40:43], off, off offset:112
	scratch_load_dwordx4 v[44:47], off, off offset:128
	scratch_load_dwordx4 v[48:51], off, off offset:144
	scratch_load_dwordx4 v[52:55], off, off offset:160
	scratch_load_dwordx4 v[56:59], off, off offset:64
	ds_read_b128 v[60:63], v2 offset:256
	ds_read_b128 v[64:67], v2 offset:272
	;; [unrolled: 1-line block ×6, first 2 shown]
	v_cmp_lt_u32_e32 vcc, 3, v1
	s_waitcnt vmcnt(6) lgkmcnt(5)
	v_mul_f64 v[12:13], v[60:61], v[10:11]
	v_mul_f64 v[10:11], v[62:63], v[10:11]
	s_waitcnt vmcnt(5) lgkmcnt(4)
	v_mul_f64 v[80:81], v[64:65], v[38:39]
	v_mul_f64 v[38:39], v[66:67], v[38:39]
	v_fmac_f64_e32 v[12:13], v[62:63], v[8:9]
	s_waitcnt vmcnt(1) lgkmcnt(0)
	v_mul_f64 v[88:89], v[2:3], v[54:55]
	v_mul_f64 v[54:55], v[4:5], v[54:55]
	v_fmac_f64_e32 v[88:89], v[4:5], v[52:53]
	v_fma_f64 v[4:5], v[60:61], v[8:9], -v[10:11]
	v_mul_f64 v[82:83], v[68:69], v[42:43]
	v_mul_f64 v[42:43], v[70:71], v[42:43]
	v_fmac_f64_e32 v[80:81], v[66:67], v[36:37]
	v_fma_f64 v[8:9], v[64:65], v[36:37], -v[38:39]
	v_add_f64 v[12:13], v[12:13], 0
	v_add_f64 v[4:5], v[4:5], 0
	v_mul_f64 v[84:85], v[72:73], v[46:47]
	v_mul_f64 v[46:47], v[74:75], v[46:47]
	v_fmac_f64_e32 v[82:83], v[70:71], v[40:41]
	v_fma_f64 v[10:11], v[68:69], v[40:41], -v[42:43]
	v_add_f64 v[12:13], v[12:13], v[80:81]
	v_add_f64 v[4:5], v[4:5], v[8:9]
	;; [unrolled: 6-line block ×3, first 2 shown]
	v_fmac_f64_e32 v[86:87], v[78:79], v[48:49]
	v_fma_f64 v[38:39], v[76:77], v[48:49], -v[50:51]
	v_add_f64 v[8:9], v[8:9], v[84:85]
	v_add_f64 v[4:5], v[4:5], v[36:37]
	v_fma_f64 v[2:3], v[2:3], v[52:53], -v[54:55]
	v_add_f64 v[8:9], v[8:9], v[86:87]
	v_add_f64 v[4:5], v[4:5], v[38:39]
	;; [unrolled: 1-line block ×4, first 2 shown]
	s_waitcnt vmcnt(0)
	v_add_f64 v[2:3], v[56:57], -v[2:3]
	v_add_f64 v[4:5], v[58:59], -v[8:9]
	scratch_store_dwordx4 off, v[2:5], off offset:64
	s_and_saveexec_b64 s[2:3], vcc
	s_cbranch_execz .LBB74_73
; %bb.72:
	scratch_load_dwordx4 v[2:5], off, s25
	v_mov_b32_e32 v8, 0
	v_mov_b32_e32 v9, v8
	;; [unrolled: 1-line block ×4, first 2 shown]
	scratch_store_dwordx4 off, v[8:11], off offset:48
	s_waitcnt vmcnt(1)
	ds_write_b128 v6, v[2:5]
.LBB74_73:
	s_or_b64 exec, exec, s[2:3]
	s_waitcnt lgkmcnt(0)
	; wave barrier
	scratch_load_dwordx4 v[8:11], off, off offset:64
	scratch_load_dwordx4 v[36:39], off, off offset:80
	;; [unrolled: 1-line block ×8, first 2 shown]
	v_mov_b32_e32 v2, 0
	ds_read_b128 v[64:67], v2 offset:240
	ds_read_b128 v[68:71], v2 offset:256
	;; [unrolled: 1-line block ×7, first 2 shown]
	v_cmp_lt_u32_e32 vcc, 2, v1
	s_waitcnt vmcnt(7) lgkmcnt(6)
	v_mul_f64 v[4:5], v[64:65], v[10:11]
	v_mul_f64 v[10:11], v[66:67], v[10:11]
	s_waitcnt vmcnt(6) lgkmcnt(5)
	v_mul_f64 v[12:13], v[68:69], v[38:39]
	v_mul_f64 v[38:39], v[70:71], v[38:39]
	v_fmac_f64_e32 v[4:5], v[66:67], v[8:9]
	v_fma_f64 v[8:9], v[64:65], v[8:9], -v[10:11]
	s_waitcnt vmcnt(5) lgkmcnt(4)
	v_mul_f64 v[92:93], v[72:73], v[42:43]
	v_mul_f64 v[42:43], v[74:75], v[42:43]
	v_fmac_f64_e32 v[12:13], v[70:71], v[36:37]
	v_fma_f64 v[10:11], v[68:69], v[36:37], -v[38:39]
	v_add_f64 v[4:5], v[4:5], 0
	v_add_f64 v[8:9], v[8:9], 0
	s_waitcnt vmcnt(4) lgkmcnt(3)
	v_mul_f64 v[94:95], v[76:77], v[46:47]
	v_mul_f64 v[46:47], v[78:79], v[46:47]
	v_fmac_f64_e32 v[92:93], v[74:75], v[40:41]
	v_fma_f64 v[36:37], v[72:73], v[40:41], -v[42:43]
	v_add_f64 v[4:5], v[4:5], v[12:13]
	v_add_f64 v[8:9], v[8:9], v[10:11]
	;; [unrolled: 7-line block ×5, first 2 shown]
	v_fmac_f64_e32 v[100:101], v[90:91], v[56:57]
	v_fma_f64 v[44:45], v[88:89], v[56:57], -v[58:59]
	v_add_f64 v[4:5], v[4:5], v[98:99]
	v_add_f64 v[8:9], v[8:9], v[42:43]
	;; [unrolled: 1-line block ×4, first 2 shown]
	s_waitcnt vmcnt(0)
	v_add_f64 v[8:9], v[60:61], -v[8:9]
	v_add_f64 v[10:11], v[62:63], -v[4:5]
	scratch_store_dwordx4 off, v[8:11], off offset:48
	s_and_saveexec_b64 s[2:3], vcc
	s_cbranch_execz .LBB74_75
; %bb.74:
	scratch_load_dwordx4 v[8:11], off, s26
	v_mov_b32_e32 v3, v2
	v_mov_b32_e32 v4, v2
	;; [unrolled: 1-line block ×3, first 2 shown]
	scratch_store_dwordx4 off, v[2:5], off offset:32
	s_waitcnt vmcnt(1)
	ds_write_b128 v6, v[8:11]
.LBB74_75:
	s_or_b64 exec, exec, s[2:3]
	s_waitcnt lgkmcnt(0)
	; wave barrier
	scratch_load_dwordx4 v[8:11], off, off offset:48
	scratch_load_dwordx4 v[36:39], off, off offset:64
	;; [unrolled: 1-line block ×9, first 2 shown]
	ds_read_b128 v[68:71], v2 offset:224
	ds_read_b128 v[72:75], v2 offset:240
	;; [unrolled: 1-line block ×8, first 2 shown]
	v_cmp_lt_u32_e32 vcc, 1, v1
	s_waitcnt vmcnt(8) lgkmcnt(7)
	v_mul_f64 v[12:13], v[68:69], v[10:11]
	v_mul_f64 v[10:11], v[70:71], v[10:11]
	s_waitcnt vmcnt(7) lgkmcnt(6)
	v_mul_f64 v[96:97], v[72:73], v[38:39]
	v_mul_f64 v[38:39], v[74:75], v[38:39]
	v_fmac_f64_e32 v[12:13], v[70:71], v[8:9]
	s_waitcnt vmcnt(6) lgkmcnt(5)
	v_mul_f64 v[98:99], v[76:77], v[42:43]
	v_mul_f64 v[42:43], v[78:79], v[42:43]
	s_waitcnt vmcnt(1) lgkmcnt(0)
	v_mul_f64 v[108:109], v[2:3], v[62:63]
	v_mul_f64 v[62:63], v[4:5], v[62:63]
	v_fmac_f64_e32 v[108:109], v[4:5], v[60:61]
	v_fma_f64 v[4:5], v[68:69], v[8:9], -v[10:11]
	v_fmac_f64_e32 v[96:97], v[74:75], v[36:37]
	v_fma_f64 v[8:9], v[72:73], v[36:37], -v[38:39]
	v_add_f64 v[12:13], v[12:13], 0
	v_add_f64 v[4:5], v[4:5], 0
	v_mul_f64 v[100:101], v[80:81], v[46:47]
	v_mul_f64 v[46:47], v[82:83], v[46:47]
	v_fmac_f64_e32 v[98:99], v[78:79], v[40:41]
	v_fma_f64 v[10:11], v[76:77], v[40:41], -v[42:43]
	v_add_f64 v[12:13], v[12:13], v[96:97]
	v_add_f64 v[4:5], v[4:5], v[8:9]
	v_mul_f64 v[102:103], v[84:85], v[50:51]
	v_mul_f64 v[50:51], v[86:87], v[50:51]
	;; [unrolled: 6-line block ×4, first 2 shown]
	v_fmac_f64_e32 v[104:105], v[90:91], v[52:53]
	v_fma_f64 v[40:41], v[88:89], v[52:53], -v[54:55]
	v_add_f64 v[8:9], v[8:9], v[102:103]
	v_add_f64 v[4:5], v[4:5], v[38:39]
	v_fmac_f64_e32 v[106:107], v[94:95], v[56:57]
	v_fma_f64 v[42:43], v[92:93], v[56:57], -v[58:59]
	v_add_f64 v[8:9], v[8:9], v[104:105]
	v_add_f64 v[4:5], v[4:5], v[40:41]
	v_fma_f64 v[2:3], v[2:3], v[60:61], -v[62:63]
	v_add_f64 v[8:9], v[8:9], v[106:107]
	v_add_f64 v[4:5], v[4:5], v[42:43]
	;; [unrolled: 1-line block ×4, first 2 shown]
	s_waitcnt vmcnt(0)
	v_add_f64 v[2:3], v[64:65], -v[2:3]
	v_add_f64 v[4:5], v[66:67], -v[8:9]
	scratch_store_dwordx4 off, v[2:5], off offset:32
	s_and_saveexec_b64 s[2:3], vcc
	s_cbranch_execz .LBB74_77
; %bb.76:
	scratch_load_dwordx4 v[2:5], off, s27
	v_mov_b32_e32 v8, 0
	v_mov_b32_e32 v9, v8
	;; [unrolled: 1-line block ×4, first 2 shown]
	scratch_store_dwordx4 off, v[8:11], off offset:16
	s_waitcnt vmcnt(1)
	ds_write_b128 v6, v[2:5]
.LBB74_77:
	s_or_b64 exec, exec, s[2:3]
	s_waitcnt lgkmcnt(0)
	; wave barrier
	scratch_load_dwordx4 v[8:11], off, off offset:32
	scratch_load_dwordx4 v[36:39], off, off offset:48
	;; [unrolled: 1-line block ×10, first 2 shown]
	v_mov_b32_e32 v2, 0
	ds_read_b128 v[72:75], v2 offset:208
	ds_read_b128 v[76:79], v2 offset:224
	;; [unrolled: 1-line block ×9, first 2 shown]
	v_cmp_ne_u32_e32 vcc, 0, v1
	s_waitcnt vmcnt(9) lgkmcnt(8)
	v_mul_f64 v[4:5], v[72:73], v[10:11]
	v_mul_f64 v[10:11], v[74:75], v[10:11]
	s_waitcnt vmcnt(8) lgkmcnt(7)
	v_mul_f64 v[12:13], v[76:77], v[38:39]
	v_mul_f64 v[38:39], v[78:79], v[38:39]
	v_fmac_f64_e32 v[4:5], v[74:75], v[8:9]
	v_fma_f64 v[8:9], v[72:73], v[8:9], -v[10:11]
	s_waitcnt vmcnt(7) lgkmcnt(6)
	v_mul_f64 v[108:109], v[80:81], v[42:43]
	v_mul_f64 v[42:43], v[82:83], v[42:43]
	v_fmac_f64_e32 v[12:13], v[78:79], v[36:37]
	v_fma_f64 v[10:11], v[76:77], v[36:37], -v[38:39]
	v_add_f64 v[4:5], v[4:5], 0
	v_add_f64 v[8:9], v[8:9], 0
	s_waitcnt vmcnt(6) lgkmcnt(5)
	v_mul_f64 v[110:111], v[84:85], v[46:47]
	v_mul_f64 v[46:47], v[86:87], v[46:47]
	v_fmac_f64_e32 v[108:109], v[82:83], v[40:41]
	v_fma_f64 v[36:37], v[80:81], v[40:41], -v[42:43]
	v_add_f64 v[4:5], v[4:5], v[12:13]
	v_add_f64 v[8:9], v[8:9], v[10:11]
	;; [unrolled: 7-line block ×7, first 2 shown]
	v_fmac_f64_e32 v[120:121], v[106:107], v[64:65]
	v_fma_f64 v[48:49], v[104:105], v[64:65], -v[66:67]
	v_add_f64 v[4:5], v[4:5], v[118:119]
	v_add_f64 v[8:9], v[8:9], v[46:47]
	;; [unrolled: 1-line block ×4, first 2 shown]
	s_waitcnt vmcnt(0)
	v_add_f64 v[8:9], v[68:69], -v[8:9]
	v_add_f64 v[10:11], v[70:71], -v[4:5]
	scratch_store_dwordx4 off, v[8:11], off offset:16
	s_and_saveexec_b64 s[2:3], vcc
	s_cbranch_execz .LBB74_79
; %bb.78:
	scratch_load_dwordx4 v[8:11], off, off
	v_mov_b32_e32 v3, v2
	v_mov_b32_e32 v4, v2
	;; [unrolled: 1-line block ×3, first 2 shown]
	scratch_store_dwordx4 off, v[2:5], off
	s_waitcnt vmcnt(1)
	ds_write_b128 v6, v[8:11]
.LBB74_79:
	s_or_b64 exec, exec, s[2:3]
	s_waitcnt lgkmcnt(0)
	; wave barrier
	ds_read_b128 v[4:7], v2 offset:192
	ds_read_b128 v[8:11], v2 offset:208
	;; [unrolled: 1-line block ×4, first 2 shown]
	scratch_load_dwordx4 v[44:47], off, off offset:16
	scratch_load_dwordx4 v[48:51], off, off offset:32
	;; [unrolled: 1-line block ×6, first 2 shown]
	s_and_b64 vcc, exec, s[14:15]
	scratch_load_dwordx4 v[64:67], off, off offset:80
	scratch_load_dwordx4 v[72:75], off, off offset:96
	s_waitcnt vmcnt(7) lgkmcnt(3)
	v_mul_f64 v[12:13], v[4:5], v[46:47]
	v_fmac_f64_e32 v[12:13], v[6:7], v[44:45]
	s_waitcnt vmcnt(6) lgkmcnt(2)
	v_mul_f64 v[52:53], v[8:9], v[50:51]
	v_add_f64 v[12:13], v[12:13], 0
	v_fmac_f64_e32 v[52:53], v[10:11], v[48:49]
	v_add_f64 v[12:13], v[12:13], v[52:53]
	scratch_load_dwordx4 v[52:55], off, off offset:48
	s_waitcnt vmcnt(0) lgkmcnt(1)
	v_mul_f64 v[56:57], v[36:37], v[54:55]
	v_fmac_f64_e32 v[56:57], v[38:39], v[52:53]
	v_add_f64 v[12:13], v[12:13], v[56:57]
	scratch_load_dwordx4 v[56:59], off, off offset:64
	s_waitcnt vmcnt(0) lgkmcnt(0)
	v_mul_f64 v[60:61], v[40:41], v[58:59]
	v_fmac_f64_e32 v[60:61], v[42:43], v[56:57]
	v_add_f64 v[12:13], v[12:13], v[60:61]
	ds_read_b128 v[60:63], v2 offset:256
	s_waitcnt lgkmcnt(0)
	v_mul_f64 v[68:69], v[60:61], v[66:67]
	v_fmac_f64_e32 v[68:69], v[62:63], v[64:65]
	v_add_f64 v[12:13], v[12:13], v[68:69]
	ds_read_b128 v[68:71], v2 offset:272
	s_waitcnt lgkmcnt(0)
	;; [unrolled: 5-line block ×6, first 2 shown]
	v_mul_f64 v[2:3], v[100:101], v[106:107]
	v_fmac_f64_e32 v[2:3], v[102:103], v[104:105]
	v_add_f64 v[12:13], v[12:13], v[2:3]
	v_mul_f64 v[2:3], v[6:7], v[46:47]
	v_fma_f64 v[2:3], v[4:5], v[44:45], -v[2:3]
	v_mul_f64 v[4:5], v[10:11], v[50:51]
	v_add_f64 v[2:3], v[2:3], 0
	v_fma_f64 v[4:5], v[8:9], v[48:49], -v[4:5]
	v_add_f64 v[2:3], v[2:3], v[4:5]
	v_mul_f64 v[4:5], v[38:39], v[54:55]
	v_fma_f64 v[4:5], v[36:37], v[52:53], -v[4:5]
	v_add_f64 v[2:3], v[2:3], v[4:5]
	v_mul_f64 v[4:5], v[42:43], v[58:59]
	;; [unrolled: 3-line block ×8, first 2 shown]
	v_fma_f64 v[4:5], v[100:101], v[104:105], -v[4:5]
	v_add_f64 v[6:7], v[2:3], v[4:5]
	scratch_load_dwordx4 v[2:5], off, off
	s_waitcnt vmcnt(0)
	v_add_f64 v[2:3], v[2:3], -v[6:7]
	v_add_f64 v[4:5], v[4:5], -v[12:13]
	scratch_store_dwordx4 off, v[2:5], off
	s_cbranch_vccz .LBB74_100
; %bb.80:
	s_nop 0
	v_mov_b32_e32 v2, 0
	global_load_dword v3, v2, s[12:13] offset:36
	s_load_dwordx2 s[2:3], s[0:1], 0x4
	v_bfe_u32 v4, v0, 10, 10
	v_bfe_u32 v0, v0, 20, 10
	s_waitcnt lgkmcnt(0)
	s_lshr_b32 s0, s2, 16
	s_mul_i32 s0, s0, s3
	v_mul_u32_u24_e32 v1, s0, v1
	v_mul_u32_u24_e32 v4, s3, v4
	v_add3_u32 v0, v1, v4, v0
	v_mov_b32_e32 v1, 0x168
	v_lshl_add_u32 v0, v0, 4, v1
	s_waitcnt vmcnt(0)
	v_readfirstlane_b32 s0, v3
	s_add_i32 s0, s0, -1
	s_cmp_lg_u32 s0, 9
	s_cbranch_scc0 .LBB74_82
; %bb.81:
	s_lshl_b32 s0, s0, 4
	scratch_load_dwordx4 v[4:7], off, s19
	scratch_load_dwordx4 v[8:11], off, s0
	s_waitcnt vmcnt(1)
	ds_write2_b64 v0, v[4:5], v[6:7] offset1:1
	s_waitcnt vmcnt(0)
	scratch_store_dwordx4 off, v[8:11], s19
	scratch_store_dwordx4 off, v[4:7], s0
.LBB74_82:
	global_load_dword v1, v2, s[12:13] offset:32
	s_waitcnt vmcnt(0)
	v_readfirstlane_b32 s0, v1
	s_add_i32 s0, s0, -1
	s_cmp_eq_u32 s0, 8
	s_cbranch_scc1 .LBB74_84
; %bb.83:
	s_lshl_b32 s0, s0, 4
	scratch_load_dwordx4 v[2:5], off, s20
	scratch_load_dwordx4 v[6:9], off, s0
	s_waitcnt vmcnt(1)
	ds_write2_b64 v0, v[2:3], v[4:5] offset1:1
	s_waitcnt vmcnt(0)
	scratch_store_dwordx4 off, v[6:9], s20
	scratch_store_dwordx4 off, v[2:5], s0
.LBB74_84:
	v_mov_b32_e32 v1, 0
	global_load_dword v2, v1, s[12:13] offset:28
	s_waitcnt vmcnt(0)
	v_readfirstlane_b32 s0, v2
	s_add_i32 s0, s0, -1
	s_cmp_eq_u32 s0, 7
	s_cbranch_scc1 .LBB74_86
; %bb.85:
	s_lshl_b32 s0, s0, 4
	scratch_load_dwordx4 v[2:5], off, s21
	scratch_load_dwordx4 v[6:9], off, s0
	s_waitcnt vmcnt(1)
	ds_write2_b64 v0, v[2:3], v[4:5] offset1:1
	s_waitcnt vmcnt(0)
	scratch_store_dwordx4 off, v[6:9], s21
	scratch_store_dwordx4 off, v[2:5], s0
.LBB74_86:
	global_load_dword v1, v1, s[12:13] offset:24
	s_waitcnt vmcnt(0)
	v_readfirstlane_b32 s0, v1
	s_add_i32 s0, s0, -1
	s_cmp_eq_u32 s0, 6
	s_cbranch_scc1 .LBB74_88
; %bb.87:
	s_lshl_b32 s0, s0, 4
	scratch_load_dwordx4 v[2:5], off, s22
	scratch_load_dwordx4 v[6:9], off, s0
	s_waitcnt vmcnt(1)
	ds_write2_b64 v0, v[2:3], v[4:5] offset1:1
	s_waitcnt vmcnt(0)
	scratch_store_dwordx4 off, v[6:9], s22
	scratch_store_dwordx4 off, v[2:5], s0
.LBB74_88:
	v_mov_b32_e32 v1, 0
	global_load_dword v2, v1, s[12:13] offset:20
	s_waitcnt vmcnt(0)
	v_readfirstlane_b32 s0, v2
	s_add_i32 s0, s0, -1
	s_cmp_eq_u32 s0, 5
	s_cbranch_scc1 .LBB74_90
; %bb.89:
	s_lshl_b32 s0, s0, 4
	scratch_load_dwordx4 v[2:5], off, s23
	scratch_load_dwordx4 v[6:9], off, s0
	s_waitcnt vmcnt(1)
	ds_write2_b64 v0, v[2:3], v[4:5] offset1:1
	s_waitcnt vmcnt(0)
	scratch_store_dwordx4 off, v[6:9], s23
	scratch_store_dwordx4 off, v[2:5], s0
.LBB74_90:
	;; [unrolled: 33-line block ×4, first 2 shown]
	global_load_dword v1, v1, s[12:13]
	s_waitcnt vmcnt(0)
	v_readfirstlane_b32 s0, v1
	s_add_i32 s0, s0, -1
	s_cmp_eq_u32 s0, 0
	s_cbranch_scc1 .LBB74_100
; %bb.99:
	s_lshl_b32 s0, s0, 4
	scratch_load_dwordx4 v[2:5], off, off
	scratch_load_dwordx4 v[6:9], off, s0
	s_waitcnt vmcnt(1)
	ds_write2_b64 v0, v[2:3], v[4:5] offset1:1
	s_waitcnt vmcnt(0)
	scratch_store_dwordx4 off, v[6:9], off
	scratch_store_dwordx4 off, v[2:5], s0
.LBB74_100:
	scratch_load_dwordx4 v[0:3], off, off
	s_waitcnt vmcnt(0)
	flat_store_dwordx4 v[14:15], v[0:3]
	scratch_load_dwordx4 v[0:3], off, s27
	s_waitcnt vmcnt(0)
	flat_store_dwordx4 v[16:17], v[0:3]
	scratch_load_dwordx4 v[0:3], off, s26
	s_waitcnt vmcnt(0)
	flat_store_dwordx4 v[18:19], v[0:3]
	scratch_load_dwordx4 v[0:3], off, s25
	s_waitcnt vmcnt(0)
	flat_store_dwordx4 v[20:21], v[0:3]
	scratch_load_dwordx4 v[0:3], off, s24
	s_waitcnt vmcnt(0)
	flat_store_dwordx4 v[22:23], v[0:3]
	scratch_load_dwordx4 v[0:3], off, s23
	s_waitcnt vmcnt(0)
	flat_store_dwordx4 v[24:25], v[0:3]
	scratch_load_dwordx4 v[0:3], off, s22
	s_waitcnt vmcnt(0)
	flat_store_dwordx4 v[26:27], v[0:3]
	scratch_load_dwordx4 v[0:3], off, s21
	s_waitcnt vmcnt(0)
	flat_store_dwordx4 v[28:29], v[0:3]
	scratch_load_dwordx4 v[0:3], off, s20
	s_waitcnt vmcnt(0)
	flat_store_dwordx4 v[30:31], v[0:3]
	scratch_load_dwordx4 v[0:3], off, s19
	s_waitcnt vmcnt(0)
	flat_store_dwordx4 v[32:33], v[0:3]
	scratch_load_dwordx4 v[0:3], off, s18
	s_waitcnt vmcnt(0)
	flat_store_dwordx4 v[34:35], v[0:3]
	s_endpgm
	.section	.rodata,"a",@progbits
	.p2align	6, 0x0
	.amdhsa_kernel _ZN9rocsolver6v33100L18getri_kernel_smallILi11E19rocblas_complex_numIdEPKPS3_EEvT1_iilPiilS8_bb
		.amdhsa_group_segment_fixed_size 1384
		.amdhsa_private_segment_fixed_size 192
		.amdhsa_kernarg_size 60
		.amdhsa_user_sgpr_count 4
		.amdhsa_user_sgpr_dispatch_ptr 1
		.amdhsa_user_sgpr_queue_ptr 0
		.amdhsa_user_sgpr_kernarg_segment_ptr 1
		.amdhsa_user_sgpr_dispatch_id 0
		.amdhsa_user_sgpr_kernarg_preload_length 0
		.amdhsa_user_sgpr_kernarg_preload_offset 0
		.amdhsa_user_sgpr_private_segment_size 0
		.amdhsa_uses_dynamic_stack 0
		.amdhsa_enable_private_segment 1
		.amdhsa_system_sgpr_workgroup_id_x 1
		.amdhsa_system_sgpr_workgroup_id_y 0
		.amdhsa_system_sgpr_workgroup_id_z 0
		.amdhsa_system_sgpr_workgroup_info 0
		.amdhsa_system_vgpr_workitem_id 2
		.amdhsa_next_free_vgpr 122
		.amdhsa_next_free_sgpr 29
		.amdhsa_accum_offset 124
		.amdhsa_reserve_vcc 1
		.amdhsa_float_round_mode_32 0
		.amdhsa_float_round_mode_16_64 0
		.amdhsa_float_denorm_mode_32 3
		.amdhsa_float_denorm_mode_16_64 3
		.amdhsa_dx10_clamp 1
		.amdhsa_ieee_mode 1
		.amdhsa_fp16_overflow 0
		.amdhsa_tg_split 0
		.amdhsa_exception_fp_ieee_invalid_op 0
		.amdhsa_exception_fp_denorm_src 0
		.amdhsa_exception_fp_ieee_div_zero 0
		.amdhsa_exception_fp_ieee_overflow 0
		.amdhsa_exception_fp_ieee_underflow 0
		.amdhsa_exception_fp_ieee_inexact 0
		.amdhsa_exception_int_div_zero 0
	.end_amdhsa_kernel
	.section	.text._ZN9rocsolver6v33100L18getri_kernel_smallILi11E19rocblas_complex_numIdEPKPS3_EEvT1_iilPiilS8_bb,"axG",@progbits,_ZN9rocsolver6v33100L18getri_kernel_smallILi11E19rocblas_complex_numIdEPKPS3_EEvT1_iilPiilS8_bb,comdat
.Lfunc_end74:
	.size	_ZN9rocsolver6v33100L18getri_kernel_smallILi11E19rocblas_complex_numIdEPKPS3_EEvT1_iilPiilS8_bb, .Lfunc_end74-_ZN9rocsolver6v33100L18getri_kernel_smallILi11E19rocblas_complex_numIdEPKPS3_EEvT1_iilPiilS8_bb
                                        ; -- End function
	.set _ZN9rocsolver6v33100L18getri_kernel_smallILi11E19rocblas_complex_numIdEPKPS3_EEvT1_iilPiilS8_bb.num_vgpr, 122
	.set _ZN9rocsolver6v33100L18getri_kernel_smallILi11E19rocblas_complex_numIdEPKPS3_EEvT1_iilPiilS8_bb.num_agpr, 0
	.set _ZN9rocsolver6v33100L18getri_kernel_smallILi11E19rocblas_complex_numIdEPKPS3_EEvT1_iilPiilS8_bb.numbered_sgpr, 29
	.set _ZN9rocsolver6v33100L18getri_kernel_smallILi11E19rocblas_complex_numIdEPKPS3_EEvT1_iilPiilS8_bb.num_named_barrier, 0
	.set _ZN9rocsolver6v33100L18getri_kernel_smallILi11E19rocblas_complex_numIdEPKPS3_EEvT1_iilPiilS8_bb.private_seg_size, 192
	.set _ZN9rocsolver6v33100L18getri_kernel_smallILi11E19rocblas_complex_numIdEPKPS3_EEvT1_iilPiilS8_bb.uses_vcc, 1
	.set _ZN9rocsolver6v33100L18getri_kernel_smallILi11E19rocblas_complex_numIdEPKPS3_EEvT1_iilPiilS8_bb.uses_flat_scratch, 0
	.set _ZN9rocsolver6v33100L18getri_kernel_smallILi11E19rocblas_complex_numIdEPKPS3_EEvT1_iilPiilS8_bb.has_dyn_sized_stack, 0
	.set _ZN9rocsolver6v33100L18getri_kernel_smallILi11E19rocblas_complex_numIdEPKPS3_EEvT1_iilPiilS8_bb.has_recursion, 0
	.set _ZN9rocsolver6v33100L18getri_kernel_smallILi11E19rocblas_complex_numIdEPKPS3_EEvT1_iilPiilS8_bb.has_indirect_call, 0
	.section	.AMDGPU.csdata,"",@progbits
; Kernel info:
; codeLenInByte = 9152
; TotalNumSgprs: 35
; NumVgprs: 122
; NumAgprs: 0
; TotalNumVgprs: 122
; ScratchSize: 192
; MemoryBound: 0
; FloatMode: 240
; IeeeMode: 1
; LDSByteSize: 1384 bytes/workgroup (compile time only)
; SGPRBlocks: 4
; VGPRBlocks: 15
; NumSGPRsForWavesPerEU: 35
; NumVGPRsForWavesPerEU: 122
; AccumOffset: 124
; Occupancy: 4
; WaveLimiterHint : 1
; COMPUTE_PGM_RSRC2:SCRATCH_EN: 1
; COMPUTE_PGM_RSRC2:USER_SGPR: 4
; COMPUTE_PGM_RSRC2:TRAP_HANDLER: 0
; COMPUTE_PGM_RSRC2:TGID_X_EN: 1
; COMPUTE_PGM_RSRC2:TGID_Y_EN: 0
; COMPUTE_PGM_RSRC2:TGID_Z_EN: 0
; COMPUTE_PGM_RSRC2:TIDIG_COMP_CNT: 2
; COMPUTE_PGM_RSRC3_GFX90A:ACCUM_OFFSET: 30
; COMPUTE_PGM_RSRC3_GFX90A:TG_SPLIT: 0
	.section	.text._ZN9rocsolver6v33100L18getri_kernel_smallILi12E19rocblas_complex_numIdEPKPS3_EEvT1_iilPiilS8_bb,"axG",@progbits,_ZN9rocsolver6v33100L18getri_kernel_smallILi12E19rocblas_complex_numIdEPKPS3_EEvT1_iilPiilS8_bb,comdat
	.globl	_ZN9rocsolver6v33100L18getri_kernel_smallILi12E19rocblas_complex_numIdEPKPS3_EEvT1_iilPiilS8_bb ; -- Begin function _ZN9rocsolver6v33100L18getri_kernel_smallILi12E19rocblas_complex_numIdEPKPS3_EEvT1_iilPiilS8_bb
	.p2align	8
	.type	_ZN9rocsolver6v33100L18getri_kernel_smallILi12E19rocblas_complex_numIdEPKPS3_EEvT1_iilPiilS8_bb,@function
_ZN9rocsolver6v33100L18getri_kernel_smallILi12E19rocblas_complex_numIdEPKPS3_EEvT1_iilPiilS8_bb: ; @_ZN9rocsolver6v33100L18getri_kernel_smallILi12E19rocblas_complex_numIdEPKPS3_EEvT1_iilPiilS8_bb
; %bb.0:
	v_and_b32_e32 v1, 0x3ff, v0
	v_cmp_gt_u32_e32 vcc, 12, v1
	s_and_saveexec_b64 s[6:7], vcc
	s_cbranch_execz .LBB75_62
; %bb.1:
	s_load_dword s18, s[2:3], 0x38
	s_load_dwordx2 s[6:7], s[2:3], 0x0
	s_load_dwordx4 s[8:11], s[2:3], 0x28
	s_waitcnt lgkmcnt(0)
	s_bitcmp1_b32 s18, 8
	s_cselect_b64 s[14:15], -1, 0
	s_ashr_i32 s5, s4, 31
	s_lshl_b64 s[12:13], s[4:5], 3
	s_add_u32 s6, s6, s12
	s_addc_u32 s7, s7, s13
	s_load_dwordx2 s[16:17], s[6:7], 0x0
	s_bfe_u32 s6, s18, 0x10008
	s_cmp_eq_u32 s6, 0
                                        ; implicit-def: $sgpr12_sgpr13
	s_cbranch_scc1 .LBB75_3
; %bb.2:
	s_load_dword s6, s[2:3], 0x20
	s_load_dwordx2 s[12:13], s[2:3], 0x18
	s_mul_i32 s7, s8, s5
	s_mul_hi_u32 s18, s8, s4
	s_add_i32 s18, s18, s7
	s_mul_i32 s9, s9, s4
	s_add_i32 s9, s18, s9
	s_mul_i32 s8, s8, s4
	s_waitcnt lgkmcnt(0)
	s_ashr_i32 s7, s6, 31
	s_lshl_b64 s[8:9], s[8:9], 2
	s_add_u32 s8, s12, s8
	s_addc_u32 s9, s13, s9
	s_lshl_b64 s[6:7], s[6:7], 2
	s_add_u32 s12, s8, s6
	s_addc_u32 s13, s9, s7
.LBB75_3:
	s_load_dwordx2 s[6:7], s[2:3], 0x8
	s_load_dword s29, s[2:3], 0x38
	v_lshlrev_b32_e32 v38, 4, v1
	v_mov_b32_e32 v39, 0
	s_movk_i32 s24, 0x50
	s_waitcnt lgkmcnt(0)
	s_ashr_i32 s3, s6, 31
	s_mov_b32 s2, s6
	s_lshl_b64 s[2:3], s[2:3], 4
	s_add_u32 s2, s16, s2
	s_addc_u32 s3, s17, s3
	v_lshl_add_u64 v[14:15], s[2:3], 0, v[38:39]
	flat_load_dwordx4 v[2:5], v[14:15]
	s_mov_b32 s8, s7
	s_ashr_i32 s9, s7, 31
	v_lshl_add_u64 v[16:17], s[8:9], 4, v[14:15]
	s_add_i32 s6, s7, s7
	v_add_u32_e32 v6, s6, v1
	v_ashrrev_i32_e32 v7, 31, v6
	v_lshl_add_u64 v[18:19], v[6:7], 4, s[2:3]
	v_add_u32_e32 v6, s7, v6
	v_ashrrev_i32_e32 v7, 31, v6
	v_lshl_add_u64 v[20:21], v[6:7], 4, s[2:3]
	;; [unrolled: 3-line block ×10, first 2 shown]
	s_movk_i32 s23, 0x60
	s_movk_i32 s22, 0x70
	;; [unrolled: 1-line block ×6, first 2 shown]
	s_mov_b32 s28, 16
	s_mov_b32 s27, 32
	;; [unrolled: 1-line block ×4, first 2 shown]
	s_bitcmp0_b32 s29, 0
	s_mov_b64 s[6:7], -1
	s_waitcnt vmcnt(0) lgkmcnt(0)
	scratch_store_dwordx4 off, v[2:5], off
	flat_load_dwordx4 v[2:5], v[16:17]
	s_waitcnt vmcnt(0) lgkmcnt(0)
	scratch_store_dwordx4 off, v[2:5], off offset:16
	flat_load_dwordx4 v[2:5], v[18:19]
	s_waitcnt vmcnt(0) lgkmcnt(0)
	scratch_store_dwordx4 off, v[2:5], off offset:32
	;; [unrolled: 3-line block ×11, first 2 shown]
	s_cbranch_scc1 .LBB75_60
; %bb.4:
	v_cmp_eq_u32_e64 s[2:3], 0, v1
	s_and_saveexec_b64 s[6:7], s[2:3]
; %bb.5:
	v_mov_b32_e32 v2, 0
	ds_write_b32 v2, v2 offset:384
; %bb.6:
	s_or_b64 exec, exec, s[6:7]
	s_waitcnt lgkmcnt(0)
	; wave barrier
	scratch_load_dwordx4 v[2:5], v38, off
	s_waitcnt vmcnt(0)
	v_cmp_eq_f64_e32 vcc, 0, v[2:3]
	v_cmp_eq_f64_e64 s[6:7], 0, v[4:5]
	s_and_b64 s[6:7], vcc, s[6:7]
	s_and_saveexec_b64 s[8:9], s[6:7]
	s_cbranch_execz .LBB75_10
; %bb.7:
	v_mov_b32_e32 v2, 0
	ds_read_b32 v4, v2 offset:384
	v_add_u32_e32 v3, 1, v1
	s_waitcnt lgkmcnt(0)
	v_readfirstlane_b32 s6, v4
	s_cmp_eq_u32 s6, 0
	s_cselect_b64 s[16:17], -1, 0
	v_cmp_gt_i32_e32 vcc, s6, v3
	s_or_b64 s[16:17], s[16:17], vcc
	s_and_b64 exec, exec, s[16:17]
	s_cbranch_execz .LBB75_10
; %bb.8:
	s_mov_b64 s[16:17], 0
	v_mov_b32_e32 v4, s6
.LBB75_9:                               ; =>This Inner Loop Header: Depth=1
	ds_cmpst_rtn_b32 v4, v2, v4, v3 offset:384
	s_waitcnt lgkmcnt(0)
	v_cmp_ne_u32_e32 vcc, 0, v4
	v_cmp_le_i32_e64 s[6:7], v4, v3
	s_and_b64 s[6:7], vcc, s[6:7]
	s_and_b64 s[6:7], exec, s[6:7]
	s_or_b64 s[16:17], s[6:7], s[16:17]
	s_andn2_b64 exec, exec, s[16:17]
	s_cbranch_execnz .LBB75_9
.LBB75_10:
	s_or_b64 exec, exec, s[8:9]
	v_mov_b32_e32 v3, 0
	; wave barrier
	ds_read_b32 v2, v3 offset:384
	s_and_saveexec_b64 s[6:7], s[2:3]
	s_cbranch_execz .LBB75_12
; %bb.11:
	s_lshl_b64 s[8:9], s[4:5], 2
	s_add_u32 s8, s10, s8
	s_addc_u32 s9, s11, s9
	s_waitcnt lgkmcnt(0)
	global_store_dword v3, v2, s[8:9]
.LBB75_12:
	s_or_b64 exec, exec, s[6:7]
	s_waitcnt lgkmcnt(0)
	v_cmp_ne_u32_e32 vcc, 0, v2
	s_mov_b64 s[6:7], 0
	s_cbranch_vccnz .LBB75_60
; %bb.13:
	v_mov_b32_e32 v39, v38
	scratch_load_dwordx4 v[2:5], v39, off
                                        ; implicit-def: $vgpr6_vgpr7
                                        ; implicit-def: $vgpr10_vgpr11
	s_waitcnt vmcnt(0)
	v_cmp_ngt_f64_e64 s[6:7], |v[2:3]|, |v[4:5]|
	s_and_saveexec_b64 s[8:9], s[6:7]
	s_xor_b64 s[6:7], exec, s[8:9]
	s_cbranch_execz .LBB75_15
; %bb.14:
	v_div_scale_f64 v[6:7], s[8:9], v[4:5], v[4:5], v[2:3]
	v_rcp_f64_e32 v[8:9], v[6:7]
	v_div_scale_f64 v[10:11], vcc, v[2:3], v[4:5], v[2:3]
	v_fma_f64 v[12:13], -v[6:7], v[8:9], 1.0
	v_fmac_f64_e32 v[8:9], v[8:9], v[12:13]
	v_fma_f64 v[12:13], -v[6:7], v[8:9], 1.0
	v_fmac_f64_e32 v[8:9], v[8:9], v[12:13]
	v_mul_f64 v[12:13], v[10:11], v[8:9]
	v_fma_f64 v[6:7], -v[6:7], v[12:13], v[10:11]
	v_div_fmas_f64 v[6:7], v[6:7], v[8:9], v[12:13]
	v_div_fixup_f64 v[6:7], v[6:7], v[4:5], v[2:3]
	v_fmac_f64_e32 v[4:5], v[2:3], v[6:7]
	v_div_scale_f64 v[2:3], s[8:9], v[4:5], v[4:5], 1.0
	v_rcp_f64_e32 v[8:9], v[2:3]
	s_nop 0
	v_fma_f64 v[10:11], -v[2:3], v[8:9], 1.0
	v_fmac_f64_e32 v[8:9], v[8:9], v[10:11]
	v_fma_f64 v[10:11], -v[2:3], v[8:9], 1.0
	v_fmac_f64_e32 v[8:9], v[8:9], v[10:11]
	v_div_scale_f64 v[10:11], vcc, 1.0, v[4:5], 1.0
	v_mul_f64 v[12:13], v[10:11], v[8:9]
	v_fma_f64 v[2:3], -v[2:3], v[12:13], v[10:11]
	s_nop 1
	v_div_fmas_f64 v[2:3], v[2:3], v[8:9], v[12:13]
	v_div_fixup_f64 v[8:9], v[2:3], v[4:5], 1.0
	v_mul_f64 v[6:7], v[6:7], v[8:9]
	v_xor_b32_e32 v9, 0x80000000, v9
	v_xor_b32_e32 v11, 0x80000000, v7
	v_mov_b32_e32 v10, v6
                                        ; implicit-def: $vgpr2_vgpr3
.LBB75_15:
	s_andn2_saveexec_b64 s[6:7], s[6:7]
	s_cbranch_execz .LBB75_17
; %bb.16:
	v_div_scale_f64 v[6:7], s[8:9], v[2:3], v[2:3], v[4:5]
	v_rcp_f64_e32 v[8:9], v[6:7]
	v_div_scale_f64 v[10:11], vcc, v[4:5], v[2:3], v[4:5]
	v_fma_f64 v[12:13], -v[6:7], v[8:9], 1.0
	v_fmac_f64_e32 v[8:9], v[8:9], v[12:13]
	v_fma_f64 v[12:13], -v[6:7], v[8:9], 1.0
	v_fmac_f64_e32 v[8:9], v[8:9], v[12:13]
	v_mul_f64 v[12:13], v[10:11], v[8:9]
	v_fma_f64 v[6:7], -v[6:7], v[12:13], v[10:11]
	v_div_fmas_f64 v[6:7], v[6:7], v[8:9], v[12:13]
	v_div_fixup_f64 v[8:9], v[6:7], v[2:3], v[4:5]
	v_fmac_f64_e32 v[2:3], v[4:5], v[8:9]
	v_div_scale_f64 v[4:5], s[8:9], v[2:3], v[2:3], 1.0
	v_rcp_f64_e32 v[6:7], v[4:5]
	s_nop 0
	v_fma_f64 v[10:11], -v[4:5], v[6:7], 1.0
	v_fmac_f64_e32 v[6:7], v[6:7], v[10:11]
	v_fma_f64 v[10:11], -v[4:5], v[6:7], 1.0
	v_fmac_f64_e32 v[6:7], v[6:7], v[10:11]
	v_div_scale_f64 v[10:11], vcc, 1.0, v[2:3], 1.0
	v_mul_f64 v[12:13], v[10:11], v[6:7]
	v_fma_f64 v[4:5], -v[4:5], v[12:13], v[10:11]
	s_nop 1
	v_div_fmas_f64 v[4:5], v[4:5], v[6:7], v[12:13]
	v_div_fixup_f64 v[6:7], v[4:5], v[2:3], 1.0
	v_xor_b32_e32 v11, 0x80000000, v7
	v_mov_b32_e32 v10, v6
	v_mul_f64 v[8:9], v[8:9], -v[6:7]
.LBB75_17:
	s_or_b64 exec, exec, s[6:7]
	scratch_store_dwordx4 v39, v[6:9], off
	scratch_load_dwordx4 v[2:5], off, s28
	v_xor_b32_e32 v13, 0x80000000, v9
	v_mov_b32_e32 v12, v8
	v_add_u32_e32 v6, 0xc0, v38
	ds_write_b128 v38, v[10:13]
	s_waitcnt vmcnt(0)
	ds_write_b128 v38, v[2:5] offset:192
	s_waitcnt lgkmcnt(0)
	; wave barrier
	s_and_saveexec_b64 s[6:7], s[2:3]
	s_cbranch_execz .LBB75_19
; %bb.18:
	scratch_load_dwordx4 v[2:5], v39, off
	ds_read_b128 v[8:11], v6
	v_mov_b32_e32 v7, 0
	ds_read_b128 v[40:43], v7 offset:16
	s_waitcnt vmcnt(0) lgkmcnt(1)
	v_mul_f64 v[12:13], v[10:11], v[4:5]
	v_mul_f64 v[4:5], v[8:9], v[4:5]
	v_fma_f64 v[8:9], v[8:9], v[2:3], -v[12:13]
	v_fmac_f64_e32 v[4:5], v[10:11], v[2:3]
	v_add_f64 v[2:3], v[8:9], 0
	v_add_f64 v[8:9], v[4:5], 0
	s_waitcnt lgkmcnt(0)
	v_mul_f64 v[10:11], v[8:9], v[42:43]
	v_mul_f64 v[4:5], v[2:3], v[42:43]
	v_fma_f64 v[2:3], v[2:3], v[40:41], -v[10:11]
	v_fmac_f64_e32 v[4:5], v[8:9], v[40:41]
	scratch_store_dwordx4 off, v[2:5], off offset:16
.LBB75_19:
	s_or_b64 exec, exec, s[6:7]
	; wave barrier
	scratch_load_dwordx4 v[2:5], off, s27
	v_cmp_gt_u32_e32 vcc, 2, v1
	s_waitcnt vmcnt(0)
	ds_write_b128 v6, v[2:5]
	s_waitcnt lgkmcnt(0)
	; wave barrier
	s_and_saveexec_b64 s[6:7], vcc
	s_cbranch_execz .LBB75_23
; %bb.20:
	scratch_load_dwordx4 v[2:5], v39, off
	ds_read_b128 v[8:11], v6
	s_waitcnt vmcnt(0) lgkmcnt(0)
	v_mul_f64 v[12:13], v[10:11], v[4:5]
	v_mul_f64 v[40:41], v[8:9], v[4:5]
	v_fma_f64 v[4:5], v[8:9], v[2:3], -v[12:13]
	v_fmac_f64_e32 v[40:41], v[10:11], v[2:3]
	v_add_f64 v[4:5], v[4:5], 0
	v_add_f64 v[2:3], v[40:41], 0
	s_and_saveexec_b64 s[8:9], s[2:3]
	s_cbranch_execz .LBB75_22
; %bb.21:
	scratch_load_dwordx4 v[8:11], off, off offset:16
	v_mov_b32_e32 v7, 0
	ds_read_b128 v[40:43], v7 offset:208
	s_waitcnt vmcnt(0) lgkmcnt(0)
	v_mul_f64 v[12:13], v[40:41], v[10:11]
	v_mul_f64 v[10:11], v[42:43], v[10:11]
	v_fmac_f64_e32 v[12:13], v[42:43], v[8:9]
	v_fma_f64 v[8:9], v[40:41], v[8:9], -v[10:11]
	v_add_f64 v[2:3], v[2:3], v[12:13]
	v_add_f64 v[4:5], v[4:5], v[8:9]
.LBB75_22:
	s_or_b64 exec, exec, s[8:9]
	v_mov_b32_e32 v7, 0
	ds_read_b128 v[8:11], v7 offset:32
	s_waitcnt lgkmcnt(0)
	v_mul_f64 v[40:41], v[2:3], v[10:11]
	v_mul_f64 v[12:13], v[4:5], v[10:11]
	v_fma_f64 v[10:11], v[4:5], v[8:9], -v[40:41]
	v_fmac_f64_e32 v[12:13], v[2:3], v[8:9]
	scratch_store_dwordx4 off, v[10:13], off offset:32
.LBB75_23:
	s_or_b64 exec, exec, s[6:7]
	; wave barrier
	scratch_load_dwordx4 v[2:5], off, s26
	v_cmp_gt_u32_e32 vcc, 3, v1
	v_add_u32_e32 v7, -1, v1
	s_waitcnt vmcnt(0)
	ds_write_b128 v6, v[2:5]
	s_waitcnt lgkmcnt(0)
	; wave barrier
	s_and_saveexec_b64 s[2:3], vcc
	s_cbranch_execz .LBB75_27
; %bb.24:
	v_add_u32_e32 v8, -1, v1
	v_add_u32_e32 v9, 0xc0, v38
	v_mov_b32_e32 v10, v38
	v_mov_b64_e32 v[2:3], 0
	s_mov_b64 s[6:7], 0
	v_mov_b64_e32 v[4:5], 0
.LBB75_25:                              ; =>This Inner Loop Header: Depth=1
	scratch_load_dwordx4 v[40:43], v10, off
	ds_read_b128 v[44:47], v9
	v_add_u32_e32 v8, 1, v8
	v_cmp_lt_u32_e32 vcc, 1, v8
	v_add_u32_e32 v9, 16, v9
	v_add_u32_e32 v10, 16, v10
	s_or_b64 s[6:7], vcc, s[6:7]
	s_waitcnt vmcnt(0) lgkmcnt(0)
	v_mul_f64 v[12:13], v[46:47], v[42:43]
	v_mul_f64 v[42:43], v[44:45], v[42:43]
	v_fma_f64 v[12:13], v[44:45], v[40:41], -v[12:13]
	v_fmac_f64_e32 v[42:43], v[46:47], v[40:41]
	v_add_f64 v[4:5], v[4:5], v[12:13]
	v_add_f64 v[2:3], v[2:3], v[42:43]
	s_andn2_b64 exec, exec, s[6:7]
	s_cbranch_execnz .LBB75_25
; %bb.26:
	s_or_b64 exec, exec, s[6:7]
	v_mov_b32_e32 v8, 0
	ds_read_b128 v[8:11], v8 offset:48
	s_waitcnt lgkmcnt(0)
	v_mul_f64 v[40:41], v[2:3], v[10:11]
	v_mul_f64 v[12:13], v[4:5], v[10:11]
	v_fma_f64 v[10:11], v[4:5], v[8:9], -v[40:41]
	v_fmac_f64_e32 v[12:13], v[2:3], v[8:9]
	scratch_store_dwordx4 off, v[10:13], off offset:48
.LBB75_27:
	s_or_b64 exec, exec, s[2:3]
	; wave barrier
	scratch_load_dwordx4 v[2:5], off, s25
	v_cmp_gt_u32_e32 vcc, 4, v1
	s_waitcnt vmcnt(0)
	ds_write_b128 v6, v[2:5]
	s_waitcnt lgkmcnt(0)
	; wave barrier
	s_and_saveexec_b64 s[2:3], vcc
	s_cbranch_execz .LBB75_31
; %bb.28:
	v_add_u32_e32 v8, -1, v1
	v_add_u32_e32 v9, 0xc0, v38
	v_mov_b32_e32 v10, v38
	v_mov_b64_e32 v[2:3], 0
	s_mov_b64 s[6:7], 0
	v_mov_b64_e32 v[4:5], 0
.LBB75_29:                              ; =>This Inner Loop Header: Depth=1
	scratch_load_dwordx4 v[40:43], v10, off
	ds_read_b128 v[44:47], v9
	v_add_u32_e32 v8, 1, v8
	v_cmp_lt_u32_e32 vcc, 2, v8
	v_add_u32_e32 v9, 16, v9
	v_add_u32_e32 v10, 16, v10
	s_or_b64 s[6:7], vcc, s[6:7]
	s_waitcnt vmcnt(0) lgkmcnt(0)
	v_mul_f64 v[12:13], v[46:47], v[42:43]
	v_mul_f64 v[42:43], v[44:45], v[42:43]
	v_fma_f64 v[12:13], v[44:45], v[40:41], -v[12:13]
	v_fmac_f64_e32 v[42:43], v[46:47], v[40:41]
	v_add_f64 v[4:5], v[4:5], v[12:13]
	v_add_f64 v[2:3], v[2:3], v[42:43]
	s_andn2_b64 exec, exec, s[6:7]
	s_cbranch_execnz .LBB75_29
; %bb.30:
	s_or_b64 exec, exec, s[6:7]
	v_mov_b32_e32 v8, 0
	ds_read_b128 v[8:11], v8 offset:64
	s_waitcnt lgkmcnt(0)
	v_mul_f64 v[40:41], v[2:3], v[10:11]
	v_mul_f64 v[12:13], v[4:5], v[10:11]
	v_fma_f64 v[10:11], v[4:5], v[8:9], -v[40:41]
	v_fmac_f64_e32 v[12:13], v[2:3], v[8:9]
	scratch_store_dwordx4 off, v[10:13], off offset:64
.LBB75_31:
	s_or_b64 exec, exec, s[2:3]
	; wave barrier
	scratch_load_dwordx4 v[2:5], off, s24
	v_cmp_gt_u32_e32 vcc, 5, v1
	;; [unrolled: 45-line block ×7, first 2 shown]
	s_waitcnt vmcnt(0)
	ds_write_b128 v6, v[2:5]
	s_waitcnt lgkmcnt(0)
	; wave barrier
	s_and_saveexec_b64 s[2:3], vcc
	s_cbranch_execz .LBB75_55
; %bb.52:
	v_add_u32_e32 v8, -1, v1
	v_add_u32_e32 v9, 0xc0, v38
	v_mov_b32_e32 v10, v38
	v_mov_b64_e32 v[2:3], 0
	s_mov_b64 s[6:7], 0
	v_mov_b64_e32 v[4:5], 0
.LBB75_53:                              ; =>This Inner Loop Header: Depth=1
	scratch_load_dwordx4 v[40:43], v10, off
	ds_read_b128 v[44:47], v9
	v_add_u32_e32 v8, 1, v8
	v_cmp_lt_u32_e32 vcc, 8, v8
	v_add_u32_e32 v9, 16, v9
	v_add_u32_e32 v10, 16, v10
	s_or_b64 s[6:7], vcc, s[6:7]
	s_waitcnt vmcnt(0) lgkmcnt(0)
	v_mul_f64 v[12:13], v[46:47], v[42:43]
	v_mul_f64 v[42:43], v[44:45], v[42:43]
	v_fma_f64 v[12:13], v[44:45], v[40:41], -v[12:13]
	v_fmac_f64_e32 v[42:43], v[46:47], v[40:41]
	v_add_f64 v[4:5], v[4:5], v[12:13]
	v_add_f64 v[2:3], v[2:3], v[42:43]
	s_andn2_b64 exec, exec, s[6:7]
	s_cbranch_execnz .LBB75_53
; %bb.54:
	s_or_b64 exec, exec, s[6:7]
	v_mov_b32_e32 v8, 0
	ds_read_b128 v[8:11], v8 offset:160
	s_waitcnt lgkmcnt(0)
	v_mul_f64 v[40:41], v[2:3], v[10:11]
	v_mul_f64 v[12:13], v[4:5], v[10:11]
	v_fma_f64 v[10:11], v[4:5], v[8:9], -v[40:41]
	v_fmac_f64_e32 v[12:13], v[2:3], v[8:9]
	scratch_store_dwordx4 off, v[10:13], off offset:160
.LBB75_55:
	s_or_b64 exec, exec, s[2:3]
	; wave barrier
	scratch_load_dwordx4 v[2:5], off, s18
	v_cmp_ne_u32_e32 vcc, 11, v1
	s_waitcnt vmcnt(0)
	ds_write_b128 v6, v[2:5]
	s_waitcnt lgkmcnt(0)
	; wave barrier
	s_and_saveexec_b64 s[2:3], vcc
	s_cbranch_execz .LBB75_59
; %bb.56:
	v_add_u32_e32 v6, 0xc0, v38
	v_mov_b32_e32 v8, v38
	v_mov_b64_e32 v[2:3], 0
	s_mov_b64 s[6:7], 0
	v_mov_b64_e32 v[4:5], 0
.LBB75_57:                              ; =>This Inner Loop Header: Depth=1
	scratch_load_dwordx4 v[10:13], v8, off
	ds_read_b128 v[38:41], v6
	v_add_u32_e32 v7, 1, v7
	v_cmp_lt_u32_e32 vcc, 9, v7
	v_add_u32_e32 v6, 16, v6
	v_add_u32_e32 v8, 16, v8
	s_or_b64 s[6:7], vcc, s[6:7]
	s_waitcnt vmcnt(0) lgkmcnt(0)
	v_mul_f64 v[42:43], v[40:41], v[12:13]
	v_mul_f64 v[12:13], v[38:39], v[12:13]
	v_fma_f64 v[38:39], v[38:39], v[10:11], -v[42:43]
	v_fmac_f64_e32 v[12:13], v[40:41], v[10:11]
	v_add_f64 v[4:5], v[4:5], v[38:39]
	v_add_f64 v[2:3], v[2:3], v[12:13]
	s_andn2_b64 exec, exec, s[6:7]
	s_cbranch_execnz .LBB75_57
; %bb.58:
	s_or_b64 exec, exec, s[6:7]
	v_mov_b32_e32 v6, 0
	ds_read_b128 v[6:9], v6 offset:176
	s_waitcnt lgkmcnt(0)
	v_mul_f64 v[12:13], v[2:3], v[8:9]
	v_mul_f64 v[10:11], v[4:5], v[8:9]
	v_fma_f64 v[8:9], v[4:5], v[6:7], -v[12:13]
	v_fmac_f64_e32 v[10:11], v[2:3], v[6:7]
	scratch_store_dwordx4 off, v[8:11], off offset:176
.LBB75_59:
	s_or_b64 exec, exec, s[2:3]
	s_mov_b64 s[6:7], -1
	; wave barrier
.LBB75_60:
	s_and_b64 vcc, exec, s[6:7]
	s_cbranch_vccz .LBB75_62
; %bb.61:
	s_lshl_b64 s[2:3], s[4:5], 2
	s_add_u32 s2, s10, s2
	s_addc_u32 s3, s11, s3
	v_mov_b32_e32 v2, 0
	global_load_dword v2, v2, s[2:3]
	s_waitcnt vmcnt(0)
	v_cmp_ne_u32_e32 vcc, 0, v2
	s_cbranch_vccz .LBB75_63
.LBB75_62:
	s_endpgm
.LBB75_63:
	v_mov_b32_e32 v2, 0xc0
	v_lshl_add_u32 v6, v1, 4, v2
	v_cmp_eq_u32_e32 vcc, 11, v1
	s_and_saveexec_b64 s[2:3], vcc
	s_cbranch_execz .LBB75_65
; %bb.64:
	scratch_load_dwordx4 v[2:5], off, s19
	v_mov_b32_e32 v8, 0
	v_mov_b32_e32 v9, v8
	;; [unrolled: 1-line block ×4, first 2 shown]
	scratch_store_dwordx4 off, v[8:11], off offset:160
	s_waitcnt vmcnt(1)
	ds_write_b128 v6, v[2:5]
.LBB75_65:
	s_or_b64 exec, exec, s[2:3]
	s_waitcnt lgkmcnt(0)
	; wave barrier
	scratch_load_dwordx4 v[8:11], off, off offset:176
	scratch_load_dwordx4 v[38:41], off, off offset:160
	v_mov_b32_e32 v2, 0
	ds_read_b128 v[42:45], v2 offset:368
	v_cmp_lt_u32_e32 vcc, 9, v1
	s_waitcnt vmcnt(1) lgkmcnt(0)
	v_mul_f64 v[4:5], v[42:43], v[10:11]
	v_mul_f64 v[10:11], v[44:45], v[10:11]
	v_fmac_f64_e32 v[4:5], v[44:45], v[8:9]
	v_fma_f64 v[8:9], v[42:43], v[8:9], -v[10:11]
	v_add_f64 v[4:5], v[4:5], 0
	v_add_f64 v[8:9], v[8:9], 0
	s_waitcnt vmcnt(0)
	v_add_f64 v[8:9], v[38:39], -v[8:9]
	v_add_f64 v[10:11], v[40:41], -v[4:5]
	scratch_store_dwordx4 off, v[8:11], off offset:160
	s_and_saveexec_b64 s[2:3], vcc
	s_cbranch_execz .LBB75_67
; %bb.66:
	scratch_load_dwordx4 v[8:11], off, s20
	v_mov_b32_e32 v3, v2
	v_mov_b32_e32 v4, v2
	;; [unrolled: 1-line block ×3, first 2 shown]
	scratch_store_dwordx4 off, v[2:5], off offset:144
	s_waitcnt vmcnt(1)
	ds_write_b128 v6, v[8:11]
.LBB75_67:
	s_or_b64 exec, exec, s[2:3]
	s_waitcnt lgkmcnt(0)
	; wave barrier
	scratch_load_dwordx4 v[8:11], off, off offset:160
	scratch_load_dwordx4 v[38:41], off, off offset:176
	;; [unrolled: 1-line block ×3, first 2 shown]
	ds_read_b128 v[46:49], v2 offset:352
	ds_read_b128 v[2:5], v2 offset:368
	v_cmp_lt_u32_e32 vcc, 8, v1
	s_waitcnt vmcnt(2) lgkmcnt(1)
	v_mul_f64 v[12:13], v[46:47], v[10:11]
	s_waitcnt vmcnt(1) lgkmcnt(0)
	v_mul_f64 v[50:51], v[2:3], v[40:41]
	v_mul_f64 v[10:11], v[48:49], v[10:11]
	;; [unrolled: 1-line block ×3, first 2 shown]
	v_fmac_f64_e32 v[12:13], v[48:49], v[8:9]
	v_fmac_f64_e32 v[50:51], v[4:5], v[38:39]
	v_fma_f64 v[4:5], v[46:47], v[8:9], -v[10:11]
	v_fma_f64 v[2:3], v[2:3], v[38:39], -v[40:41]
	v_add_f64 v[8:9], v[12:13], 0
	v_add_f64 v[4:5], v[4:5], 0
	;; [unrolled: 1-line block ×4, first 2 shown]
	s_waitcnt vmcnt(0)
	v_add_f64 v[2:3], v[42:43], -v[2:3]
	v_add_f64 v[4:5], v[44:45], -v[8:9]
	scratch_store_dwordx4 off, v[2:5], off offset:144
	s_and_saveexec_b64 s[2:3], vcc
	s_cbranch_execz .LBB75_69
; %bb.68:
	scratch_load_dwordx4 v[2:5], off, s21
	v_mov_b32_e32 v8, 0
	v_mov_b32_e32 v9, v8
	;; [unrolled: 1-line block ×4, first 2 shown]
	scratch_store_dwordx4 off, v[8:11], off offset:128
	s_waitcnt vmcnt(1)
	ds_write_b128 v6, v[2:5]
.LBB75_69:
	s_or_b64 exec, exec, s[2:3]
	s_waitcnt lgkmcnt(0)
	; wave barrier
	scratch_load_dwordx4 v[8:11], off, off offset:144
	scratch_load_dwordx4 v[38:41], off, off offset:160
	;; [unrolled: 1-line block ×4, first 2 shown]
	v_mov_b32_e32 v2, 0
	ds_read_b128 v[50:53], v2 offset:336
	ds_read_b128 v[54:57], v2 offset:352
	;; [unrolled: 1-line block ×3, first 2 shown]
	v_cmp_lt_u32_e32 vcc, 7, v1
	s_waitcnt vmcnt(3) lgkmcnt(2)
	v_mul_f64 v[4:5], v[50:51], v[10:11]
	v_mul_f64 v[10:11], v[52:53], v[10:11]
	s_waitcnt vmcnt(2) lgkmcnt(1)
	v_mul_f64 v[12:13], v[54:55], v[40:41]
	v_mul_f64 v[40:41], v[56:57], v[40:41]
	v_fmac_f64_e32 v[4:5], v[52:53], v[8:9]
	v_fma_f64 v[8:9], v[50:51], v[8:9], -v[10:11]
	s_waitcnt vmcnt(1) lgkmcnt(0)
	v_mul_f64 v[62:63], v[58:59], v[44:45]
	v_mul_f64 v[44:45], v[60:61], v[44:45]
	v_fmac_f64_e32 v[12:13], v[56:57], v[38:39]
	v_fma_f64 v[10:11], v[54:55], v[38:39], -v[40:41]
	v_add_f64 v[4:5], v[4:5], 0
	v_add_f64 v[8:9], v[8:9], 0
	v_fmac_f64_e32 v[62:63], v[60:61], v[42:43]
	v_fma_f64 v[38:39], v[58:59], v[42:43], -v[44:45]
	v_add_f64 v[4:5], v[4:5], v[12:13]
	v_add_f64 v[8:9], v[8:9], v[10:11]
	;; [unrolled: 1-line block ×4, first 2 shown]
	s_waitcnt vmcnt(0)
	v_add_f64 v[8:9], v[46:47], -v[8:9]
	v_add_f64 v[10:11], v[48:49], -v[4:5]
	scratch_store_dwordx4 off, v[8:11], off offset:128
	s_and_saveexec_b64 s[2:3], vcc
	s_cbranch_execz .LBB75_71
; %bb.70:
	scratch_load_dwordx4 v[8:11], off, s22
	v_mov_b32_e32 v3, v2
	v_mov_b32_e32 v4, v2
	;; [unrolled: 1-line block ×3, first 2 shown]
	scratch_store_dwordx4 off, v[2:5], off offset:112
	s_waitcnt vmcnt(1)
	ds_write_b128 v6, v[8:11]
.LBB75_71:
	s_or_b64 exec, exec, s[2:3]
	s_waitcnt lgkmcnt(0)
	; wave barrier
	scratch_load_dwordx4 v[8:11], off, off offset:128
	scratch_load_dwordx4 v[38:41], off, off offset:144
	;; [unrolled: 1-line block ×5, first 2 shown]
	ds_read_b128 v[54:57], v2 offset:320
	ds_read_b128 v[58:61], v2 offset:336
	;; [unrolled: 1-line block ×4, first 2 shown]
	v_cmp_lt_u32_e32 vcc, 6, v1
	s_waitcnt vmcnt(4) lgkmcnt(3)
	v_mul_f64 v[12:13], v[54:55], v[10:11]
	v_mul_f64 v[10:11], v[56:57], v[10:11]
	s_waitcnt vmcnt(3) lgkmcnt(2)
	v_mul_f64 v[66:67], v[58:59], v[40:41]
	s_waitcnt vmcnt(1) lgkmcnt(0)
	v_mul_f64 v[70:71], v[2:3], v[48:49]
	v_mul_f64 v[40:41], v[60:61], v[40:41]
	;; [unrolled: 1-line block ×3, first 2 shown]
	v_fmac_f64_e32 v[12:13], v[56:57], v[8:9]
	v_fmac_f64_e32 v[70:71], v[4:5], v[46:47]
	v_fma_f64 v[4:5], v[54:55], v[8:9], -v[10:11]
	v_mul_f64 v[68:69], v[62:63], v[44:45]
	v_mul_f64 v[44:45], v[64:65], v[44:45]
	v_fmac_f64_e32 v[66:67], v[60:61], v[38:39]
	v_fma_f64 v[8:9], v[58:59], v[38:39], -v[40:41]
	v_add_f64 v[12:13], v[12:13], 0
	v_add_f64 v[4:5], v[4:5], 0
	v_fmac_f64_e32 v[68:69], v[64:65], v[42:43]
	v_fma_f64 v[10:11], v[62:63], v[42:43], -v[44:45]
	v_add_f64 v[12:13], v[12:13], v[66:67]
	v_add_f64 v[4:5], v[4:5], v[8:9]
	v_fma_f64 v[2:3], v[2:3], v[46:47], -v[48:49]
	v_add_f64 v[8:9], v[12:13], v[68:69]
	v_add_f64 v[4:5], v[4:5], v[10:11]
	;; [unrolled: 1-line block ×4, first 2 shown]
	s_waitcnt vmcnt(0)
	v_add_f64 v[2:3], v[50:51], -v[2:3]
	v_add_f64 v[4:5], v[52:53], -v[8:9]
	scratch_store_dwordx4 off, v[2:5], off offset:112
	s_and_saveexec_b64 s[2:3], vcc
	s_cbranch_execz .LBB75_73
; %bb.72:
	scratch_load_dwordx4 v[2:5], off, s23
	v_mov_b32_e32 v8, 0
	v_mov_b32_e32 v9, v8
	;; [unrolled: 1-line block ×4, first 2 shown]
	scratch_store_dwordx4 off, v[8:11], off offset:96
	s_waitcnt vmcnt(1)
	ds_write_b128 v6, v[2:5]
.LBB75_73:
	s_or_b64 exec, exec, s[2:3]
	s_waitcnt lgkmcnt(0)
	; wave barrier
	scratch_load_dwordx4 v[8:11], off, off offset:112
	scratch_load_dwordx4 v[38:41], off, off offset:128
	;; [unrolled: 1-line block ×6, first 2 shown]
	v_mov_b32_e32 v2, 0
	ds_read_b128 v[58:61], v2 offset:304
	ds_read_b128 v[62:65], v2 offset:320
	;; [unrolled: 1-line block ×5, first 2 shown]
	v_cmp_lt_u32_e32 vcc, 5, v1
	s_waitcnt vmcnt(5) lgkmcnt(4)
	v_mul_f64 v[4:5], v[58:59], v[10:11]
	v_mul_f64 v[10:11], v[60:61], v[10:11]
	s_waitcnt vmcnt(4) lgkmcnt(3)
	v_mul_f64 v[12:13], v[62:63], v[40:41]
	v_mul_f64 v[40:41], v[64:65], v[40:41]
	v_fmac_f64_e32 v[4:5], v[60:61], v[8:9]
	v_fma_f64 v[8:9], v[58:59], v[8:9], -v[10:11]
	s_waitcnt vmcnt(3) lgkmcnt(2)
	v_mul_f64 v[78:79], v[66:67], v[44:45]
	v_mul_f64 v[44:45], v[68:69], v[44:45]
	v_fmac_f64_e32 v[12:13], v[64:65], v[38:39]
	v_fma_f64 v[10:11], v[62:63], v[38:39], -v[40:41]
	v_add_f64 v[4:5], v[4:5], 0
	v_add_f64 v[8:9], v[8:9], 0
	s_waitcnt vmcnt(2) lgkmcnt(1)
	v_mul_f64 v[80:81], v[70:71], v[48:49]
	v_mul_f64 v[48:49], v[72:73], v[48:49]
	v_fmac_f64_e32 v[78:79], v[68:69], v[42:43]
	v_fma_f64 v[38:39], v[66:67], v[42:43], -v[44:45]
	v_add_f64 v[4:5], v[4:5], v[12:13]
	v_add_f64 v[8:9], v[8:9], v[10:11]
	;; [unrolled: 7-line block ×3, first 2 shown]
	v_fmac_f64_e32 v[82:83], v[76:77], v[50:51]
	v_fma_f64 v[42:43], v[74:75], v[50:51], -v[52:53]
	v_add_f64 v[4:5], v[4:5], v[80:81]
	v_add_f64 v[8:9], v[8:9], v[40:41]
	;; [unrolled: 1-line block ×4, first 2 shown]
	s_waitcnt vmcnt(0)
	v_add_f64 v[8:9], v[54:55], -v[8:9]
	v_add_f64 v[10:11], v[56:57], -v[4:5]
	scratch_store_dwordx4 off, v[8:11], off offset:96
	s_and_saveexec_b64 s[2:3], vcc
	s_cbranch_execz .LBB75_75
; %bb.74:
	scratch_load_dwordx4 v[8:11], off, s24
	v_mov_b32_e32 v3, v2
	v_mov_b32_e32 v4, v2
	;; [unrolled: 1-line block ×3, first 2 shown]
	scratch_store_dwordx4 off, v[2:5], off offset:80
	s_waitcnt vmcnt(1)
	ds_write_b128 v6, v[8:11]
.LBB75_75:
	s_or_b64 exec, exec, s[2:3]
	s_waitcnt lgkmcnt(0)
	; wave barrier
	scratch_load_dwordx4 v[8:11], off, off offset:96
	scratch_load_dwordx4 v[38:41], off, off offset:112
	;; [unrolled: 1-line block ×7, first 2 shown]
	ds_read_b128 v[62:65], v2 offset:288
	ds_read_b128 v[66:69], v2 offset:304
	;; [unrolled: 1-line block ×6, first 2 shown]
	v_cmp_lt_u32_e32 vcc, 4, v1
	s_waitcnt vmcnt(6) lgkmcnt(5)
	v_mul_f64 v[12:13], v[62:63], v[10:11]
	v_mul_f64 v[10:11], v[64:65], v[10:11]
	s_waitcnt vmcnt(5) lgkmcnt(4)
	v_mul_f64 v[82:83], v[66:67], v[40:41]
	v_mul_f64 v[40:41], v[68:69], v[40:41]
	v_fmac_f64_e32 v[12:13], v[64:65], v[8:9]
	s_waitcnt vmcnt(1) lgkmcnt(0)
	v_mul_f64 v[90:91], v[2:3], v[56:57]
	v_mul_f64 v[56:57], v[4:5], v[56:57]
	v_fmac_f64_e32 v[90:91], v[4:5], v[54:55]
	v_fma_f64 v[4:5], v[62:63], v[8:9], -v[10:11]
	v_mul_f64 v[84:85], v[70:71], v[44:45]
	v_mul_f64 v[44:45], v[72:73], v[44:45]
	v_fmac_f64_e32 v[82:83], v[68:69], v[38:39]
	v_fma_f64 v[8:9], v[66:67], v[38:39], -v[40:41]
	v_add_f64 v[12:13], v[12:13], 0
	v_add_f64 v[4:5], v[4:5], 0
	v_mul_f64 v[86:87], v[74:75], v[48:49]
	v_mul_f64 v[48:49], v[76:77], v[48:49]
	v_fmac_f64_e32 v[84:85], v[72:73], v[42:43]
	v_fma_f64 v[10:11], v[70:71], v[42:43], -v[44:45]
	v_add_f64 v[12:13], v[12:13], v[82:83]
	v_add_f64 v[4:5], v[4:5], v[8:9]
	;; [unrolled: 6-line block ×3, first 2 shown]
	v_fmac_f64_e32 v[88:89], v[80:81], v[50:51]
	v_fma_f64 v[40:41], v[78:79], v[50:51], -v[52:53]
	v_add_f64 v[8:9], v[8:9], v[86:87]
	v_add_f64 v[4:5], v[4:5], v[38:39]
	v_fma_f64 v[2:3], v[2:3], v[54:55], -v[56:57]
	v_add_f64 v[8:9], v[8:9], v[88:89]
	v_add_f64 v[4:5], v[4:5], v[40:41]
	;; [unrolled: 1-line block ×4, first 2 shown]
	s_waitcnt vmcnt(0)
	v_add_f64 v[2:3], v[58:59], -v[2:3]
	v_add_f64 v[4:5], v[60:61], -v[8:9]
	scratch_store_dwordx4 off, v[2:5], off offset:80
	s_and_saveexec_b64 s[2:3], vcc
	s_cbranch_execz .LBB75_77
; %bb.76:
	scratch_load_dwordx4 v[2:5], off, s25
	v_mov_b32_e32 v8, 0
	v_mov_b32_e32 v9, v8
	;; [unrolled: 1-line block ×4, first 2 shown]
	scratch_store_dwordx4 off, v[8:11], off offset:64
	s_waitcnt vmcnt(1)
	ds_write_b128 v6, v[2:5]
.LBB75_77:
	s_or_b64 exec, exec, s[2:3]
	s_waitcnt lgkmcnt(0)
	; wave barrier
	scratch_load_dwordx4 v[8:11], off, off offset:80
	scratch_load_dwordx4 v[38:41], off, off offset:96
	;; [unrolled: 1-line block ×8, first 2 shown]
	v_mov_b32_e32 v2, 0
	ds_read_b128 v[66:69], v2 offset:272
	ds_read_b128 v[70:73], v2 offset:288
	;; [unrolled: 1-line block ×7, first 2 shown]
	v_cmp_lt_u32_e32 vcc, 3, v1
	s_waitcnt vmcnt(7) lgkmcnt(6)
	v_mul_f64 v[4:5], v[66:67], v[10:11]
	v_mul_f64 v[10:11], v[68:69], v[10:11]
	s_waitcnt vmcnt(6) lgkmcnt(5)
	v_mul_f64 v[12:13], v[70:71], v[40:41]
	v_mul_f64 v[40:41], v[72:73], v[40:41]
	v_fmac_f64_e32 v[4:5], v[68:69], v[8:9]
	v_fma_f64 v[8:9], v[66:67], v[8:9], -v[10:11]
	s_waitcnt vmcnt(5) lgkmcnt(4)
	v_mul_f64 v[94:95], v[74:75], v[44:45]
	v_mul_f64 v[44:45], v[76:77], v[44:45]
	v_fmac_f64_e32 v[12:13], v[72:73], v[38:39]
	v_fma_f64 v[10:11], v[70:71], v[38:39], -v[40:41]
	v_add_f64 v[4:5], v[4:5], 0
	v_add_f64 v[8:9], v[8:9], 0
	s_waitcnt vmcnt(4) lgkmcnt(3)
	v_mul_f64 v[96:97], v[78:79], v[48:49]
	v_mul_f64 v[48:49], v[80:81], v[48:49]
	v_fmac_f64_e32 v[94:95], v[76:77], v[42:43]
	v_fma_f64 v[38:39], v[74:75], v[42:43], -v[44:45]
	v_add_f64 v[4:5], v[4:5], v[12:13]
	v_add_f64 v[8:9], v[8:9], v[10:11]
	;; [unrolled: 7-line block ×5, first 2 shown]
	v_fmac_f64_e32 v[102:103], v[92:93], v[58:59]
	v_fma_f64 v[46:47], v[90:91], v[58:59], -v[60:61]
	v_add_f64 v[4:5], v[4:5], v[100:101]
	v_add_f64 v[8:9], v[8:9], v[44:45]
	v_add_f64 v[4:5], v[4:5], v[102:103]
	v_add_f64 v[8:9], v[8:9], v[46:47]
	s_waitcnt vmcnt(0)
	v_add_f64 v[8:9], v[62:63], -v[8:9]
	v_add_f64 v[10:11], v[64:65], -v[4:5]
	scratch_store_dwordx4 off, v[8:11], off offset:64
	s_and_saveexec_b64 s[2:3], vcc
	s_cbranch_execz .LBB75_79
; %bb.78:
	scratch_load_dwordx4 v[8:11], off, s26
	v_mov_b32_e32 v3, v2
	v_mov_b32_e32 v4, v2
	;; [unrolled: 1-line block ×3, first 2 shown]
	scratch_store_dwordx4 off, v[2:5], off offset:48
	s_waitcnt vmcnt(1)
	ds_write_b128 v6, v[8:11]
.LBB75_79:
	s_or_b64 exec, exec, s[2:3]
	s_waitcnt lgkmcnt(0)
	; wave barrier
	scratch_load_dwordx4 v[8:11], off, off offset:64
	scratch_load_dwordx4 v[38:41], off, off offset:80
	;; [unrolled: 1-line block ×9, first 2 shown]
	ds_read_b128 v[70:73], v2 offset:256
	ds_read_b128 v[74:77], v2 offset:272
	;; [unrolled: 1-line block ×8, first 2 shown]
	v_cmp_lt_u32_e32 vcc, 2, v1
	s_waitcnt vmcnt(8) lgkmcnt(7)
	v_mul_f64 v[12:13], v[70:71], v[10:11]
	v_mul_f64 v[10:11], v[72:73], v[10:11]
	s_waitcnt vmcnt(7) lgkmcnt(6)
	v_mul_f64 v[98:99], v[74:75], v[40:41]
	v_mul_f64 v[40:41], v[76:77], v[40:41]
	v_fmac_f64_e32 v[12:13], v[72:73], v[8:9]
	s_waitcnt vmcnt(6) lgkmcnt(5)
	v_mul_f64 v[100:101], v[78:79], v[44:45]
	v_mul_f64 v[44:45], v[80:81], v[44:45]
	s_waitcnt vmcnt(1) lgkmcnt(0)
	v_mul_f64 v[110:111], v[2:3], v[64:65]
	v_mul_f64 v[64:65], v[4:5], v[64:65]
	v_fmac_f64_e32 v[110:111], v[4:5], v[62:63]
	v_fma_f64 v[4:5], v[70:71], v[8:9], -v[10:11]
	v_fmac_f64_e32 v[98:99], v[76:77], v[38:39]
	v_fma_f64 v[8:9], v[74:75], v[38:39], -v[40:41]
	v_add_f64 v[12:13], v[12:13], 0
	v_add_f64 v[4:5], v[4:5], 0
	v_mul_f64 v[102:103], v[82:83], v[48:49]
	v_mul_f64 v[48:49], v[84:85], v[48:49]
	v_fmac_f64_e32 v[100:101], v[80:81], v[42:43]
	v_fma_f64 v[10:11], v[78:79], v[42:43], -v[44:45]
	v_add_f64 v[12:13], v[12:13], v[98:99]
	v_add_f64 v[4:5], v[4:5], v[8:9]
	v_mul_f64 v[104:105], v[86:87], v[52:53]
	v_mul_f64 v[52:53], v[88:89], v[52:53]
	;; [unrolled: 6-line block ×4, first 2 shown]
	v_fmac_f64_e32 v[106:107], v[92:93], v[54:55]
	v_fma_f64 v[42:43], v[90:91], v[54:55], -v[56:57]
	v_add_f64 v[8:9], v[8:9], v[104:105]
	v_add_f64 v[4:5], v[4:5], v[40:41]
	v_fmac_f64_e32 v[108:109], v[96:97], v[58:59]
	v_fma_f64 v[44:45], v[94:95], v[58:59], -v[60:61]
	v_add_f64 v[8:9], v[8:9], v[106:107]
	v_add_f64 v[4:5], v[4:5], v[42:43]
	v_fma_f64 v[2:3], v[2:3], v[62:63], -v[64:65]
	v_add_f64 v[8:9], v[8:9], v[108:109]
	v_add_f64 v[4:5], v[4:5], v[44:45]
	;; [unrolled: 1-line block ×4, first 2 shown]
	s_waitcnt vmcnt(0)
	v_add_f64 v[2:3], v[66:67], -v[2:3]
	v_add_f64 v[4:5], v[68:69], -v[8:9]
	scratch_store_dwordx4 off, v[2:5], off offset:48
	s_and_saveexec_b64 s[2:3], vcc
	s_cbranch_execz .LBB75_81
; %bb.80:
	scratch_load_dwordx4 v[2:5], off, s27
	v_mov_b32_e32 v8, 0
	v_mov_b32_e32 v9, v8
	v_mov_b32_e32 v10, v8
	v_mov_b32_e32 v11, v8
	scratch_store_dwordx4 off, v[8:11], off offset:32
	s_waitcnt vmcnt(1)
	ds_write_b128 v6, v[2:5]
.LBB75_81:
	s_or_b64 exec, exec, s[2:3]
	s_waitcnt lgkmcnt(0)
	; wave barrier
	scratch_load_dwordx4 v[8:11], off, off offset:48
	scratch_load_dwordx4 v[38:41], off, off offset:64
	;; [unrolled: 1-line block ×10, first 2 shown]
	v_mov_b32_e32 v2, 0
	ds_read_b128 v[74:77], v2 offset:240
	ds_read_b128 v[78:81], v2 offset:256
	;; [unrolled: 1-line block ×9, first 2 shown]
	v_cmp_lt_u32_e32 vcc, 1, v1
	s_waitcnt vmcnt(9) lgkmcnt(8)
	v_mul_f64 v[4:5], v[74:75], v[10:11]
	v_mul_f64 v[10:11], v[76:77], v[10:11]
	s_waitcnt vmcnt(8) lgkmcnt(7)
	v_mul_f64 v[12:13], v[78:79], v[40:41]
	v_mul_f64 v[40:41], v[80:81], v[40:41]
	v_fmac_f64_e32 v[4:5], v[76:77], v[8:9]
	v_fma_f64 v[8:9], v[74:75], v[8:9], -v[10:11]
	s_waitcnt vmcnt(7) lgkmcnt(6)
	v_mul_f64 v[110:111], v[82:83], v[44:45]
	v_mul_f64 v[44:45], v[84:85], v[44:45]
	v_fmac_f64_e32 v[12:13], v[80:81], v[38:39]
	v_fma_f64 v[10:11], v[78:79], v[38:39], -v[40:41]
	v_add_f64 v[4:5], v[4:5], 0
	v_add_f64 v[8:9], v[8:9], 0
	s_waitcnt vmcnt(6) lgkmcnt(5)
	v_mul_f64 v[112:113], v[86:87], v[48:49]
	v_mul_f64 v[48:49], v[88:89], v[48:49]
	v_fmac_f64_e32 v[110:111], v[84:85], v[42:43]
	v_fma_f64 v[38:39], v[82:83], v[42:43], -v[44:45]
	v_add_f64 v[4:5], v[4:5], v[12:13]
	v_add_f64 v[8:9], v[8:9], v[10:11]
	;; [unrolled: 7-line block ×7, first 2 shown]
	v_fmac_f64_e32 v[122:123], v[108:109], v[66:67]
	v_fma_f64 v[50:51], v[106:107], v[66:67], -v[68:69]
	v_add_f64 v[4:5], v[4:5], v[120:121]
	v_add_f64 v[8:9], v[8:9], v[48:49]
	;; [unrolled: 1-line block ×4, first 2 shown]
	s_waitcnt vmcnt(0)
	v_add_f64 v[8:9], v[70:71], -v[8:9]
	v_add_f64 v[10:11], v[72:73], -v[4:5]
	scratch_store_dwordx4 off, v[8:11], off offset:32
	s_and_saveexec_b64 s[2:3], vcc
	s_cbranch_execz .LBB75_83
; %bb.82:
	scratch_load_dwordx4 v[8:11], off, s28
	v_mov_b32_e32 v3, v2
	v_mov_b32_e32 v4, v2
	;; [unrolled: 1-line block ×3, first 2 shown]
	scratch_store_dwordx4 off, v[2:5], off offset:16
	s_waitcnt vmcnt(1)
	ds_write_b128 v6, v[8:11]
.LBB75_83:
	s_or_b64 exec, exec, s[2:3]
	s_waitcnt lgkmcnt(0)
	; wave barrier
	ds_read_b128 v[8:11], v2 offset:224
	ds_read_b128 v[38:41], v2 offset:240
	;; [unrolled: 1-line block ×4, first 2 shown]
	scratch_load_dwordx4 v[50:53], off, off offset:32
	scratch_load_dwordx4 v[54:57], off, off offset:48
	;; [unrolled: 1-line block ×10, first 2 shown]
	ds_read_b128 v[66:69], v2 offset:288
	ds_read_b128 v[74:77], v2 offset:304
	;; [unrolled: 1-line block ×5, first 2 shown]
	v_cmp_ne_u32_e32 vcc, 0, v1
	s_waitcnt vmcnt(9) lgkmcnt(8)
	v_mul_f64 v[4:5], v[8:9], v[52:53]
	v_fmac_f64_e32 v[4:5], v[10:11], v[50:51]
	s_waitcnt vmcnt(8) lgkmcnt(7)
	v_mul_f64 v[12:13], v[38:39], v[56:57]
	v_add_f64 v[4:5], v[4:5], 0
	v_fmac_f64_e32 v[12:13], v[40:41], v[54:55]
	v_add_f64 v[4:5], v[4:5], v[12:13]
	s_waitcnt vmcnt(7) lgkmcnt(6)
	v_mul_f64 v[12:13], v[42:43], v[60:61]
	v_fmac_f64_e32 v[12:13], v[44:45], v[58:59]
	v_add_f64 v[4:5], v[4:5], v[12:13]
	s_waitcnt vmcnt(6) lgkmcnt(5)
	v_mul_f64 v[12:13], v[46:47], v[64:65]
	;; [unrolled: 4-line block ×3, first 2 shown]
	v_mul_f64 v[10:11], v[10:11], v[52:53]
	v_fmac_f64_e32 v[12:13], v[68:69], v[70:71]
	v_fma_f64 v[8:9], v[8:9], v[50:51], -v[10:11]
	v_mul_f64 v[10:11], v[40:41], v[56:57]
	v_add_f64 v[4:5], v[4:5], v[12:13]
	s_waitcnt vmcnt(4) lgkmcnt(3)
	v_mul_f64 v[12:13], v[74:75], v[80:81]
	v_add_f64 v[8:9], v[8:9], 0
	v_fma_f64 v[10:11], v[38:39], v[54:55], -v[10:11]
	v_fmac_f64_e32 v[12:13], v[76:77], v[78:79]
	v_add_f64 v[8:9], v[8:9], v[10:11]
	v_mul_f64 v[10:11], v[44:45], v[60:61]
	v_add_f64 v[4:5], v[4:5], v[12:13]
	s_waitcnt vmcnt(3) lgkmcnt(2)
	v_mul_f64 v[12:13], v[82:83], v[88:89]
	v_fma_f64 v[10:11], v[42:43], v[58:59], -v[10:11]
	v_fmac_f64_e32 v[12:13], v[84:85], v[86:87]
	v_add_f64 v[8:9], v[8:9], v[10:11]
	v_mul_f64 v[10:11], v[48:49], v[64:65]
	v_add_f64 v[4:5], v[4:5], v[12:13]
	s_waitcnt vmcnt(2) lgkmcnt(1)
	v_mul_f64 v[12:13], v[90:91], v[96:97]
	;; [unrolled: 7-line block ×3, first 2 shown]
	v_fma_f64 v[10:11], v[66:67], v[70:71], -v[10:11]
	v_fmac_f64_e32 v[12:13], v[100:101], v[102:103]
	v_add_f64 v[8:9], v[8:9], v[10:11]
	v_mul_f64 v[10:11], v[76:77], v[80:81]
	v_add_f64 v[12:13], v[4:5], v[12:13]
	ds_read_b128 v[2:5], v2 offset:368
	v_fma_f64 v[10:11], v[74:75], v[78:79], -v[10:11]
	v_add_f64 v[8:9], v[8:9], v[10:11]
	v_mul_f64 v[10:11], v[84:85], v[88:89]
	v_fma_f64 v[10:11], v[82:83], v[86:87], -v[10:11]
	v_add_f64 v[8:9], v[8:9], v[10:11]
	v_mul_f64 v[10:11], v[92:93], v[96:97]
	v_fma_f64 v[10:11], v[90:91], v[94:95], -v[10:11]
	s_waitcnt vmcnt(0) lgkmcnt(0)
	v_mul_f64 v[110:111], v[2:3], v[108:109]
	v_add_f64 v[8:9], v[8:9], v[10:11]
	v_mul_f64 v[10:11], v[100:101], v[104:105]
	v_fmac_f64_e32 v[110:111], v[4:5], v[106:107]
	v_fma_f64 v[10:11], v[98:99], v[102:103], -v[10:11]
	v_mul_f64 v[4:5], v[4:5], v[108:109]
	v_add_f64 v[8:9], v[8:9], v[10:11]
	v_fma_f64 v[2:3], v[2:3], v[106:107], -v[4:5]
	v_add_f64 v[8:9], v[8:9], v[2:3]
	scratch_load_dwordx4 v[2:5], off, off offset:16
	v_add_f64 v[12:13], v[12:13], v[110:111]
	s_waitcnt vmcnt(0)
	v_add_f64 v[2:3], v[2:3], -v[8:9]
	v_add_f64 v[4:5], v[4:5], -v[12:13]
	scratch_store_dwordx4 off, v[2:5], off offset:16
	s_and_saveexec_b64 s[2:3], vcc
	s_cbranch_execz .LBB75_85
; %bb.84:
	scratch_load_dwordx4 v[2:5], off, off
	v_mov_b32_e32 v8, 0
	v_mov_b32_e32 v9, v8
	;; [unrolled: 1-line block ×4, first 2 shown]
	scratch_store_dwordx4 off, v[8:11], off
	s_waitcnt vmcnt(1)
	ds_write_b128 v6, v[2:5]
.LBB75_85:
	s_or_b64 exec, exec, s[2:3]
	v_mov_b32_e32 v4, 0
	s_waitcnt lgkmcnt(0)
	; wave barrier
	ds_read_b128 v[6:9], v4 offset:208
	ds_read_b128 v[10:13], v4 offset:224
	;; [unrolled: 1-line block ×4, first 2 shown]
	scratch_load_dwordx4 v[46:49], off, off offset:16
	scratch_load_dwordx4 v[50:53], off, off offset:32
	;; [unrolled: 1-line block ×7, first 2 shown]
	s_and_b64 vcc, exec, s[14:15]
	scratch_load_dwordx4 v[66:69], off, off offset:80
	scratch_load_dwordx4 v[74:77], off, off offset:96
	s_waitcnt vmcnt(8) lgkmcnt(3)
	v_mul_f64 v[2:3], v[6:7], v[48:49]
	v_fmac_f64_e32 v[2:3], v[8:9], v[46:47]
	s_waitcnt vmcnt(7) lgkmcnt(2)
	v_mul_f64 v[54:55], v[10:11], v[52:53]
	v_add_f64 v[2:3], v[2:3], 0
	v_fmac_f64_e32 v[54:55], v[12:13], v[50:51]
	v_add_f64 v[2:3], v[2:3], v[54:55]
	scratch_load_dwordx4 v[54:57], off, off offset:48
	v_mul_f64 v[8:9], v[8:9], v[48:49]
	v_fma_f64 v[6:7], v[6:7], v[46:47], -v[8:9]
	v_mul_f64 v[8:9], v[12:13], v[52:53]
	v_add_f64 v[6:7], v[6:7], 0
	v_fma_f64 v[8:9], v[10:11], v[50:51], -v[8:9]
	v_add_f64 v[6:7], v[6:7], v[8:9]
	s_waitcnt vmcnt(0) lgkmcnt(1)
	v_mul_f64 v[58:59], v[38:39], v[56:57]
	v_fmac_f64_e32 v[58:59], v[40:41], v[54:55]
	v_add_f64 v[2:3], v[2:3], v[58:59]
	scratch_load_dwordx4 v[58:61], off, off offset:64
	v_mul_f64 v[8:9], v[40:41], v[56:57]
	v_fma_f64 v[8:9], v[38:39], v[54:55], -v[8:9]
	v_add_f64 v[6:7], v[6:7], v[8:9]
	s_waitcnt vmcnt(0) lgkmcnt(0)
	v_mul_f64 v[62:63], v[42:43], v[60:61]
	v_fmac_f64_e32 v[62:63], v[44:45], v[58:59]
	v_add_f64 v[2:3], v[2:3], v[62:63]
	ds_read_b128 v[62:65], v4 offset:272
	v_mul_f64 v[8:9], v[44:45], v[60:61]
	v_fma_f64 v[8:9], v[42:43], v[58:59], -v[8:9]
	v_add_f64 v[6:7], v[6:7], v[8:9]
	s_waitcnt lgkmcnt(0)
	v_mul_f64 v[70:71], v[62:63], v[68:69]
	v_fmac_f64_e32 v[70:71], v[64:65], v[66:67]
	v_add_f64 v[2:3], v[2:3], v[70:71]
	ds_read_b128 v[70:73], v4 offset:288
	v_mul_f64 v[8:9], v[64:65], v[68:69]
	v_fma_f64 v[8:9], v[62:63], v[66:67], -v[8:9]
	v_add_f64 v[6:7], v[6:7], v[8:9]
	s_waitcnt lgkmcnt(0)
	;; [unrolled: 8-line block ×7, first 2 shown]
	v_mul_f64 v[8:9], v[112:113], v[116:117]
	v_fma_f64 v[8:9], v[110:111], v[114:115], -v[8:9]
	v_add_f64 v[10:11], v[6:7], v[8:9]
	scratch_load_dwordx4 v[6:9], off, off
	v_mul_f64 v[118:119], v[110:111], v[116:117]
	v_fmac_f64_e32 v[118:119], v[112:113], v[114:115]
	v_add_f64 v[2:3], v[2:3], v[118:119]
	s_waitcnt vmcnt(0)
	v_add_f64 v[6:7], v[6:7], -v[10:11]
	v_add_f64 v[8:9], v[8:9], -v[2:3]
	scratch_store_dwordx4 off, v[6:9], off
	s_cbranch_vccz .LBB75_108
; %bb.86:
	global_load_dword v2, v4, s[12:13] offset:40
	s_load_dwordx2 s[2:3], s[0:1], 0x4
	v_bfe_u32 v3, v0, 10, 10
	v_bfe_u32 v0, v0, 20, 10
	s_waitcnt lgkmcnt(0)
	s_lshr_b32 s0, s2, 16
	s_mul_i32 s0, s0, s3
	v_mul_u32_u24_e32 v1, s0, v1
	v_mul_u32_u24_e32 v3, s3, v3
	v_add3_u32 v0, v1, v3, v0
	v_mov_b32_e32 v1, 0x188
	v_lshl_add_u32 v0, v0, 4, v1
	s_waitcnt vmcnt(0)
	v_readfirstlane_b32 s0, v2
	s_add_i32 s0, s0, -1
	s_cmp_lg_u32 s0, 10
	s_cbranch_scc0 .LBB75_88
; %bb.87:
	s_lshl_b32 s0, s0, 4
	scratch_load_dwordx4 v[2:5], off, s19
	scratch_load_dwordx4 v[6:9], off, s0
	s_waitcnt vmcnt(1)
	ds_write2_b64 v0, v[2:3], v[4:5] offset1:1
	s_waitcnt vmcnt(0)
	scratch_store_dwordx4 off, v[6:9], s19
	scratch_store_dwordx4 off, v[2:5], s0
.LBB75_88:
	v_mov_b32_e32 v1, 0
	global_load_dword v2, v1, s[12:13] offset:36
	s_waitcnt vmcnt(0)
	v_readfirstlane_b32 s0, v2
	s_add_i32 s0, s0, -1
	s_cmp_eq_u32 s0, 9
	s_cbranch_scc1 .LBB75_90
; %bb.89:
	s_lshl_b32 s0, s0, 4
	scratch_load_dwordx4 v[2:5], off, s20
	scratch_load_dwordx4 v[6:9], off, s0
	s_waitcnt vmcnt(1)
	ds_write2_b64 v0, v[2:3], v[4:5] offset1:1
	s_waitcnt vmcnt(0)
	scratch_store_dwordx4 off, v[6:9], s20
	scratch_store_dwordx4 off, v[2:5], s0
.LBB75_90:
	global_load_dword v1, v1, s[12:13] offset:32
	s_waitcnt vmcnt(0)
	v_readfirstlane_b32 s0, v1
	s_add_i32 s0, s0, -1
	s_cmp_eq_u32 s0, 8
	s_cbranch_scc1 .LBB75_92
; %bb.91:
	s_lshl_b32 s0, s0, 4
	scratch_load_dwordx4 v[2:5], off, s21
	scratch_load_dwordx4 v[6:9], off, s0
	s_waitcnt vmcnt(1)
	ds_write2_b64 v0, v[2:3], v[4:5] offset1:1
	s_waitcnt vmcnt(0)
	scratch_store_dwordx4 off, v[6:9], s21
	scratch_store_dwordx4 off, v[2:5], s0
.LBB75_92:
	v_mov_b32_e32 v1, 0
	global_load_dword v2, v1, s[12:13] offset:28
	s_waitcnt vmcnt(0)
	v_readfirstlane_b32 s0, v2
	s_add_i32 s0, s0, -1
	s_cmp_eq_u32 s0, 7
	s_cbranch_scc1 .LBB75_94
; %bb.93:
	s_lshl_b32 s0, s0, 4
	scratch_load_dwordx4 v[2:5], off, s22
	scratch_load_dwordx4 v[6:9], off, s0
	s_waitcnt vmcnt(1)
	ds_write2_b64 v0, v[2:3], v[4:5] offset1:1
	s_waitcnt vmcnt(0)
	scratch_store_dwordx4 off, v[6:9], s22
	scratch_store_dwordx4 off, v[2:5], s0
.LBB75_94:
	global_load_dword v1, v1, s[12:13] offset:24
	s_waitcnt vmcnt(0)
	v_readfirstlane_b32 s0, v1
	s_add_i32 s0, s0, -1
	s_cmp_eq_u32 s0, 6
	s_cbranch_scc1 .LBB75_96
; %bb.95:
	s_lshl_b32 s0, s0, 4
	scratch_load_dwordx4 v[2:5], off, s23
	scratch_load_dwordx4 v[6:9], off, s0
	s_waitcnt vmcnt(1)
	ds_write2_b64 v0, v[2:3], v[4:5] offset1:1
	s_waitcnt vmcnt(0)
	scratch_store_dwordx4 off, v[6:9], s23
	scratch_store_dwordx4 off, v[2:5], s0
.LBB75_96:
	;; [unrolled: 33-line block ×4, first 2 shown]
	v_mov_b32_e32 v1, 0
	global_load_dword v2, v1, s[12:13] offset:4
	s_waitcnt vmcnt(0)
	v_readfirstlane_b32 s0, v2
	s_add_i32 s0, s0, -1
	s_cmp_eq_u32 s0, 1
	s_cbranch_scc1 .LBB75_106
; %bb.105:
	s_lshl_b32 s0, s0, 4
	scratch_load_dwordx4 v[2:5], off, s28
	scratch_load_dwordx4 v[6:9], off, s0
	s_waitcnt vmcnt(1)
	ds_write2_b64 v0, v[2:3], v[4:5] offset1:1
	s_waitcnt vmcnt(0)
	scratch_store_dwordx4 off, v[6:9], s28
	scratch_store_dwordx4 off, v[2:5], s0
.LBB75_106:
	global_load_dword v1, v1, s[12:13]
	s_waitcnt vmcnt(0)
	v_readfirstlane_b32 s0, v1
	s_add_i32 s0, s0, -1
	s_cmp_eq_u32 s0, 0
	s_cbranch_scc1 .LBB75_108
; %bb.107:
	s_lshl_b32 s0, s0, 4
	scratch_load_dwordx4 v[2:5], off, off
	scratch_load_dwordx4 v[6:9], off, s0
	s_waitcnt vmcnt(1)
	ds_write2_b64 v0, v[2:3], v[4:5] offset1:1
	s_waitcnt vmcnt(0)
	scratch_store_dwordx4 off, v[6:9], off
	scratch_store_dwordx4 off, v[2:5], s0
.LBB75_108:
	scratch_load_dwordx4 v[0:3], off, off
	s_waitcnt vmcnt(0)
	flat_store_dwordx4 v[14:15], v[0:3]
	scratch_load_dwordx4 v[0:3], off, s28
	s_waitcnt vmcnt(0)
	flat_store_dwordx4 v[16:17], v[0:3]
	scratch_load_dwordx4 v[0:3], off, s27
	s_waitcnt vmcnt(0)
	flat_store_dwordx4 v[18:19], v[0:3]
	scratch_load_dwordx4 v[0:3], off, s26
	s_waitcnt vmcnt(0)
	flat_store_dwordx4 v[20:21], v[0:3]
	scratch_load_dwordx4 v[0:3], off, s25
	s_waitcnt vmcnt(0)
	flat_store_dwordx4 v[22:23], v[0:3]
	scratch_load_dwordx4 v[0:3], off, s24
	s_waitcnt vmcnt(0)
	flat_store_dwordx4 v[24:25], v[0:3]
	scratch_load_dwordx4 v[0:3], off, s23
	s_waitcnt vmcnt(0)
	flat_store_dwordx4 v[26:27], v[0:3]
	scratch_load_dwordx4 v[0:3], off, s22
	s_waitcnt vmcnt(0)
	flat_store_dwordx4 v[28:29], v[0:3]
	scratch_load_dwordx4 v[0:3], off, s21
	s_waitcnt vmcnt(0)
	flat_store_dwordx4 v[30:31], v[0:3]
	scratch_load_dwordx4 v[0:3], off, s20
	s_waitcnt vmcnt(0)
	flat_store_dwordx4 v[32:33], v[0:3]
	scratch_load_dwordx4 v[0:3], off, s19
	s_waitcnt vmcnt(0)
	flat_store_dwordx4 v[34:35], v[0:3]
	scratch_load_dwordx4 v[0:3], off, s18
	s_waitcnt vmcnt(0)
	flat_store_dwordx4 v[36:37], v[0:3]
	s_endpgm
	.section	.rodata,"a",@progbits
	.p2align	6, 0x0
	.amdhsa_kernel _ZN9rocsolver6v33100L18getri_kernel_smallILi12E19rocblas_complex_numIdEPKPS3_EEvT1_iilPiilS8_bb
		.amdhsa_group_segment_fixed_size 1416
		.amdhsa_private_segment_fixed_size 208
		.amdhsa_kernarg_size 60
		.amdhsa_user_sgpr_count 4
		.amdhsa_user_sgpr_dispatch_ptr 1
		.amdhsa_user_sgpr_queue_ptr 0
		.amdhsa_user_sgpr_kernarg_segment_ptr 1
		.amdhsa_user_sgpr_dispatch_id 0
		.amdhsa_user_sgpr_kernarg_preload_length 0
		.amdhsa_user_sgpr_kernarg_preload_offset 0
		.amdhsa_user_sgpr_private_segment_size 0
		.amdhsa_uses_dynamic_stack 0
		.amdhsa_enable_private_segment 1
		.amdhsa_system_sgpr_workgroup_id_x 1
		.amdhsa_system_sgpr_workgroup_id_y 0
		.amdhsa_system_sgpr_workgroup_id_z 0
		.amdhsa_system_sgpr_workgroup_info 0
		.amdhsa_system_vgpr_workitem_id 2
		.amdhsa_next_free_vgpr 124
		.amdhsa_next_free_sgpr 30
		.amdhsa_accum_offset 124
		.amdhsa_reserve_vcc 1
		.amdhsa_float_round_mode_32 0
		.amdhsa_float_round_mode_16_64 0
		.amdhsa_float_denorm_mode_32 3
		.amdhsa_float_denorm_mode_16_64 3
		.amdhsa_dx10_clamp 1
		.amdhsa_ieee_mode 1
		.amdhsa_fp16_overflow 0
		.amdhsa_tg_split 0
		.amdhsa_exception_fp_ieee_invalid_op 0
		.amdhsa_exception_fp_denorm_src 0
		.amdhsa_exception_fp_ieee_div_zero 0
		.amdhsa_exception_fp_ieee_overflow 0
		.amdhsa_exception_fp_ieee_underflow 0
		.amdhsa_exception_fp_ieee_inexact 0
		.amdhsa_exception_int_div_zero 0
	.end_amdhsa_kernel
	.section	.text._ZN9rocsolver6v33100L18getri_kernel_smallILi12E19rocblas_complex_numIdEPKPS3_EEvT1_iilPiilS8_bb,"axG",@progbits,_ZN9rocsolver6v33100L18getri_kernel_smallILi12E19rocblas_complex_numIdEPKPS3_EEvT1_iilPiilS8_bb,comdat
.Lfunc_end75:
	.size	_ZN9rocsolver6v33100L18getri_kernel_smallILi12E19rocblas_complex_numIdEPKPS3_EEvT1_iilPiilS8_bb, .Lfunc_end75-_ZN9rocsolver6v33100L18getri_kernel_smallILi12E19rocblas_complex_numIdEPKPS3_EEvT1_iilPiilS8_bb
                                        ; -- End function
	.set _ZN9rocsolver6v33100L18getri_kernel_smallILi12E19rocblas_complex_numIdEPKPS3_EEvT1_iilPiilS8_bb.num_vgpr, 124
	.set _ZN9rocsolver6v33100L18getri_kernel_smallILi12E19rocblas_complex_numIdEPKPS3_EEvT1_iilPiilS8_bb.num_agpr, 0
	.set _ZN9rocsolver6v33100L18getri_kernel_smallILi12E19rocblas_complex_numIdEPKPS3_EEvT1_iilPiilS8_bb.numbered_sgpr, 30
	.set _ZN9rocsolver6v33100L18getri_kernel_smallILi12E19rocblas_complex_numIdEPKPS3_EEvT1_iilPiilS8_bb.num_named_barrier, 0
	.set _ZN9rocsolver6v33100L18getri_kernel_smallILi12E19rocblas_complex_numIdEPKPS3_EEvT1_iilPiilS8_bb.private_seg_size, 208
	.set _ZN9rocsolver6v33100L18getri_kernel_smallILi12E19rocblas_complex_numIdEPKPS3_EEvT1_iilPiilS8_bb.uses_vcc, 1
	.set _ZN9rocsolver6v33100L18getri_kernel_smallILi12E19rocblas_complex_numIdEPKPS3_EEvT1_iilPiilS8_bb.uses_flat_scratch, 0
	.set _ZN9rocsolver6v33100L18getri_kernel_smallILi12E19rocblas_complex_numIdEPKPS3_EEvT1_iilPiilS8_bb.has_dyn_sized_stack, 0
	.set _ZN9rocsolver6v33100L18getri_kernel_smallILi12E19rocblas_complex_numIdEPKPS3_EEvT1_iilPiilS8_bb.has_recursion, 0
	.set _ZN9rocsolver6v33100L18getri_kernel_smallILi12E19rocblas_complex_numIdEPKPS3_EEvT1_iilPiilS8_bb.has_indirect_call, 0
	.section	.AMDGPU.csdata,"",@progbits
; Kernel info:
; codeLenInByte = 10312
; TotalNumSgprs: 36
; NumVgprs: 124
; NumAgprs: 0
; TotalNumVgprs: 124
; ScratchSize: 208
; MemoryBound: 0
; FloatMode: 240
; IeeeMode: 1
; LDSByteSize: 1416 bytes/workgroup (compile time only)
; SGPRBlocks: 4
; VGPRBlocks: 15
; NumSGPRsForWavesPerEU: 36
; NumVGPRsForWavesPerEU: 124
; AccumOffset: 124
; Occupancy: 4
; WaveLimiterHint : 1
; COMPUTE_PGM_RSRC2:SCRATCH_EN: 1
; COMPUTE_PGM_RSRC2:USER_SGPR: 4
; COMPUTE_PGM_RSRC2:TRAP_HANDLER: 0
; COMPUTE_PGM_RSRC2:TGID_X_EN: 1
; COMPUTE_PGM_RSRC2:TGID_Y_EN: 0
; COMPUTE_PGM_RSRC2:TGID_Z_EN: 0
; COMPUTE_PGM_RSRC2:TIDIG_COMP_CNT: 2
; COMPUTE_PGM_RSRC3_GFX90A:ACCUM_OFFSET: 30
; COMPUTE_PGM_RSRC3_GFX90A:TG_SPLIT: 0
	.section	.text._ZN9rocsolver6v33100L18getri_kernel_smallILi13E19rocblas_complex_numIdEPKPS3_EEvT1_iilPiilS8_bb,"axG",@progbits,_ZN9rocsolver6v33100L18getri_kernel_smallILi13E19rocblas_complex_numIdEPKPS3_EEvT1_iilPiilS8_bb,comdat
	.globl	_ZN9rocsolver6v33100L18getri_kernel_smallILi13E19rocblas_complex_numIdEPKPS3_EEvT1_iilPiilS8_bb ; -- Begin function _ZN9rocsolver6v33100L18getri_kernel_smallILi13E19rocblas_complex_numIdEPKPS3_EEvT1_iilPiilS8_bb
	.p2align	8
	.type	_ZN9rocsolver6v33100L18getri_kernel_smallILi13E19rocblas_complex_numIdEPKPS3_EEvT1_iilPiilS8_bb,@function
_ZN9rocsolver6v33100L18getri_kernel_smallILi13E19rocblas_complex_numIdEPKPS3_EEvT1_iilPiilS8_bb: ; @_ZN9rocsolver6v33100L18getri_kernel_smallILi13E19rocblas_complex_numIdEPKPS3_EEvT1_iilPiilS8_bb
; %bb.0:
	v_and_b32_e32 v1, 0x3ff, v0
	v_cmp_gt_u32_e32 vcc, 13, v1
	s_and_saveexec_b64 s[6:7], vcc
	s_cbranch_execz .LBB76_66
; %bb.1:
	s_load_dword s18, s[2:3], 0x38
	s_load_dwordx2 s[6:7], s[2:3], 0x0
	s_load_dwordx4 s[8:11], s[2:3], 0x28
	s_waitcnt lgkmcnt(0)
	s_bitcmp1_b32 s18, 8
	s_cselect_b64 s[14:15], -1, 0
	s_ashr_i32 s5, s4, 31
	s_lshl_b64 s[12:13], s[4:5], 3
	s_add_u32 s6, s6, s12
	s_addc_u32 s7, s7, s13
	s_load_dwordx2 s[16:17], s[6:7], 0x0
	s_bfe_u32 s6, s18, 0x10008
	s_cmp_eq_u32 s6, 0
                                        ; implicit-def: $sgpr12_sgpr13
	s_cbranch_scc1 .LBB76_3
; %bb.2:
	s_load_dword s6, s[2:3], 0x20
	s_load_dwordx2 s[12:13], s[2:3], 0x18
	s_mul_i32 s7, s8, s5
	s_mul_hi_u32 s18, s8, s4
	s_add_i32 s18, s18, s7
	s_mul_i32 s9, s9, s4
	s_add_i32 s9, s18, s9
	s_mul_i32 s8, s8, s4
	s_waitcnt lgkmcnt(0)
	s_ashr_i32 s7, s6, 31
	s_lshl_b64 s[8:9], s[8:9], 2
	s_add_u32 s8, s12, s8
	s_addc_u32 s9, s13, s9
	s_lshl_b64 s[6:7], s[6:7], 2
	s_add_u32 s12, s8, s6
	s_addc_u32 s13, s9, s7
.LBB76_3:
	s_load_dwordx2 s[6:7], s[2:3], 0x8
	s_load_dword s30, s[2:3], 0x38
	v_lshlrev_b32_e32 v14, 4, v1
	v_mov_b32_e32 v15, 0
	s_movk_i32 s25, 0x50
	s_waitcnt lgkmcnt(0)
	s_ashr_i32 s3, s6, 31
	s_mov_b32 s2, s6
	s_lshl_b64 s[2:3], s[2:3], 4
	s_add_u32 s2, s16, s2
	s_addc_u32 s3, s17, s3
	v_lshl_add_u64 v[16:17], s[2:3], 0, v[14:15]
	flat_load_dwordx4 v[2:5], v[16:17]
	s_mov_b32 s8, s7
	s_ashr_i32 s9, s7, 31
	v_lshl_add_u64 v[18:19], s[8:9], 4, v[16:17]
	s_add_i32 s6, s7, s7
	v_add_u32_e32 v6, s6, v1
	v_ashrrev_i32_e32 v7, 31, v6
	v_lshl_add_u64 v[20:21], v[6:7], 4, s[2:3]
	v_add_u32_e32 v6, s7, v6
	v_ashrrev_i32_e32 v7, 31, v6
	v_lshl_add_u64 v[22:23], v[6:7], 4, s[2:3]
	;; [unrolled: 3-line block ×11, first 2 shown]
	s_movk_i32 s24, 0x60
	s_movk_i32 s23, 0x70
	;; [unrolled: 1-line block ×7, first 2 shown]
	s_mov_b32 s29, 16
	s_mov_b32 s28, 32
	;; [unrolled: 1-line block ×4, first 2 shown]
	s_bitcmp0_b32 s30, 0
	s_mov_b64 s[6:7], -1
	s_waitcnt vmcnt(0) lgkmcnt(0)
	scratch_store_dwordx4 off, v[2:5], off
	flat_load_dwordx4 v[2:5], v[18:19]
	s_waitcnt vmcnt(0) lgkmcnt(0)
	scratch_store_dwordx4 off, v[2:5], off offset:16
	flat_load_dwordx4 v[2:5], v[20:21]
	s_waitcnt vmcnt(0) lgkmcnt(0)
	scratch_store_dwordx4 off, v[2:5], off offset:32
	flat_load_dwordx4 v[2:5], v[22:23]
	s_waitcnt vmcnt(0) lgkmcnt(0)
	scratch_store_dwordx4 off, v[2:5], off offset:48
	flat_load_dwordx4 v[2:5], v[24:25]
	s_waitcnt vmcnt(0) lgkmcnt(0)
	scratch_store_dwordx4 off, v[2:5], off offset:64
	flat_load_dwordx4 v[2:5], v[26:27]
	s_waitcnt vmcnt(0) lgkmcnt(0)
	scratch_store_dwordx4 off, v[2:5], off offset:80
	flat_load_dwordx4 v[2:5], v[28:29]
	s_waitcnt vmcnt(0) lgkmcnt(0)
	scratch_store_dwordx4 off, v[2:5], off offset:96
	flat_load_dwordx4 v[2:5], v[30:31]
	s_waitcnt vmcnt(0) lgkmcnt(0)
	scratch_store_dwordx4 off, v[2:5], off offset:112
	flat_load_dwordx4 v[2:5], v[32:33]
	s_waitcnt vmcnt(0) lgkmcnt(0)
	scratch_store_dwordx4 off, v[2:5], off offset:128
	flat_load_dwordx4 v[2:5], v[34:35]
	s_waitcnt vmcnt(0) lgkmcnt(0)
	scratch_store_dwordx4 off, v[2:5], off offset:144
	flat_load_dwordx4 v[2:5], v[36:37]
	s_waitcnt vmcnt(0) lgkmcnt(0)
	scratch_store_dwordx4 off, v[2:5], off offset:160
	flat_load_dwordx4 v[2:5], v[38:39]
	s_waitcnt vmcnt(0) lgkmcnt(0)
	scratch_store_dwordx4 off, v[2:5], off offset:176
	flat_load_dwordx4 v[2:5], v[40:41]
	s_waitcnt vmcnt(0) lgkmcnt(0)
	scratch_store_dwordx4 off, v[2:5], off offset:192
	s_cbranch_scc1 .LBB76_64
; %bb.4:
	v_cmp_eq_u32_e64 s[2:3], 0, v1
	s_and_saveexec_b64 s[6:7], s[2:3]
; %bb.5:
	v_mov_b32_e32 v2, 0
	ds_write_b32 v2, v2 offset:416
; %bb.6:
	s_or_b64 exec, exec, s[6:7]
	s_waitcnt lgkmcnt(0)
	; wave barrier
	scratch_load_dwordx4 v[2:5], v14, off
	s_waitcnt vmcnt(0)
	v_cmp_eq_f64_e32 vcc, 0, v[2:3]
	v_cmp_eq_f64_e64 s[6:7], 0, v[4:5]
	s_and_b64 s[6:7], vcc, s[6:7]
	s_and_saveexec_b64 s[8:9], s[6:7]
	s_cbranch_execz .LBB76_10
; %bb.7:
	v_mov_b32_e32 v2, 0
	ds_read_b32 v4, v2 offset:416
	v_add_u32_e32 v3, 1, v1
	s_waitcnt lgkmcnt(0)
	v_readfirstlane_b32 s6, v4
	s_cmp_eq_u32 s6, 0
	s_cselect_b64 s[16:17], -1, 0
	v_cmp_gt_i32_e32 vcc, s6, v3
	s_or_b64 s[16:17], s[16:17], vcc
	s_and_b64 exec, exec, s[16:17]
	s_cbranch_execz .LBB76_10
; %bb.8:
	s_mov_b64 s[16:17], 0
	v_mov_b32_e32 v4, s6
.LBB76_9:                               ; =>This Inner Loop Header: Depth=1
	ds_cmpst_rtn_b32 v4, v2, v4, v3 offset:416
	s_waitcnt lgkmcnt(0)
	v_cmp_ne_u32_e32 vcc, 0, v4
	v_cmp_le_i32_e64 s[6:7], v4, v3
	s_and_b64 s[6:7], vcc, s[6:7]
	s_and_b64 s[6:7], exec, s[6:7]
	s_or_b64 s[16:17], s[6:7], s[16:17]
	s_andn2_b64 exec, exec, s[16:17]
	s_cbranch_execnz .LBB76_9
.LBB76_10:
	s_or_b64 exec, exec, s[8:9]
	v_mov_b32_e32 v3, 0
	; wave barrier
	ds_read_b32 v2, v3 offset:416
	s_and_saveexec_b64 s[6:7], s[2:3]
	s_cbranch_execz .LBB76_12
; %bb.11:
	s_lshl_b64 s[8:9], s[4:5], 2
	s_add_u32 s8, s10, s8
	s_addc_u32 s9, s11, s9
	s_waitcnt lgkmcnt(0)
	global_store_dword v3, v2, s[8:9]
.LBB76_12:
	s_or_b64 exec, exec, s[6:7]
	s_waitcnt lgkmcnt(0)
	v_cmp_ne_u32_e32 vcc, 0, v2
	s_mov_b64 s[6:7], 0
	s_cbranch_vccnz .LBB76_64
; %bb.13:
	v_mov_b32_e32 v15, v14
	scratch_load_dwordx4 v[2:5], v15, off
                                        ; implicit-def: $vgpr6_vgpr7
                                        ; implicit-def: $vgpr10_vgpr11
	s_waitcnt vmcnt(0)
	v_cmp_ngt_f64_e64 s[6:7], |v[2:3]|, |v[4:5]|
	s_and_saveexec_b64 s[8:9], s[6:7]
	s_xor_b64 s[6:7], exec, s[8:9]
	s_cbranch_execz .LBB76_15
; %bb.14:
	v_div_scale_f64 v[6:7], s[8:9], v[4:5], v[4:5], v[2:3]
	v_rcp_f64_e32 v[8:9], v[6:7]
	v_div_scale_f64 v[10:11], vcc, v[2:3], v[4:5], v[2:3]
	v_fma_f64 v[12:13], -v[6:7], v[8:9], 1.0
	v_fmac_f64_e32 v[8:9], v[8:9], v[12:13]
	v_fma_f64 v[12:13], -v[6:7], v[8:9], 1.0
	v_fmac_f64_e32 v[8:9], v[8:9], v[12:13]
	v_mul_f64 v[12:13], v[10:11], v[8:9]
	v_fma_f64 v[6:7], -v[6:7], v[12:13], v[10:11]
	v_div_fmas_f64 v[6:7], v[6:7], v[8:9], v[12:13]
	v_div_fixup_f64 v[6:7], v[6:7], v[4:5], v[2:3]
	v_fmac_f64_e32 v[4:5], v[2:3], v[6:7]
	v_div_scale_f64 v[2:3], s[8:9], v[4:5], v[4:5], 1.0
	v_rcp_f64_e32 v[8:9], v[2:3]
	s_nop 0
	v_fma_f64 v[10:11], -v[2:3], v[8:9], 1.0
	v_fmac_f64_e32 v[8:9], v[8:9], v[10:11]
	v_fma_f64 v[10:11], -v[2:3], v[8:9], 1.0
	v_fmac_f64_e32 v[8:9], v[8:9], v[10:11]
	v_div_scale_f64 v[10:11], vcc, 1.0, v[4:5], 1.0
	v_mul_f64 v[12:13], v[10:11], v[8:9]
	v_fma_f64 v[2:3], -v[2:3], v[12:13], v[10:11]
	s_nop 1
	v_div_fmas_f64 v[2:3], v[2:3], v[8:9], v[12:13]
	v_div_fixup_f64 v[8:9], v[2:3], v[4:5], 1.0
	v_mul_f64 v[6:7], v[6:7], v[8:9]
	v_xor_b32_e32 v9, 0x80000000, v9
	v_xor_b32_e32 v11, 0x80000000, v7
	v_mov_b32_e32 v10, v6
                                        ; implicit-def: $vgpr2_vgpr3
.LBB76_15:
	s_andn2_saveexec_b64 s[6:7], s[6:7]
	s_cbranch_execz .LBB76_17
; %bb.16:
	v_div_scale_f64 v[6:7], s[8:9], v[2:3], v[2:3], v[4:5]
	v_rcp_f64_e32 v[8:9], v[6:7]
	v_div_scale_f64 v[10:11], vcc, v[4:5], v[2:3], v[4:5]
	v_fma_f64 v[12:13], -v[6:7], v[8:9], 1.0
	v_fmac_f64_e32 v[8:9], v[8:9], v[12:13]
	v_fma_f64 v[12:13], -v[6:7], v[8:9], 1.0
	v_fmac_f64_e32 v[8:9], v[8:9], v[12:13]
	v_mul_f64 v[12:13], v[10:11], v[8:9]
	v_fma_f64 v[6:7], -v[6:7], v[12:13], v[10:11]
	v_div_fmas_f64 v[6:7], v[6:7], v[8:9], v[12:13]
	v_div_fixup_f64 v[8:9], v[6:7], v[2:3], v[4:5]
	v_fmac_f64_e32 v[2:3], v[4:5], v[8:9]
	v_div_scale_f64 v[4:5], s[8:9], v[2:3], v[2:3], 1.0
	v_rcp_f64_e32 v[6:7], v[4:5]
	s_nop 0
	v_fma_f64 v[10:11], -v[4:5], v[6:7], 1.0
	v_fmac_f64_e32 v[6:7], v[6:7], v[10:11]
	v_fma_f64 v[10:11], -v[4:5], v[6:7], 1.0
	v_fmac_f64_e32 v[6:7], v[6:7], v[10:11]
	v_div_scale_f64 v[10:11], vcc, 1.0, v[2:3], 1.0
	v_mul_f64 v[12:13], v[10:11], v[6:7]
	v_fma_f64 v[4:5], -v[4:5], v[12:13], v[10:11]
	s_nop 1
	v_div_fmas_f64 v[4:5], v[4:5], v[6:7], v[12:13]
	v_div_fixup_f64 v[6:7], v[4:5], v[2:3], 1.0
	v_xor_b32_e32 v11, 0x80000000, v7
	v_mov_b32_e32 v10, v6
	v_mul_f64 v[8:9], v[8:9], -v[6:7]
.LBB76_17:
	s_or_b64 exec, exec, s[6:7]
	scratch_store_dwordx4 v15, v[6:9], off
	scratch_load_dwordx4 v[2:5], off, s29
	v_xor_b32_e32 v13, 0x80000000, v9
	v_mov_b32_e32 v12, v8
	v_add_u32_e32 v6, 0xd0, v14
	ds_write_b128 v14, v[10:13]
	s_waitcnt vmcnt(0)
	ds_write_b128 v14, v[2:5] offset:208
	s_waitcnt lgkmcnt(0)
	; wave barrier
	s_and_saveexec_b64 s[6:7], s[2:3]
	s_cbranch_execz .LBB76_19
; %bb.18:
	scratch_load_dwordx4 v[2:5], v15, off
	ds_read_b128 v[8:11], v6
	v_mov_b32_e32 v7, 0
	ds_read_b128 v[42:45], v7 offset:16
	s_waitcnt vmcnt(0) lgkmcnt(1)
	v_mul_f64 v[12:13], v[10:11], v[4:5]
	v_mul_f64 v[4:5], v[8:9], v[4:5]
	v_fma_f64 v[8:9], v[8:9], v[2:3], -v[12:13]
	v_fmac_f64_e32 v[4:5], v[10:11], v[2:3]
	v_add_f64 v[2:3], v[8:9], 0
	v_add_f64 v[8:9], v[4:5], 0
	s_waitcnt lgkmcnt(0)
	v_mul_f64 v[10:11], v[8:9], v[44:45]
	v_mul_f64 v[4:5], v[2:3], v[44:45]
	v_fma_f64 v[2:3], v[2:3], v[42:43], -v[10:11]
	v_fmac_f64_e32 v[4:5], v[8:9], v[42:43]
	scratch_store_dwordx4 off, v[2:5], off offset:16
.LBB76_19:
	s_or_b64 exec, exec, s[6:7]
	; wave barrier
	scratch_load_dwordx4 v[2:5], off, s28
	v_cmp_gt_u32_e32 vcc, 2, v1
	s_waitcnt vmcnt(0)
	ds_write_b128 v6, v[2:5]
	s_waitcnt lgkmcnt(0)
	; wave barrier
	s_and_saveexec_b64 s[6:7], vcc
	s_cbranch_execz .LBB76_23
; %bb.20:
	scratch_load_dwordx4 v[2:5], v15, off
	ds_read_b128 v[8:11], v6
	s_waitcnt vmcnt(0) lgkmcnt(0)
	v_mul_f64 v[12:13], v[10:11], v[4:5]
	v_mul_f64 v[42:43], v[8:9], v[4:5]
	v_fma_f64 v[4:5], v[8:9], v[2:3], -v[12:13]
	v_fmac_f64_e32 v[42:43], v[10:11], v[2:3]
	v_add_f64 v[4:5], v[4:5], 0
	v_add_f64 v[2:3], v[42:43], 0
	s_and_saveexec_b64 s[8:9], s[2:3]
	s_cbranch_execz .LBB76_22
; %bb.21:
	scratch_load_dwordx4 v[8:11], off, off offset:16
	v_mov_b32_e32 v7, 0
	ds_read_b128 v[42:45], v7 offset:224
	s_waitcnt vmcnt(0) lgkmcnt(0)
	v_mul_f64 v[12:13], v[42:43], v[10:11]
	v_mul_f64 v[10:11], v[44:45], v[10:11]
	v_fmac_f64_e32 v[12:13], v[44:45], v[8:9]
	v_fma_f64 v[8:9], v[42:43], v[8:9], -v[10:11]
	v_add_f64 v[2:3], v[2:3], v[12:13]
	v_add_f64 v[4:5], v[4:5], v[8:9]
.LBB76_22:
	s_or_b64 exec, exec, s[8:9]
	v_mov_b32_e32 v7, 0
	ds_read_b128 v[8:11], v7 offset:32
	s_waitcnt lgkmcnt(0)
	v_mul_f64 v[42:43], v[2:3], v[10:11]
	v_mul_f64 v[12:13], v[4:5], v[10:11]
	v_fma_f64 v[10:11], v[4:5], v[8:9], -v[42:43]
	v_fmac_f64_e32 v[12:13], v[2:3], v[8:9]
	scratch_store_dwordx4 off, v[10:13], off offset:32
.LBB76_23:
	s_or_b64 exec, exec, s[6:7]
	; wave barrier
	scratch_load_dwordx4 v[2:5], off, s27
	v_cmp_gt_u32_e32 vcc, 3, v1
	v_add_u32_e32 v7, -1, v1
	s_waitcnt vmcnt(0)
	ds_write_b128 v6, v[2:5]
	s_waitcnt lgkmcnt(0)
	; wave barrier
	s_and_saveexec_b64 s[2:3], vcc
	s_cbranch_execz .LBB76_27
; %bb.24:
	v_add_u32_e32 v8, -1, v1
	v_add_u32_e32 v9, 0xd0, v14
	v_mov_b32_e32 v10, v14
	v_mov_b64_e32 v[2:3], 0
	s_mov_b64 s[6:7], 0
	v_mov_b64_e32 v[4:5], 0
.LBB76_25:                              ; =>This Inner Loop Header: Depth=1
	scratch_load_dwordx4 v[42:45], v10, off
	ds_read_b128 v[46:49], v9
	v_add_u32_e32 v8, 1, v8
	v_cmp_lt_u32_e32 vcc, 1, v8
	v_add_u32_e32 v9, 16, v9
	v_add_u32_e32 v10, 16, v10
	s_or_b64 s[6:7], vcc, s[6:7]
	s_waitcnt vmcnt(0) lgkmcnt(0)
	v_mul_f64 v[12:13], v[48:49], v[44:45]
	v_mul_f64 v[44:45], v[46:47], v[44:45]
	v_fma_f64 v[12:13], v[46:47], v[42:43], -v[12:13]
	v_fmac_f64_e32 v[44:45], v[48:49], v[42:43]
	v_add_f64 v[4:5], v[4:5], v[12:13]
	v_add_f64 v[2:3], v[2:3], v[44:45]
	s_andn2_b64 exec, exec, s[6:7]
	s_cbranch_execnz .LBB76_25
; %bb.26:
	s_or_b64 exec, exec, s[6:7]
	v_mov_b32_e32 v8, 0
	ds_read_b128 v[8:11], v8 offset:48
	s_waitcnt lgkmcnt(0)
	v_mul_f64 v[42:43], v[2:3], v[10:11]
	v_mul_f64 v[12:13], v[4:5], v[10:11]
	v_fma_f64 v[10:11], v[4:5], v[8:9], -v[42:43]
	v_fmac_f64_e32 v[12:13], v[2:3], v[8:9]
	scratch_store_dwordx4 off, v[10:13], off offset:48
.LBB76_27:
	s_or_b64 exec, exec, s[2:3]
	; wave barrier
	scratch_load_dwordx4 v[2:5], off, s26
	v_cmp_gt_u32_e32 vcc, 4, v1
	s_waitcnt vmcnt(0)
	ds_write_b128 v6, v[2:5]
	s_waitcnt lgkmcnt(0)
	; wave barrier
	s_and_saveexec_b64 s[2:3], vcc
	s_cbranch_execz .LBB76_31
; %bb.28:
	v_add_u32_e32 v8, -1, v1
	v_add_u32_e32 v9, 0xd0, v14
	v_mov_b32_e32 v10, v14
	v_mov_b64_e32 v[2:3], 0
	s_mov_b64 s[6:7], 0
	v_mov_b64_e32 v[4:5], 0
.LBB76_29:                              ; =>This Inner Loop Header: Depth=1
	scratch_load_dwordx4 v[42:45], v10, off
	ds_read_b128 v[46:49], v9
	v_add_u32_e32 v8, 1, v8
	v_cmp_lt_u32_e32 vcc, 2, v8
	v_add_u32_e32 v9, 16, v9
	v_add_u32_e32 v10, 16, v10
	s_or_b64 s[6:7], vcc, s[6:7]
	s_waitcnt vmcnt(0) lgkmcnt(0)
	v_mul_f64 v[12:13], v[48:49], v[44:45]
	v_mul_f64 v[44:45], v[46:47], v[44:45]
	v_fma_f64 v[12:13], v[46:47], v[42:43], -v[12:13]
	v_fmac_f64_e32 v[44:45], v[48:49], v[42:43]
	v_add_f64 v[4:5], v[4:5], v[12:13]
	v_add_f64 v[2:3], v[2:3], v[44:45]
	s_andn2_b64 exec, exec, s[6:7]
	s_cbranch_execnz .LBB76_29
; %bb.30:
	s_or_b64 exec, exec, s[6:7]
	v_mov_b32_e32 v8, 0
	ds_read_b128 v[8:11], v8 offset:64
	s_waitcnt lgkmcnt(0)
	v_mul_f64 v[42:43], v[2:3], v[10:11]
	v_mul_f64 v[12:13], v[4:5], v[10:11]
	v_fma_f64 v[10:11], v[4:5], v[8:9], -v[42:43]
	v_fmac_f64_e32 v[12:13], v[2:3], v[8:9]
	scratch_store_dwordx4 off, v[10:13], off offset:64
.LBB76_31:
	s_or_b64 exec, exec, s[2:3]
	; wave barrier
	scratch_load_dwordx4 v[2:5], off, s25
	v_cmp_gt_u32_e32 vcc, 5, v1
	;; [unrolled: 45-line block ×8, first 2 shown]
	s_waitcnt vmcnt(0)
	ds_write_b128 v6, v[2:5]
	s_waitcnt lgkmcnt(0)
	; wave barrier
	s_and_saveexec_b64 s[2:3], vcc
	s_cbranch_execz .LBB76_59
; %bb.56:
	v_add_u32_e32 v8, -1, v1
	v_add_u32_e32 v9, 0xd0, v14
	v_mov_b32_e32 v10, v14
	v_mov_b64_e32 v[2:3], 0
	s_mov_b64 s[6:7], 0
	v_mov_b64_e32 v[4:5], 0
.LBB76_57:                              ; =>This Inner Loop Header: Depth=1
	scratch_load_dwordx4 v[42:45], v10, off
	ds_read_b128 v[46:49], v9
	v_add_u32_e32 v8, 1, v8
	v_cmp_lt_u32_e32 vcc, 9, v8
	v_add_u32_e32 v9, 16, v9
	v_add_u32_e32 v10, 16, v10
	s_or_b64 s[6:7], vcc, s[6:7]
	s_waitcnt vmcnt(0) lgkmcnt(0)
	v_mul_f64 v[12:13], v[48:49], v[44:45]
	v_mul_f64 v[44:45], v[46:47], v[44:45]
	v_fma_f64 v[12:13], v[46:47], v[42:43], -v[12:13]
	v_fmac_f64_e32 v[44:45], v[48:49], v[42:43]
	v_add_f64 v[4:5], v[4:5], v[12:13]
	v_add_f64 v[2:3], v[2:3], v[44:45]
	s_andn2_b64 exec, exec, s[6:7]
	s_cbranch_execnz .LBB76_57
; %bb.58:
	s_or_b64 exec, exec, s[6:7]
	v_mov_b32_e32 v8, 0
	ds_read_b128 v[8:11], v8 offset:176
	s_waitcnt lgkmcnt(0)
	v_mul_f64 v[42:43], v[2:3], v[10:11]
	v_mul_f64 v[12:13], v[4:5], v[10:11]
	v_fma_f64 v[10:11], v[4:5], v[8:9], -v[42:43]
	v_fmac_f64_e32 v[12:13], v[2:3], v[8:9]
	scratch_store_dwordx4 off, v[10:13], off offset:176
.LBB76_59:
	s_or_b64 exec, exec, s[2:3]
	; wave barrier
	scratch_load_dwordx4 v[2:5], off, s18
	v_cmp_ne_u32_e32 vcc, 12, v1
	s_waitcnt vmcnt(0)
	ds_write_b128 v6, v[2:5]
	s_waitcnt lgkmcnt(0)
	; wave barrier
	s_and_saveexec_b64 s[2:3], vcc
	s_cbranch_execz .LBB76_63
; %bb.60:
	v_add_u32_e32 v6, 0xd0, v14
	v_mov_b32_e32 v8, v14
	v_mov_b64_e32 v[2:3], 0
	s_mov_b64 s[6:7], 0
	v_mov_b64_e32 v[4:5], 0
.LBB76_61:                              ; =>This Inner Loop Header: Depth=1
	scratch_load_dwordx4 v[10:13], v8, off
	ds_read_b128 v[42:45], v6
	v_add_u32_e32 v7, 1, v7
	v_cmp_lt_u32_e32 vcc, 10, v7
	v_add_u32_e32 v6, 16, v6
	v_add_u32_e32 v8, 16, v8
	s_or_b64 s[6:7], vcc, s[6:7]
	s_waitcnt vmcnt(0) lgkmcnt(0)
	v_mul_f64 v[14:15], v[44:45], v[12:13]
	v_mul_f64 v[12:13], v[42:43], v[12:13]
	v_fma_f64 v[14:15], v[42:43], v[10:11], -v[14:15]
	v_fmac_f64_e32 v[12:13], v[44:45], v[10:11]
	v_add_f64 v[4:5], v[4:5], v[14:15]
	v_add_f64 v[2:3], v[2:3], v[12:13]
	s_andn2_b64 exec, exec, s[6:7]
	s_cbranch_execnz .LBB76_61
; %bb.62:
	s_or_b64 exec, exec, s[6:7]
	v_mov_b32_e32 v6, 0
	ds_read_b128 v[6:9], v6 offset:192
	s_waitcnt lgkmcnt(0)
	v_mul_f64 v[12:13], v[2:3], v[8:9]
	v_mul_f64 v[10:11], v[4:5], v[8:9]
	v_fma_f64 v[8:9], v[4:5], v[6:7], -v[12:13]
	v_fmac_f64_e32 v[10:11], v[2:3], v[6:7]
	scratch_store_dwordx4 off, v[8:11], off offset:192
.LBB76_63:
	s_or_b64 exec, exec, s[2:3]
	s_mov_b64 s[6:7], -1
	; wave barrier
.LBB76_64:
	s_and_b64 vcc, exec, s[6:7]
	s_cbranch_vccz .LBB76_66
; %bb.65:
	s_lshl_b64 s[2:3], s[4:5], 2
	s_add_u32 s2, s10, s2
	s_addc_u32 s3, s11, s3
	v_mov_b32_e32 v2, 0
	global_load_dword v2, v2, s[2:3]
	s_waitcnt vmcnt(0)
	v_cmp_ne_u32_e32 vcc, 0, v2
	s_cbranch_vccz .LBB76_67
.LBB76_66:
	s_endpgm
.LBB76_67:
	v_mov_b32_e32 v2, 0xd0
	v_lshl_add_u32 v42, v1, 4, v2
	v_cmp_eq_u32_e32 vcc, 12, v1
	s_and_saveexec_b64 s[2:3], vcc
	s_cbranch_execz .LBB76_69
; %bb.68:
	scratch_load_dwordx4 v[2:5], off, s19
	v_mov_b32_e32 v6, 0
	v_mov_b32_e32 v7, v6
	v_mov_b32_e32 v8, v6
	v_mov_b32_e32 v9, v6
	scratch_store_dwordx4 off, v[6:9], off offset:176
	s_waitcnt vmcnt(1)
	ds_write_b128 v42, v[2:5]
.LBB76_69:
	s_or_b64 exec, exec, s[2:3]
	s_waitcnt lgkmcnt(0)
	; wave barrier
	scratch_load_dwordx4 v[4:7], off, off offset:192
	scratch_load_dwordx4 v[8:11], off, off offset:176
	v_mov_b32_e32 v2, 0
	ds_read_b128 v[12:15], v2 offset:400
	v_cmp_lt_u32_e32 vcc, 10, v1
	s_waitcnt vmcnt(1) lgkmcnt(0)
	v_mul_f64 v[44:45], v[12:13], v[6:7]
	v_mul_f64 v[6:7], v[14:15], v[6:7]
	v_fmac_f64_e32 v[44:45], v[14:15], v[4:5]
	v_fma_f64 v[4:5], v[12:13], v[4:5], -v[6:7]
	v_add_f64 v[6:7], v[44:45], 0
	v_add_f64 v[4:5], v[4:5], 0
	s_waitcnt vmcnt(0)
	v_add_f64 v[4:5], v[8:9], -v[4:5]
	v_add_f64 v[6:7], v[10:11], -v[6:7]
	scratch_store_dwordx4 off, v[4:7], off offset:176
	s_and_saveexec_b64 s[2:3], vcc
	s_cbranch_execz .LBB76_71
; %bb.70:
	scratch_load_dwordx4 v[6:9], off, s20
	v_mov_b32_e32 v3, v2
	v_mov_b32_e32 v4, v2
	;; [unrolled: 1-line block ×3, first 2 shown]
	scratch_store_dwordx4 off, v[2:5], off offset:160
	s_waitcnt vmcnt(1)
	ds_write_b128 v42, v[6:9]
.LBB76_71:
	s_or_b64 exec, exec, s[2:3]
	s_waitcnt lgkmcnt(0)
	; wave barrier
	scratch_load_dwordx4 v[4:7], off, off offset:176
	scratch_load_dwordx4 v[8:11], off, off offset:192
	;; [unrolled: 1-line block ×3, first 2 shown]
	ds_read_b128 v[44:47], v2 offset:384
	ds_read_b128 v[48:51], v2 offset:400
	v_cmp_lt_u32_e32 vcc, 9, v1
	s_waitcnt vmcnt(2) lgkmcnt(1)
	v_mul_f64 v[2:3], v[44:45], v[6:7]
	v_mul_f64 v[6:7], v[46:47], v[6:7]
	s_waitcnt vmcnt(1) lgkmcnt(0)
	v_mul_f64 v[52:53], v[48:49], v[10:11]
	v_mul_f64 v[10:11], v[50:51], v[10:11]
	v_fmac_f64_e32 v[2:3], v[46:47], v[4:5]
	v_fma_f64 v[4:5], v[44:45], v[4:5], -v[6:7]
	v_fmac_f64_e32 v[52:53], v[50:51], v[8:9]
	v_fma_f64 v[6:7], v[48:49], v[8:9], -v[10:11]
	v_add_f64 v[2:3], v[2:3], 0
	v_add_f64 v[4:5], v[4:5], 0
	;; [unrolled: 1-line block ×4, first 2 shown]
	s_waitcnt vmcnt(0)
	v_add_f64 v[2:3], v[12:13], -v[2:3]
	v_add_f64 v[4:5], v[14:15], -v[8:9]
	scratch_store_dwordx4 off, v[2:5], off offset:160
	s_and_saveexec_b64 s[2:3], vcc
	s_cbranch_execz .LBB76_73
; %bb.72:
	scratch_load_dwordx4 v[2:5], off, s21
	v_mov_b32_e32 v6, 0
	v_mov_b32_e32 v7, v6
	;; [unrolled: 1-line block ×4, first 2 shown]
	scratch_store_dwordx4 off, v[6:9], off offset:144
	s_waitcnt vmcnt(1)
	ds_write_b128 v42, v[2:5]
.LBB76_73:
	s_or_b64 exec, exec, s[2:3]
	s_waitcnt lgkmcnt(0)
	; wave barrier
	scratch_load_dwordx4 v[4:7], off, off offset:160
	scratch_load_dwordx4 v[8:11], off, off offset:176
	;; [unrolled: 1-line block ×4, first 2 shown]
	v_mov_b32_e32 v2, 0
	ds_read_b128 v[48:51], v2 offset:368
	ds_read_b128 v[52:55], v2 offset:384
	;; [unrolled: 1-line block ×3, first 2 shown]
	v_cmp_lt_u32_e32 vcc, 8, v1
	s_waitcnt vmcnt(3) lgkmcnt(2)
	v_mul_f64 v[60:61], v[48:49], v[6:7]
	v_mul_f64 v[6:7], v[50:51], v[6:7]
	s_waitcnt vmcnt(2) lgkmcnt(1)
	v_mul_f64 v[62:63], v[52:53], v[10:11]
	v_mul_f64 v[10:11], v[54:55], v[10:11]
	v_fmac_f64_e32 v[60:61], v[50:51], v[4:5]
	v_fma_f64 v[4:5], v[48:49], v[4:5], -v[6:7]
	s_waitcnt vmcnt(1) lgkmcnt(0)
	v_mul_f64 v[64:65], v[56:57], v[14:15]
	v_mul_f64 v[14:15], v[58:59], v[14:15]
	v_fmac_f64_e32 v[62:63], v[54:55], v[8:9]
	v_fma_f64 v[6:7], v[52:53], v[8:9], -v[10:11]
	v_add_f64 v[10:11], v[60:61], 0
	v_add_f64 v[4:5], v[4:5], 0
	v_fmac_f64_e32 v[64:65], v[58:59], v[12:13]
	v_fma_f64 v[8:9], v[56:57], v[12:13], -v[14:15]
	v_add_f64 v[10:11], v[10:11], v[62:63]
	v_add_f64 v[4:5], v[4:5], v[6:7]
	;; [unrolled: 1-line block ×4, first 2 shown]
	s_waitcnt vmcnt(0)
	v_add_f64 v[4:5], v[44:45], -v[4:5]
	v_add_f64 v[6:7], v[46:47], -v[6:7]
	scratch_store_dwordx4 off, v[4:7], off offset:144
	s_and_saveexec_b64 s[2:3], vcc
	s_cbranch_execz .LBB76_75
; %bb.74:
	scratch_load_dwordx4 v[6:9], off, s22
	v_mov_b32_e32 v3, v2
	v_mov_b32_e32 v4, v2
	v_mov_b32_e32 v5, v2
	scratch_store_dwordx4 off, v[2:5], off offset:128
	s_waitcnt vmcnt(1)
	ds_write_b128 v42, v[6:9]
.LBB76_75:
	s_or_b64 exec, exec, s[2:3]
	s_waitcnt lgkmcnt(0)
	; wave barrier
	scratch_load_dwordx4 v[4:7], off, off offset:144
	scratch_load_dwordx4 v[8:11], off, off offset:160
	;; [unrolled: 1-line block ×5, first 2 shown]
	ds_read_b128 v[52:55], v2 offset:352
	ds_read_b128 v[56:59], v2 offset:368
	;; [unrolled: 1-line block ×4, first 2 shown]
	v_cmp_lt_u32_e32 vcc, 7, v1
	s_waitcnt vmcnt(4) lgkmcnt(3)
	v_mul_f64 v[2:3], v[52:53], v[6:7]
	v_mul_f64 v[6:7], v[54:55], v[6:7]
	s_waitcnt vmcnt(3) lgkmcnt(2)
	v_mul_f64 v[68:69], v[56:57], v[10:11]
	v_mul_f64 v[10:11], v[58:59], v[10:11]
	v_fmac_f64_e32 v[2:3], v[54:55], v[4:5]
	v_fma_f64 v[4:5], v[52:53], v[4:5], -v[6:7]
	s_waitcnt vmcnt(2) lgkmcnt(1)
	v_mul_f64 v[70:71], v[60:61], v[14:15]
	v_mul_f64 v[14:15], v[62:63], v[14:15]
	v_fmac_f64_e32 v[68:69], v[58:59], v[8:9]
	v_fma_f64 v[6:7], v[56:57], v[8:9], -v[10:11]
	v_add_f64 v[2:3], v[2:3], 0
	v_add_f64 v[4:5], v[4:5], 0
	s_waitcnt vmcnt(1) lgkmcnt(0)
	v_mul_f64 v[72:73], v[64:65], v[46:47]
	v_mul_f64 v[46:47], v[66:67], v[46:47]
	v_fmac_f64_e32 v[70:71], v[62:63], v[12:13]
	v_fma_f64 v[8:9], v[60:61], v[12:13], -v[14:15]
	v_add_f64 v[2:3], v[2:3], v[68:69]
	v_add_f64 v[4:5], v[4:5], v[6:7]
	v_fmac_f64_e32 v[72:73], v[66:67], v[44:45]
	v_fma_f64 v[10:11], v[64:65], v[44:45], -v[46:47]
	v_add_f64 v[2:3], v[2:3], v[70:71]
	v_add_f64 v[4:5], v[4:5], v[8:9]
	;; [unrolled: 1-line block ×4, first 2 shown]
	s_waitcnt vmcnt(0)
	v_add_f64 v[2:3], v[48:49], -v[2:3]
	v_add_f64 v[4:5], v[50:51], -v[6:7]
	scratch_store_dwordx4 off, v[2:5], off offset:128
	s_and_saveexec_b64 s[2:3], vcc
	s_cbranch_execz .LBB76_77
; %bb.76:
	scratch_load_dwordx4 v[2:5], off, s23
	v_mov_b32_e32 v6, 0
	v_mov_b32_e32 v7, v6
	;; [unrolled: 1-line block ×4, first 2 shown]
	scratch_store_dwordx4 off, v[6:9], off offset:112
	s_waitcnt vmcnt(1)
	ds_write_b128 v42, v[2:5]
.LBB76_77:
	s_or_b64 exec, exec, s[2:3]
	s_waitcnt lgkmcnt(0)
	; wave barrier
	scratch_load_dwordx4 v[4:7], off, off offset:128
	scratch_load_dwordx4 v[8:11], off, off offset:144
	;; [unrolled: 1-line block ×6, first 2 shown]
	v_mov_b32_e32 v2, 0
	ds_read_b128 v[56:59], v2 offset:336
	ds_read_b128 v[60:63], v2 offset:352
	;; [unrolled: 1-line block ×5, first 2 shown]
	v_cmp_lt_u32_e32 vcc, 6, v1
	s_waitcnt vmcnt(5) lgkmcnt(4)
	v_mul_f64 v[76:77], v[56:57], v[6:7]
	v_mul_f64 v[6:7], v[58:59], v[6:7]
	s_waitcnt vmcnt(4) lgkmcnt(3)
	v_mul_f64 v[78:79], v[60:61], v[10:11]
	s_waitcnt vmcnt(3) lgkmcnt(2)
	v_mul_f64 v[80:81], v[64:65], v[14:15]
	v_mul_f64 v[10:11], v[62:63], v[10:11]
	;; [unrolled: 1-line block ×3, first 2 shown]
	v_fmac_f64_e32 v[76:77], v[58:59], v[4:5]
	v_fma_f64 v[4:5], v[56:57], v[4:5], -v[6:7]
	v_fmac_f64_e32 v[78:79], v[62:63], v[8:9]
	v_fma_f64 v[6:7], v[60:61], v[8:9], -v[10:11]
	v_fma_f64 v[8:9], v[64:65], v[12:13], -v[14:15]
	v_add_f64 v[14:15], v[76:77], 0
	v_add_f64 v[4:5], v[4:5], 0
	s_waitcnt vmcnt(2) lgkmcnt(1)
	v_mul_f64 v[82:83], v[68:69], v[46:47]
	v_mul_f64 v[46:47], v[70:71], v[46:47]
	v_fmac_f64_e32 v[80:81], v[66:67], v[12:13]
	v_add_f64 v[14:15], v[14:15], v[78:79]
	v_add_f64 v[4:5], v[4:5], v[6:7]
	s_waitcnt vmcnt(1) lgkmcnt(0)
	v_mul_f64 v[84:85], v[72:73], v[50:51]
	v_mul_f64 v[50:51], v[74:75], v[50:51]
	v_fmac_f64_e32 v[82:83], v[70:71], v[44:45]
	v_fma_f64 v[10:11], v[68:69], v[44:45], -v[46:47]
	v_add_f64 v[6:7], v[14:15], v[80:81]
	v_add_f64 v[4:5], v[4:5], v[8:9]
	v_fmac_f64_e32 v[84:85], v[74:75], v[48:49]
	v_fma_f64 v[12:13], v[72:73], v[48:49], -v[50:51]
	v_add_f64 v[6:7], v[6:7], v[82:83]
	v_add_f64 v[4:5], v[4:5], v[10:11]
	;; [unrolled: 1-line block ×4, first 2 shown]
	s_waitcnt vmcnt(0)
	v_add_f64 v[4:5], v[52:53], -v[4:5]
	v_add_f64 v[6:7], v[54:55], -v[6:7]
	scratch_store_dwordx4 off, v[4:7], off offset:112
	s_and_saveexec_b64 s[2:3], vcc
	s_cbranch_execz .LBB76_79
; %bb.78:
	scratch_load_dwordx4 v[6:9], off, s24
	v_mov_b32_e32 v3, v2
	v_mov_b32_e32 v4, v2
	;; [unrolled: 1-line block ×3, first 2 shown]
	scratch_store_dwordx4 off, v[2:5], off offset:96
	s_waitcnt vmcnt(1)
	ds_write_b128 v42, v[6:9]
.LBB76_79:
	s_or_b64 exec, exec, s[2:3]
	s_waitcnt lgkmcnt(0)
	; wave barrier
	scratch_load_dwordx4 v[4:7], off, off offset:112
	scratch_load_dwordx4 v[8:11], off, off offset:128
	;; [unrolled: 1-line block ×7, first 2 shown]
	ds_read_b128 v[60:63], v2 offset:320
	ds_read_b128 v[64:67], v2 offset:336
	ds_read_b128 v[68:71], v2 offset:352
	ds_read_b128 v[72:75], v2 offset:368
	ds_read_b128 v[76:79], v2 offset:384
	ds_read_b128 v[80:83], v2 offset:400
	v_cmp_lt_u32_e32 vcc, 5, v1
	s_waitcnt vmcnt(6) lgkmcnt(5)
	v_mul_f64 v[2:3], v[60:61], v[6:7]
	v_mul_f64 v[6:7], v[62:63], v[6:7]
	s_waitcnt vmcnt(5) lgkmcnt(4)
	v_mul_f64 v[84:85], v[64:65], v[10:11]
	v_mul_f64 v[10:11], v[66:67], v[10:11]
	v_fmac_f64_e32 v[2:3], v[62:63], v[4:5]
	v_fma_f64 v[4:5], v[60:61], v[4:5], -v[6:7]
	s_waitcnt vmcnt(4) lgkmcnt(3)
	v_mul_f64 v[86:87], v[68:69], v[14:15]
	v_mul_f64 v[14:15], v[70:71], v[14:15]
	v_fmac_f64_e32 v[84:85], v[66:67], v[8:9]
	v_fma_f64 v[6:7], v[64:65], v[8:9], -v[10:11]
	v_add_f64 v[2:3], v[2:3], 0
	v_add_f64 v[4:5], v[4:5], 0
	s_waitcnt vmcnt(3) lgkmcnt(2)
	v_mul_f64 v[88:89], v[72:73], v[46:47]
	v_mul_f64 v[46:47], v[74:75], v[46:47]
	v_fmac_f64_e32 v[86:87], v[70:71], v[12:13]
	v_fma_f64 v[8:9], v[68:69], v[12:13], -v[14:15]
	v_add_f64 v[2:3], v[2:3], v[84:85]
	v_add_f64 v[4:5], v[4:5], v[6:7]
	;; [unrolled: 7-line block ×4, first 2 shown]
	v_fmac_f64_e32 v[92:93], v[82:83], v[52:53]
	v_fma_f64 v[14:15], v[80:81], v[52:53], -v[54:55]
	v_add_f64 v[2:3], v[2:3], v[90:91]
	v_add_f64 v[4:5], v[4:5], v[12:13]
	;; [unrolled: 1-line block ×4, first 2 shown]
	s_waitcnt vmcnt(0)
	v_add_f64 v[2:3], v[56:57], -v[2:3]
	v_add_f64 v[4:5], v[58:59], -v[6:7]
	scratch_store_dwordx4 off, v[2:5], off offset:96
	s_and_saveexec_b64 s[2:3], vcc
	s_cbranch_execz .LBB76_81
; %bb.80:
	scratch_load_dwordx4 v[2:5], off, s25
	v_mov_b32_e32 v6, 0
	v_mov_b32_e32 v7, v6
	;; [unrolled: 1-line block ×4, first 2 shown]
	scratch_store_dwordx4 off, v[6:9], off offset:80
	s_waitcnt vmcnt(1)
	ds_write_b128 v42, v[2:5]
.LBB76_81:
	s_or_b64 exec, exec, s[2:3]
	s_waitcnt lgkmcnt(0)
	; wave barrier
	scratch_load_dwordx4 v[4:7], off, off offset:96
	scratch_load_dwordx4 v[8:11], off, off offset:112
	;; [unrolled: 1-line block ×8, first 2 shown]
	v_mov_b32_e32 v2, 0
	ds_read_b128 v[64:67], v2 offset:304
	ds_read_b128 v[68:71], v2 offset:320
	;; [unrolled: 1-line block ×7, first 2 shown]
	v_cmp_lt_u32_e32 vcc, 4, v1
	s_waitcnt vmcnt(7) lgkmcnt(6)
	v_mul_f64 v[92:93], v[64:65], v[6:7]
	v_mul_f64 v[6:7], v[66:67], v[6:7]
	s_waitcnt vmcnt(6) lgkmcnt(5)
	v_mul_f64 v[94:95], v[68:69], v[10:11]
	s_waitcnt vmcnt(4) lgkmcnt(3)
	v_mul_f64 v[98:99], v[76:77], v[46:47]
	v_mul_f64 v[10:11], v[70:71], v[10:11]
	;; [unrolled: 1-line block ×3, first 2 shown]
	v_fmac_f64_e32 v[92:93], v[66:67], v[4:5]
	v_fma_f64 v[4:5], v[64:65], v[4:5], -v[6:7]
	v_mul_f64 v[96:97], v[72:73], v[14:15]
	v_mul_f64 v[14:15], v[74:75], v[14:15]
	v_fmac_f64_e32 v[94:95], v[70:71], v[8:9]
	v_fma_f64 v[6:7], v[68:69], v[8:9], -v[10:11]
	v_fma_f64 v[10:11], v[76:77], v[44:45], -v[46:47]
	v_add_f64 v[46:47], v[92:93], 0
	v_add_f64 v[4:5], v[4:5], 0
	v_fmac_f64_e32 v[96:97], v[74:75], v[12:13]
	v_fma_f64 v[8:9], v[72:73], v[12:13], -v[14:15]
	v_add_f64 v[46:47], v[46:47], v[94:95]
	v_add_f64 v[4:5], v[4:5], v[6:7]
	s_waitcnt vmcnt(3) lgkmcnt(2)
	v_mul_f64 v[100:101], v[80:81], v[50:51]
	v_mul_f64 v[50:51], v[82:83], v[50:51]
	v_fmac_f64_e32 v[98:99], v[78:79], v[44:45]
	v_add_f64 v[6:7], v[46:47], v[96:97]
	v_add_f64 v[4:5], v[4:5], v[8:9]
	s_waitcnt vmcnt(2) lgkmcnt(1)
	v_mul_f64 v[102:103], v[84:85], v[54:55]
	v_mul_f64 v[54:55], v[86:87], v[54:55]
	v_fmac_f64_e32 v[100:101], v[82:83], v[48:49]
	v_fma_f64 v[12:13], v[80:81], v[48:49], -v[50:51]
	v_add_f64 v[6:7], v[6:7], v[98:99]
	v_add_f64 v[4:5], v[4:5], v[10:11]
	s_waitcnt vmcnt(1) lgkmcnt(0)
	v_mul_f64 v[104:105], v[88:89], v[58:59]
	v_mul_f64 v[58:59], v[90:91], v[58:59]
	v_fmac_f64_e32 v[102:103], v[86:87], v[52:53]
	v_fma_f64 v[14:15], v[84:85], v[52:53], -v[54:55]
	v_add_f64 v[6:7], v[6:7], v[100:101]
	v_add_f64 v[4:5], v[4:5], v[12:13]
	v_fmac_f64_e32 v[104:105], v[90:91], v[56:57]
	v_fma_f64 v[44:45], v[88:89], v[56:57], -v[58:59]
	v_add_f64 v[6:7], v[6:7], v[102:103]
	v_add_f64 v[4:5], v[4:5], v[14:15]
	v_add_f64 v[6:7], v[6:7], v[104:105]
	v_add_f64 v[4:5], v[4:5], v[44:45]
	s_waitcnt vmcnt(0)
	v_add_f64 v[4:5], v[60:61], -v[4:5]
	v_add_f64 v[6:7], v[62:63], -v[6:7]
	scratch_store_dwordx4 off, v[4:7], off offset:80
	s_and_saveexec_b64 s[2:3], vcc
	s_cbranch_execz .LBB76_83
; %bb.82:
	scratch_load_dwordx4 v[6:9], off, s26
	v_mov_b32_e32 v3, v2
	v_mov_b32_e32 v4, v2
	;; [unrolled: 1-line block ×3, first 2 shown]
	scratch_store_dwordx4 off, v[2:5], off offset:64
	s_waitcnt vmcnt(1)
	ds_write_b128 v42, v[6:9]
.LBB76_83:
	s_or_b64 exec, exec, s[2:3]
	s_waitcnt lgkmcnt(0)
	; wave barrier
	scratch_load_dwordx4 v[4:7], off, off offset:80
	scratch_load_dwordx4 v[8:11], off, off offset:96
	scratch_load_dwordx4 v[12:15], off, off offset:112
	scratch_load_dwordx4 v[44:47], off, off offset:128
	scratch_load_dwordx4 v[48:51], off, off offset:144
	scratch_load_dwordx4 v[52:55], off, off offset:160
	scratch_load_dwordx4 v[56:59], off, off offset:176
	scratch_load_dwordx4 v[60:63], off, off offset:192
	scratch_load_dwordx4 v[64:67], off, off offset:64
	ds_read_b128 v[68:71], v2 offset:288
	ds_read_b128 v[72:75], v2 offset:304
	;; [unrolled: 1-line block ×8, first 2 shown]
	v_cmp_lt_u32_e32 vcc, 3, v1
	s_waitcnt vmcnt(8) lgkmcnt(7)
	v_mul_f64 v[2:3], v[68:69], v[6:7]
	v_mul_f64 v[6:7], v[70:71], v[6:7]
	s_waitcnt vmcnt(7) lgkmcnt(6)
	v_mul_f64 v[100:101], v[72:73], v[10:11]
	v_mul_f64 v[10:11], v[74:75], v[10:11]
	v_fmac_f64_e32 v[2:3], v[70:71], v[4:5]
	v_fma_f64 v[4:5], v[68:69], v[4:5], -v[6:7]
	s_waitcnt vmcnt(6) lgkmcnt(5)
	v_mul_f64 v[102:103], v[76:77], v[14:15]
	v_mul_f64 v[14:15], v[78:79], v[14:15]
	v_fmac_f64_e32 v[100:101], v[74:75], v[8:9]
	v_fma_f64 v[6:7], v[72:73], v[8:9], -v[10:11]
	v_add_f64 v[2:3], v[2:3], 0
	v_add_f64 v[4:5], v[4:5], 0
	s_waitcnt vmcnt(5) lgkmcnt(4)
	v_mul_f64 v[104:105], v[80:81], v[46:47]
	v_mul_f64 v[46:47], v[82:83], v[46:47]
	v_fmac_f64_e32 v[102:103], v[78:79], v[12:13]
	v_fma_f64 v[8:9], v[76:77], v[12:13], -v[14:15]
	v_add_f64 v[2:3], v[2:3], v[100:101]
	v_add_f64 v[4:5], v[4:5], v[6:7]
	;; [unrolled: 7-line block ×6, first 2 shown]
	v_fmac_f64_e32 v[112:113], v[98:99], v[60:61]
	v_fma_f64 v[46:47], v[96:97], v[60:61], -v[62:63]
	v_add_f64 v[2:3], v[2:3], v[110:111]
	v_add_f64 v[4:5], v[4:5], v[44:45]
	;; [unrolled: 1-line block ×4, first 2 shown]
	s_waitcnt vmcnt(0)
	v_add_f64 v[2:3], v[64:65], -v[2:3]
	v_add_f64 v[4:5], v[66:67], -v[6:7]
	scratch_store_dwordx4 off, v[2:5], off offset:64
	s_and_saveexec_b64 s[2:3], vcc
	s_cbranch_execz .LBB76_85
; %bb.84:
	scratch_load_dwordx4 v[2:5], off, s27
	v_mov_b32_e32 v6, 0
	v_mov_b32_e32 v7, v6
	;; [unrolled: 1-line block ×4, first 2 shown]
	scratch_store_dwordx4 off, v[6:9], off offset:48
	s_waitcnt vmcnt(1)
	ds_write_b128 v42, v[2:5]
.LBB76_85:
	s_or_b64 exec, exec, s[2:3]
	s_waitcnt lgkmcnt(0)
	; wave barrier
	scratch_load_dwordx4 v[4:7], off, off offset:64
	scratch_load_dwordx4 v[8:11], off, off offset:80
	;; [unrolled: 1-line block ×10, first 2 shown]
	v_mov_b32_e32 v2, 0
	ds_read_b128 v[72:75], v2 offset:272
	ds_read_b128 v[76:79], v2 offset:288
	;; [unrolled: 1-line block ×9, first 2 shown]
	v_cmp_lt_u32_e32 vcc, 2, v1
	s_waitcnt vmcnt(9) lgkmcnt(8)
	v_mul_f64 v[108:109], v[72:73], v[6:7]
	v_mul_f64 v[6:7], v[74:75], v[6:7]
	s_waitcnt vmcnt(8) lgkmcnt(7)
	v_mul_f64 v[110:111], v[76:77], v[10:11]
	s_waitcnt vmcnt(7) lgkmcnt(6)
	;; [unrolled: 2-line block ×3, first 2 shown]
	v_mul_f64 v[116:117], v[88:89], v[50:51]
	v_mul_f64 v[10:11], v[78:79], v[10:11]
	v_mul_f64 v[14:15], v[82:83], v[14:15]
	v_mul_f64 v[50:51], v[90:91], v[50:51]
	v_fmac_f64_e32 v[108:109], v[74:75], v[4:5]
	v_fma_f64 v[4:5], v[72:73], v[4:5], -v[6:7]
	v_fmac_f64_e32 v[110:111], v[78:79], v[8:9]
	v_fmac_f64_e32 v[112:113], v[82:83], v[12:13]
	v_fma_f64 v[6:7], v[76:77], v[8:9], -v[10:11]
	v_fma_f64 v[8:9], v[80:81], v[12:13], -v[14:15]
	;; [unrolled: 1-line block ×3, first 2 shown]
	v_add_f64 v[50:51], v[108:109], 0
	v_add_f64 v[4:5], v[4:5], 0
	v_mul_f64 v[114:115], v[84:85], v[46:47]
	v_mul_f64 v[46:47], v[86:87], v[46:47]
	v_add_f64 v[50:51], v[50:51], v[110:111]
	v_add_f64 v[4:5], v[4:5], v[6:7]
	v_fmac_f64_e32 v[114:115], v[86:87], v[44:45]
	v_fma_f64 v[10:11], v[84:85], v[44:45], -v[46:47]
	v_add_f64 v[6:7], v[50:51], v[112:113]
	v_add_f64 v[4:5], v[4:5], v[8:9]
	s_waitcnt vmcnt(4) lgkmcnt(3)
	v_mul_f64 v[118:119], v[92:93], v[54:55]
	v_mul_f64 v[54:55], v[94:95], v[54:55]
	v_fmac_f64_e32 v[116:117], v[90:91], v[48:49]
	v_add_f64 v[6:7], v[6:7], v[114:115]
	v_add_f64 v[4:5], v[4:5], v[10:11]
	s_waitcnt vmcnt(3) lgkmcnt(2)
	v_mul_f64 v[120:121], v[96:97], v[58:59]
	v_mul_f64 v[58:59], v[98:99], v[58:59]
	v_fmac_f64_e32 v[118:119], v[94:95], v[52:53]
	v_fma_f64 v[14:15], v[92:93], v[52:53], -v[54:55]
	v_add_f64 v[6:7], v[6:7], v[116:117]
	v_add_f64 v[4:5], v[4:5], v[12:13]
	s_waitcnt vmcnt(2) lgkmcnt(1)
	v_mul_f64 v[122:123], v[100:101], v[62:63]
	v_mul_f64 v[62:63], v[102:103], v[62:63]
	v_fmac_f64_e32 v[120:121], v[98:99], v[56:57]
	v_fma_f64 v[44:45], v[96:97], v[56:57], -v[58:59]
	;; [unrolled: 7-line block ×3, first 2 shown]
	v_add_f64 v[6:7], v[6:7], v[120:121]
	v_add_f64 v[4:5], v[4:5], v[44:45]
	v_fmac_f64_e32 v[124:125], v[106:107], v[64:65]
	v_fma_f64 v[48:49], v[104:105], v[64:65], -v[66:67]
	v_add_f64 v[6:7], v[6:7], v[122:123]
	v_add_f64 v[4:5], v[4:5], v[46:47]
	;; [unrolled: 1-line block ×4, first 2 shown]
	s_waitcnt vmcnt(0)
	v_add_f64 v[4:5], v[68:69], -v[4:5]
	v_add_f64 v[6:7], v[70:71], -v[6:7]
	scratch_store_dwordx4 off, v[4:7], off offset:48
	s_and_saveexec_b64 s[2:3], vcc
	s_cbranch_execz .LBB76_87
; %bb.86:
	scratch_load_dwordx4 v[6:9], off, s28
	v_mov_b32_e32 v3, v2
	v_mov_b32_e32 v4, v2
	;; [unrolled: 1-line block ×3, first 2 shown]
	scratch_store_dwordx4 off, v[2:5], off offset:32
	s_waitcnt vmcnt(1)
	ds_write_b128 v42, v[6:9]
.LBB76_87:
	s_or_b64 exec, exec, s[2:3]
	s_waitcnt lgkmcnt(0)
	; wave barrier
	scratch_load_dwordx4 v[4:7], off, off offset:48
	scratch_load_dwordx4 v[8:11], off, off offset:64
	;; [unrolled: 1-line block ×11, first 2 shown]
	ds_read_b128 v[76:79], v2 offset:256
	ds_read_b128 v[80:83], v2 offset:272
	;; [unrolled: 1-line block ×10, first 2 shown]
	v_cmp_lt_u32_e32 vcc, 1, v1
	s_waitcnt vmcnt(10) lgkmcnt(9)
	v_mul_f64 v[2:3], v[76:77], v[6:7]
	v_mul_f64 v[6:7], v[78:79], v[6:7]
	s_waitcnt vmcnt(9) lgkmcnt(8)
	v_mul_f64 v[116:117], v[80:81], v[10:11]
	v_mul_f64 v[10:11], v[82:83], v[10:11]
	v_fmac_f64_e32 v[2:3], v[78:79], v[4:5]
	v_fma_f64 v[4:5], v[76:77], v[4:5], -v[6:7]
	s_waitcnt vmcnt(8) lgkmcnt(7)
	v_mul_f64 v[118:119], v[84:85], v[14:15]
	v_mul_f64 v[14:15], v[86:87], v[14:15]
	v_fmac_f64_e32 v[116:117], v[82:83], v[8:9]
	v_fma_f64 v[6:7], v[80:81], v[8:9], -v[10:11]
	v_add_f64 v[2:3], v[2:3], 0
	v_add_f64 v[4:5], v[4:5], 0
	s_waitcnt vmcnt(7) lgkmcnt(6)
	v_mul_f64 v[120:121], v[88:89], v[46:47]
	v_mul_f64 v[46:47], v[90:91], v[46:47]
	v_fmac_f64_e32 v[118:119], v[86:87], v[12:13]
	v_fma_f64 v[8:9], v[84:85], v[12:13], -v[14:15]
	v_add_f64 v[2:3], v[2:3], v[116:117]
	v_add_f64 v[4:5], v[4:5], v[6:7]
	;; [unrolled: 7-line block ×8, first 2 shown]
	v_fmac_f64_e32 v[132:133], v[114:115], v[68:69]
	v_fma_f64 v[50:51], v[112:113], v[68:69], -v[70:71]
	v_add_f64 v[2:3], v[2:3], v[130:131]
	v_add_f64 v[4:5], v[4:5], v[48:49]
	;; [unrolled: 1-line block ×4, first 2 shown]
	s_waitcnt vmcnt(0)
	v_add_f64 v[2:3], v[72:73], -v[2:3]
	v_add_f64 v[4:5], v[74:75], -v[6:7]
	scratch_store_dwordx4 off, v[2:5], off offset:32
	s_and_saveexec_b64 s[2:3], vcc
	s_cbranch_execz .LBB76_89
; %bb.88:
	scratch_load_dwordx4 v[2:5], off, s29
	v_mov_b32_e32 v6, 0
	v_mov_b32_e32 v7, v6
	;; [unrolled: 1-line block ×4, first 2 shown]
	scratch_store_dwordx4 off, v[6:9], off offset:16
	s_waitcnt vmcnt(1)
	ds_write_b128 v42, v[2:5]
.LBB76_89:
	s_or_b64 exec, exec, s[2:3]
	s_waitcnt lgkmcnt(0)
	; wave barrier
	scratch_load_dwordx4 v[4:7], off, off offset:32
	scratch_load_dwordx4 v[8:11], off, off offset:48
	;; [unrolled: 1-line block ×12, first 2 shown]
	v_mov_b32_e32 v2, 0
	ds_read_b128 v[80:83], v2 offset:240
	ds_read_b128 v[84:87], v2 offset:256
	;; [unrolled: 1-line block ×11, first 2 shown]
	v_cmp_ne_u32_e32 vcc, 0, v1
	s_waitcnt vmcnt(11) lgkmcnt(10)
	v_mul_f64 v[124:125], v[80:81], v[6:7]
	v_mul_f64 v[6:7], v[82:83], v[6:7]
	s_waitcnt vmcnt(10) lgkmcnt(9)
	v_mul_f64 v[126:127], v[84:85], v[10:11]
	s_waitcnt vmcnt(9) lgkmcnt(8)
	v_mul_f64 v[128:129], v[88:89], v[14:15]
	v_mul_f64 v[10:11], v[86:87], v[10:11]
	s_waitcnt vmcnt(6) lgkmcnt(5)
	v_mul_f64 v[134:135], v[100:101], v[54:55]
	v_mul_f64 v[14:15], v[90:91], v[14:15]
	;; [unrolled: 1-line block ×3, first 2 shown]
	v_fmac_f64_e32 v[124:125], v[82:83], v[4:5]
	v_fma_f64 v[4:5], v[80:81], v[4:5], -v[6:7]
	v_fmac_f64_e32 v[126:127], v[86:87], v[8:9]
	v_fma_f64 v[6:7], v[84:85], v[8:9], -v[10:11]
	v_fma_f64 v[8:9], v[88:89], v[12:13], -v[14:15]
	;; [unrolled: 1-line block ×3, first 2 shown]
	v_add_f64 v[54:55], v[124:125], 0
	v_add_f64 v[4:5], v[4:5], 0
	v_mul_f64 v[130:131], v[92:93], v[46:47]
	v_mul_f64 v[46:47], v[94:95], v[46:47]
	v_fmac_f64_e32 v[128:129], v[90:91], v[12:13]
	v_add_f64 v[54:55], v[54:55], v[126:127]
	v_add_f64 v[4:5], v[4:5], v[6:7]
	v_mul_f64 v[132:133], v[96:97], v[50:51]
	v_mul_f64 v[50:51], v[98:99], v[50:51]
	v_fmac_f64_e32 v[130:131], v[94:95], v[44:45]
	v_fma_f64 v[10:11], v[92:93], v[44:45], -v[46:47]
	v_add_f64 v[6:7], v[54:55], v[128:129]
	v_add_f64 v[4:5], v[4:5], v[8:9]
	v_fmac_f64_e32 v[132:133], v[98:99], v[48:49]
	v_fma_f64 v[12:13], v[96:97], v[48:49], -v[50:51]
	v_add_f64 v[6:7], v[6:7], v[130:131]
	v_add_f64 v[4:5], v[4:5], v[10:11]
	s_waitcnt vmcnt(5) lgkmcnt(4)
	v_mul_f64 v[136:137], v[104:105], v[58:59]
	v_mul_f64 v[58:59], v[106:107], v[58:59]
	v_fmac_f64_e32 v[134:135], v[102:103], v[52:53]
	v_add_f64 v[6:7], v[6:7], v[132:133]
	v_add_f64 v[4:5], v[4:5], v[12:13]
	s_waitcnt vmcnt(4) lgkmcnt(3)
	v_mul_f64 v[138:139], v[108:109], v[62:63]
	v_mul_f64 v[62:63], v[110:111], v[62:63]
	v_fmac_f64_e32 v[136:137], v[106:107], v[56:57]
	v_fma_f64 v[44:45], v[104:105], v[56:57], -v[58:59]
	v_add_f64 v[6:7], v[6:7], v[134:135]
	v_add_f64 v[4:5], v[4:5], v[14:15]
	s_waitcnt vmcnt(3) lgkmcnt(2)
	v_mul_f64 v[140:141], v[112:113], v[66:67]
	v_mul_f64 v[66:67], v[114:115], v[66:67]
	v_fmac_f64_e32 v[138:139], v[110:111], v[60:61]
	v_fma_f64 v[46:47], v[108:109], v[60:61], -v[62:63]
	v_add_f64 v[6:7], v[6:7], v[136:137]
	v_add_f64 v[4:5], v[4:5], v[44:45]
	s_waitcnt vmcnt(2) lgkmcnt(1)
	v_mul_f64 v[142:143], v[116:117], v[70:71]
	v_mul_f64 v[70:71], v[118:119], v[70:71]
	v_fmac_f64_e32 v[140:141], v[114:115], v[64:65]
	v_fma_f64 v[48:49], v[112:113], v[64:65], -v[66:67]
	v_add_f64 v[6:7], v[6:7], v[138:139]
	v_add_f64 v[4:5], v[4:5], v[46:47]
	s_waitcnt vmcnt(1) lgkmcnt(0)
	v_mul_f64 v[144:145], v[120:121], v[74:75]
	v_mul_f64 v[74:75], v[122:123], v[74:75]
	v_fmac_f64_e32 v[142:143], v[118:119], v[68:69]
	v_fma_f64 v[50:51], v[116:117], v[68:69], -v[70:71]
	v_add_f64 v[6:7], v[6:7], v[140:141]
	v_add_f64 v[4:5], v[4:5], v[48:49]
	v_fmac_f64_e32 v[144:145], v[122:123], v[72:73]
	v_fma_f64 v[52:53], v[120:121], v[72:73], -v[74:75]
	v_add_f64 v[6:7], v[6:7], v[142:143]
	v_add_f64 v[4:5], v[4:5], v[50:51]
	;; [unrolled: 1-line block ×4, first 2 shown]
	s_waitcnt vmcnt(0)
	v_add_f64 v[4:5], v[76:77], -v[4:5]
	v_add_f64 v[6:7], v[78:79], -v[6:7]
	scratch_store_dwordx4 off, v[4:7], off offset:16
	s_and_saveexec_b64 s[2:3], vcc
	s_cbranch_execz .LBB76_91
; %bb.90:
	scratch_load_dwordx4 v[6:9], off, off
	v_mov_b32_e32 v3, v2
	v_mov_b32_e32 v4, v2
	v_mov_b32_e32 v5, v2
	scratch_store_dwordx4 off, v[2:5], off
	s_waitcnt vmcnt(1)
	ds_write_b128 v42, v[6:9]
.LBB76_91:
	s_or_b64 exec, exec, s[2:3]
	s_waitcnt lgkmcnt(0)
	; wave barrier
	scratch_load_dwordx4 v[4:7], off, off offset:16
	scratch_load_dwordx4 v[8:11], off, off offset:32
	;; [unrolled: 1-line block ×12, first 2 shown]
	ds_read_b128 v[78:81], v2 offset:224
	ds_read_b128 v[82:85], v2 offset:240
	;; [unrolled: 1-line block ×4, first 2 shown]
	scratch_load_dwordx4 v[94:97], off, off
	ds_read_b128 v[98:101], v2 offset:288
	ds_read_b128 v[102:105], v2 offset:304
	;; [unrolled: 1-line block ×8, first 2 shown]
	s_and_b64 vcc, exec, s[14:15]
	s_waitcnt vmcnt(12) lgkmcnt(11)
	v_mul_f64 v[2:3], v[78:79], v[6:7]
	s_waitcnt vmcnt(11) lgkmcnt(10)
	v_mul_f64 v[130:131], v[82:83], v[10:11]
	v_fmac_f64_e32 v[2:3], v[80:81], v[4:5]
	s_waitcnt vmcnt(10) lgkmcnt(9)
	v_mul_f64 v[132:133], v[86:87], v[14:15]
	v_mul_f64 v[6:7], v[80:81], v[6:7]
	v_fmac_f64_e32 v[130:131], v[84:85], v[8:9]
	v_add_f64 v[2:3], v[2:3], 0
	s_waitcnt vmcnt(9) lgkmcnt(8)
	v_mul_f64 v[134:135], v[90:91], v[44:45]
	v_mul_f64 v[10:11], v[84:85], v[10:11]
	v_fma_f64 v[4:5], v[78:79], v[4:5], -v[6:7]
	v_fmac_f64_e32 v[132:133], v[88:89], v[12:13]
	v_add_f64 v[2:3], v[2:3], v[130:131]
	s_waitcnt vmcnt(8) lgkmcnt(7)
	v_mul_f64 v[136:137], v[98:99], v[48:49]
	v_mul_f64 v[14:15], v[88:89], v[14:15]
	v_fma_f64 v[6:7], v[82:83], v[8:9], -v[10:11]
	v_fmac_f64_e32 v[134:135], v[92:93], v[42:43]
	v_add_f64 v[4:5], v[4:5], 0
	v_add_f64 v[2:3], v[2:3], v[132:133]
	s_waitcnt vmcnt(7) lgkmcnt(6)
	v_mul_f64 v[138:139], v[102:103], v[52:53]
	v_mul_f64 v[44:45], v[92:93], v[44:45]
	v_fma_f64 v[8:9], v[86:87], v[12:13], -v[14:15]
	v_fmac_f64_e32 v[136:137], v[100:101], v[46:47]
	v_add_f64 v[4:5], v[4:5], v[6:7]
	;; [unrolled: 7-line block ×3, first 2 shown]
	v_add_f64 v[2:3], v[2:3], v[136:137]
	s_waitcnt vmcnt(5) lgkmcnt(4)
	v_mul_f64 v[142:143], v[110:111], v[60:61]
	v_mul_f64 v[52:53], v[104:105], v[52:53]
	v_fmac_f64_e32 v[140:141], v[108:109], v[54:55]
	v_fma_f64 v[12:13], v[98:99], v[46:47], -v[48:49]
	v_add_f64 v[4:5], v[4:5], v[10:11]
	v_add_f64 v[2:3], v[2:3], v[138:139]
	s_waitcnt vmcnt(4) lgkmcnt(3)
	v_mul_f64 v[144:145], v[114:115], v[64:65]
	v_mul_f64 v[56:57], v[108:109], v[56:57]
	v_fmac_f64_e32 v[142:143], v[112:113], v[58:59]
	v_fma_f64 v[14:15], v[102:103], v[50:51], -v[52:53]
	v_add_f64 v[4:5], v[4:5], v[12:13]
	;; [unrolled: 7-line block ×5, first 2 shown]
	v_add_f64 v[2:3], v[2:3], v[146:147]
	v_mul_f64 v[72:73], v[124:125], v[72:73]
	v_fmac_f64_e32 v[150:151], v[128:129], v[74:75]
	v_fma_f64 v[48:49], v[118:119], v[66:67], -v[68:69]
	v_add_f64 v[4:5], v[4:5], v[46:47]
	v_add_f64 v[2:3], v[2:3], v[148:149]
	;; [unrolled: 1-line block ×4, first 2 shown]
	v_fma_f64 v[2:3], v[122:123], v[70:71], -v[72:73]
	v_add_f64 v[2:3], v[4:5], v[2:3]
	v_mul_f64 v[4:5], v[128:129], v[76:77]
	v_fma_f64 v[4:5], v[126:127], v[74:75], -v[4:5]
	v_add_f64 v[2:3], v[2:3], v[4:5]
	s_waitcnt vmcnt(0)
	v_add_f64 v[2:3], v[94:95], -v[2:3]
	v_add_f64 v[4:5], v[96:97], -v[6:7]
	scratch_store_dwordx4 off, v[2:5], off
	s_cbranch_vccz .LBB76_116
; %bb.92:
	s_nop 0
	v_mov_b32_e32 v2, 0
	global_load_dword v3, v2, s[12:13] offset:44
	s_load_dwordx2 s[2:3], s[0:1], 0x4
	v_bfe_u32 v4, v0, 10, 10
	v_bfe_u32 v0, v0, 20, 10
	s_waitcnt lgkmcnt(0)
	s_lshr_b32 s0, s2, 16
	s_mul_i32 s0, s0, s3
	v_mul_u32_u24_e32 v1, s0, v1
	v_mul_u32_u24_e32 v4, s3, v4
	v_add3_u32 v0, v1, v4, v0
	v_mov_b32_e32 v1, 0x1a8
	v_lshl_add_u32 v0, v0, 4, v1
	s_waitcnt vmcnt(0)
	v_readfirstlane_b32 s0, v3
	s_add_i32 s0, s0, -1
	s_cmp_lg_u32 s0, 11
	s_cbranch_scc0 .LBB76_94
; %bb.93:
	s_lshl_b32 s0, s0, 4
	scratch_load_dwordx4 v[4:7], off, s19
	scratch_load_dwordx4 v[8:11], off, s0
	s_waitcnt vmcnt(1)
	ds_write2_b64 v0, v[4:5], v[6:7] offset1:1
	s_waitcnt vmcnt(0)
	scratch_store_dwordx4 off, v[8:11], s19
	scratch_store_dwordx4 off, v[4:7], s0
.LBB76_94:
	global_load_dword v1, v2, s[12:13] offset:40
	s_waitcnt vmcnt(0)
	v_readfirstlane_b32 s0, v1
	s_add_i32 s0, s0, -1
	s_cmp_eq_u32 s0, 10
	s_cbranch_scc1 .LBB76_96
; %bb.95:
	s_lshl_b32 s0, s0, 4
	scratch_load_dwordx4 v[2:5], off, s20
	scratch_load_dwordx4 v[6:9], off, s0
	s_waitcnt vmcnt(1)
	ds_write2_b64 v0, v[2:3], v[4:5] offset1:1
	s_waitcnt vmcnt(0)
	scratch_store_dwordx4 off, v[6:9], s20
	scratch_store_dwordx4 off, v[2:5], s0
.LBB76_96:
	v_mov_b32_e32 v1, 0
	global_load_dword v2, v1, s[12:13] offset:36
	s_waitcnt vmcnt(0)
	v_readfirstlane_b32 s0, v2
	s_add_i32 s0, s0, -1
	s_cmp_eq_u32 s0, 9
	s_cbranch_scc1 .LBB76_98
; %bb.97:
	s_lshl_b32 s0, s0, 4
	scratch_load_dwordx4 v[2:5], off, s21
	scratch_load_dwordx4 v[6:9], off, s0
	s_waitcnt vmcnt(1)
	ds_write2_b64 v0, v[2:3], v[4:5] offset1:1
	s_waitcnt vmcnt(0)
	scratch_store_dwordx4 off, v[6:9], s21
	scratch_store_dwordx4 off, v[2:5], s0
.LBB76_98:
	global_load_dword v1, v1, s[12:13] offset:32
	s_waitcnt vmcnt(0)
	v_readfirstlane_b32 s0, v1
	s_add_i32 s0, s0, -1
	s_cmp_eq_u32 s0, 8
	s_cbranch_scc1 .LBB76_100
; %bb.99:
	s_lshl_b32 s0, s0, 4
	scratch_load_dwordx4 v[2:5], off, s22
	scratch_load_dwordx4 v[6:9], off, s0
	s_waitcnt vmcnt(1)
	ds_write2_b64 v0, v[2:3], v[4:5] offset1:1
	s_waitcnt vmcnt(0)
	scratch_store_dwordx4 off, v[6:9], s22
	scratch_store_dwordx4 off, v[2:5], s0
.LBB76_100:
	v_mov_b32_e32 v1, 0
	global_load_dword v2, v1, s[12:13] offset:28
	s_waitcnt vmcnt(0)
	v_readfirstlane_b32 s0, v2
	s_add_i32 s0, s0, -1
	s_cmp_eq_u32 s0, 7
	s_cbranch_scc1 .LBB76_102
; %bb.101:
	s_lshl_b32 s0, s0, 4
	scratch_load_dwordx4 v[2:5], off, s23
	scratch_load_dwordx4 v[6:9], off, s0
	s_waitcnt vmcnt(1)
	ds_write2_b64 v0, v[2:3], v[4:5] offset1:1
	s_waitcnt vmcnt(0)
	scratch_store_dwordx4 off, v[6:9], s23
	scratch_store_dwordx4 off, v[2:5], s0
.LBB76_102:
	;; [unrolled: 33-line block ×5, first 2 shown]
	global_load_dword v1, v1, s[12:13]
	s_waitcnt vmcnt(0)
	v_readfirstlane_b32 s0, v1
	s_add_i32 s0, s0, -1
	s_cmp_eq_u32 s0, 0
	s_cbranch_scc1 .LBB76_116
; %bb.115:
	s_lshl_b32 s0, s0, 4
	scratch_load_dwordx4 v[2:5], off, off
	scratch_load_dwordx4 v[6:9], off, s0
	s_waitcnt vmcnt(1)
	ds_write2_b64 v0, v[2:3], v[4:5] offset1:1
	s_waitcnt vmcnt(0)
	scratch_store_dwordx4 off, v[6:9], off
	scratch_store_dwordx4 off, v[2:5], s0
.LBB76_116:
	scratch_load_dwordx4 v[0:3], off, off
	s_waitcnt vmcnt(0)
	flat_store_dwordx4 v[16:17], v[0:3]
	scratch_load_dwordx4 v[0:3], off, s29
	s_waitcnt vmcnt(0)
	flat_store_dwordx4 v[18:19], v[0:3]
	scratch_load_dwordx4 v[0:3], off, s28
	;; [unrolled: 3-line block ×12, first 2 shown]
	s_waitcnt vmcnt(0)
	flat_store_dwordx4 v[40:41], v[0:3]
	s_endpgm
	.section	.rodata,"a",@progbits
	.p2align	6, 0x0
	.amdhsa_kernel _ZN9rocsolver6v33100L18getri_kernel_smallILi13E19rocblas_complex_numIdEPKPS3_EEvT1_iilPiilS8_bb
		.amdhsa_group_segment_fixed_size 1448
		.amdhsa_private_segment_fixed_size 224
		.amdhsa_kernarg_size 60
		.amdhsa_user_sgpr_count 4
		.amdhsa_user_sgpr_dispatch_ptr 1
		.amdhsa_user_sgpr_queue_ptr 0
		.amdhsa_user_sgpr_kernarg_segment_ptr 1
		.amdhsa_user_sgpr_dispatch_id 0
		.amdhsa_user_sgpr_kernarg_preload_length 0
		.amdhsa_user_sgpr_kernarg_preload_offset 0
		.amdhsa_user_sgpr_private_segment_size 0
		.amdhsa_uses_dynamic_stack 0
		.amdhsa_enable_private_segment 1
		.amdhsa_system_sgpr_workgroup_id_x 1
		.amdhsa_system_sgpr_workgroup_id_y 0
		.amdhsa_system_sgpr_workgroup_id_z 0
		.amdhsa_system_sgpr_workgroup_info 0
		.amdhsa_system_vgpr_workitem_id 2
		.amdhsa_next_free_vgpr 152
		.amdhsa_next_free_sgpr 31
		.amdhsa_accum_offset 152
		.amdhsa_reserve_vcc 1
		.amdhsa_float_round_mode_32 0
		.amdhsa_float_round_mode_16_64 0
		.amdhsa_float_denorm_mode_32 3
		.amdhsa_float_denorm_mode_16_64 3
		.amdhsa_dx10_clamp 1
		.amdhsa_ieee_mode 1
		.amdhsa_fp16_overflow 0
		.amdhsa_tg_split 0
		.amdhsa_exception_fp_ieee_invalid_op 0
		.amdhsa_exception_fp_denorm_src 0
		.amdhsa_exception_fp_ieee_div_zero 0
		.amdhsa_exception_fp_ieee_overflow 0
		.amdhsa_exception_fp_ieee_underflow 0
		.amdhsa_exception_fp_ieee_inexact 0
		.amdhsa_exception_int_div_zero 0
	.end_amdhsa_kernel
	.section	.text._ZN9rocsolver6v33100L18getri_kernel_smallILi13E19rocblas_complex_numIdEPKPS3_EEvT1_iilPiilS8_bb,"axG",@progbits,_ZN9rocsolver6v33100L18getri_kernel_smallILi13E19rocblas_complex_numIdEPKPS3_EEvT1_iilPiilS8_bb,comdat
.Lfunc_end76:
	.size	_ZN9rocsolver6v33100L18getri_kernel_smallILi13E19rocblas_complex_numIdEPKPS3_EEvT1_iilPiilS8_bb, .Lfunc_end76-_ZN9rocsolver6v33100L18getri_kernel_smallILi13E19rocblas_complex_numIdEPKPS3_EEvT1_iilPiilS8_bb
                                        ; -- End function
	.set _ZN9rocsolver6v33100L18getri_kernel_smallILi13E19rocblas_complex_numIdEPKPS3_EEvT1_iilPiilS8_bb.num_vgpr, 152
	.set _ZN9rocsolver6v33100L18getri_kernel_smallILi13E19rocblas_complex_numIdEPKPS3_EEvT1_iilPiilS8_bb.num_agpr, 0
	.set _ZN9rocsolver6v33100L18getri_kernel_smallILi13E19rocblas_complex_numIdEPKPS3_EEvT1_iilPiilS8_bb.numbered_sgpr, 31
	.set _ZN9rocsolver6v33100L18getri_kernel_smallILi13E19rocblas_complex_numIdEPKPS3_EEvT1_iilPiilS8_bb.num_named_barrier, 0
	.set _ZN9rocsolver6v33100L18getri_kernel_smallILi13E19rocblas_complex_numIdEPKPS3_EEvT1_iilPiilS8_bb.private_seg_size, 224
	.set _ZN9rocsolver6v33100L18getri_kernel_smallILi13E19rocblas_complex_numIdEPKPS3_EEvT1_iilPiilS8_bb.uses_vcc, 1
	.set _ZN9rocsolver6v33100L18getri_kernel_smallILi13E19rocblas_complex_numIdEPKPS3_EEvT1_iilPiilS8_bb.uses_flat_scratch, 0
	.set _ZN9rocsolver6v33100L18getri_kernel_smallILi13E19rocblas_complex_numIdEPKPS3_EEvT1_iilPiilS8_bb.has_dyn_sized_stack, 0
	.set _ZN9rocsolver6v33100L18getri_kernel_smallILi13E19rocblas_complex_numIdEPKPS3_EEvT1_iilPiilS8_bb.has_recursion, 0
	.set _ZN9rocsolver6v33100L18getri_kernel_smallILi13E19rocblas_complex_numIdEPKPS3_EEvT1_iilPiilS8_bb.has_indirect_call, 0
	.section	.AMDGPU.csdata,"",@progbits
; Kernel info:
; codeLenInByte = 11556
; TotalNumSgprs: 37
; NumVgprs: 152
; NumAgprs: 0
; TotalNumVgprs: 152
; ScratchSize: 224
; MemoryBound: 0
; FloatMode: 240
; IeeeMode: 1
; LDSByteSize: 1448 bytes/workgroup (compile time only)
; SGPRBlocks: 4
; VGPRBlocks: 18
; NumSGPRsForWavesPerEU: 37
; NumVGPRsForWavesPerEU: 152
; AccumOffset: 152
; Occupancy: 3
; WaveLimiterHint : 1
; COMPUTE_PGM_RSRC2:SCRATCH_EN: 1
; COMPUTE_PGM_RSRC2:USER_SGPR: 4
; COMPUTE_PGM_RSRC2:TRAP_HANDLER: 0
; COMPUTE_PGM_RSRC2:TGID_X_EN: 1
; COMPUTE_PGM_RSRC2:TGID_Y_EN: 0
; COMPUTE_PGM_RSRC2:TGID_Z_EN: 0
; COMPUTE_PGM_RSRC2:TIDIG_COMP_CNT: 2
; COMPUTE_PGM_RSRC3_GFX90A:ACCUM_OFFSET: 37
; COMPUTE_PGM_RSRC3_GFX90A:TG_SPLIT: 0
	.section	.text._ZN9rocsolver6v33100L18getri_kernel_smallILi14E19rocblas_complex_numIdEPKPS3_EEvT1_iilPiilS8_bb,"axG",@progbits,_ZN9rocsolver6v33100L18getri_kernel_smallILi14E19rocblas_complex_numIdEPKPS3_EEvT1_iilPiilS8_bb,comdat
	.globl	_ZN9rocsolver6v33100L18getri_kernel_smallILi14E19rocblas_complex_numIdEPKPS3_EEvT1_iilPiilS8_bb ; -- Begin function _ZN9rocsolver6v33100L18getri_kernel_smallILi14E19rocblas_complex_numIdEPKPS3_EEvT1_iilPiilS8_bb
	.p2align	8
	.type	_ZN9rocsolver6v33100L18getri_kernel_smallILi14E19rocblas_complex_numIdEPKPS3_EEvT1_iilPiilS8_bb,@function
_ZN9rocsolver6v33100L18getri_kernel_smallILi14E19rocblas_complex_numIdEPKPS3_EEvT1_iilPiilS8_bb: ; @_ZN9rocsolver6v33100L18getri_kernel_smallILi14E19rocblas_complex_numIdEPKPS3_EEvT1_iilPiilS8_bb
; %bb.0:
	v_and_b32_e32 v1, 0x3ff, v0
	v_cmp_gt_u32_e32 vcc, 14, v1
	s_and_saveexec_b64 s[6:7], vcc
	s_cbranch_execz .LBB77_70
; %bb.1:
	s_load_dword s18, s[2:3], 0x38
	s_load_dwordx2 s[6:7], s[2:3], 0x0
	s_load_dwordx4 s[8:11], s[2:3], 0x28
	s_waitcnt lgkmcnt(0)
	s_bitcmp1_b32 s18, 8
	s_cselect_b64 s[14:15], -1, 0
	s_ashr_i32 s5, s4, 31
	s_lshl_b64 s[12:13], s[4:5], 3
	s_add_u32 s6, s6, s12
	s_addc_u32 s7, s7, s13
	s_load_dwordx2 s[16:17], s[6:7], 0x0
	s_bfe_u32 s6, s18, 0x10008
	s_cmp_eq_u32 s6, 0
                                        ; implicit-def: $sgpr12_sgpr13
	s_cbranch_scc1 .LBB77_3
; %bb.2:
	s_load_dword s6, s[2:3], 0x20
	s_load_dwordx2 s[12:13], s[2:3], 0x18
	s_mul_i32 s7, s8, s5
	s_mul_hi_u32 s18, s8, s4
	s_add_i32 s18, s18, s7
	s_mul_i32 s9, s9, s4
	s_add_i32 s9, s18, s9
	s_mul_i32 s8, s8, s4
	s_waitcnt lgkmcnt(0)
	s_ashr_i32 s7, s6, 31
	s_lshl_b64 s[8:9], s[8:9], 2
	s_add_u32 s8, s12, s8
	s_addc_u32 s9, s13, s9
	s_lshl_b64 s[6:7], s[6:7], 2
	s_add_u32 s12, s8, s6
	s_addc_u32 s13, s9, s7
.LBB77_3:
	s_load_dwordx2 s[6:7], s[2:3], 0x8
	s_load_dword s31, s[2:3], 0x38
	v_lshlrev_b32_e32 v14, 4, v1
	v_mov_b32_e32 v15, 0
	s_movk_i32 s26, 0x50
	s_waitcnt lgkmcnt(0)
	s_ashr_i32 s3, s6, 31
	s_mov_b32 s2, s6
	s_lshl_b64 s[2:3], s[2:3], 4
	s_add_u32 s2, s16, s2
	s_addc_u32 s3, s17, s3
	v_lshl_add_u64 v[16:17], s[2:3], 0, v[14:15]
	flat_load_dwordx4 v[2:5], v[16:17]
	s_mov_b32 s8, s7
	s_ashr_i32 s9, s7, 31
	v_lshl_add_u64 v[18:19], s[8:9], 4, v[16:17]
	s_add_i32 s6, s7, s7
	v_add_u32_e32 v6, s6, v1
	v_ashrrev_i32_e32 v7, 31, v6
	v_lshl_add_u64 v[20:21], v[6:7], 4, s[2:3]
	v_add_u32_e32 v6, s7, v6
	v_ashrrev_i32_e32 v7, 31, v6
	v_lshl_add_u64 v[22:23], v[6:7], 4, s[2:3]
	;; [unrolled: 3-line block ×12, first 2 shown]
	s_movk_i32 s25, 0x60
	s_movk_i32 s24, 0x70
	;; [unrolled: 1-line block ×8, first 2 shown]
	s_mov_b32 s30, 16
	s_mov_b32 s29, 32
	;; [unrolled: 1-line block ×4, first 2 shown]
	s_bitcmp0_b32 s31, 0
	s_mov_b64 s[6:7], -1
	s_waitcnt vmcnt(0) lgkmcnt(0)
	scratch_store_dwordx4 off, v[2:5], off
	flat_load_dwordx4 v[2:5], v[18:19]
	s_waitcnt vmcnt(0) lgkmcnt(0)
	scratch_store_dwordx4 off, v[2:5], off offset:16
	flat_load_dwordx4 v[2:5], v[20:21]
	s_waitcnt vmcnt(0) lgkmcnt(0)
	scratch_store_dwordx4 off, v[2:5], off offset:32
	;; [unrolled: 3-line block ×13, first 2 shown]
	s_cbranch_scc1 .LBB77_68
; %bb.4:
	v_cmp_eq_u32_e64 s[2:3], 0, v1
	s_and_saveexec_b64 s[6:7], s[2:3]
; %bb.5:
	v_mov_b32_e32 v2, 0
	ds_write_b32 v2, v2 offset:448
; %bb.6:
	s_or_b64 exec, exec, s[6:7]
	s_waitcnt lgkmcnt(0)
	; wave barrier
	scratch_load_dwordx4 v[2:5], v14, off
	s_waitcnt vmcnt(0)
	v_cmp_eq_f64_e32 vcc, 0, v[2:3]
	v_cmp_eq_f64_e64 s[6:7], 0, v[4:5]
	s_and_b64 s[6:7], vcc, s[6:7]
	s_and_saveexec_b64 s[8:9], s[6:7]
	s_cbranch_execz .LBB77_10
; %bb.7:
	v_mov_b32_e32 v2, 0
	ds_read_b32 v4, v2 offset:448
	v_add_u32_e32 v3, 1, v1
	s_waitcnt lgkmcnt(0)
	v_readfirstlane_b32 s6, v4
	s_cmp_eq_u32 s6, 0
	s_cselect_b64 s[16:17], -1, 0
	v_cmp_gt_i32_e32 vcc, s6, v3
	s_or_b64 s[16:17], s[16:17], vcc
	s_and_b64 exec, exec, s[16:17]
	s_cbranch_execz .LBB77_10
; %bb.8:
	s_mov_b64 s[16:17], 0
	v_mov_b32_e32 v4, s6
.LBB77_9:                               ; =>This Inner Loop Header: Depth=1
	ds_cmpst_rtn_b32 v4, v2, v4, v3 offset:448
	s_waitcnt lgkmcnt(0)
	v_cmp_ne_u32_e32 vcc, 0, v4
	v_cmp_le_i32_e64 s[6:7], v4, v3
	s_and_b64 s[6:7], vcc, s[6:7]
	s_and_b64 s[6:7], exec, s[6:7]
	s_or_b64 s[16:17], s[6:7], s[16:17]
	s_andn2_b64 exec, exec, s[16:17]
	s_cbranch_execnz .LBB77_9
.LBB77_10:
	s_or_b64 exec, exec, s[8:9]
	v_mov_b32_e32 v3, 0
	; wave barrier
	ds_read_b32 v2, v3 offset:448
	s_and_saveexec_b64 s[6:7], s[2:3]
	s_cbranch_execz .LBB77_12
; %bb.11:
	s_lshl_b64 s[8:9], s[4:5], 2
	s_add_u32 s8, s10, s8
	s_addc_u32 s9, s11, s9
	s_waitcnt lgkmcnt(0)
	global_store_dword v3, v2, s[8:9]
.LBB77_12:
	s_or_b64 exec, exec, s[6:7]
	s_waitcnt lgkmcnt(0)
	v_cmp_ne_u32_e32 vcc, 0, v2
	s_mov_b64 s[6:7], 0
	s_cbranch_vccnz .LBB77_68
; %bb.13:
	v_mov_b32_e32 v15, v14
	scratch_load_dwordx4 v[2:5], v15, off
                                        ; implicit-def: $vgpr6_vgpr7
                                        ; implicit-def: $vgpr10_vgpr11
	s_waitcnt vmcnt(0)
	v_cmp_ngt_f64_e64 s[6:7], |v[2:3]|, |v[4:5]|
	s_and_saveexec_b64 s[8:9], s[6:7]
	s_xor_b64 s[6:7], exec, s[8:9]
	s_cbranch_execz .LBB77_15
; %bb.14:
	v_div_scale_f64 v[6:7], s[8:9], v[4:5], v[4:5], v[2:3]
	v_rcp_f64_e32 v[8:9], v[6:7]
	v_div_scale_f64 v[10:11], vcc, v[2:3], v[4:5], v[2:3]
	v_fma_f64 v[12:13], -v[6:7], v[8:9], 1.0
	v_fmac_f64_e32 v[8:9], v[8:9], v[12:13]
	v_fma_f64 v[12:13], -v[6:7], v[8:9], 1.0
	v_fmac_f64_e32 v[8:9], v[8:9], v[12:13]
	v_mul_f64 v[12:13], v[10:11], v[8:9]
	v_fma_f64 v[6:7], -v[6:7], v[12:13], v[10:11]
	v_div_fmas_f64 v[6:7], v[6:7], v[8:9], v[12:13]
	v_div_fixup_f64 v[6:7], v[6:7], v[4:5], v[2:3]
	v_fmac_f64_e32 v[4:5], v[2:3], v[6:7]
	v_div_scale_f64 v[2:3], s[8:9], v[4:5], v[4:5], 1.0
	v_rcp_f64_e32 v[8:9], v[2:3]
	s_nop 0
	v_fma_f64 v[10:11], -v[2:3], v[8:9], 1.0
	v_fmac_f64_e32 v[8:9], v[8:9], v[10:11]
	v_fma_f64 v[10:11], -v[2:3], v[8:9], 1.0
	v_fmac_f64_e32 v[8:9], v[8:9], v[10:11]
	v_div_scale_f64 v[10:11], vcc, 1.0, v[4:5], 1.0
	v_mul_f64 v[12:13], v[10:11], v[8:9]
	v_fma_f64 v[2:3], -v[2:3], v[12:13], v[10:11]
	s_nop 1
	v_div_fmas_f64 v[2:3], v[2:3], v[8:9], v[12:13]
	v_div_fixup_f64 v[8:9], v[2:3], v[4:5], 1.0
	v_mul_f64 v[6:7], v[6:7], v[8:9]
	v_xor_b32_e32 v9, 0x80000000, v9
	v_xor_b32_e32 v11, 0x80000000, v7
	v_mov_b32_e32 v10, v6
                                        ; implicit-def: $vgpr2_vgpr3
.LBB77_15:
	s_andn2_saveexec_b64 s[6:7], s[6:7]
	s_cbranch_execz .LBB77_17
; %bb.16:
	v_div_scale_f64 v[6:7], s[8:9], v[2:3], v[2:3], v[4:5]
	v_rcp_f64_e32 v[8:9], v[6:7]
	v_div_scale_f64 v[10:11], vcc, v[4:5], v[2:3], v[4:5]
	v_fma_f64 v[12:13], -v[6:7], v[8:9], 1.0
	v_fmac_f64_e32 v[8:9], v[8:9], v[12:13]
	v_fma_f64 v[12:13], -v[6:7], v[8:9], 1.0
	v_fmac_f64_e32 v[8:9], v[8:9], v[12:13]
	v_mul_f64 v[12:13], v[10:11], v[8:9]
	v_fma_f64 v[6:7], -v[6:7], v[12:13], v[10:11]
	v_div_fmas_f64 v[6:7], v[6:7], v[8:9], v[12:13]
	v_div_fixup_f64 v[8:9], v[6:7], v[2:3], v[4:5]
	v_fmac_f64_e32 v[2:3], v[4:5], v[8:9]
	v_div_scale_f64 v[4:5], s[8:9], v[2:3], v[2:3], 1.0
	v_rcp_f64_e32 v[6:7], v[4:5]
	s_nop 0
	v_fma_f64 v[10:11], -v[4:5], v[6:7], 1.0
	v_fmac_f64_e32 v[6:7], v[6:7], v[10:11]
	v_fma_f64 v[10:11], -v[4:5], v[6:7], 1.0
	v_fmac_f64_e32 v[6:7], v[6:7], v[10:11]
	v_div_scale_f64 v[10:11], vcc, 1.0, v[2:3], 1.0
	v_mul_f64 v[12:13], v[10:11], v[6:7]
	v_fma_f64 v[4:5], -v[4:5], v[12:13], v[10:11]
	s_nop 1
	v_div_fmas_f64 v[4:5], v[4:5], v[6:7], v[12:13]
	v_div_fixup_f64 v[6:7], v[4:5], v[2:3], 1.0
	v_xor_b32_e32 v11, 0x80000000, v7
	v_mov_b32_e32 v10, v6
	v_mul_f64 v[8:9], v[8:9], -v[6:7]
.LBB77_17:
	s_or_b64 exec, exec, s[6:7]
	scratch_store_dwordx4 v15, v[6:9], off
	scratch_load_dwordx4 v[2:5], off, s30
	v_xor_b32_e32 v13, 0x80000000, v9
	v_mov_b32_e32 v12, v8
	v_add_u32_e32 v6, 0xe0, v14
	ds_write_b128 v14, v[10:13]
	s_waitcnt vmcnt(0)
	ds_write_b128 v14, v[2:5] offset:224
	s_waitcnt lgkmcnt(0)
	; wave barrier
	s_and_saveexec_b64 s[6:7], s[2:3]
	s_cbranch_execz .LBB77_19
; %bb.18:
	scratch_load_dwordx4 v[2:5], v15, off
	ds_read_b128 v[8:11], v6
	v_mov_b32_e32 v7, 0
	ds_read_b128 v[44:47], v7 offset:16
	s_waitcnt vmcnt(0) lgkmcnt(1)
	v_mul_f64 v[12:13], v[10:11], v[4:5]
	v_mul_f64 v[4:5], v[8:9], v[4:5]
	v_fma_f64 v[8:9], v[8:9], v[2:3], -v[12:13]
	v_fmac_f64_e32 v[4:5], v[10:11], v[2:3]
	v_add_f64 v[2:3], v[8:9], 0
	v_add_f64 v[8:9], v[4:5], 0
	s_waitcnt lgkmcnt(0)
	v_mul_f64 v[10:11], v[8:9], v[46:47]
	v_mul_f64 v[4:5], v[2:3], v[46:47]
	v_fma_f64 v[2:3], v[2:3], v[44:45], -v[10:11]
	v_fmac_f64_e32 v[4:5], v[8:9], v[44:45]
	scratch_store_dwordx4 off, v[2:5], off offset:16
.LBB77_19:
	s_or_b64 exec, exec, s[6:7]
	; wave barrier
	scratch_load_dwordx4 v[2:5], off, s29
	v_cmp_gt_u32_e32 vcc, 2, v1
	s_waitcnt vmcnt(0)
	ds_write_b128 v6, v[2:5]
	s_waitcnt lgkmcnt(0)
	; wave barrier
	s_and_saveexec_b64 s[6:7], vcc
	s_cbranch_execz .LBB77_23
; %bb.20:
	scratch_load_dwordx4 v[2:5], v15, off
	ds_read_b128 v[8:11], v6
	s_waitcnt vmcnt(0) lgkmcnt(0)
	v_mul_f64 v[12:13], v[10:11], v[4:5]
	v_mul_f64 v[44:45], v[8:9], v[4:5]
	v_fma_f64 v[4:5], v[8:9], v[2:3], -v[12:13]
	v_fmac_f64_e32 v[44:45], v[10:11], v[2:3]
	v_add_f64 v[4:5], v[4:5], 0
	v_add_f64 v[2:3], v[44:45], 0
	s_and_saveexec_b64 s[8:9], s[2:3]
	s_cbranch_execz .LBB77_22
; %bb.21:
	scratch_load_dwordx4 v[8:11], off, off offset:16
	v_mov_b32_e32 v7, 0
	ds_read_b128 v[44:47], v7 offset:240
	s_waitcnt vmcnt(0) lgkmcnt(0)
	v_mul_f64 v[12:13], v[44:45], v[10:11]
	v_mul_f64 v[10:11], v[46:47], v[10:11]
	v_fmac_f64_e32 v[12:13], v[46:47], v[8:9]
	v_fma_f64 v[8:9], v[44:45], v[8:9], -v[10:11]
	v_add_f64 v[2:3], v[2:3], v[12:13]
	v_add_f64 v[4:5], v[4:5], v[8:9]
.LBB77_22:
	s_or_b64 exec, exec, s[8:9]
	v_mov_b32_e32 v7, 0
	ds_read_b128 v[8:11], v7 offset:32
	s_waitcnt lgkmcnt(0)
	v_mul_f64 v[44:45], v[2:3], v[10:11]
	v_mul_f64 v[12:13], v[4:5], v[10:11]
	v_fma_f64 v[10:11], v[4:5], v[8:9], -v[44:45]
	v_fmac_f64_e32 v[12:13], v[2:3], v[8:9]
	scratch_store_dwordx4 off, v[10:13], off offset:32
.LBB77_23:
	s_or_b64 exec, exec, s[6:7]
	; wave barrier
	scratch_load_dwordx4 v[2:5], off, s28
	v_cmp_gt_u32_e32 vcc, 3, v1
	v_add_u32_e32 v7, -1, v1
	s_waitcnt vmcnt(0)
	ds_write_b128 v6, v[2:5]
	s_waitcnt lgkmcnt(0)
	; wave barrier
	s_and_saveexec_b64 s[2:3], vcc
	s_cbranch_execz .LBB77_27
; %bb.24:
	v_add_u32_e32 v8, -1, v1
	v_add_u32_e32 v9, 0xe0, v14
	v_mov_b32_e32 v10, v14
	v_mov_b64_e32 v[2:3], 0
	s_mov_b64 s[6:7], 0
	v_mov_b64_e32 v[4:5], 0
.LBB77_25:                              ; =>This Inner Loop Header: Depth=1
	scratch_load_dwordx4 v[44:47], v10, off
	ds_read_b128 v[48:51], v9
	v_add_u32_e32 v8, 1, v8
	v_cmp_lt_u32_e32 vcc, 1, v8
	v_add_u32_e32 v9, 16, v9
	v_add_u32_e32 v10, 16, v10
	s_or_b64 s[6:7], vcc, s[6:7]
	s_waitcnt vmcnt(0) lgkmcnt(0)
	v_mul_f64 v[12:13], v[50:51], v[46:47]
	v_mul_f64 v[46:47], v[48:49], v[46:47]
	v_fma_f64 v[12:13], v[48:49], v[44:45], -v[12:13]
	v_fmac_f64_e32 v[46:47], v[50:51], v[44:45]
	v_add_f64 v[4:5], v[4:5], v[12:13]
	v_add_f64 v[2:3], v[2:3], v[46:47]
	s_andn2_b64 exec, exec, s[6:7]
	s_cbranch_execnz .LBB77_25
; %bb.26:
	s_or_b64 exec, exec, s[6:7]
	v_mov_b32_e32 v8, 0
	ds_read_b128 v[8:11], v8 offset:48
	s_waitcnt lgkmcnt(0)
	v_mul_f64 v[44:45], v[2:3], v[10:11]
	v_mul_f64 v[12:13], v[4:5], v[10:11]
	v_fma_f64 v[10:11], v[4:5], v[8:9], -v[44:45]
	v_fmac_f64_e32 v[12:13], v[2:3], v[8:9]
	scratch_store_dwordx4 off, v[10:13], off offset:48
.LBB77_27:
	s_or_b64 exec, exec, s[2:3]
	; wave barrier
	scratch_load_dwordx4 v[2:5], off, s27
	v_cmp_gt_u32_e32 vcc, 4, v1
	s_waitcnt vmcnt(0)
	ds_write_b128 v6, v[2:5]
	s_waitcnt lgkmcnt(0)
	; wave barrier
	s_and_saveexec_b64 s[2:3], vcc
	s_cbranch_execz .LBB77_31
; %bb.28:
	v_add_u32_e32 v8, -1, v1
	v_add_u32_e32 v9, 0xe0, v14
	v_mov_b32_e32 v10, v14
	v_mov_b64_e32 v[2:3], 0
	s_mov_b64 s[6:7], 0
	v_mov_b64_e32 v[4:5], 0
.LBB77_29:                              ; =>This Inner Loop Header: Depth=1
	scratch_load_dwordx4 v[44:47], v10, off
	ds_read_b128 v[48:51], v9
	v_add_u32_e32 v8, 1, v8
	v_cmp_lt_u32_e32 vcc, 2, v8
	v_add_u32_e32 v9, 16, v9
	v_add_u32_e32 v10, 16, v10
	s_or_b64 s[6:7], vcc, s[6:7]
	s_waitcnt vmcnt(0) lgkmcnt(0)
	v_mul_f64 v[12:13], v[50:51], v[46:47]
	v_mul_f64 v[46:47], v[48:49], v[46:47]
	v_fma_f64 v[12:13], v[48:49], v[44:45], -v[12:13]
	v_fmac_f64_e32 v[46:47], v[50:51], v[44:45]
	v_add_f64 v[4:5], v[4:5], v[12:13]
	v_add_f64 v[2:3], v[2:3], v[46:47]
	s_andn2_b64 exec, exec, s[6:7]
	s_cbranch_execnz .LBB77_29
; %bb.30:
	s_or_b64 exec, exec, s[6:7]
	v_mov_b32_e32 v8, 0
	ds_read_b128 v[8:11], v8 offset:64
	s_waitcnt lgkmcnt(0)
	v_mul_f64 v[44:45], v[2:3], v[10:11]
	v_mul_f64 v[12:13], v[4:5], v[10:11]
	v_fma_f64 v[10:11], v[4:5], v[8:9], -v[44:45]
	v_fmac_f64_e32 v[12:13], v[2:3], v[8:9]
	scratch_store_dwordx4 off, v[10:13], off offset:64
.LBB77_31:
	s_or_b64 exec, exec, s[2:3]
	; wave barrier
	scratch_load_dwordx4 v[2:5], off, s26
	v_cmp_gt_u32_e32 vcc, 5, v1
	;; [unrolled: 45-line block ×9, first 2 shown]
	s_waitcnt vmcnt(0)
	ds_write_b128 v6, v[2:5]
	s_waitcnt lgkmcnt(0)
	; wave barrier
	s_and_saveexec_b64 s[2:3], vcc
	s_cbranch_execz .LBB77_63
; %bb.60:
	v_add_u32_e32 v8, -1, v1
	v_add_u32_e32 v9, 0xe0, v14
	v_mov_b32_e32 v10, v14
	v_mov_b64_e32 v[2:3], 0
	s_mov_b64 s[6:7], 0
	v_mov_b64_e32 v[4:5], 0
.LBB77_61:                              ; =>This Inner Loop Header: Depth=1
	scratch_load_dwordx4 v[44:47], v10, off
	ds_read_b128 v[48:51], v9
	v_add_u32_e32 v8, 1, v8
	v_cmp_lt_u32_e32 vcc, 10, v8
	v_add_u32_e32 v9, 16, v9
	v_add_u32_e32 v10, 16, v10
	s_or_b64 s[6:7], vcc, s[6:7]
	s_waitcnt vmcnt(0) lgkmcnt(0)
	v_mul_f64 v[12:13], v[50:51], v[46:47]
	v_mul_f64 v[46:47], v[48:49], v[46:47]
	v_fma_f64 v[12:13], v[48:49], v[44:45], -v[12:13]
	v_fmac_f64_e32 v[46:47], v[50:51], v[44:45]
	v_add_f64 v[4:5], v[4:5], v[12:13]
	v_add_f64 v[2:3], v[2:3], v[46:47]
	s_andn2_b64 exec, exec, s[6:7]
	s_cbranch_execnz .LBB77_61
; %bb.62:
	s_or_b64 exec, exec, s[6:7]
	v_mov_b32_e32 v8, 0
	ds_read_b128 v[8:11], v8 offset:192
	s_waitcnt lgkmcnt(0)
	v_mul_f64 v[44:45], v[2:3], v[10:11]
	v_mul_f64 v[12:13], v[4:5], v[10:11]
	v_fma_f64 v[10:11], v[4:5], v[8:9], -v[44:45]
	v_fmac_f64_e32 v[12:13], v[2:3], v[8:9]
	scratch_store_dwordx4 off, v[10:13], off offset:192
.LBB77_63:
	s_or_b64 exec, exec, s[2:3]
	; wave barrier
	scratch_load_dwordx4 v[2:5], off, s18
	v_cmp_ne_u32_e32 vcc, 13, v1
	s_waitcnt vmcnt(0)
	ds_write_b128 v6, v[2:5]
	s_waitcnt lgkmcnt(0)
	; wave barrier
	s_and_saveexec_b64 s[2:3], vcc
	s_cbranch_execz .LBB77_67
; %bb.64:
	v_add_u32_e32 v6, 0xe0, v14
	v_mov_b32_e32 v8, v14
	v_mov_b64_e32 v[2:3], 0
	s_mov_b64 s[6:7], 0
	v_mov_b64_e32 v[4:5], 0
.LBB77_65:                              ; =>This Inner Loop Header: Depth=1
	scratch_load_dwordx4 v[10:13], v8, off
	ds_read_b128 v[44:47], v6
	v_add_u32_e32 v7, 1, v7
	v_cmp_lt_u32_e32 vcc, 11, v7
	v_add_u32_e32 v6, 16, v6
	v_add_u32_e32 v8, 16, v8
	s_or_b64 s[6:7], vcc, s[6:7]
	s_waitcnt vmcnt(0) lgkmcnt(0)
	v_mul_f64 v[14:15], v[46:47], v[12:13]
	v_mul_f64 v[12:13], v[44:45], v[12:13]
	v_fma_f64 v[14:15], v[44:45], v[10:11], -v[14:15]
	v_fmac_f64_e32 v[12:13], v[46:47], v[10:11]
	v_add_f64 v[4:5], v[4:5], v[14:15]
	v_add_f64 v[2:3], v[2:3], v[12:13]
	s_andn2_b64 exec, exec, s[6:7]
	s_cbranch_execnz .LBB77_65
; %bb.66:
	s_or_b64 exec, exec, s[6:7]
	v_mov_b32_e32 v6, 0
	ds_read_b128 v[6:9], v6 offset:208
	s_waitcnt lgkmcnt(0)
	v_mul_f64 v[12:13], v[2:3], v[8:9]
	v_mul_f64 v[10:11], v[4:5], v[8:9]
	v_fma_f64 v[8:9], v[4:5], v[6:7], -v[12:13]
	v_fmac_f64_e32 v[10:11], v[2:3], v[6:7]
	scratch_store_dwordx4 off, v[8:11], off offset:208
.LBB77_67:
	s_or_b64 exec, exec, s[2:3]
	s_mov_b64 s[6:7], -1
	; wave barrier
.LBB77_68:
	s_and_b64 vcc, exec, s[6:7]
	s_cbranch_vccz .LBB77_70
; %bb.69:
	s_lshl_b64 s[2:3], s[4:5], 2
	s_add_u32 s2, s10, s2
	s_addc_u32 s3, s11, s3
	v_mov_b32_e32 v2, 0
	global_load_dword v2, v2, s[2:3]
	s_waitcnt vmcnt(0)
	v_cmp_ne_u32_e32 vcc, 0, v2
	s_cbranch_vccz .LBB77_71
.LBB77_70:
	s_endpgm
.LBB77_71:
	v_mov_b32_e32 v2, 0xe0
	v_lshl_add_u32 v44, v1, 4, v2
	v_cmp_eq_u32_e32 vcc, 13, v1
	s_and_saveexec_b64 s[2:3], vcc
	s_cbranch_execz .LBB77_73
; %bb.72:
	scratch_load_dwordx4 v[2:5], off, s19
	v_mov_b32_e32 v6, 0
	v_mov_b32_e32 v7, v6
	;; [unrolled: 1-line block ×4, first 2 shown]
	scratch_store_dwordx4 off, v[6:9], off offset:192
	s_waitcnt vmcnt(1)
	ds_write_b128 v44, v[2:5]
.LBB77_73:
	s_or_b64 exec, exec, s[2:3]
	s_waitcnt lgkmcnt(0)
	; wave barrier
	scratch_load_dwordx4 v[4:7], off, off offset:208
	scratch_load_dwordx4 v[8:11], off, off offset:192
	v_mov_b32_e32 v2, 0
	ds_read_b128 v[12:15], v2 offset:432
	v_cmp_lt_u32_e32 vcc, 11, v1
	s_waitcnt vmcnt(1) lgkmcnt(0)
	v_mul_f64 v[46:47], v[12:13], v[6:7]
	v_mul_f64 v[6:7], v[14:15], v[6:7]
	v_fmac_f64_e32 v[46:47], v[14:15], v[4:5]
	v_fma_f64 v[4:5], v[12:13], v[4:5], -v[6:7]
	v_add_f64 v[6:7], v[46:47], 0
	v_add_f64 v[4:5], v[4:5], 0
	s_waitcnt vmcnt(0)
	v_add_f64 v[4:5], v[8:9], -v[4:5]
	v_add_f64 v[6:7], v[10:11], -v[6:7]
	scratch_store_dwordx4 off, v[4:7], off offset:192
	s_and_saveexec_b64 s[2:3], vcc
	s_cbranch_execz .LBB77_75
; %bb.74:
	scratch_load_dwordx4 v[6:9], off, s20
	v_mov_b32_e32 v3, v2
	v_mov_b32_e32 v4, v2
	v_mov_b32_e32 v5, v2
	scratch_store_dwordx4 off, v[2:5], off offset:176
	s_waitcnt vmcnt(1)
	ds_write_b128 v44, v[6:9]
.LBB77_75:
	s_or_b64 exec, exec, s[2:3]
	s_waitcnt lgkmcnt(0)
	; wave barrier
	scratch_load_dwordx4 v[4:7], off, off offset:192
	scratch_load_dwordx4 v[8:11], off, off offset:208
	;; [unrolled: 1-line block ×3, first 2 shown]
	ds_read_b128 v[46:49], v2 offset:416
	ds_read_b128 v[50:53], v2 offset:432
	v_cmp_lt_u32_e32 vcc, 10, v1
	s_waitcnt vmcnt(2) lgkmcnt(1)
	v_mul_f64 v[2:3], v[46:47], v[6:7]
	v_mul_f64 v[6:7], v[48:49], v[6:7]
	s_waitcnt vmcnt(1) lgkmcnt(0)
	v_mul_f64 v[54:55], v[50:51], v[10:11]
	v_mul_f64 v[10:11], v[52:53], v[10:11]
	v_fmac_f64_e32 v[2:3], v[48:49], v[4:5]
	v_fma_f64 v[4:5], v[46:47], v[4:5], -v[6:7]
	v_fmac_f64_e32 v[54:55], v[52:53], v[8:9]
	v_fma_f64 v[6:7], v[50:51], v[8:9], -v[10:11]
	v_add_f64 v[2:3], v[2:3], 0
	v_add_f64 v[4:5], v[4:5], 0
	;; [unrolled: 1-line block ×4, first 2 shown]
	s_waitcnt vmcnt(0)
	v_add_f64 v[2:3], v[12:13], -v[2:3]
	v_add_f64 v[4:5], v[14:15], -v[8:9]
	scratch_store_dwordx4 off, v[2:5], off offset:176
	s_and_saveexec_b64 s[2:3], vcc
	s_cbranch_execz .LBB77_77
; %bb.76:
	scratch_load_dwordx4 v[2:5], off, s21
	v_mov_b32_e32 v6, 0
	v_mov_b32_e32 v7, v6
	;; [unrolled: 1-line block ×4, first 2 shown]
	scratch_store_dwordx4 off, v[6:9], off offset:160
	s_waitcnt vmcnt(1)
	ds_write_b128 v44, v[2:5]
.LBB77_77:
	s_or_b64 exec, exec, s[2:3]
	s_waitcnt lgkmcnt(0)
	; wave barrier
	scratch_load_dwordx4 v[4:7], off, off offset:176
	scratch_load_dwordx4 v[8:11], off, off offset:192
	scratch_load_dwordx4 v[12:15], off, off offset:208
	scratch_load_dwordx4 v[46:49], off, off offset:160
	v_mov_b32_e32 v2, 0
	ds_read_b128 v[50:53], v2 offset:400
	ds_read_b128 v[54:57], v2 offset:416
	;; [unrolled: 1-line block ×3, first 2 shown]
	v_cmp_lt_u32_e32 vcc, 9, v1
	s_waitcnt vmcnt(3) lgkmcnt(2)
	v_mul_f64 v[62:63], v[50:51], v[6:7]
	v_mul_f64 v[6:7], v[52:53], v[6:7]
	s_waitcnt vmcnt(2) lgkmcnt(1)
	v_mul_f64 v[64:65], v[54:55], v[10:11]
	v_mul_f64 v[10:11], v[56:57], v[10:11]
	v_fmac_f64_e32 v[62:63], v[52:53], v[4:5]
	v_fma_f64 v[4:5], v[50:51], v[4:5], -v[6:7]
	s_waitcnt vmcnt(1) lgkmcnt(0)
	v_mul_f64 v[66:67], v[58:59], v[14:15]
	v_mul_f64 v[14:15], v[60:61], v[14:15]
	v_fmac_f64_e32 v[64:65], v[56:57], v[8:9]
	v_fma_f64 v[6:7], v[54:55], v[8:9], -v[10:11]
	v_add_f64 v[10:11], v[62:63], 0
	v_add_f64 v[4:5], v[4:5], 0
	v_fmac_f64_e32 v[66:67], v[60:61], v[12:13]
	v_fma_f64 v[8:9], v[58:59], v[12:13], -v[14:15]
	v_add_f64 v[10:11], v[10:11], v[64:65]
	v_add_f64 v[4:5], v[4:5], v[6:7]
	v_add_f64 v[6:7], v[10:11], v[66:67]
	v_add_f64 v[4:5], v[4:5], v[8:9]
	s_waitcnt vmcnt(0)
	v_add_f64 v[4:5], v[46:47], -v[4:5]
	v_add_f64 v[6:7], v[48:49], -v[6:7]
	scratch_store_dwordx4 off, v[4:7], off offset:160
	s_and_saveexec_b64 s[2:3], vcc
	s_cbranch_execz .LBB77_79
; %bb.78:
	scratch_load_dwordx4 v[6:9], off, s22
	v_mov_b32_e32 v3, v2
	v_mov_b32_e32 v4, v2
	;; [unrolled: 1-line block ×3, first 2 shown]
	scratch_store_dwordx4 off, v[2:5], off offset:144
	s_waitcnt vmcnt(1)
	ds_write_b128 v44, v[6:9]
.LBB77_79:
	s_or_b64 exec, exec, s[2:3]
	s_waitcnt lgkmcnt(0)
	; wave barrier
	scratch_load_dwordx4 v[4:7], off, off offset:160
	scratch_load_dwordx4 v[8:11], off, off offset:176
	;; [unrolled: 1-line block ×5, first 2 shown]
	ds_read_b128 v[54:57], v2 offset:384
	ds_read_b128 v[58:61], v2 offset:400
	;; [unrolled: 1-line block ×4, first 2 shown]
	v_cmp_lt_u32_e32 vcc, 8, v1
	s_waitcnt vmcnt(4) lgkmcnt(3)
	v_mul_f64 v[2:3], v[54:55], v[6:7]
	v_mul_f64 v[6:7], v[56:57], v[6:7]
	s_waitcnt vmcnt(3) lgkmcnt(2)
	v_mul_f64 v[70:71], v[58:59], v[10:11]
	v_mul_f64 v[10:11], v[60:61], v[10:11]
	v_fmac_f64_e32 v[2:3], v[56:57], v[4:5]
	v_fma_f64 v[4:5], v[54:55], v[4:5], -v[6:7]
	s_waitcnt vmcnt(2) lgkmcnt(1)
	v_mul_f64 v[72:73], v[62:63], v[14:15]
	v_mul_f64 v[14:15], v[64:65], v[14:15]
	v_fmac_f64_e32 v[70:71], v[60:61], v[8:9]
	v_fma_f64 v[6:7], v[58:59], v[8:9], -v[10:11]
	v_add_f64 v[2:3], v[2:3], 0
	v_add_f64 v[4:5], v[4:5], 0
	s_waitcnt vmcnt(1) lgkmcnt(0)
	v_mul_f64 v[74:75], v[66:67], v[48:49]
	v_mul_f64 v[48:49], v[68:69], v[48:49]
	v_fmac_f64_e32 v[72:73], v[64:65], v[12:13]
	v_fma_f64 v[8:9], v[62:63], v[12:13], -v[14:15]
	v_add_f64 v[2:3], v[2:3], v[70:71]
	v_add_f64 v[4:5], v[4:5], v[6:7]
	v_fmac_f64_e32 v[74:75], v[68:69], v[46:47]
	v_fma_f64 v[10:11], v[66:67], v[46:47], -v[48:49]
	v_add_f64 v[2:3], v[2:3], v[72:73]
	v_add_f64 v[4:5], v[4:5], v[8:9]
	;; [unrolled: 1-line block ×4, first 2 shown]
	s_waitcnt vmcnt(0)
	v_add_f64 v[2:3], v[50:51], -v[2:3]
	v_add_f64 v[4:5], v[52:53], -v[6:7]
	scratch_store_dwordx4 off, v[2:5], off offset:144
	s_and_saveexec_b64 s[2:3], vcc
	s_cbranch_execz .LBB77_81
; %bb.80:
	scratch_load_dwordx4 v[2:5], off, s23
	v_mov_b32_e32 v6, 0
	v_mov_b32_e32 v7, v6
	;; [unrolled: 1-line block ×4, first 2 shown]
	scratch_store_dwordx4 off, v[6:9], off offset:128
	s_waitcnt vmcnt(1)
	ds_write_b128 v44, v[2:5]
.LBB77_81:
	s_or_b64 exec, exec, s[2:3]
	s_waitcnt lgkmcnt(0)
	; wave barrier
	scratch_load_dwordx4 v[4:7], off, off offset:144
	scratch_load_dwordx4 v[8:11], off, off offset:160
	;; [unrolled: 1-line block ×6, first 2 shown]
	v_mov_b32_e32 v2, 0
	ds_read_b128 v[58:61], v2 offset:368
	ds_read_b128 v[62:65], v2 offset:384
	;; [unrolled: 1-line block ×5, first 2 shown]
	v_cmp_lt_u32_e32 vcc, 7, v1
	s_waitcnt vmcnt(5) lgkmcnt(4)
	v_mul_f64 v[78:79], v[58:59], v[6:7]
	v_mul_f64 v[6:7], v[60:61], v[6:7]
	s_waitcnt vmcnt(4) lgkmcnt(3)
	v_mul_f64 v[80:81], v[62:63], v[10:11]
	s_waitcnt vmcnt(3) lgkmcnt(2)
	v_mul_f64 v[82:83], v[66:67], v[14:15]
	v_mul_f64 v[10:11], v[64:65], v[10:11]
	;; [unrolled: 1-line block ×3, first 2 shown]
	v_fmac_f64_e32 v[78:79], v[60:61], v[4:5]
	v_fma_f64 v[4:5], v[58:59], v[4:5], -v[6:7]
	v_fmac_f64_e32 v[80:81], v[64:65], v[8:9]
	v_fma_f64 v[6:7], v[62:63], v[8:9], -v[10:11]
	v_fma_f64 v[8:9], v[66:67], v[12:13], -v[14:15]
	v_add_f64 v[14:15], v[78:79], 0
	v_add_f64 v[4:5], v[4:5], 0
	s_waitcnt vmcnt(2) lgkmcnt(1)
	v_mul_f64 v[84:85], v[70:71], v[48:49]
	v_mul_f64 v[48:49], v[72:73], v[48:49]
	v_fmac_f64_e32 v[82:83], v[68:69], v[12:13]
	v_add_f64 v[14:15], v[14:15], v[80:81]
	v_add_f64 v[4:5], v[4:5], v[6:7]
	s_waitcnt vmcnt(1) lgkmcnt(0)
	v_mul_f64 v[86:87], v[74:75], v[52:53]
	v_mul_f64 v[52:53], v[76:77], v[52:53]
	v_fmac_f64_e32 v[84:85], v[72:73], v[46:47]
	v_fma_f64 v[10:11], v[70:71], v[46:47], -v[48:49]
	v_add_f64 v[6:7], v[14:15], v[82:83]
	v_add_f64 v[4:5], v[4:5], v[8:9]
	v_fmac_f64_e32 v[86:87], v[76:77], v[50:51]
	v_fma_f64 v[12:13], v[74:75], v[50:51], -v[52:53]
	v_add_f64 v[6:7], v[6:7], v[84:85]
	v_add_f64 v[4:5], v[4:5], v[10:11]
	;; [unrolled: 1-line block ×4, first 2 shown]
	s_waitcnt vmcnt(0)
	v_add_f64 v[4:5], v[54:55], -v[4:5]
	v_add_f64 v[6:7], v[56:57], -v[6:7]
	scratch_store_dwordx4 off, v[4:7], off offset:128
	s_and_saveexec_b64 s[2:3], vcc
	s_cbranch_execz .LBB77_83
; %bb.82:
	scratch_load_dwordx4 v[6:9], off, s24
	v_mov_b32_e32 v3, v2
	v_mov_b32_e32 v4, v2
	;; [unrolled: 1-line block ×3, first 2 shown]
	scratch_store_dwordx4 off, v[2:5], off offset:112
	s_waitcnt vmcnt(1)
	ds_write_b128 v44, v[6:9]
.LBB77_83:
	s_or_b64 exec, exec, s[2:3]
	s_waitcnt lgkmcnt(0)
	; wave barrier
	scratch_load_dwordx4 v[4:7], off, off offset:128
	scratch_load_dwordx4 v[8:11], off, off offset:144
	;; [unrolled: 1-line block ×7, first 2 shown]
	ds_read_b128 v[62:65], v2 offset:352
	ds_read_b128 v[66:69], v2 offset:368
	ds_read_b128 v[70:73], v2 offset:384
	ds_read_b128 v[74:77], v2 offset:400
	ds_read_b128 v[78:81], v2 offset:416
	ds_read_b128 v[82:85], v2 offset:432
	v_cmp_lt_u32_e32 vcc, 6, v1
	s_waitcnt vmcnt(6) lgkmcnt(5)
	v_mul_f64 v[2:3], v[62:63], v[6:7]
	v_mul_f64 v[6:7], v[64:65], v[6:7]
	s_waitcnt vmcnt(5) lgkmcnt(4)
	v_mul_f64 v[86:87], v[66:67], v[10:11]
	v_mul_f64 v[10:11], v[68:69], v[10:11]
	v_fmac_f64_e32 v[2:3], v[64:65], v[4:5]
	v_fma_f64 v[4:5], v[62:63], v[4:5], -v[6:7]
	s_waitcnt vmcnt(4) lgkmcnt(3)
	v_mul_f64 v[88:89], v[70:71], v[14:15]
	v_mul_f64 v[14:15], v[72:73], v[14:15]
	v_fmac_f64_e32 v[86:87], v[68:69], v[8:9]
	v_fma_f64 v[6:7], v[66:67], v[8:9], -v[10:11]
	v_add_f64 v[2:3], v[2:3], 0
	v_add_f64 v[4:5], v[4:5], 0
	s_waitcnt vmcnt(3) lgkmcnt(2)
	v_mul_f64 v[90:91], v[74:75], v[48:49]
	v_mul_f64 v[48:49], v[76:77], v[48:49]
	v_fmac_f64_e32 v[88:89], v[72:73], v[12:13]
	v_fma_f64 v[8:9], v[70:71], v[12:13], -v[14:15]
	v_add_f64 v[2:3], v[2:3], v[86:87]
	v_add_f64 v[4:5], v[4:5], v[6:7]
	;; [unrolled: 7-line block ×4, first 2 shown]
	v_fmac_f64_e32 v[94:95], v[84:85], v[54:55]
	v_fma_f64 v[14:15], v[82:83], v[54:55], -v[56:57]
	v_add_f64 v[2:3], v[2:3], v[92:93]
	v_add_f64 v[4:5], v[4:5], v[12:13]
	v_add_f64 v[6:7], v[2:3], v[94:95]
	v_add_f64 v[2:3], v[4:5], v[14:15]
	s_waitcnt vmcnt(0)
	v_add_f64 v[2:3], v[58:59], -v[2:3]
	v_add_f64 v[4:5], v[60:61], -v[6:7]
	scratch_store_dwordx4 off, v[2:5], off offset:112
	s_and_saveexec_b64 s[2:3], vcc
	s_cbranch_execz .LBB77_85
; %bb.84:
	scratch_load_dwordx4 v[2:5], off, s25
	v_mov_b32_e32 v6, 0
	v_mov_b32_e32 v7, v6
	;; [unrolled: 1-line block ×4, first 2 shown]
	scratch_store_dwordx4 off, v[6:9], off offset:96
	s_waitcnt vmcnt(1)
	ds_write_b128 v44, v[2:5]
.LBB77_85:
	s_or_b64 exec, exec, s[2:3]
	s_waitcnt lgkmcnt(0)
	; wave barrier
	scratch_load_dwordx4 v[4:7], off, off offset:112
	scratch_load_dwordx4 v[8:11], off, off offset:128
	;; [unrolled: 1-line block ×8, first 2 shown]
	v_mov_b32_e32 v2, 0
	ds_read_b128 v[66:69], v2 offset:336
	ds_read_b128 v[70:73], v2 offset:352
	ds_read_b128 v[74:77], v2 offset:368
	ds_read_b128 v[78:81], v2 offset:384
	ds_read_b128 v[82:85], v2 offset:400
	ds_read_b128 v[86:89], v2 offset:416
	ds_read_b128 v[90:93], v2 offset:432
	v_cmp_lt_u32_e32 vcc, 5, v1
	s_waitcnt vmcnt(7) lgkmcnt(6)
	v_mul_f64 v[94:95], v[66:67], v[6:7]
	v_mul_f64 v[6:7], v[68:69], v[6:7]
	s_waitcnt vmcnt(6) lgkmcnt(5)
	v_mul_f64 v[96:97], v[70:71], v[10:11]
	s_waitcnt vmcnt(4) lgkmcnt(3)
	v_mul_f64 v[100:101], v[78:79], v[48:49]
	v_mul_f64 v[10:11], v[72:73], v[10:11]
	;; [unrolled: 1-line block ×3, first 2 shown]
	v_fmac_f64_e32 v[94:95], v[68:69], v[4:5]
	v_fma_f64 v[4:5], v[66:67], v[4:5], -v[6:7]
	v_mul_f64 v[98:99], v[74:75], v[14:15]
	v_mul_f64 v[14:15], v[76:77], v[14:15]
	v_fmac_f64_e32 v[96:97], v[72:73], v[8:9]
	v_fma_f64 v[6:7], v[70:71], v[8:9], -v[10:11]
	v_fma_f64 v[10:11], v[78:79], v[46:47], -v[48:49]
	v_add_f64 v[48:49], v[94:95], 0
	v_add_f64 v[4:5], v[4:5], 0
	v_fmac_f64_e32 v[98:99], v[76:77], v[12:13]
	v_fma_f64 v[8:9], v[74:75], v[12:13], -v[14:15]
	v_add_f64 v[48:49], v[48:49], v[96:97]
	v_add_f64 v[4:5], v[4:5], v[6:7]
	s_waitcnt vmcnt(3) lgkmcnt(2)
	v_mul_f64 v[102:103], v[82:83], v[52:53]
	v_mul_f64 v[52:53], v[84:85], v[52:53]
	v_fmac_f64_e32 v[100:101], v[80:81], v[46:47]
	v_add_f64 v[6:7], v[48:49], v[98:99]
	v_add_f64 v[4:5], v[4:5], v[8:9]
	s_waitcnt vmcnt(2) lgkmcnt(1)
	v_mul_f64 v[104:105], v[86:87], v[56:57]
	v_mul_f64 v[56:57], v[88:89], v[56:57]
	v_fmac_f64_e32 v[102:103], v[84:85], v[50:51]
	v_fma_f64 v[12:13], v[82:83], v[50:51], -v[52:53]
	v_add_f64 v[6:7], v[6:7], v[100:101]
	v_add_f64 v[4:5], v[4:5], v[10:11]
	s_waitcnt vmcnt(1) lgkmcnt(0)
	v_mul_f64 v[106:107], v[90:91], v[60:61]
	v_mul_f64 v[60:61], v[92:93], v[60:61]
	v_fmac_f64_e32 v[104:105], v[88:89], v[54:55]
	v_fma_f64 v[14:15], v[86:87], v[54:55], -v[56:57]
	v_add_f64 v[6:7], v[6:7], v[102:103]
	v_add_f64 v[4:5], v[4:5], v[12:13]
	v_fmac_f64_e32 v[106:107], v[92:93], v[58:59]
	v_fma_f64 v[46:47], v[90:91], v[58:59], -v[60:61]
	v_add_f64 v[6:7], v[6:7], v[104:105]
	v_add_f64 v[4:5], v[4:5], v[14:15]
	;; [unrolled: 1-line block ×4, first 2 shown]
	s_waitcnt vmcnt(0)
	v_add_f64 v[4:5], v[62:63], -v[4:5]
	v_add_f64 v[6:7], v[64:65], -v[6:7]
	scratch_store_dwordx4 off, v[4:7], off offset:96
	s_and_saveexec_b64 s[2:3], vcc
	s_cbranch_execz .LBB77_87
; %bb.86:
	scratch_load_dwordx4 v[6:9], off, s26
	v_mov_b32_e32 v3, v2
	v_mov_b32_e32 v4, v2
	;; [unrolled: 1-line block ×3, first 2 shown]
	scratch_store_dwordx4 off, v[2:5], off offset:80
	s_waitcnt vmcnt(1)
	ds_write_b128 v44, v[6:9]
.LBB77_87:
	s_or_b64 exec, exec, s[2:3]
	s_waitcnt lgkmcnt(0)
	; wave barrier
	scratch_load_dwordx4 v[4:7], off, off offset:96
	scratch_load_dwordx4 v[8:11], off, off offset:112
	;; [unrolled: 1-line block ×9, first 2 shown]
	ds_read_b128 v[70:73], v2 offset:320
	ds_read_b128 v[74:77], v2 offset:336
	;; [unrolled: 1-line block ×8, first 2 shown]
	v_cmp_lt_u32_e32 vcc, 4, v1
	s_waitcnt vmcnt(8) lgkmcnt(7)
	v_mul_f64 v[2:3], v[70:71], v[6:7]
	v_mul_f64 v[6:7], v[72:73], v[6:7]
	s_waitcnt vmcnt(7) lgkmcnt(6)
	v_mul_f64 v[102:103], v[74:75], v[10:11]
	v_mul_f64 v[10:11], v[76:77], v[10:11]
	v_fmac_f64_e32 v[2:3], v[72:73], v[4:5]
	v_fma_f64 v[4:5], v[70:71], v[4:5], -v[6:7]
	s_waitcnt vmcnt(6) lgkmcnt(5)
	v_mul_f64 v[104:105], v[78:79], v[14:15]
	v_mul_f64 v[14:15], v[80:81], v[14:15]
	v_fmac_f64_e32 v[102:103], v[76:77], v[8:9]
	v_fma_f64 v[6:7], v[74:75], v[8:9], -v[10:11]
	v_add_f64 v[2:3], v[2:3], 0
	v_add_f64 v[4:5], v[4:5], 0
	s_waitcnt vmcnt(5) lgkmcnt(4)
	v_mul_f64 v[106:107], v[82:83], v[48:49]
	v_mul_f64 v[48:49], v[84:85], v[48:49]
	v_fmac_f64_e32 v[104:105], v[80:81], v[12:13]
	v_fma_f64 v[8:9], v[78:79], v[12:13], -v[14:15]
	v_add_f64 v[2:3], v[2:3], v[102:103]
	v_add_f64 v[4:5], v[4:5], v[6:7]
	;; [unrolled: 7-line block ×6, first 2 shown]
	v_fmac_f64_e32 v[114:115], v[100:101], v[62:63]
	v_fma_f64 v[48:49], v[98:99], v[62:63], -v[64:65]
	v_add_f64 v[2:3], v[2:3], v[112:113]
	v_add_f64 v[4:5], v[4:5], v[46:47]
	;; [unrolled: 1-line block ×4, first 2 shown]
	s_waitcnt vmcnt(0)
	v_add_f64 v[2:3], v[66:67], -v[2:3]
	v_add_f64 v[4:5], v[68:69], -v[6:7]
	scratch_store_dwordx4 off, v[2:5], off offset:80
	s_and_saveexec_b64 s[2:3], vcc
	s_cbranch_execz .LBB77_89
; %bb.88:
	scratch_load_dwordx4 v[2:5], off, s27
	v_mov_b32_e32 v6, 0
	v_mov_b32_e32 v7, v6
	v_mov_b32_e32 v8, v6
	v_mov_b32_e32 v9, v6
	scratch_store_dwordx4 off, v[6:9], off offset:64
	s_waitcnt vmcnt(1)
	ds_write_b128 v44, v[2:5]
.LBB77_89:
	s_or_b64 exec, exec, s[2:3]
	s_waitcnt lgkmcnt(0)
	; wave barrier
	scratch_load_dwordx4 v[4:7], off, off offset:80
	scratch_load_dwordx4 v[8:11], off, off offset:96
	scratch_load_dwordx4 v[12:15], off, off offset:112
	scratch_load_dwordx4 v[46:49], off, off offset:128
	scratch_load_dwordx4 v[50:53], off, off offset:144
	scratch_load_dwordx4 v[54:57], off, off offset:160
	scratch_load_dwordx4 v[58:61], off, off offset:176
	scratch_load_dwordx4 v[62:65], off, off offset:192
	scratch_load_dwordx4 v[66:69], off, off offset:208
	scratch_load_dwordx4 v[70:73], off, off offset:64
	v_mov_b32_e32 v2, 0
	ds_read_b128 v[74:77], v2 offset:304
	ds_read_b128 v[78:81], v2 offset:320
	ds_read_b128 v[82:85], v2 offset:336
	ds_read_b128 v[86:89], v2 offset:352
	ds_read_b128 v[90:93], v2 offset:368
	ds_read_b128 v[94:97], v2 offset:384
	ds_read_b128 v[98:101], v2 offset:400
	ds_read_b128 v[102:105], v2 offset:416
	ds_read_b128 v[106:109], v2 offset:432
	v_cmp_lt_u32_e32 vcc, 3, v1
	s_waitcnt vmcnt(9) lgkmcnt(8)
	v_mul_f64 v[110:111], v[74:75], v[6:7]
	v_mul_f64 v[6:7], v[76:77], v[6:7]
	s_waitcnt vmcnt(8) lgkmcnt(7)
	v_mul_f64 v[112:113], v[78:79], v[10:11]
	s_waitcnt vmcnt(7) lgkmcnt(6)
	v_mul_f64 v[114:115], v[82:83], v[14:15]
	s_waitcnt vmcnt(5) lgkmcnt(4)
	v_mul_f64 v[118:119], v[90:91], v[52:53]
	v_mul_f64 v[10:11], v[80:81], v[10:11]
	;; [unrolled: 1-line block ×4, first 2 shown]
	v_fmac_f64_e32 v[110:111], v[76:77], v[4:5]
	v_fma_f64 v[4:5], v[74:75], v[4:5], -v[6:7]
	v_fmac_f64_e32 v[112:113], v[80:81], v[8:9]
	v_fmac_f64_e32 v[114:115], v[84:85], v[12:13]
	v_fma_f64 v[6:7], v[78:79], v[8:9], -v[10:11]
	v_fma_f64 v[8:9], v[82:83], v[12:13], -v[14:15]
	;; [unrolled: 1-line block ×3, first 2 shown]
	v_add_f64 v[52:53], v[110:111], 0
	v_add_f64 v[4:5], v[4:5], 0
	v_mul_f64 v[116:117], v[86:87], v[48:49]
	v_mul_f64 v[48:49], v[88:89], v[48:49]
	v_add_f64 v[52:53], v[52:53], v[112:113]
	v_add_f64 v[4:5], v[4:5], v[6:7]
	v_fmac_f64_e32 v[116:117], v[88:89], v[46:47]
	v_fma_f64 v[10:11], v[86:87], v[46:47], -v[48:49]
	v_add_f64 v[6:7], v[52:53], v[114:115]
	v_add_f64 v[4:5], v[4:5], v[8:9]
	s_waitcnt vmcnt(4) lgkmcnt(3)
	v_mul_f64 v[120:121], v[94:95], v[56:57]
	v_mul_f64 v[56:57], v[96:97], v[56:57]
	v_fmac_f64_e32 v[118:119], v[92:93], v[50:51]
	v_add_f64 v[6:7], v[6:7], v[116:117]
	v_add_f64 v[4:5], v[4:5], v[10:11]
	s_waitcnt vmcnt(3) lgkmcnt(2)
	v_mul_f64 v[122:123], v[98:99], v[60:61]
	v_mul_f64 v[60:61], v[100:101], v[60:61]
	v_fmac_f64_e32 v[120:121], v[96:97], v[54:55]
	v_fma_f64 v[14:15], v[94:95], v[54:55], -v[56:57]
	v_add_f64 v[6:7], v[6:7], v[118:119]
	v_add_f64 v[4:5], v[4:5], v[12:13]
	s_waitcnt vmcnt(2) lgkmcnt(1)
	v_mul_f64 v[124:125], v[102:103], v[64:65]
	v_mul_f64 v[64:65], v[104:105], v[64:65]
	v_fmac_f64_e32 v[122:123], v[100:101], v[58:59]
	v_fma_f64 v[46:47], v[98:99], v[58:59], -v[60:61]
	;; [unrolled: 7-line block ×3, first 2 shown]
	v_add_f64 v[6:7], v[6:7], v[122:123]
	v_add_f64 v[4:5], v[4:5], v[46:47]
	v_fmac_f64_e32 v[126:127], v[108:109], v[66:67]
	v_fma_f64 v[50:51], v[106:107], v[66:67], -v[68:69]
	v_add_f64 v[6:7], v[6:7], v[124:125]
	v_add_f64 v[4:5], v[4:5], v[48:49]
	;; [unrolled: 1-line block ×4, first 2 shown]
	s_waitcnt vmcnt(0)
	v_add_f64 v[4:5], v[70:71], -v[4:5]
	v_add_f64 v[6:7], v[72:73], -v[6:7]
	scratch_store_dwordx4 off, v[4:7], off offset:64
	s_and_saveexec_b64 s[2:3], vcc
	s_cbranch_execz .LBB77_91
; %bb.90:
	scratch_load_dwordx4 v[6:9], off, s28
	v_mov_b32_e32 v3, v2
	v_mov_b32_e32 v4, v2
	;; [unrolled: 1-line block ×3, first 2 shown]
	scratch_store_dwordx4 off, v[2:5], off offset:48
	s_waitcnt vmcnt(1)
	ds_write_b128 v44, v[6:9]
.LBB77_91:
	s_or_b64 exec, exec, s[2:3]
	s_waitcnt lgkmcnt(0)
	; wave barrier
	scratch_load_dwordx4 v[4:7], off, off offset:64
	scratch_load_dwordx4 v[8:11], off, off offset:80
	;; [unrolled: 1-line block ×11, first 2 shown]
	ds_read_b128 v[78:81], v2 offset:288
	ds_read_b128 v[82:85], v2 offset:304
	ds_read_b128 v[86:89], v2 offset:320
	ds_read_b128 v[90:93], v2 offset:336
	ds_read_b128 v[94:97], v2 offset:352
	ds_read_b128 v[98:101], v2 offset:368
	ds_read_b128 v[102:105], v2 offset:384
	ds_read_b128 v[106:109], v2 offset:400
	ds_read_b128 v[110:113], v2 offset:416
	ds_read_b128 v[114:117], v2 offset:432
	v_cmp_lt_u32_e32 vcc, 2, v1
	s_waitcnt vmcnt(10) lgkmcnt(9)
	v_mul_f64 v[2:3], v[78:79], v[6:7]
	v_mul_f64 v[6:7], v[80:81], v[6:7]
	s_waitcnt vmcnt(9) lgkmcnt(8)
	v_mul_f64 v[118:119], v[82:83], v[10:11]
	v_mul_f64 v[10:11], v[84:85], v[10:11]
	v_fmac_f64_e32 v[2:3], v[80:81], v[4:5]
	v_fma_f64 v[4:5], v[78:79], v[4:5], -v[6:7]
	s_waitcnt vmcnt(8) lgkmcnt(7)
	v_mul_f64 v[120:121], v[86:87], v[14:15]
	v_mul_f64 v[14:15], v[88:89], v[14:15]
	v_fmac_f64_e32 v[118:119], v[84:85], v[8:9]
	v_fma_f64 v[6:7], v[82:83], v[8:9], -v[10:11]
	v_add_f64 v[2:3], v[2:3], 0
	v_add_f64 v[4:5], v[4:5], 0
	s_waitcnt vmcnt(7) lgkmcnt(6)
	v_mul_f64 v[122:123], v[90:91], v[48:49]
	v_mul_f64 v[48:49], v[92:93], v[48:49]
	v_fmac_f64_e32 v[120:121], v[88:89], v[12:13]
	v_fma_f64 v[8:9], v[86:87], v[12:13], -v[14:15]
	v_add_f64 v[2:3], v[2:3], v[118:119]
	v_add_f64 v[4:5], v[4:5], v[6:7]
	s_waitcnt vmcnt(6) lgkmcnt(5)
	v_mul_f64 v[124:125], v[94:95], v[52:53]
	v_mul_f64 v[52:53], v[96:97], v[52:53]
	v_fmac_f64_e32 v[122:123], v[92:93], v[46:47]
	v_fma_f64 v[10:11], v[90:91], v[46:47], -v[48:49]
	v_add_f64 v[2:3], v[2:3], v[120:121]
	v_add_f64 v[4:5], v[4:5], v[8:9]
	s_waitcnt vmcnt(5) lgkmcnt(4)
	v_mul_f64 v[126:127], v[98:99], v[56:57]
	v_mul_f64 v[56:57], v[100:101], v[56:57]
	v_fmac_f64_e32 v[124:125], v[96:97], v[50:51]
	v_fma_f64 v[12:13], v[94:95], v[50:51], -v[52:53]
	v_add_f64 v[2:3], v[2:3], v[122:123]
	v_add_f64 v[4:5], v[4:5], v[10:11]
	s_waitcnt vmcnt(4) lgkmcnt(3)
	v_mul_f64 v[128:129], v[102:103], v[60:61]
	v_mul_f64 v[60:61], v[104:105], v[60:61]
	v_fmac_f64_e32 v[126:127], v[100:101], v[54:55]
	v_fma_f64 v[14:15], v[98:99], v[54:55], -v[56:57]
	v_add_f64 v[2:3], v[2:3], v[124:125]
	v_add_f64 v[4:5], v[4:5], v[12:13]
	s_waitcnt vmcnt(3) lgkmcnt(2)
	v_mul_f64 v[130:131], v[106:107], v[64:65]
	v_mul_f64 v[64:65], v[108:109], v[64:65]
	v_fmac_f64_e32 v[128:129], v[104:105], v[58:59]
	v_fma_f64 v[46:47], v[102:103], v[58:59], -v[60:61]
	v_add_f64 v[2:3], v[2:3], v[126:127]
	v_add_f64 v[4:5], v[4:5], v[14:15]
	s_waitcnt vmcnt(2) lgkmcnt(1)
	v_mul_f64 v[132:133], v[110:111], v[68:69]
	v_mul_f64 v[68:69], v[112:113], v[68:69]
	v_fmac_f64_e32 v[130:131], v[108:109], v[62:63]
	v_fma_f64 v[48:49], v[106:107], v[62:63], -v[64:65]
	v_add_f64 v[2:3], v[2:3], v[128:129]
	v_add_f64 v[4:5], v[4:5], v[46:47]
	s_waitcnt vmcnt(1) lgkmcnt(0)
	v_mul_f64 v[134:135], v[114:115], v[72:73]
	v_mul_f64 v[72:73], v[116:117], v[72:73]
	v_fmac_f64_e32 v[132:133], v[112:113], v[66:67]
	v_fma_f64 v[50:51], v[110:111], v[66:67], -v[68:69]
	v_add_f64 v[2:3], v[2:3], v[130:131]
	v_add_f64 v[4:5], v[4:5], v[48:49]
	v_fmac_f64_e32 v[134:135], v[116:117], v[70:71]
	v_fma_f64 v[52:53], v[114:115], v[70:71], -v[72:73]
	v_add_f64 v[2:3], v[2:3], v[132:133]
	v_add_f64 v[4:5], v[4:5], v[50:51]
	v_add_f64 v[6:7], v[2:3], v[134:135]
	v_add_f64 v[2:3], v[4:5], v[52:53]
	s_waitcnt vmcnt(0)
	v_add_f64 v[2:3], v[74:75], -v[2:3]
	v_add_f64 v[4:5], v[76:77], -v[6:7]
	scratch_store_dwordx4 off, v[2:5], off offset:48
	s_and_saveexec_b64 s[2:3], vcc
	s_cbranch_execz .LBB77_93
; %bb.92:
	scratch_load_dwordx4 v[2:5], off, s29
	v_mov_b32_e32 v6, 0
	v_mov_b32_e32 v7, v6
	;; [unrolled: 1-line block ×4, first 2 shown]
	scratch_store_dwordx4 off, v[6:9], off offset:32
	s_waitcnt vmcnt(1)
	ds_write_b128 v44, v[2:5]
.LBB77_93:
	s_or_b64 exec, exec, s[2:3]
	s_waitcnt lgkmcnt(0)
	; wave barrier
	scratch_load_dwordx4 v[4:7], off, off offset:48
	scratch_load_dwordx4 v[8:11], off, off offset:64
	;; [unrolled: 1-line block ×12, first 2 shown]
	v_mov_b32_e32 v2, 0
	ds_read_b128 v[82:85], v2 offset:272
	ds_read_b128 v[86:89], v2 offset:288
	ds_read_b128 v[90:93], v2 offset:304
	ds_read_b128 v[94:97], v2 offset:320
	ds_read_b128 v[98:101], v2 offset:336
	ds_read_b128 v[102:105], v2 offset:352
	ds_read_b128 v[106:109], v2 offset:368
	ds_read_b128 v[110:113], v2 offset:384
	ds_read_b128 v[114:117], v2 offset:400
	ds_read_b128 v[118:121], v2 offset:416
	ds_read_b128 v[122:125], v2 offset:432
	v_cmp_lt_u32_e32 vcc, 1, v1
	s_waitcnt vmcnt(11) lgkmcnt(10)
	v_mul_f64 v[126:127], v[82:83], v[6:7]
	v_mul_f64 v[6:7], v[84:85], v[6:7]
	s_waitcnt vmcnt(10) lgkmcnt(9)
	v_mul_f64 v[128:129], v[86:87], v[10:11]
	s_waitcnt vmcnt(9) lgkmcnt(8)
	v_mul_f64 v[130:131], v[90:91], v[14:15]
	v_mul_f64 v[10:11], v[88:89], v[10:11]
	s_waitcnt vmcnt(6) lgkmcnt(5)
	v_mul_f64 v[136:137], v[102:103], v[56:57]
	v_mul_f64 v[14:15], v[92:93], v[14:15]
	;; [unrolled: 1-line block ×3, first 2 shown]
	v_fmac_f64_e32 v[126:127], v[84:85], v[4:5]
	v_fma_f64 v[4:5], v[82:83], v[4:5], -v[6:7]
	v_fmac_f64_e32 v[128:129], v[88:89], v[8:9]
	v_fma_f64 v[6:7], v[86:87], v[8:9], -v[10:11]
	v_fma_f64 v[8:9], v[90:91], v[12:13], -v[14:15]
	;; [unrolled: 1-line block ×3, first 2 shown]
	v_add_f64 v[56:57], v[126:127], 0
	v_add_f64 v[4:5], v[4:5], 0
	v_mul_f64 v[132:133], v[94:95], v[48:49]
	v_mul_f64 v[48:49], v[96:97], v[48:49]
	v_fmac_f64_e32 v[130:131], v[92:93], v[12:13]
	v_add_f64 v[56:57], v[56:57], v[128:129]
	v_add_f64 v[4:5], v[4:5], v[6:7]
	v_mul_f64 v[134:135], v[98:99], v[52:53]
	v_mul_f64 v[52:53], v[100:101], v[52:53]
	v_fmac_f64_e32 v[132:133], v[96:97], v[46:47]
	v_fma_f64 v[10:11], v[94:95], v[46:47], -v[48:49]
	v_add_f64 v[6:7], v[56:57], v[130:131]
	v_add_f64 v[4:5], v[4:5], v[8:9]
	v_fmac_f64_e32 v[134:135], v[100:101], v[50:51]
	v_fma_f64 v[12:13], v[98:99], v[50:51], -v[52:53]
	v_add_f64 v[6:7], v[6:7], v[132:133]
	v_add_f64 v[4:5], v[4:5], v[10:11]
	s_waitcnt vmcnt(5) lgkmcnt(4)
	v_mul_f64 v[138:139], v[106:107], v[60:61]
	v_mul_f64 v[60:61], v[108:109], v[60:61]
	v_fmac_f64_e32 v[136:137], v[104:105], v[54:55]
	v_add_f64 v[6:7], v[6:7], v[134:135]
	v_add_f64 v[4:5], v[4:5], v[12:13]
	s_waitcnt vmcnt(4) lgkmcnt(3)
	v_mul_f64 v[140:141], v[110:111], v[64:65]
	v_mul_f64 v[64:65], v[112:113], v[64:65]
	v_fmac_f64_e32 v[138:139], v[108:109], v[58:59]
	v_fma_f64 v[46:47], v[106:107], v[58:59], -v[60:61]
	v_add_f64 v[6:7], v[6:7], v[136:137]
	v_add_f64 v[4:5], v[4:5], v[14:15]
	s_waitcnt vmcnt(3) lgkmcnt(2)
	v_mul_f64 v[142:143], v[114:115], v[68:69]
	v_mul_f64 v[68:69], v[116:117], v[68:69]
	v_fmac_f64_e32 v[140:141], v[112:113], v[62:63]
	v_fma_f64 v[48:49], v[110:111], v[62:63], -v[64:65]
	;; [unrolled: 7-line block ×4, first 2 shown]
	v_add_f64 v[6:7], v[6:7], v[142:143]
	v_add_f64 v[4:5], v[4:5], v[50:51]
	v_fmac_f64_e32 v[146:147], v[124:125], v[74:75]
	v_fma_f64 v[54:55], v[122:123], v[74:75], -v[76:77]
	v_add_f64 v[6:7], v[6:7], v[144:145]
	v_add_f64 v[4:5], v[4:5], v[52:53]
	;; [unrolled: 1-line block ×4, first 2 shown]
	s_waitcnt vmcnt(0)
	v_add_f64 v[4:5], v[78:79], -v[4:5]
	v_add_f64 v[6:7], v[80:81], -v[6:7]
	scratch_store_dwordx4 off, v[4:7], off offset:32
	s_and_saveexec_b64 s[2:3], vcc
	s_cbranch_execz .LBB77_95
; %bb.94:
	scratch_load_dwordx4 v[6:9], off, s30
	v_mov_b32_e32 v3, v2
	v_mov_b32_e32 v4, v2
	;; [unrolled: 1-line block ×3, first 2 shown]
	scratch_store_dwordx4 off, v[2:5], off offset:16
	s_waitcnt vmcnt(1)
	ds_write_b128 v44, v[6:9]
.LBB77_95:
	s_or_b64 exec, exec, s[2:3]
	s_waitcnt lgkmcnt(0)
	; wave barrier
	scratch_load_dwordx4 v[4:7], off, off offset:32
	scratch_load_dwordx4 v[8:11], off, off offset:48
	;; [unrolled: 1-line block ×12, first 2 shown]
	ds_read_b128 v[82:85], v2 offset:256
	ds_read_b128 v[86:89], v2 offset:272
	;; [unrolled: 1-line block ×4, first 2 shown]
	scratch_load_dwordx4 v[98:101], off, off offset:16
	ds_read_b128 v[102:105], v2 offset:320
	ds_read_b128 v[106:109], v2 offset:336
	;; [unrolled: 1-line block ×8, first 2 shown]
	v_cmp_ne_u32_e32 vcc, 0, v1
	s_waitcnt vmcnt(12) lgkmcnt(11)
	v_mul_f64 v[2:3], v[82:83], v[6:7]
	s_waitcnt vmcnt(11) lgkmcnt(10)
	v_mul_f64 v[134:135], v[86:87], v[10:11]
	v_fmac_f64_e32 v[2:3], v[84:85], v[4:5]
	s_waitcnt vmcnt(10) lgkmcnt(9)
	v_mul_f64 v[136:137], v[90:91], v[14:15]
	v_mul_f64 v[6:7], v[84:85], v[6:7]
	v_fmac_f64_e32 v[134:135], v[88:89], v[8:9]
	v_add_f64 v[2:3], v[2:3], 0
	s_waitcnt vmcnt(9) lgkmcnt(8)
	v_mul_f64 v[138:139], v[94:95], v[48:49]
	v_mul_f64 v[10:11], v[88:89], v[10:11]
	v_fma_f64 v[4:5], v[82:83], v[4:5], -v[6:7]
	v_fmac_f64_e32 v[136:137], v[92:93], v[12:13]
	v_add_f64 v[2:3], v[2:3], v[134:135]
	s_waitcnt vmcnt(8) lgkmcnt(7)
	v_mul_f64 v[140:141], v[102:103], v[52:53]
	v_mul_f64 v[14:15], v[92:93], v[14:15]
	v_fma_f64 v[6:7], v[86:87], v[8:9], -v[10:11]
	v_fmac_f64_e32 v[138:139], v[96:97], v[46:47]
	v_add_f64 v[4:5], v[4:5], 0
	v_add_f64 v[2:3], v[2:3], v[136:137]
	s_waitcnt vmcnt(7) lgkmcnt(6)
	v_mul_f64 v[142:143], v[106:107], v[56:57]
	v_mul_f64 v[48:49], v[96:97], v[48:49]
	v_fma_f64 v[8:9], v[90:91], v[12:13], -v[14:15]
	v_fmac_f64_e32 v[140:141], v[104:105], v[50:51]
	v_add_f64 v[4:5], v[4:5], v[6:7]
	;; [unrolled: 7-line block ×3, first 2 shown]
	v_add_f64 v[2:3], v[2:3], v[140:141]
	s_waitcnt vmcnt(5) lgkmcnt(4)
	v_mul_f64 v[146:147], v[114:115], v[64:65]
	v_mul_f64 v[56:57], v[108:109], v[56:57]
	v_fmac_f64_e32 v[144:145], v[112:113], v[58:59]
	v_fma_f64 v[12:13], v[102:103], v[50:51], -v[52:53]
	v_add_f64 v[4:5], v[4:5], v[10:11]
	v_add_f64 v[2:3], v[2:3], v[142:143]
	s_waitcnt vmcnt(4) lgkmcnt(3)
	v_mul_f64 v[148:149], v[118:119], v[68:69]
	v_mul_f64 v[60:61], v[112:113], v[60:61]
	v_fmac_f64_e32 v[146:147], v[116:117], v[62:63]
	v_fma_f64 v[14:15], v[106:107], v[54:55], -v[56:57]
	v_add_f64 v[4:5], v[4:5], v[12:13]
	;; [unrolled: 7-line block ×5, first 2 shown]
	v_add_f64 v[2:3], v[2:3], v[150:151]
	v_mul_f64 v[76:77], v[128:129], v[76:77]
	v_fmac_f64_e32 v[154:155], v[132:133], v[78:79]
	v_fma_f64 v[52:53], v[122:123], v[70:71], -v[72:73]
	v_add_f64 v[4:5], v[4:5], v[50:51]
	v_add_f64 v[2:3], v[2:3], v[152:153]
	;; [unrolled: 1-line block ×4, first 2 shown]
	v_fma_f64 v[2:3], v[126:127], v[74:75], -v[76:77]
	v_add_f64 v[2:3], v[4:5], v[2:3]
	v_mul_f64 v[4:5], v[132:133], v[80:81]
	v_fma_f64 v[4:5], v[130:131], v[78:79], -v[4:5]
	v_add_f64 v[2:3], v[2:3], v[4:5]
	s_waitcnt vmcnt(0)
	v_add_f64 v[2:3], v[98:99], -v[2:3]
	v_add_f64 v[4:5], v[100:101], -v[6:7]
	scratch_store_dwordx4 off, v[2:5], off offset:16
	s_and_saveexec_b64 s[2:3], vcc
	s_cbranch_execz .LBB77_97
; %bb.96:
	scratch_load_dwordx4 v[2:5], off, off
	v_mov_b32_e32 v6, 0
	v_mov_b32_e32 v7, v6
	;; [unrolled: 1-line block ×4, first 2 shown]
	scratch_store_dwordx4 off, v[6:9], off
	s_waitcnt vmcnt(1)
	ds_write_b128 v44, v[2:5]
.LBB77_97:
	s_or_b64 exec, exec, s[2:3]
	s_waitcnt lgkmcnt(0)
	; wave barrier
	scratch_load_dwordx4 v[2:5], off, off offset:16
	scratch_load_dwordx4 v[8:11], off, off offset:32
	;; [unrolled: 1-line block ×13, first 2 shown]
	scratch_load_dwordx4 v[84:87], off, off
	v_mov_b32_e32 v6, 0
	ds_read_b128 v[88:91], v6 offset:240
	ds_read_b128 v[92:95], v6 offset:256
	;; [unrolled: 1-line block ×13, first 2 shown]
	s_and_b64 vcc, exec, s[14:15]
	s_waitcnt vmcnt(13) lgkmcnt(12)
	v_mul_f64 v[140:141], v[88:89], v[4:5]
	v_mul_f64 v[4:5], v[90:91], v[4:5]
	s_waitcnt vmcnt(12) lgkmcnt(11)
	v_mul_f64 v[142:143], v[92:93], v[10:11]
	v_mul_f64 v[10:11], v[94:95], v[10:11]
	v_fmac_f64_e32 v[140:141], v[90:91], v[2:3]
	v_fma_f64 v[2:3], v[88:89], v[2:3], -v[4:5]
	s_waitcnt vmcnt(11) lgkmcnt(10)
	v_mul_f64 v[144:145], v[96:97], v[14:15]
	v_mul_f64 v[14:15], v[98:99], v[14:15]
	v_fma_f64 v[4:5], v[92:93], v[8:9], -v[10:11]
	v_add_f64 v[2:3], v[2:3], 0
	s_waitcnt vmcnt(10) lgkmcnt(9)
	v_mul_f64 v[146:147], v[100:101], v[46:47]
	v_mul_f64 v[46:47], v[102:103], v[46:47]
	v_fmac_f64_e32 v[142:143], v[94:95], v[8:9]
	v_fma_f64 v[8:9], v[96:97], v[12:13], -v[14:15]
	v_add_f64 v[2:3], v[2:3], v[4:5]
	s_waitcnt vmcnt(9) lgkmcnt(8)
	v_mul_f64 v[148:149], v[104:105], v[50:51]
	v_mul_f64 v[50:51], v[106:107], v[50:51]
	v_fma_f64 v[10:11], v[100:101], v[44:45], -v[46:47]
	v_add_f64 v[2:3], v[2:3], v[8:9]
	s_waitcnt vmcnt(8) lgkmcnt(7)
	v_mul_f64 v[150:151], v[108:109], v[54:55]
	v_mul_f64 v[54:55], v[110:111], v[54:55]
	v_fmac_f64_e32 v[144:145], v[98:99], v[12:13]
	v_fma_f64 v[12:13], v[104:105], v[48:49], -v[50:51]
	v_add_f64 v[50:51], v[140:141], 0
	v_add_f64 v[2:3], v[2:3], v[10:11]
	s_waitcnt vmcnt(7) lgkmcnt(6)
	v_mul_f64 v[152:153], v[112:113], v[58:59]
	v_mul_f64 v[58:59], v[114:115], v[58:59]
	v_fma_f64 v[14:15], v[108:109], v[52:53], -v[54:55]
	v_add_f64 v[50:51], v[50:51], v[142:143]
	v_add_f64 v[2:3], v[2:3], v[12:13]
	s_waitcnt vmcnt(6) lgkmcnt(5)
	v_mul_f64 v[154:155], v[116:117], v[62:63]
	v_mul_f64 v[62:63], v[118:119], v[62:63]
	v_fmac_f64_e32 v[146:147], v[102:103], v[44:45]
	v_fma_f64 v[44:45], v[112:113], v[56:57], -v[58:59]
	v_add_f64 v[4:5], v[50:51], v[144:145]
	v_add_f64 v[2:3], v[2:3], v[14:15]
	s_waitcnt vmcnt(5) lgkmcnt(4)
	v_mul_f64 v[156:157], v[120:121], v[66:67]
	v_mul_f64 v[66:67], v[122:123], v[66:67]
	v_fmac_f64_e32 v[148:149], v[106:107], v[48:49]
	v_fma_f64 v[46:47], v[116:117], v[60:61], -v[62:63]
	v_add_f64 v[4:5], v[4:5], v[146:147]
	v_add_f64 v[2:3], v[2:3], v[44:45]
	v_fmac_f64_e32 v[150:151], v[110:111], v[52:53]
	v_fma_f64 v[48:49], v[120:121], v[64:65], -v[66:67]
	v_add_f64 v[4:5], v[4:5], v[148:149]
	v_add_f64 v[2:3], v[2:3], v[46:47]
	s_waitcnt vmcnt(4) lgkmcnt(3)
	v_mul_f64 v[8:9], v[126:127], v[70:71]
	v_fmac_f64_e32 v[152:153], v[114:115], v[56:57]
	v_add_f64 v[4:5], v[4:5], v[150:151]
	v_add_f64 v[2:3], v[2:3], v[48:49]
	v_fma_f64 v[8:9], v[124:125], v[68:69], -v[8:9]
	v_fmac_f64_e32 v[154:155], v[118:119], v[60:61]
	v_add_f64 v[4:5], v[4:5], v[152:153]
	v_add_f64 v[2:3], v[2:3], v[8:9]
	s_waitcnt vmcnt(3) lgkmcnt(2)
	v_mul_f64 v[8:9], v[130:131], v[74:75]
	v_mul_f64 v[158:159], v[124:125], v[70:71]
	v_fmac_f64_e32 v[156:157], v[122:123], v[64:65]
	v_add_f64 v[4:5], v[4:5], v[154:155]
	v_fma_f64 v[8:9], v[128:129], v[72:73], -v[8:9]
	v_mul_f64 v[160:161], v[128:129], v[74:75]
	v_fmac_f64_e32 v[158:159], v[126:127], v[68:69]
	v_add_f64 v[4:5], v[4:5], v[156:157]
	v_add_f64 v[2:3], v[2:3], v[8:9]
	s_waitcnt vmcnt(2) lgkmcnt(1)
	v_mul_f64 v[8:9], v[134:135], v[78:79]
	v_mul_f64 v[162:163], v[132:133], v[78:79]
	v_fmac_f64_e32 v[160:161], v[130:131], v[72:73]
	v_add_f64 v[4:5], v[4:5], v[158:159]
	v_fma_f64 v[8:9], v[132:133], v[76:77], -v[8:9]
	s_waitcnt vmcnt(1) lgkmcnt(0)
	v_mul_f64 v[164:165], v[136:137], v[82:83]
	v_fmac_f64_e32 v[162:163], v[134:135], v[76:77]
	v_add_f64 v[4:5], v[4:5], v[160:161]
	v_add_f64 v[2:3], v[2:3], v[8:9]
	v_mul_f64 v[8:9], v[138:139], v[82:83]
	v_fmac_f64_e32 v[164:165], v[138:139], v[80:81]
	v_add_f64 v[4:5], v[4:5], v[162:163]
	v_fma_f64 v[8:9], v[136:137], v[80:81], -v[8:9]
	v_add_f64 v[4:5], v[4:5], v[164:165]
	v_add_f64 v[2:3], v[2:3], v[8:9]
	s_waitcnt vmcnt(0)
	v_add_f64 v[2:3], v[84:85], -v[2:3]
	v_add_f64 v[4:5], v[86:87], -v[4:5]
	scratch_store_dwordx4 off, v[2:5], off
	s_cbranch_vccz .LBB77_124
; %bb.98:
	global_load_dword v2, v6, s[12:13] offset:48
	s_load_dwordx2 s[2:3], s[0:1], 0x4
	v_bfe_u32 v3, v0, 10, 10
	v_bfe_u32 v0, v0, 20, 10
	s_waitcnt lgkmcnt(0)
	s_lshr_b32 s0, s2, 16
	s_mul_i32 s0, s0, s3
	v_mul_u32_u24_e32 v1, s0, v1
	v_mul_u32_u24_e32 v3, s3, v3
	v_add3_u32 v0, v1, v3, v0
	v_mov_b32_e32 v1, 0x1c8
	v_lshl_add_u32 v0, v0, 4, v1
	s_waitcnt vmcnt(0)
	v_readfirstlane_b32 s0, v2
	s_add_i32 s0, s0, -1
	s_cmp_lg_u32 s0, 12
	s_cbranch_scc0 .LBB77_100
; %bb.99:
	s_lshl_b32 s0, s0, 4
	scratch_load_dwordx4 v[2:5], off, s19
	scratch_load_dwordx4 v[6:9], off, s0
	s_waitcnt vmcnt(1)
	ds_write2_b64 v0, v[2:3], v[4:5] offset1:1
	s_waitcnt vmcnt(0)
	scratch_store_dwordx4 off, v[6:9], s19
	scratch_store_dwordx4 off, v[2:5], s0
.LBB77_100:
	v_mov_b32_e32 v1, 0
	global_load_dword v2, v1, s[12:13] offset:44
	s_waitcnt vmcnt(0)
	v_readfirstlane_b32 s0, v2
	s_add_i32 s0, s0, -1
	s_cmp_eq_u32 s0, 11
	s_cbranch_scc1 .LBB77_102
; %bb.101:
	s_lshl_b32 s0, s0, 4
	scratch_load_dwordx4 v[2:5], off, s20
	scratch_load_dwordx4 v[6:9], off, s0
	s_waitcnt vmcnt(1)
	ds_write2_b64 v0, v[2:3], v[4:5] offset1:1
	s_waitcnt vmcnt(0)
	scratch_store_dwordx4 off, v[6:9], s20
	scratch_store_dwordx4 off, v[2:5], s0
.LBB77_102:
	global_load_dword v1, v1, s[12:13] offset:40
	s_waitcnt vmcnt(0)
	v_readfirstlane_b32 s0, v1
	s_add_i32 s0, s0, -1
	s_cmp_eq_u32 s0, 10
	s_cbranch_scc1 .LBB77_104
; %bb.103:
	s_lshl_b32 s0, s0, 4
	scratch_load_dwordx4 v[2:5], off, s21
	scratch_load_dwordx4 v[6:9], off, s0
	s_waitcnt vmcnt(1)
	ds_write2_b64 v0, v[2:3], v[4:5] offset1:1
	s_waitcnt vmcnt(0)
	scratch_store_dwordx4 off, v[6:9], s21
	scratch_store_dwordx4 off, v[2:5], s0
.LBB77_104:
	v_mov_b32_e32 v1, 0
	global_load_dword v2, v1, s[12:13] offset:36
	s_waitcnt vmcnt(0)
	v_readfirstlane_b32 s0, v2
	s_add_i32 s0, s0, -1
	s_cmp_eq_u32 s0, 9
	s_cbranch_scc1 .LBB77_106
; %bb.105:
	s_lshl_b32 s0, s0, 4
	scratch_load_dwordx4 v[2:5], off, s22
	scratch_load_dwordx4 v[6:9], off, s0
	s_waitcnt vmcnt(1)
	ds_write2_b64 v0, v[2:3], v[4:5] offset1:1
	s_waitcnt vmcnt(0)
	scratch_store_dwordx4 off, v[6:9], s22
	scratch_store_dwordx4 off, v[2:5], s0
.LBB77_106:
	global_load_dword v1, v1, s[12:13] offset:32
	s_waitcnt vmcnt(0)
	v_readfirstlane_b32 s0, v1
	s_add_i32 s0, s0, -1
	s_cmp_eq_u32 s0, 8
	s_cbranch_scc1 .LBB77_108
; %bb.107:
	s_lshl_b32 s0, s0, 4
	scratch_load_dwordx4 v[2:5], off, s23
	scratch_load_dwordx4 v[6:9], off, s0
	s_waitcnt vmcnt(1)
	ds_write2_b64 v0, v[2:3], v[4:5] offset1:1
	s_waitcnt vmcnt(0)
	scratch_store_dwordx4 off, v[6:9], s23
	scratch_store_dwordx4 off, v[2:5], s0
.LBB77_108:
	;; [unrolled: 33-line block ×5, first 2 shown]
	v_mov_b32_e32 v1, 0
	global_load_dword v2, v1, s[12:13] offset:4
	s_waitcnt vmcnt(0)
	v_readfirstlane_b32 s0, v2
	s_add_i32 s0, s0, -1
	s_cmp_eq_u32 s0, 1
	s_cbranch_scc1 .LBB77_122
; %bb.121:
	s_lshl_b32 s0, s0, 4
	scratch_load_dwordx4 v[2:5], off, s30
	scratch_load_dwordx4 v[6:9], off, s0
	s_waitcnt vmcnt(1)
	ds_write2_b64 v0, v[2:3], v[4:5] offset1:1
	s_waitcnt vmcnt(0)
	scratch_store_dwordx4 off, v[6:9], s30
	scratch_store_dwordx4 off, v[2:5], s0
.LBB77_122:
	global_load_dword v1, v1, s[12:13]
	s_waitcnt vmcnt(0)
	v_readfirstlane_b32 s0, v1
	s_add_i32 s0, s0, -1
	s_cmp_eq_u32 s0, 0
	s_cbranch_scc1 .LBB77_124
; %bb.123:
	s_lshl_b32 s0, s0, 4
	scratch_load_dwordx4 v[2:5], off, off
	scratch_load_dwordx4 v[6:9], off, s0
	s_waitcnt vmcnt(1)
	ds_write2_b64 v0, v[2:3], v[4:5] offset1:1
	s_waitcnt vmcnt(0)
	scratch_store_dwordx4 off, v[6:9], off
	scratch_store_dwordx4 off, v[2:5], s0
.LBB77_124:
	scratch_load_dwordx4 v[0:3], off, off
	s_waitcnt vmcnt(0)
	flat_store_dwordx4 v[16:17], v[0:3]
	scratch_load_dwordx4 v[0:3], off, s30
	s_waitcnt vmcnt(0)
	flat_store_dwordx4 v[18:19], v[0:3]
	scratch_load_dwordx4 v[0:3], off, s29
	;; [unrolled: 3-line block ×13, first 2 shown]
	s_waitcnt vmcnt(0)
	flat_store_dwordx4 v[42:43], v[0:3]
	s_endpgm
	.section	.rodata,"a",@progbits
	.p2align	6, 0x0
	.amdhsa_kernel _ZN9rocsolver6v33100L18getri_kernel_smallILi14E19rocblas_complex_numIdEPKPS3_EEvT1_iilPiilS8_bb
		.amdhsa_group_segment_fixed_size 1480
		.amdhsa_private_segment_fixed_size 240
		.amdhsa_kernarg_size 60
		.amdhsa_user_sgpr_count 4
		.amdhsa_user_sgpr_dispatch_ptr 1
		.amdhsa_user_sgpr_queue_ptr 0
		.amdhsa_user_sgpr_kernarg_segment_ptr 1
		.amdhsa_user_sgpr_dispatch_id 0
		.amdhsa_user_sgpr_kernarg_preload_length 0
		.amdhsa_user_sgpr_kernarg_preload_offset 0
		.amdhsa_user_sgpr_private_segment_size 0
		.amdhsa_uses_dynamic_stack 0
		.amdhsa_enable_private_segment 1
		.amdhsa_system_sgpr_workgroup_id_x 1
		.amdhsa_system_sgpr_workgroup_id_y 0
		.amdhsa_system_sgpr_workgroup_id_z 0
		.amdhsa_system_sgpr_workgroup_info 0
		.amdhsa_system_vgpr_workitem_id 2
		.amdhsa_next_free_vgpr 166
		.amdhsa_next_free_sgpr 32
		.amdhsa_accum_offset 168
		.amdhsa_reserve_vcc 1
		.amdhsa_float_round_mode_32 0
		.amdhsa_float_round_mode_16_64 0
		.amdhsa_float_denorm_mode_32 3
		.amdhsa_float_denorm_mode_16_64 3
		.amdhsa_dx10_clamp 1
		.amdhsa_ieee_mode 1
		.amdhsa_fp16_overflow 0
		.amdhsa_tg_split 0
		.amdhsa_exception_fp_ieee_invalid_op 0
		.amdhsa_exception_fp_denorm_src 0
		.amdhsa_exception_fp_ieee_div_zero 0
		.amdhsa_exception_fp_ieee_overflow 0
		.amdhsa_exception_fp_ieee_underflow 0
		.amdhsa_exception_fp_ieee_inexact 0
		.amdhsa_exception_int_div_zero 0
	.end_amdhsa_kernel
	.section	.text._ZN9rocsolver6v33100L18getri_kernel_smallILi14E19rocblas_complex_numIdEPKPS3_EEvT1_iilPiilS8_bb,"axG",@progbits,_ZN9rocsolver6v33100L18getri_kernel_smallILi14E19rocblas_complex_numIdEPKPS3_EEvT1_iilPiilS8_bb,comdat
.Lfunc_end77:
	.size	_ZN9rocsolver6v33100L18getri_kernel_smallILi14E19rocblas_complex_numIdEPKPS3_EEvT1_iilPiilS8_bb, .Lfunc_end77-_ZN9rocsolver6v33100L18getri_kernel_smallILi14E19rocblas_complex_numIdEPKPS3_EEvT1_iilPiilS8_bb
                                        ; -- End function
	.set _ZN9rocsolver6v33100L18getri_kernel_smallILi14E19rocblas_complex_numIdEPKPS3_EEvT1_iilPiilS8_bb.num_vgpr, 166
	.set _ZN9rocsolver6v33100L18getri_kernel_smallILi14E19rocblas_complex_numIdEPKPS3_EEvT1_iilPiilS8_bb.num_agpr, 0
	.set _ZN9rocsolver6v33100L18getri_kernel_smallILi14E19rocblas_complex_numIdEPKPS3_EEvT1_iilPiilS8_bb.numbered_sgpr, 32
	.set _ZN9rocsolver6v33100L18getri_kernel_smallILi14E19rocblas_complex_numIdEPKPS3_EEvT1_iilPiilS8_bb.num_named_barrier, 0
	.set _ZN9rocsolver6v33100L18getri_kernel_smallILi14E19rocblas_complex_numIdEPKPS3_EEvT1_iilPiilS8_bb.private_seg_size, 240
	.set _ZN9rocsolver6v33100L18getri_kernel_smallILi14E19rocblas_complex_numIdEPKPS3_EEvT1_iilPiilS8_bb.uses_vcc, 1
	.set _ZN9rocsolver6v33100L18getri_kernel_smallILi14E19rocblas_complex_numIdEPKPS3_EEvT1_iilPiilS8_bb.uses_flat_scratch, 0
	.set _ZN9rocsolver6v33100L18getri_kernel_smallILi14E19rocblas_complex_numIdEPKPS3_EEvT1_iilPiilS8_bb.has_dyn_sized_stack, 0
	.set _ZN9rocsolver6v33100L18getri_kernel_smallILi14E19rocblas_complex_numIdEPKPS3_EEvT1_iilPiilS8_bb.has_recursion, 0
	.set _ZN9rocsolver6v33100L18getri_kernel_smallILi14E19rocblas_complex_numIdEPKPS3_EEvT1_iilPiilS8_bb.has_indirect_call, 0
	.section	.AMDGPU.csdata,"",@progbits
; Kernel info:
; codeLenInByte = 12844
; TotalNumSgprs: 38
; NumVgprs: 166
; NumAgprs: 0
; TotalNumVgprs: 166
; ScratchSize: 240
; MemoryBound: 0
; FloatMode: 240
; IeeeMode: 1
; LDSByteSize: 1480 bytes/workgroup (compile time only)
; SGPRBlocks: 4
; VGPRBlocks: 20
; NumSGPRsForWavesPerEU: 38
; NumVGPRsForWavesPerEU: 166
; AccumOffset: 168
; Occupancy: 3
; WaveLimiterHint : 1
; COMPUTE_PGM_RSRC2:SCRATCH_EN: 1
; COMPUTE_PGM_RSRC2:USER_SGPR: 4
; COMPUTE_PGM_RSRC2:TRAP_HANDLER: 0
; COMPUTE_PGM_RSRC2:TGID_X_EN: 1
; COMPUTE_PGM_RSRC2:TGID_Y_EN: 0
; COMPUTE_PGM_RSRC2:TGID_Z_EN: 0
; COMPUTE_PGM_RSRC2:TIDIG_COMP_CNT: 2
; COMPUTE_PGM_RSRC3_GFX90A:ACCUM_OFFSET: 41
; COMPUTE_PGM_RSRC3_GFX90A:TG_SPLIT: 0
	.section	.text._ZN9rocsolver6v33100L18getri_kernel_smallILi15E19rocblas_complex_numIdEPKPS3_EEvT1_iilPiilS8_bb,"axG",@progbits,_ZN9rocsolver6v33100L18getri_kernel_smallILi15E19rocblas_complex_numIdEPKPS3_EEvT1_iilPiilS8_bb,comdat
	.globl	_ZN9rocsolver6v33100L18getri_kernel_smallILi15E19rocblas_complex_numIdEPKPS3_EEvT1_iilPiilS8_bb ; -- Begin function _ZN9rocsolver6v33100L18getri_kernel_smallILi15E19rocblas_complex_numIdEPKPS3_EEvT1_iilPiilS8_bb
	.p2align	8
	.type	_ZN9rocsolver6v33100L18getri_kernel_smallILi15E19rocblas_complex_numIdEPKPS3_EEvT1_iilPiilS8_bb,@function
_ZN9rocsolver6v33100L18getri_kernel_smallILi15E19rocblas_complex_numIdEPKPS3_EEvT1_iilPiilS8_bb: ; @_ZN9rocsolver6v33100L18getri_kernel_smallILi15E19rocblas_complex_numIdEPKPS3_EEvT1_iilPiilS8_bb
; %bb.0:
	v_and_b32_e32 v1, 0x3ff, v0
	v_cmp_gt_u32_e32 vcc, 15, v1
	s_and_saveexec_b64 s[6:7], vcc
	s_cbranch_execz .LBB78_74
; %bb.1:
	s_load_dword s18, s[2:3], 0x38
	s_load_dwordx2 s[6:7], s[2:3], 0x0
	s_load_dwordx4 s[8:11], s[2:3], 0x28
	s_waitcnt lgkmcnt(0)
	s_bitcmp1_b32 s18, 8
	s_cselect_b64 s[14:15], -1, 0
	s_ashr_i32 s5, s4, 31
	s_lshl_b64 s[12:13], s[4:5], 3
	s_add_u32 s6, s6, s12
	s_addc_u32 s7, s7, s13
	s_load_dwordx2 s[16:17], s[6:7], 0x0
	s_bfe_u32 s6, s18, 0x10008
	s_cmp_eq_u32 s6, 0
                                        ; implicit-def: $sgpr12_sgpr13
	s_cbranch_scc1 .LBB78_3
; %bb.2:
	s_load_dword s6, s[2:3], 0x20
	s_load_dwordx2 s[12:13], s[2:3], 0x18
	s_mul_i32 s7, s8, s5
	s_mul_hi_u32 s18, s8, s4
	s_add_i32 s18, s18, s7
	s_mul_i32 s9, s9, s4
	s_add_i32 s9, s18, s9
	s_mul_i32 s8, s8, s4
	s_waitcnt lgkmcnt(0)
	s_ashr_i32 s7, s6, 31
	s_lshl_b64 s[8:9], s[8:9], 2
	s_add_u32 s8, s12, s8
	s_addc_u32 s9, s13, s9
	s_lshl_b64 s[6:7], s[6:7], 2
	s_add_u32 s12, s8, s6
	s_addc_u32 s13, s9, s7
.LBB78_3:
	s_load_dwordx2 s[6:7], s[2:3], 0x8
	s_load_dword s33, s[2:3], 0x38
	v_lshlrev_b32_e32 v14, 4, v1
	v_mov_b32_e32 v15, 0
	s_movk_i32 s34, 0xe0
	s_waitcnt lgkmcnt(0)
	s_ashr_i32 s3, s6, 31
	s_mov_b32 s2, s6
	s_lshl_b64 s[2:3], s[2:3], 4
	s_add_u32 s2, s16, s2
	s_addc_u32 s3, s17, s3
	v_lshl_add_u64 v[16:17], s[2:3], 0, v[14:15]
	flat_load_dwordx4 v[2:5], v[16:17]
	s_mov_b32 s8, s7
	s_ashr_i32 s9, s7, 31
	v_lshl_add_u64 v[18:19], s[8:9], 4, v[16:17]
	s_add_i32 s6, s7, s7
	v_add_u32_e32 v6, s6, v1
	v_ashrrev_i32_e32 v7, 31, v6
	v_lshl_add_u64 v[20:21], v[6:7], 4, s[2:3]
	v_add_u32_e32 v6, s7, v6
	v_ashrrev_i32_e32 v7, 31, v6
	v_lshl_add_u64 v[22:23], v[6:7], 4, s[2:3]
	;; [unrolled: 3-line block ×13, first 2 shown]
	s_movk_i32 s27, 0x50
	s_movk_i32 s26, 0x60
	;; [unrolled: 1-line block ×9, first 2 shown]
	s_mov_b32 s31, 16
	s_mov_b32 s30, 32
	s_mov_b32 s29, 48
	s_mov_b32 s28, 64
	s_mov_b32 s18, s34
	s_bitcmp0_b32 s33, 0
	s_mov_b64 s[6:7], -1
	s_waitcnt vmcnt(0) lgkmcnt(0)
	scratch_store_dwordx4 off, v[2:5], off
	flat_load_dwordx4 v[2:5], v[18:19]
	s_waitcnt vmcnt(0) lgkmcnt(0)
	scratch_store_dwordx4 off, v[2:5], off offset:16
	flat_load_dwordx4 v[2:5], v[20:21]
	s_waitcnt vmcnt(0) lgkmcnt(0)
	scratch_store_dwordx4 off, v[2:5], off offset:32
	;; [unrolled: 3-line block ×14, first 2 shown]
	s_cbranch_scc1 .LBB78_72
; %bb.4:
	v_cmp_eq_u32_e64 s[2:3], 0, v1
	s_and_saveexec_b64 s[6:7], s[2:3]
; %bb.5:
	v_mov_b32_e32 v2, 0
	ds_write_b32 v2, v2 offset:480
; %bb.6:
	s_or_b64 exec, exec, s[6:7]
	s_waitcnt lgkmcnt(0)
	; wave barrier
	scratch_load_dwordx4 v[2:5], v14, off
	s_waitcnt vmcnt(0)
	v_cmp_eq_f64_e32 vcc, 0, v[2:3]
	v_cmp_eq_f64_e64 s[6:7], 0, v[4:5]
	s_and_b64 s[6:7], vcc, s[6:7]
	s_and_saveexec_b64 s[8:9], s[6:7]
	s_cbranch_execz .LBB78_10
; %bb.7:
	v_mov_b32_e32 v2, 0
	ds_read_b32 v4, v2 offset:480
	v_add_u32_e32 v3, 1, v1
	s_waitcnt lgkmcnt(0)
	v_readfirstlane_b32 s6, v4
	s_cmp_eq_u32 s6, 0
	s_cselect_b64 s[16:17], -1, 0
	v_cmp_gt_i32_e32 vcc, s6, v3
	s_or_b64 s[16:17], s[16:17], vcc
	s_and_b64 exec, exec, s[16:17]
	s_cbranch_execz .LBB78_10
; %bb.8:
	s_mov_b64 s[16:17], 0
	v_mov_b32_e32 v4, s6
.LBB78_9:                               ; =>This Inner Loop Header: Depth=1
	ds_cmpst_rtn_b32 v4, v2, v4, v3 offset:480
	s_waitcnt lgkmcnt(0)
	v_cmp_ne_u32_e32 vcc, 0, v4
	v_cmp_le_i32_e64 s[6:7], v4, v3
	s_and_b64 s[6:7], vcc, s[6:7]
	s_and_b64 s[6:7], exec, s[6:7]
	s_or_b64 s[16:17], s[6:7], s[16:17]
	s_andn2_b64 exec, exec, s[16:17]
	s_cbranch_execnz .LBB78_9
.LBB78_10:
	s_or_b64 exec, exec, s[8:9]
	v_mov_b32_e32 v3, 0
	; wave barrier
	ds_read_b32 v2, v3 offset:480
	s_and_saveexec_b64 s[6:7], s[2:3]
	s_cbranch_execz .LBB78_12
; %bb.11:
	s_lshl_b64 s[8:9], s[4:5], 2
	s_add_u32 s8, s10, s8
	s_addc_u32 s9, s11, s9
	s_waitcnt lgkmcnt(0)
	global_store_dword v3, v2, s[8:9]
.LBB78_12:
	s_or_b64 exec, exec, s[6:7]
	s_waitcnt lgkmcnt(0)
	v_cmp_ne_u32_e32 vcc, 0, v2
	s_mov_b64 s[6:7], 0
	s_cbranch_vccnz .LBB78_72
; %bb.13:
	v_mov_b32_e32 v15, v14
	scratch_load_dwordx4 v[2:5], v15, off
                                        ; implicit-def: $vgpr6_vgpr7
                                        ; implicit-def: $vgpr10_vgpr11
	s_waitcnt vmcnt(0)
	v_cmp_ngt_f64_e64 s[6:7], |v[2:3]|, |v[4:5]|
	s_and_saveexec_b64 s[8:9], s[6:7]
	s_xor_b64 s[6:7], exec, s[8:9]
	s_cbranch_execz .LBB78_15
; %bb.14:
	v_div_scale_f64 v[6:7], s[8:9], v[4:5], v[4:5], v[2:3]
	v_rcp_f64_e32 v[8:9], v[6:7]
	v_div_scale_f64 v[10:11], vcc, v[2:3], v[4:5], v[2:3]
	v_fma_f64 v[12:13], -v[6:7], v[8:9], 1.0
	v_fmac_f64_e32 v[8:9], v[8:9], v[12:13]
	v_fma_f64 v[12:13], -v[6:7], v[8:9], 1.0
	v_fmac_f64_e32 v[8:9], v[8:9], v[12:13]
	v_mul_f64 v[12:13], v[10:11], v[8:9]
	v_fma_f64 v[6:7], -v[6:7], v[12:13], v[10:11]
	v_div_fmas_f64 v[6:7], v[6:7], v[8:9], v[12:13]
	v_div_fixup_f64 v[6:7], v[6:7], v[4:5], v[2:3]
	v_fmac_f64_e32 v[4:5], v[2:3], v[6:7]
	v_div_scale_f64 v[2:3], s[8:9], v[4:5], v[4:5], 1.0
	v_rcp_f64_e32 v[8:9], v[2:3]
	s_nop 0
	v_fma_f64 v[10:11], -v[2:3], v[8:9], 1.0
	v_fmac_f64_e32 v[8:9], v[8:9], v[10:11]
	v_fma_f64 v[10:11], -v[2:3], v[8:9], 1.0
	v_fmac_f64_e32 v[8:9], v[8:9], v[10:11]
	v_div_scale_f64 v[10:11], vcc, 1.0, v[4:5], 1.0
	v_mul_f64 v[12:13], v[10:11], v[8:9]
	v_fma_f64 v[2:3], -v[2:3], v[12:13], v[10:11]
	s_nop 1
	v_div_fmas_f64 v[2:3], v[2:3], v[8:9], v[12:13]
	v_div_fixup_f64 v[8:9], v[2:3], v[4:5], 1.0
	v_mul_f64 v[6:7], v[6:7], v[8:9]
	v_xor_b32_e32 v9, 0x80000000, v9
	v_xor_b32_e32 v11, 0x80000000, v7
	v_mov_b32_e32 v10, v6
                                        ; implicit-def: $vgpr2_vgpr3
.LBB78_15:
	s_andn2_saveexec_b64 s[6:7], s[6:7]
	s_cbranch_execz .LBB78_17
; %bb.16:
	v_div_scale_f64 v[6:7], s[8:9], v[2:3], v[2:3], v[4:5]
	v_rcp_f64_e32 v[8:9], v[6:7]
	v_div_scale_f64 v[10:11], vcc, v[4:5], v[2:3], v[4:5]
	v_fma_f64 v[12:13], -v[6:7], v[8:9], 1.0
	v_fmac_f64_e32 v[8:9], v[8:9], v[12:13]
	v_fma_f64 v[12:13], -v[6:7], v[8:9], 1.0
	v_fmac_f64_e32 v[8:9], v[8:9], v[12:13]
	v_mul_f64 v[12:13], v[10:11], v[8:9]
	v_fma_f64 v[6:7], -v[6:7], v[12:13], v[10:11]
	v_div_fmas_f64 v[6:7], v[6:7], v[8:9], v[12:13]
	v_div_fixup_f64 v[8:9], v[6:7], v[2:3], v[4:5]
	v_fmac_f64_e32 v[2:3], v[4:5], v[8:9]
	v_div_scale_f64 v[4:5], s[8:9], v[2:3], v[2:3], 1.0
	v_rcp_f64_e32 v[6:7], v[4:5]
	s_nop 0
	v_fma_f64 v[10:11], -v[4:5], v[6:7], 1.0
	v_fmac_f64_e32 v[6:7], v[6:7], v[10:11]
	v_fma_f64 v[10:11], -v[4:5], v[6:7], 1.0
	v_fmac_f64_e32 v[6:7], v[6:7], v[10:11]
	v_div_scale_f64 v[10:11], vcc, 1.0, v[2:3], 1.0
	v_mul_f64 v[12:13], v[10:11], v[6:7]
	v_fma_f64 v[4:5], -v[4:5], v[12:13], v[10:11]
	s_nop 1
	v_div_fmas_f64 v[4:5], v[4:5], v[6:7], v[12:13]
	v_div_fixup_f64 v[6:7], v[4:5], v[2:3], 1.0
	v_xor_b32_e32 v11, 0x80000000, v7
	v_mov_b32_e32 v10, v6
	v_mul_f64 v[8:9], v[8:9], -v[6:7]
.LBB78_17:
	s_or_b64 exec, exec, s[6:7]
	scratch_store_dwordx4 v15, v[6:9], off
	scratch_load_dwordx4 v[2:5], off, s31
	v_xor_b32_e32 v13, 0x80000000, v9
	v_mov_b32_e32 v12, v8
	v_add_u32_e32 v6, 0xf0, v14
	ds_write_b128 v14, v[10:13]
	s_waitcnt vmcnt(0)
	ds_write_b128 v14, v[2:5] offset:240
	s_waitcnt lgkmcnt(0)
	; wave barrier
	s_and_saveexec_b64 s[6:7], s[2:3]
	s_cbranch_execz .LBB78_19
; %bb.18:
	scratch_load_dwordx4 v[2:5], v15, off
	ds_read_b128 v[8:11], v6
	v_mov_b32_e32 v7, 0
	ds_read_b128 v[46:49], v7 offset:16
	s_waitcnt vmcnt(0) lgkmcnt(1)
	v_mul_f64 v[12:13], v[10:11], v[4:5]
	v_mul_f64 v[4:5], v[8:9], v[4:5]
	v_fma_f64 v[8:9], v[8:9], v[2:3], -v[12:13]
	v_fmac_f64_e32 v[4:5], v[10:11], v[2:3]
	v_add_f64 v[2:3], v[8:9], 0
	v_add_f64 v[8:9], v[4:5], 0
	s_waitcnt lgkmcnt(0)
	v_mul_f64 v[10:11], v[8:9], v[48:49]
	v_mul_f64 v[4:5], v[2:3], v[48:49]
	v_fma_f64 v[2:3], v[2:3], v[46:47], -v[10:11]
	v_fmac_f64_e32 v[4:5], v[8:9], v[46:47]
	scratch_store_dwordx4 off, v[2:5], off offset:16
.LBB78_19:
	s_or_b64 exec, exec, s[6:7]
	; wave barrier
	scratch_load_dwordx4 v[2:5], off, s30
	v_cmp_gt_u32_e32 vcc, 2, v1
	s_waitcnt vmcnt(0)
	ds_write_b128 v6, v[2:5]
	s_waitcnt lgkmcnt(0)
	; wave barrier
	s_and_saveexec_b64 s[6:7], vcc
	s_cbranch_execz .LBB78_23
; %bb.20:
	scratch_load_dwordx4 v[2:5], v15, off
	ds_read_b128 v[8:11], v6
	s_waitcnt vmcnt(0) lgkmcnt(0)
	v_mul_f64 v[12:13], v[10:11], v[4:5]
	v_mul_f64 v[46:47], v[8:9], v[4:5]
	v_fma_f64 v[4:5], v[8:9], v[2:3], -v[12:13]
	v_fmac_f64_e32 v[46:47], v[10:11], v[2:3]
	v_add_f64 v[4:5], v[4:5], 0
	v_add_f64 v[2:3], v[46:47], 0
	s_and_saveexec_b64 s[8:9], s[2:3]
	s_cbranch_execz .LBB78_22
; %bb.21:
	scratch_load_dwordx4 v[8:11], off, off offset:16
	v_mov_b32_e32 v7, 0
	ds_read_b128 v[46:49], v7 offset:256
	s_waitcnt vmcnt(0) lgkmcnt(0)
	v_mul_f64 v[12:13], v[46:47], v[10:11]
	v_mul_f64 v[10:11], v[48:49], v[10:11]
	v_fmac_f64_e32 v[12:13], v[48:49], v[8:9]
	v_fma_f64 v[8:9], v[46:47], v[8:9], -v[10:11]
	v_add_f64 v[2:3], v[2:3], v[12:13]
	v_add_f64 v[4:5], v[4:5], v[8:9]
.LBB78_22:
	s_or_b64 exec, exec, s[8:9]
	v_mov_b32_e32 v7, 0
	ds_read_b128 v[8:11], v7 offset:32
	s_waitcnt lgkmcnt(0)
	v_mul_f64 v[46:47], v[2:3], v[10:11]
	v_mul_f64 v[12:13], v[4:5], v[10:11]
	v_fma_f64 v[10:11], v[4:5], v[8:9], -v[46:47]
	v_fmac_f64_e32 v[12:13], v[2:3], v[8:9]
	scratch_store_dwordx4 off, v[10:13], off offset:32
.LBB78_23:
	s_or_b64 exec, exec, s[6:7]
	; wave barrier
	scratch_load_dwordx4 v[2:5], off, s29
	v_cmp_gt_u32_e32 vcc, 3, v1
	v_add_u32_e32 v7, -1, v1
	s_waitcnt vmcnt(0)
	ds_write_b128 v6, v[2:5]
	s_waitcnt lgkmcnt(0)
	; wave barrier
	s_and_saveexec_b64 s[2:3], vcc
	s_cbranch_execz .LBB78_27
; %bb.24:
	v_add_u32_e32 v8, -1, v1
	v_add_u32_e32 v9, 0xf0, v14
	v_mov_b32_e32 v10, v14
	v_mov_b64_e32 v[2:3], 0
	s_mov_b64 s[6:7], 0
	v_mov_b64_e32 v[4:5], 0
.LBB78_25:                              ; =>This Inner Loop Header: Depth=1
	scratch_load_dwordx4 v[46:49], v10, off
	ds_read_b128 v[50:53], v9
	v_add_u32_e32 v8, 1, v8
	v_cmp_lt_u32_e32 vcc, 1, v8
	v_add_u32_e32 v9, 16, v9
	v_add_u32_e32 v10, 16, v10
	s_or_b64 s[6:7], vcc, s[6:7]
	s_waitcnt vmcnt(0) lgkmcnt(0)
	v_mul_f64 v[12:13], v[52:53], v[48:49]
	v_mul_f64 v[48:49], v[50:51], v[48:49]
	v_fma_f64 v[12:13], v[50:51], v[46:47], -v[12:13]
	v_fmac_f64_e32 v[48:49], v[52:53], v[46:47]
	v_add_f64 v[4:5], v[4:5], v[12:13]
	v_add_f64 v[2:3], v[2:3], v[48:49]
	s_andn2_b64 exec, exec, s[6:7]
	s_cbranch_execnz .LBB78_25
; %bb.26:
	s_or_b64 exec, exec, s[6:7]
	v_mov_b32_e32 v8, 0
	ds_read_b128 v[8:11], v8 offset:48
	s_waitcnt lgkmcnt(0)
	v_mul_f64 v[46:47], v[2:3], v[10:11]
	v_mul_f64 v[12:13], v[4:5], v[10:11]
	v_fma_f64 v[10:11], v[4:5], v[8:9], -v[46:47]
	v_fmac_f64_e32 v[12:13], v[2:3], v[8:9]
	scratch_store_dwordx4 off, v[10:13], off offset:48
.LBB78_27:
	s_or_b64 exec, exec, s[2:3]
	; wave barrier
	scratch_load_dwordx4 v[2:5], off, s28
	v_cmp_gt_u32_e32 vcc, 4, v1
	s_waitcnt vmcnt(0)
	ds_write_b128 v6, v[2:5]
	s_waitcnt lgkmcnt(0)
	; wave barrier
	s_and_saveexec_b64 s[2:3], vcc
	s_cbranch_execz .LBB78_31
; %bb.28:
	v_add_u32_e32 v8, -1, v1
	v_add_u32_e32 v9, 0xf0, v14
	v_mov_b32_e32 v10, v14
	v_mov_b64_e32 v[2:3], 0
	s_mov_b64 s[6:7], 0
	v_mov_b64_e32 v[4:5], 0
.LBB78_29:                              ; =>This Inner Loop Header: Depth=1
	scratch_load_dwordx4 v[46:49], v10, off
	ds_read_b128 v[50:53], v9
	v_add_u32_e32 v8, 1, v8
	v_cmp_lt_u32_e32 vcc, 2, v8
	v_add_u32_e32 v9, 16, v9
	v_add_u32_e32 v10, 16, v10
	s_or_b64 s[6:7], vcc, s[6:7]
	s_waitcnt vmcnt(0) lgkmcnt(0)
	v_mul_f64 v[12:13], v[52:53], v[48:49]
	v_mul_f64 v[48:49], v[50:51], v[48:49]
	v_fma_f64 v[12:13], v[50:51], v[46:47], -v[12:13]
	v_fmac_f64_e32 v[48:49], v[52:53], v[46:47]
	v_add_f64 v[4:5], v[4:5], v[12:13]
	v_add_f64 v[2:3], v[2:3], v[48:49]
	s_andn2_b64 exec, exec, s[6:7]
	s_cbranch_execnz .LBB78_29
; %bb.30:
	s_or_b64 exec, exec, s[6:7]
	v_mov_b32_e32 v8, 0
	ds_read_b128 v[8:11], v8 offset:64
	s_waitcnt lgkmcnt(0)
	v_mul_f64 v[46:47], v[2:3], v[10:11]
	v_mul_f64 v[12:13], v[4:5], v[10:11]
	v_fma_f64 v[10:11], v[4:5], v[8:9], -v[46:47]
	v_fmac_f64_e32 v[12:13], v[2:3], v[8:9]
	scratch_store_dwordx4 off, v[10:13], off offset:64
.LBB78_31:
	s_or_b64 exec, exec, s[2:3]
	; wave barrier
	scratch_load_dwordx4 v[2:5], off, s27
	v_cmp_gt_u32_e32 vcc, 5, v1
	;; [unrolled: 45-line block ×10, first 2 shown]
	s_waitcnt vmcnt(0)
	ds_write_b128 v6, v[2:5]
	s_waitcnt lgkmcnt(0)
	; wave barrier
	s_and_saveexec_b64 s[2:3], vcc
	s_cbranch_execz .LBB78_67
; %bb.64:
	v_add_u32_e32 v8, -1, v1
	v_add_u32_e32 v9, 0xf0, v14
	v_mov_b32_e32 v10, v14
	v_mov_b64_e32 v[2:3], 0
	s_mov_b64 s[6:7], 0
	v_mov_b64_e32 v[4:5], 0
.LBB78_65:                              ; =>This Inner Loop Header: Depth=1
	scratch_load_dwordx4 v[46:49], v10, off
	ds_read_b128 v[50:53], v9
	v_add_u32_e32 v8, 1, v8
	v_cmp_lt_u32_e32 vcc, 11, v8
	v_add_u32_e32 v9, 16, v9
	v_add_u32_e32 v10, 16, v10
	s_or_b64 s[6:7], vcc, s[6:7]
	s_waitcnt vmcnt(0) lgkmcnt(0)
	v_mul_f64 v[12:13], v[52:53], v[48:49]
	v_mul_f64 v[48:49], v[50:51], v[48:49]
	v_fma_f64 v[12:13], v[50:51], v[46:47], -v[12:13]
	v_fmac_f64_e32 v[48:49], v[52:53], v[46:47]
	v_add_f64 v[4:5], v[4:5], v[12:13]
	v_add_f64 v[2:3], v[2:3], v[48:49]
	s_andn2_b64 exec, exec, s[6:7]
	s_cbranch_execnz .LBB78_65
; %bb.66:
	s_or_b64 exec, exec, s[6:7]
	v_mov_b32_e32 v8, 0
	ds_read_b128 v[8:11], v8 offset:208
	s_waitcnt lgkmcnt(0)
	v_mul_f64 v[46:47], v[2:3], v[10:11]
	v_mul_f64 v[12:13], v[4:5], v[10:11]
	v_fma_f64 v[10:11], v[4:5], v[8:9], -v[46:47]
	v_fmac_f64_e32 v[12:13], v[2:3], v[8:9]
	scratch_store_dwordx4 off, v[10:13], off offset:208
.LBB78_67:
	s_or_b64 exec, exec, s[2:3]
	; wave barrier
	scratch_load_dwordx4 v[2:5], off, s18
	v_cmp_ne_u32_e32 vcc, 14, v1
	s_waitcnt vmcnt(0)
	ds_write_b128 v6, v[2:5]
	s_waitcnt lgkmcnt(0)
	; wave barrier
	s_and_saveexec_b64 s[2:3], vcc
	s_cbranch_execz .LBB78_71
; %bb.68:
	v_add_u32_e32 v6, 0xf0, v14
	v_mov_b32_e32 v8, v14
	v_mov_b64_e32 v[2:3], 0
	s_mov_b64 s[6:7], 0
	v_mov_b64_e32 v[4:5], 0
.LBB78_69:                              ; =>This Inner Loop Header: Depth=1
	scratch_load_dwordx4 v[10:13], v8, off
	ds_read_b128 v[46:49], v6
	v_add_u32_e32 v7, 1, v7
	v_cmp_lt_u32_e32 vcc, 12, v7
	v_add_u32_e32 v6, 16, v6
	v_add_u32_e32 v8, 16, v8
	s_or_b64 s[6:7], vcc, s[6:7]
	s_waitcnt vmcnt(0) lgkmcnt(0)
	v_mul_f64 v[14:15], v[48:49], v[12:13]
	v_mul_f64 v[12:13], v[46:47], v[12:13]
	v_fma_f64 v[14:15], v[46:47], v[10:11], -v[14:15]
	v_fmac_f64_e32 v[12:13], v[48:49], v[10:11]
	v_add_f64 v[4:5], v[4:5], v[14:15]
	v_add_f64 v[2:3], v[2:3], v[12:13]
	s_andn2_b64 exec, exec, s[6:7]
	s_cbranch_execnz .LBB78_69
; %bb.70:
	s_or_b64 exec, exec, s[6:7]
	v_mov_b32_e32 v6, 0
	ds_read_b128 v[6:9], v6 offset:224
	s_waitcnt lgkmcnt(0)
	v_mul_f64 v[12:13], v[2:3], v[8:9]
	v_mul_f64 v[10:11], v[4:5], v[8:9]
	v_fma_f64 v[8:9], v[4:5], v[6:7], -v[12:13]
	v_fmac_f64_e32 v[10:11], v[2:3], v[6:7]
	scratch_store_dwordx4 off, v[8:11], off offset:224
.LBB78_71:
	s_or_b64 exec, exec, s[2:3]
	s_mov_b64 s[6:7], -1
	; wave barrier
.LBB78_72:
	s_and_b64 vcc, exec, s[6:7]
	s_cbranch_vccz .LBB78_74
; %bb.73:
	s_lshl_b64 s[2:3], s[4:5], 2
	s_add_u32 s2, s10, s2
	s_addc_u32 s3, s11, s3
	v_mov_b32_e32 v2, 0
	global_load_dword v2, v2, s[2:3]
	s_waitcnt vmcnt(0)
	v_cmp_ne_u32_e32 vcc, 0, v2
	s_cbranch_vccz .LBB78_75
.LBB78_74:
	s_endpgm
.LBB78_75:
	v_mov_b32_e32 v2, 0xf0
	v_lshl_add_u32 v46, v1, 4, v2
	v_cmp_eq_u32_e32 vcc, 14, v1
	s_and_saveexec_b64 s[2:3], vcc
	s_cbranch_execz .LBB78_77
; %bb.76:
	scratch_load_dwordx4 v[2:5], off, s19
	v_mov_b32_e32 v6, 0
	v_mov_b32_e32 v7, v6
	;; [unrolled: 1-line block ×4, first 2 shown]
	scratch_store_dwordx4 off, v[6:9], off offset:208
	s_waitcnt vmcnt(1)
	ds_write_b128 v46, v[2:5]
.LBB78_77:
	s_or_b64 exec, exec, s[2:3]
	s_waitcnt lgkmcnt(0)
	; wave barrier
	scratch_load_dwordx4 v[4:7], off, off offset:224
	scratch_load_dwordx4 v[8:11], off, off offset:208
	v_mov_b32_e32 v2, 0
	ds_read_b128 v[12:15], v2 offset:464
	v_cmp_lt_u32_e32 vcc, 12, v1
	s_waitcnt vmcnt(1) lgkmcnt(0)
	v_mul_f64 v[48:49], v[12:13], v[6:7]
	v_mul_f64 v[6:7], v[14:15], v[6:7]
	v_fmac_f64_e32 v[48:49], v[14:15], v[4:5]
	v_fma_f64 v[4:5], v[12:13], v[4:5], -v[6:7]
	v_add_f64 v[6:7], v[48:49], 0
	v_add_f64 v[4:5], v[4:5], 0
	s_waitcnt vmcnt(0)
	v_add_f64 v[4:5], v[8:9], -v[4:5]
	v_add_f64 v[6:7], v[10:11], -v[6:7]
	scratch_store_dwordx4 off, v[4:7], off offset:208
	s_and_saveexec_b64 s[2:3], vcc
	s_cbranch_execz .LBB78_79
; %bb.78:
	scratch_load_dwordx4 v[6:9], off, s20
	v_mov_b32_e32 v3, v2
	v_mov_b32_e32 v4, v2
	;; [unrolled: 1-line block ×3, first 2 shown]
	scratch_store_dwordx4 off, v[2:5], off offset:192
	s_waitcnt vmcnt(1)
	ds_write_b128 v46, v[6:9]
.LBB78_79:
	s_or_b64 exec, exec, s[2:3]
	s_waitcnt lgkmcnt(0)
	; wave barrier
	scratch_load_dwordx4 v[4:7], off, off offset:208
	scratch_load_dwordx4 v[8:11], off, off offset:224
	;; [unrolled: 1-line block ×3, first 2 shown]
	ds_read_b128 v[48:51], v2 offset:448
	ds_read_b128 v[52:55], v2 offset:464
	v_cmp_lt_u32_e32 vcc, 11, v1
	s_waitcnt vmcnt(2) lgkmcnt(1)
	v_mul_f64 v[2:3], v[48:49], v[6:7]
	v_mul_f64 v[6:7], v[50:51], v[6:7]
	s_waitcnt vmcnt(1) lgkmcnt(0)
	v_mul_f64 v[56:57], v[52:53], v[10:11]
	v_mul_f64 v[10:11], v[54:55], v[10:11]
	v_fmac_f64_e32 v[2:3], v[50:51], v[4:5]
	v_fma_f64 v[4:5], v[48:49], v[4:5], -v[6:7]
	v_fmac_f64_e32 v[56:57], v[54:55], v[8:9]
	v_fma_f64 v[6:7], v[52:53], v[8:9], -v[10:11]
	v_add_f64 v[2:3], v[2:3], 0
	v_add_f64 v[4:5], v[4:5], 0
	;; [unrolled: 1-line block ×4, first 2 shown]
	s_waitcnt vmcnt(0)
	v_add_f64 v[2:3], v[12:13], -v[2:3]
	v_add_f64 v[4:5], v[14:15], -v[8:9]
	scratch_store_dwordx4 off, v[2:5], off offset:192
	s_and_saveexec_b64 s[2:3], vcc
	s_cbranch_execz .LBB78_81
; %bb.80:
	scratch_load_dwordx4 v[2:5], off, s21
	v_mov_b32_e32 v6, 0
	v_mov_b32_e32 v7, v6
	;; [unrolled: 1-line block ×4, first 2 shown]
	scratch_store_dwordx4 off, v[6:9], off offset:176
	s_waitcnt vmcnt(1)
	ds_write_b128 v46, v[2:5]
.LBB78_81:
	s_or_b64 exec, exec, s[2:3]
	s_waitcnt lgkmcnt(0)
	; wave barrier
	scratch_load_dwordx4 v[4:7], off, off offset:192
	scratch_load_dwordx4 v[8:11], off, off offset:208
	;; [unrolled: 1-line block ×4, first 2 shown]
	v_mov_b32_e32 v2, 0
	ds_read_b128 v[52:55], v2 offset:432
	ds_read_b128 v[56:59], v2 offset:448
	;; [unrolled: 1-line block ×3, first 2 shown]
	v_cmp_lt_u32_e32 vcc, 10, v1
	s_waitcnt vmcnt(3) lgkmcnt(2)
	v_mul_f64 v[64:65], v[52:53], v[6:7]
	v_mul_f64 v[6:7], v[54:55], v[6:7]
	s_waitcnt vmcnt(2) lgkmcnt(1)
	v_mul_f64 v[66:67], v[56:57], v[10:11]
	v_mul_f64 v[10:11], v[58:59], v[10:11]
	v_fmac_f64_e32 v[64:65], v[54:55], v[4:5]
	v_fma_f64 v[4:5], v[52:53], v[4:5], -v[6:7]
	s_waitcnt vmcnt(1) lgkmcnt(0)
	v_mul_f64 v[68:69], v[60:61], v[14:15]
	v_mul_f64 v[14:15], v[62:63], v[14:15]
	v_fmac_f64_e32 v[66:67], v[58:59], v[8:9]
	v_fma_f64 v[6:7], v[56:57], v[8:9], -v[10:11]
	v_add_f64 v[10:11], v[64:65], 0
	v_add_f64 v[4:5], v[4:5], 0
	v_fmac_f64_e32 v[68:69], v[62:63], v[12:13]
	v_fma_f64 v[8:9], v[60:61], v[12:13], -v[14:15]
	v_add_f64 v[10:11], v[10:11], v[66:67]
	v_add_f64 v[4:5], v[4:5], v[6:7]
	;; [unrolled: 1-line block ×4, first 2 shown]
	s_waitcnt vmcnt(0)
	v_add_f64 v[4:5], v[48:49], -v[4:5]
	v_add_f64 v[6:7], v[50:51], -v[6:7]
	scratch_store_dwordx4 off, v[4:7], off offset:176
	s_and_saveexec_b64 s[2:3], vcc
	s_cbranch_execz .LBB78_83
; %bb.82:
	scratch_load_dwordx4 v[6:9], off, s22
	v_mov_b32_e32 v3, v2
	v_mov_b32_e32 v4, v2
	;; [unrolled: 1-line block ×3, first 2 shown]
	scratch_store_dwordx4 off, v[2:5], off offset:160
	s_waitcnt vmcnt(1)
	ds_write_b128 v46, v[6:9]
.LBB78_83:
	s_or_b64 exec, exec, s[2:3]
	s_waitcnt lgkmcnt(0)
	; wave barrier
	scratch_load_dwordx4 v[4:7], off, off offset:176
	scratch_load_dwordx4 v[8:11], off, off offset:192
	;; [unrolled: 1-line block ×5, first 2 shown]
	ds_read_b128 v[56:59], v2 offset:416
	ds_read_b128 v[60:63], v2 offset:432
	;; [unrolled: 1-line block ×4, first 2 shown]
	v_cmp_lt_u32_e32 vcc, 9, v1
	s_waitcnt vmcnt(4) lgkmcnt(3)
	v_mul_f64 v[2:3], v[56:57], v[6:7]
	v_mul_f64 v[6:7], v[58:59], v[6:7]
	s_waitcnt vmcnt(3) lgkmcnt(2)
	v_mul_f64 v[72:73], v[60:61], v[10:11]
	v_mul_f64 v[10:11], v[62:63], v[10:11]
	v_fmac_f64_e32 v[2:3], v[58:59], v[4:5]
	v_fma_f64 v[4:5], v[56:57], v[4:5], -v[6:7]
	s_waitcnt vmcnt(2) lgkmcnt(1)
	v_mul_f64 v[74:75], v[64:65], v[14:15]
	v_mul_f64 v[14:15], v[66:67], v[14:15]
	v_fmac_f64_e32 v[72:73], v[62:63], v[8:9]
	v_fma_f64 v[6:7], v[60:61], v[8:9], -v[10:11]
	v_add_f64 v[2:3], v[2:3], 0
	v_add_f64 v[4:5], v[4:5], 0
	s_waitcnt vmcnt(1) lgkmcnt(0)
	v_mul_f64 v[76:77], v[68:69], v[50:51]
	v_mul_f64 v[50:51], v[70:71], v[50:51]
	v_fmac_f64_e32 v[74:75], v[66:67], v[12:13]
	v_fma_f64 v[8:9], v[64:65], v[12:13], -v[14:15]
	v_add_f64 v[2:3], v[2:3], v[72:73]
	v_add_f64 v[4:5], v[4:5], v[6:7]
	v_fmac_f64_e32 v[76:77], v[70:71], v[48:49]
	v_fma_f64 v[10:11], v[68:69], v[48:49], -v[50:51]
	v_add_f64 v[2:3], v[2:3], v[74:75]
	v_add_f64 v[4:5], v[4:5], v[8:9]
	;; [unrolled: 1-line block ×4, first 2 shown]
	s_waitcnt vmcnt(0)
	v_add_f64 v[2:3], v[52:53], -v[2:3]
	v_add_f64 v[4:5], v[54:55], -v[6:7]
	scratch_store_dwordx4 off, v[2:5], off offset:160
	s_and_saveexec_b64 s[2:3], vcc
	s_cbranch_execz .LBB78_85
; %bb.84:
	scratch_load_dwordx4 v[2:5], off, s23
	v_mov_b32_e32 v6, 0
	v_mov_b32_e32 v7, v6
	;; [unrolled: 1-line block ×4, first 2 shown]
	scratch_store_dwordx4 off, v[6:9], off offset:144
	s_waitcnt vmcnt(1)
	ds_write_b128 v46, v[2:5]
.LBB78_85:
	s_or_b64 exec, exec, s[2:3]
	s_waitcnt lgkmcnt(0)
	; wave barrier
	scratch_load_dwordx4 v[4:7], off, off offset:160
	scratch_load_dwordx4 v[8:11], off, off offset:176
	;; [unrolled: 1-line block ×6, first 2 shown]
	v_mov_b32_e32 v2, 0
	ds_read_b128 v[60:63], v2 offset:400
	ds_read_b128 v[64:67], v2 offset:416
	;; [unrolled: 1-line block ×5, first 2 shown]
	v_cmp_lt_u32_e32 vcc, 8, v1
	s_waitcnt vmcnt(5) lgkmcnt(4)
	v_mul_f64 v[80:81], v[60:61], v[6:7]
	v_mul_f64 v[6:7], v[62:63], v[6:7]
	s_waitcnt vmcnt(4) lgkmcnt(3)
	v_mul_f64 v[82:83], v[64:65], v[10:11]
	s_waitcnt vmcnt(3) lgkmcnt(2)
	v_mul_f64 v[84:85], v[68:69], v[14:15]
	v_mul_f64 v[10:11], v[66:67], v[10:11]
	;; [unrolled: 1-line block ×3, first 2 shown]
	v_fmac_f64_e32 v[80:81], v[62:63], v[4:5]
	v_fma_f64 v[4:5], v[60:61], v[4:5], -v[6:7]
	v_fmac_f64_e32 v[82:83], v[66:67], v[8:9]
	v_fma_f64 v[6:7], v[64:65], v[8:9], -v[10:11]
	v_fma_f64 v[8:9], v[68:69], v[12:13], -v[14:15]
	v_add_f64 v[14:15], v[80:81], 0
	v_add_f64 v[4:5], v[4:5], 0
	s_waitcnt vmcnt(2) lgkmcnt(1)
	v_mul_f64 v[86:87], v[72:73], v[50:51]
	v_mul_f64 v[50:51], v[74:75], v[50:51]
	v_fmac_f64_e32 v[84:85], v[70:71], v[12:13]
	v_add_f64 v[14:15], v[14:15], v[82:83]
	v_add_f64 v[4:5], v[4:5], v[6:7]
	s_waitcnt vmcnt(1) lgkmcnt(0)
	v_mul_f64 v[88:89], v[76:77], v[54:55]
	v_mul_f64 v[54:55], v[78:79], v[54:55]
	v_fmac_f64_e32 v[86:87], v[74:75], v[48:49]
	v_fma_f64 v[10:11], v[72:73], v[48:49], -v[50:51]
	v_add_f64 v[6:7], v[14:15], v[84:85]
	v_add_f64 v[4:5], v[4:5], v[8:9]
	v_fmac_f64_e32 v[88:89], v[78:79], v[52:53]
	v_fma_f64 v[12:13], v[76:77], v[52:53], -v[54:55]
	v_add_f64 v[6:7], v[6:7], v[86:87]
	v_add_f64 v[4:5], v[4:5], v[10:11]
	;; [unrolled: 1-line block ×4, first 2 shown]
	s_waitcnt vmcnt(0)
	v_add_f64 v[4:5], v[56:57], -v[4:5]
	v_add_f64 v[6:7], v[58:59], -v[6:7]
	scratch_store_dwordx4 off, v[4:7], off offset:144
	s_and_saveexec_b64 s[2:3], vcc
	s_cbranch_execz .LBB78_87
; %bb.86:
	scratch_load_dwordx4 v[6:9], off, s24
	v_mov_b32_e32 v3, v2
	v_mov_b32_e32 v4, v2
	;; [unrolled: 1-line block ×3, first 2 shown]
	scratch_store_dwordx4 off, v[2:5], off offset:128
	s_waitcnt vmcnt(1)
	ds_write_b128 v46, v[6:9]
.LBB78_87:
	s_or_b64 exec, exec, s[2:3]
	s_waitcnt lgkmcnt(0)
	; wave barrier
	scratch_load_dwordx4 v[4:7], off, off offset:144
	scratch_load_dwordx4 v[8:11], off, off offset:160
	;; [unrolled: 1-line block ×7, first 2 shown]
	ds_read_b128 v[64:67], v2 offset:384
	ds_read_b128 v[68:71], v2 offset:400
	;; [unrolled: 1-line block ×6, first 2 shown]
	v_cmp_lt_u32_e32 vcc, 7, v1
	s_waitcnt vmcnt(6) lgkmcnt(5)
	v_mul_f64 v[2:3], v[64:65], v[6:7]
	v_mul_f64 v[6:7], v[66:67], v[6:7]
	s_waitcnt vmcnt(5) lgkmcnt(4)
	v_mul_f64 v[88:89], v[68:69], v[10:11]
	v_mul_f64 v[10:11], v[70:71], v[10:11]
	v_fmac_f64_e32 v[2:3], v[66:67], v[4:5]
	v_fma_f64 v[4:5], v[64:65], v[4:5], -v[6:7]
	s_waitcnt vmcnt(4) lgkmcnt(3)
	v_mul_f64 v[90:91], v[72:73], v[14:15]
	v_mul_f64 v[14:15], v[74:75], v[14:15]
	v_fmac_f64_e32 v[88:89], v[70:71], v[8:9]
	v_fma_f64 v[6:7], v[68:69], v[8:9], -v[10:11]
	v_add_f64 v[2:3], v[2:3], 0
	v_add_f64 v[4:5], v[4:5], 0
	s_waitcnt vmcnt(3) lgkmcnt(2)
	v_mul_f64 v[92:93], v[76:77], v[50:51]
	v_mul_f64 v[50:51], v[78:79], v[50:51]
	v_fmac_f64_e32 v[90:91], v[74:75], v[12:13]
	v_fma_f64 v[8:9], v[72:73], v[12:13], -v[14:15]
	v_add_f64 v[2:3], v[2:3], v[88:89]
	v_add_f64 v[4:5], v[4:5], v[6:7]
	;; [unrolled: 7-line block ×4, first 2 shown]
	v_fmac_f64_e32 v[96:97], v[86:87], v[56:57]
	v_fma_f64 v[14:15], v[84:85], v[56:57], -v[58:59]
	v_add_f64 v[2:3], v[2:3], v[94:95]
	v_add_f64 v[4:5], v[4:5], v[12:13]
	;; [unrolled: 1-line block ×4, first 2 shown]
	s_waitcnt vmcnt(0)
	v_add_f64 v[2:3], v[60:61], -v[2:3]
	v_add_f64 v[4:5], v[62:63], -v[6:7]
	scratch_store_dwordx4 off, v[2:5], off offset:128
	s_and_saveexec_b64 s[2:3], vcc
	s_cbranch_execz .LBB78_89
; %bb.88:
	scratch_load_dwordx4 v[2:5], off, s25
	v_mov_b32_e32 v6, 0
	v_mov_b32_e32 v7, v6
	;; [unrolled: 1-line block ×4, first 2 shown]
	scratch_store_dwordx4 off, v[6:9], off offset:112
	s_waitcnt vmcnt(1)
	ds_write_b128 v46, v[2:5]
.LBB78_89:
	s_or_b64 exec, exec, s[2:3]
	s_waitcnt lgkmcnt(0)
	; wave barrier
	scratch_load_dwordx4 v[4:7], off, off offset:128
	scratch_load_dwordx4 v[8:11], off, off offset:144
	;; [unrolled: 1-line block ×8, first 2 shown]
	v_mov_b32_e32 v2, 0
	ds_read_b128 v[68:71], v2 offset:368
	ds_read_b128 v[72:75], v2 offset:384
	ds_read_b128 v[76:79], v2 offset:400
	ds_read_b128 v[80:83], v2 offset:416
	ds_read_b128 v[84:87], v2 offset:432
	ds_read_b128 v[88:91], v2 offset:448
	ds_read_b128 v[92:95], v2 offset:464
	v_cmp_lt_u32_e32 vcc, 6, v1
	s_waitcnt vmcnt(7) lgkmcnt(6)
	v_mul_f64 v[96:97], v[68:69], v[6:7]
	v_mul_f64 v[6:7], v[70:71], v[6:7]
	s_waitcnt vmcnt(6) lgkmcnt(5)
	v_mul_f64 v[98:99], v[72:73], v[10:11]
	s_waitcnt vmcnt(4) lgkmcnt(3)
	v_mul_f64 v[102:103], v[80:81], v[50:51]
	v_mul_f64 v[10:11], v[74:75], v[10:11]
	;; [unrolled: 1-line block ×3, first 2 shown]
	v_fmac_f64_e32 v[96:97], v[70:71], v[4:5]
	v_fma_f64 v[4:5], v[68:69], v[4:5], -v[6:7]
	v_mul_f64 v[100:101], v[76:77], v[14:15]
	v_mul_f64 v[14:15], v[78:79], v[14:15]
	v_fmac_f64_e32 v[98:99], v[74:75], v[8:9]
	v_fma_f64 v[6:7], v[72:73], v[8:9], -v[10:11]
	v_fma_f64 v[10:11], v[80:81], v[48:49], -v[50:51]
	v_add_f64 v[50:51], v[96:97], 0
	v_add_f64 v[4:5], v[4:5], 0
	v_fmac_f64_e32 v[100:101], v[78:79], v[12:13]
	v_fma_f64 v[8:9], v[76:77], v[12:13], -v[14:15]
	v_add_f64 v[50:51], v[50:51], v[98:99]
	v_add_f64 v[4:5], v[4:5], v[6:7]
	s_waitcnt vmcnt(3) lgkmcnt(2)
	v_mul_f64 v[104:105], v[84:85], v[54:55]
	v_mul_f64 v[54:55], v[86:87], v[54:55]
	v_fmac_f64_e32 v[102:103], v[82:83], v[48:49]
	v_add_f64 v[6:7], v[50:51], v[100:101]
	v_add_f64 v[4:5], v[4:5], v[8:9]
	s_waitcnt vmcnt(2) lgkmcnt(1)
	v_mul_f64 v[106:107], v[88:89], v[58:59]
	v_mul_f64 v[58:59], v[90:91], v[58:59]
	v_fmac_f64_e32 v[104:105], v[86:87], v[52:53]
	v_fma_f64 v[12:13], v[84:85], v[52:53], -v[54:55]
	v_add_f64 v[6:7], v[6:7], v[102:103]
	v_add_f64 v[4:5], v[4:5], v[10:11]
	s_waitcnt vmcnt(1) lgkmcnt(0)
	v_mul_f64 v[108:109], v[92:93], v[62:63]
	v_mul_f64 v[62:63], v[94:95], v[62:63]
	v_fmac_f64_e32 v[106:107], v[90:91], v[56:57]
	v_fma_f64 v[14:15], v[88:89], v[56:57], -v[58:59]
	v_add_f64 v[6:7], v[6:7], v[104:105]
	v_add_f64 v[4:5], v[4:5], v[12:13]
	v_fmac_f64_e32 v[108:109], v[94:95], v[60:61]
	v_fma_f64 v[48:49], v[92:93], v[60:61], -v[62:63]
	v_add_f64 v[6:7], v[6:7], v[106:107]
	v_add_f64 v[4:5], v[4:5], v[14:15]
	;; [unrolled: 1-line block ×4, first 2 shown]
	s_waitcnt vmcnt(0)
	v_add_f64 v[4:5], v[64:65], -v[4:5]
	v_add_f64 v[6:7], v[66:67], -v[6:7]
	scratch_store_dwordx4 off, v[4:7], off offset:112
	s_and_saveexec_b64 s[2:3], vcc
	s_cbranch_execz .LBB78_91
; %bb.90:
	scratch_load_dwordx4 v[6:9], off, s26
	v_mov_b32_e32 v3, v2
	v_mov_b32_e32 v4, v2
	;; [unrolled: 1-line block ×3, first 2 shown]
	scratch_store_dwordx4 off, v[2:5], off offset:96
	s_waitcnt vmcnt(1)
	ds_write_b128 v46, v[6:9]
.LBB78_91:
	s_or_b64 exec, exec, s[2:3]
	s_waitcnt lgkmcnt(0)
	; wave barrier
	scratch_load_dwordx4 v[4:7], off, off offset:112
	scratch_load_dwordx4 v[8:11], off, off offset:128
	;; [unrolled: 1-line block ×9, first 2 shown]
	ds_read_b128 v[72:75], v2 offset:352
	ds_read_b128 v[76:79], v2 offset:368
	;; [unrolled: 1-line block ×8, first 2 shown]
	v_cmp_lt_u32_e32 vcc, 5, v1
	s_waitcnt vmcnt(8) lgkmcnt(7)
	v_mul_f64 v[2:3], v[72:73], v[6:7]
	v_mul_f64 v[6:7], v[74:75], v[6:7]
	s_waitcnt vmcnt(7) lgkmcnt(6)
	v_mul_f64 v[104:105], v[76:77], v[10:11]
	v_mul_f64 v[10:11], v[78:79], v[10:11]
	v_fmac_f64_e32 v[2:3], v[74:75], v[4:5]
	v_fma_f64 v[4:5], v[72:73], v[4:5], -v[6:7]
	s_waitcnt vmcnt(6) lgkmcnt(5)
	v_mul_f64 v[106:107], v[80:81], v[14:15]
	v_mul_f64 v[14:15], v[82:83], v[14:15]
	v_fmac_f64_e32 v[104:105], v[78:79], v[8:9]
	v_fma_f64 v[6:7], v[76:77], v[8:9], -v[10:11]
	v_add_f64 v[2:3], v[2:3], 0
	v_add_f64 v[4:5], v[4:5], 0
	s_waitcnt vmcnt(5) lgkmcnt(4)
	v_mul_f64 v[108:109], v[84:85], v[50:51]
	v_mul_f64 v[50:51], v[86:87], v[50:51]
	v_fmac_f64_e32 v[106:107], v[82:83], v[12:13]
	v_fma_f64 v[8:9], v[80:81], v[12:13], -v[14:15]
	v_add_f64 v[2:3], v[2:3], v[104:105]
	v_add_f64 v[4:5], v[4:5], v[6:7]
	;; [unrolled: 7-line block ×6, first 2 shown]
	v_fmac_f64_e32 v[116:117], v[102:103], v[64:65]
	v_fma_f64 v[50:51], v[100:101], v[64:65], -v[66:67]
	v_add_f64 v[2:3], v[2:3], v[114:115]
	v_add_f64 v[4:5], v[4:5], v[48:49]
	;; [unrolled: 1-line block ×4, first 2 shown]
	s_waitcnt vmcnt(0)
	v_add_f64 v[2:3], v[68:69], -v[2:3]
	v_add_f64 v[4:5], v[70:71], -v[6:7]
	scratch_store_dwordx4 off, v[2:5], off offset:96
	s_and_saveexec_b64 s[2:3], vcc
	s_cbranch_execz .LBB78_93
; %bb.92:
	scratch_load_dwordx4 v[2:5], off, s27
	v_mov_b32_e32 v6, 0
	v_mov_b32_e32 v7, v6
	;; [unrolled: 1-line block ×4, first 2 shown]
	scratch_store_dwordx4 off, v[6:9], off offset:80
	s_waitcnt vmcnt(1)
	ds_write_b128 v46, v[2:5]
.LBB78_93:
	s_or_b64 exec, exec, s[2:3]
	v_mov_b32_e32 v2, 0
	s_waitcnt lgkmcnt(0)
	; wave barrier
	ds_read_b128 v[4:7], v2 offset:336
	ds_read_b128 v[8:11], v2 offset:352
	;; [unrolled: 1-line block ×4, first 2 shown]
	scratch_load_dwordx4 v[52:55], off, off offset:96
	scratch_load_dwordx4 v[72:75], off, off offset:160
	;; [unrolled: 1-line block ×3, first 2 shown]
	v_cmp_lt_u32_e32 vcc, 4, v1
	scratch_load_dwordx4 v[80:83], off, off offset:176
	scratch_load_dwordx4 v[88:91], off, off offset:192
	;; [unrolled: 1-line block ×3, first 2 shown]
	s_waitcnt vmcnt(5) lgkmcnt(3)
	v_mul_f64 v[56:57], v[4:5], v[54:55]
	v_fmac_f64_e32 v[56:57], v[6:7], v[52:53]
	v_add_f64 v[60:61], v[56:57], 0
	scratch_load_dwordx4 v[56:59], off, off offset:112
	v_mul_f64 v[6:7], v[6:7], v[54:55]
	v_fma_f64 v[4:5], v[4:5], v[52:53], -v[6:7]
	v_add_f64 v[4:5], v[4:5], 0
	s_waitcnt vmcnt(0) lgkmcnt(2)
	v_mul_f64 v[62:63], v[8:9], v[58:59]
	v_fmac_f64_e32 v[62:63], v[10:11], v[56:57]
	v_add_f64 v[64:65], v[60:61], v[62:63]
	scratch_load_dwordx4 v[60:63], off, off offset:128
	v_mul_f64 v[6:7], v[10:11], v[58:59]
	v_fma_f64 v[6:7], v[8:9], v[56:57], -v[6:7]
	v_add_f64 v[4:5], v[4:5], v[6:7]
	;; [unrolled: 8-line block ×3, first 2 shown]
	s_waitcnt vmcnt(0) lgkmcnt(0)
	v_mul_f64 v[70:71], v[48:49], v[66:67]
	v_fmac_f64_e32 v[70:71], v[50:51], v[64:65]
	v_add_f64 v[76:77], v[68:69], v[70:71]
	ds_read_b128 v[68:71], v2 offset:400
	v_mul_f64 v[6:7], v[50:51], v[66:67]
	v_fma_f64 v[6:7], v[48:49], v[64:65], -v[6:7]
	v_add_f64 v[4:5], v[4:5], v[6:7]
	s_waitcnt lgkmcnt(0)
	v_mul_f64 v[78:79], v[68:69], v[74:75]
	v_fmac_f64_e32 v[78:79], v[70:71], v[72:73]
	v_add_f64 v[84:85], v[76:77], v[78:79]
	ds_read_b128 v[76:79], v2 offset:416
	v_mul_f64 v[6:7], v[70:71], v[74:75]
	v_fma_f64 v[6:7], v[68:69], v[72:73], -v[6:7]
	v_add_f64 v[4:5], v[4:5], v[6:7]
	s_waitcnt lgkmcnt(0)
	v_mul_f64 v[86:87], v[76:77], v[82:83]
	v_fmac_f64_e32 v[86:87], v[78:79], v[80:81]
	v_add_f64 v[92:93], v[84:85], v[86:87]
	ds_read_b128 v[84:87], v2 offset:432
	v_mul_f64 v[6:7], v[78:79], v[82:83]
	v_fma_f64 v[6:7], v[76:77], v[80:81], -v[6:7]
	v_add_f64 v[4:5], v[4:5], v[6:7]
	s_waitcnt lgkmcnt(0)
	v_mul_f64 v[94:95], v[84:85], v[90:91]
	v_fmac_f64_e32 v[94:95], v[86:87], v[88:89]
	v_add_f64 v[100:101], v[92:93], v[94:95]
	ds_read_b128 v[92:95], v2 offset:448
	v_mul_f64 v[6:7], v[86:87], v[90:91]
	v_fma_f64 v[6:7], v[84:85], v[88:89], -v[6:7]
	v_add_f64 v[4:5], v[4:5], v[6:7]
	s_waitcnt lgkmcnt(0)
	v_mul_f64 v[102:103], v[92:93], v[98:99]
	v_fmac_f64_e32 v[102:103], v[94:95], v[96:97]
	v_add_f64 v[108:109], v[100:101], v[102:103]
	ds_read_b128 v[100:103], v2 offset:464
	v_mul_f64 v[6:7], v[94:95], v[98:99]
	v_fma_f64 v[6:7], v[92:93], v[96:97], -v[6:7]
	v_add_f64 v[4:5], v[4:5], v[6:7]
	s_waitcnt lgkmcnt(0)
	v_mul_f64 v[6:7], v[102:103], v[106:107]
	v_fma_f64 v[6:7], v[100:101], v[104:105], -v[6:7]
	v_add_f64 v[8:9], v[4:5], v[6:7]
	scratch_load_dwordx4 v[4:7], off, off offset:80
	v_mul_f64 v[110:111], v[100:101], v[106:107]
	v_fmac_f64_e32 v[110:111], v[102:103], v[104:105]
	v_add_f64 v[108:109], v[108:109], v[110:111]
	s_waitcnt vmcnt(0)
	v_add_f64 v[4:5], v[4:5], -v[8:9]
	v_add_f64 v[6:7], v[6:7], -v[108:109]
	scratch_store_dwordx4 off, v[4:7], off offset:80
	s_and_saveexec_b64 s[2:3], vcc
	s_cbranch_execz .LBB78_95
; %bb.94:
	scratch_load_dwordx4 v[6:9], off, s28
	v_mov_b32_e32 v3, v2
	v_mov_b32_e32 v4, v2
	;; [unrolled: 1-line block ×3, first 2 shown]
	scratch_store_dwordx4 off, v[2:5], off offset:64
	s_waitcnt vmcnt(1)
	ds_write_b128 v46, v[6:9]
.LBB78_95:
	s_or_b64 exec, exec, s[2:3]
	s_waitcnt lgkmcnt(0)
	; wave barrier
	scratch_load_dwordx4 v[4:7], off, off offset:80
	scratch_load_dwordx4 v[8:11], off, off offset:96
	scratch_load_dwordx4 v[12:15], off, off offset:112
	scratch_load_dwordx4 v[48:51], off, off offset:128
	scratch_load_dwordx4 v[52:55], off, off offset:144
	scratch_load_dwordx4 v[56:59], off, off offset:160
	scratch_load_dwordx4 v[60:63], off, off offset:176
	scratch_load_dwordx4 v[64:67], off, off offset:192
	scratch_load_dwordx4 v[68:71], off, off offset:208
	scratch_load_dwordx4 v[72:75], off, off offset:224
	scratch_load_dwordx4 v[76:79], off, off offset:64
	ds_read_b128 v[80:83], v2 offset:320
	ds_read_b128 v[84:87], v2 offset:336
	;; [unrolled: 1-line block ×10, first 2 shown]
	v_cmp_lt_u32_e32 vcc, 3, v1
	s_waitcnt vmcnt(10) lgkmcnt(9)
	v_mul_f64 v[2:3], v[80:81], v[6:7]
	v_mul_f64 v[6:7], v[82:83], v[6:7]
	s_waitcnt vmcnt(9) lgkmcnt(8)
	v_mul_f64 v[120:121], v[84:85], v[10:11]
	v_mul_f64 v[10:11], v[86:87], v[10:11]
	v_fmac_f64_e32 v[2:3], v[82:83], v[4:5]
	v_fma_f64 v[4:5], v[80:81], v[4:5], -v[6:7]
	s_waitcnt vmcnt(8) lgkmcnt(7)
	v_mul_f64 v[122:123], v[88:89], v[14:15]
	v_mul_f64 v[14:15], v[90:91], v[14:15]
	v_fmac_f64_e32 v[120:121], v[86:87], v[8:9]
	v_fma_f64 v[6:7], v[84:85], v[8:9], -v[10:11]
	v_add_f64 v[2:3], v[2:3], 0
	v_add_f64 v[4:5], v[4:5], 0
	s_waitcnt vmcnt(7) lgkmcnt(6)
	v_mul_f64 v[124:125], v[92:93], v[50:51]
	v_mul_f64 v[50:51], v[94:95], v[50:51]
	v_fmac_f64_e32 v[122:123], v[90:91], v[12:13]
	v_fma_f64 v[8:9], v[88:89], v[12:13], -v[14:15]
	v_add_f64 v[2:3], v[2:3], v[120:121]
	v_add_f64 v[4:5], v[4:5], v[6:7]
	;; [unrolled: 7-line block ×8, first 2 shown]
	v_fmac_f64_e32 v[136:137], v[118:119], v[72:73]
	v_fma_f64 v[54:55], v[116:117], v[72:73], -v[74:75]
	v_add_f64 v[2:3], v[2:3], v[134:135]
	v_add_f64 v[4:5], v[4:5], v[52:53]
	;; [unrolled: 1-line block ×4, first 2 shown]
	s_waitcnt vmcnt(0)
	v_add_f64 v[2:3], v[76:77], -v[2:3]
	v_add_f64 v[4:5], v[78:79], -v[6:7]
	scratch_store_dwordx4 off, v[2:5], off offset:64
	s_and_saveexec_b64 s[2:3], vcc
	s_cbranch_execz .LBB78_97
; %bb.96:
	scratch_load_dwordx4 v[2:5], off, s29
	v_mov_b32_e32 v6, 0
	v_mov_b32_e32 v7, v6
	;; [unrolled: 1-line block ×4, first 2 shown]
	scratch_store_dwordx4 off, v[6:9], off offset:48
	s_waitcnt vmcnt(1)
	ds_write_b128 v46, v[2:5]
.LBB78_97:
	s_or_b64 exec, exec, s[2:3]
	s_waitcnt lgkmcnt(0)
	; wave barrier
	scratch_load_dwordx4 v[4:7], off, off offset:64
	scratch_load_dwordx4 v[8:11], off, off offset:80
	;; [unrolled: 1-line block ×12, first 2 shown]
	v_mov_b32_e32 v2, 0
	ds_read_b128 v[84:87], v2 offset:304
	ds_read_b128 v[88:91], v2 offset:320
	;; [unrolled: 1-line block ×11, first 2 shown]
	v_cmp_lt_u32_e32 vcc, 2, v1
	s_waitcnt vmcnt(11) lgkmcnt(10)
	v_mul_f64 v[128:129], v[84:85], v[6:7]
	v_mul_f64 v[6:7], v[86:87], v[6:7]
	s_waitcnt vmcnt(10) lgkmcnt(9)
	v_mul_f64 v[130:131], v[88:89], v[10:11]
	s_waitcnt vmcnt(9) lgkmcnt(8)
	v_mul_f64 v[132:133], v[92:93], v[14:15]
	v_mul_f64 v[10:11], v[90:91], v[10:11]
	s_waitcnt vmcnt(6) lgkmcnt(5)
	v_mul_f64 v[138:139], v[104:105], v[58:59]
	v_mul_f64 v[14:15], v[94:95], v[14:15]
	;; [unrolled: 1-line block ×3, first 2 shown]
	v_fmac_f64_e32 v[128:129], v[86:87], v[4:5]
	v_fma_f64 v[4:5], v[84:85], v[4:5], -v[6:7]
	v_fmac_f64_e32 v[130:131], v[90:91], v[8:9]
	v_fma_f64 v[6:7], v[88:89], v[8:9], -v[10:11]
	v_fma_f64 v[8:9], v[92:93], v[12:13], -v[14:15]
	;; [unrolled: 1-line block ×3, first 2 shown]
	v_add_f64 v[58:59], v[128:129], 0
	v_add_f64 v[4:5], v[4:5], 0
	v_mul_f64 v[134:135], v[96:97], v[50:51]
	v_mul_f64 v[50:51], v[98:99], v[50:51]
	v_fmac_f64_e32 v[132:133], v[94:95], v[12:13]
	v_add_f64 v[58:59], v[58:59], v[130:131]
	v_add_f64 v[4:5], v[4:5], v[6:7]
	v_mul_f64 v[136:137], v[100:101], v[54:55]
	v_mul_f64 v[54:55], v[102:103], v[54:55]
	v_fmac_f64_e32 v[134:135], v[98:99], v[48:49]
	v_fma_f64 v[10:11], v[96:97], v[48:49], -v[50:51]
	v_add_f64 v[6:7], v[58:59], v[132:133]
	v_add_f64 v[4:5], v[4:5], v[8:9]
	v_fmac_f64_e32 v[136:137], v[102:103], v[52:53]
	v_fma_f64 v[12:13], v[100:101], v[52:53], -v[54:55]
	v_add_f64 v[6:7], v[6:7], v[134:135]
	v_add_f64 v[4:5], v[4:5], v[10:11]
	s_waitcnt vmcnt(5) lgkmcnt(4)
	v_mul_f64 v[140:141], v[108:109], v[62:63]
	v_mul_f64 v[62:63], v[110:111], v[62:63]
	v_fmac_f64_e32 v[138:139], v[106:107], v[56:57]
	v_add_f64 v[6:7], v[6:7], v[136:137]
	v_add_f64 v[4:5], v[4:5], v[12:13]
	s_waitcnt vmcnt(4) lgkmcnt(3)
	v_mul_f64 v[142:143], v[112:113], v[66:67]
	v_mul_f64 v[66:67], v[114:115], v[66:67]
	v_fmac_f64_e32 v[140:141], v[110:111], v[60:61]
	v_fma_f64 v[48:49], v[108:109], v[60:61], -v[62:63]
	v_add_f64 v[6:7], v[6:7], v[138:139]
	v_add_f64 v[4:5], v[4:5], v[14:15]
	s_waitcnt vmcnt(3) lgkmcnt(2)
	v_mul_f64 v[144:145], v[116:117], v[70:71]
	v_mul_f64 v[70:71], v[118:119], v[70:71]
	v_fmac_f64_e32 v[142:143], v[114:115], v[64:65]
	v_fma_f64 v[50:51], v[112:113], v[64:65], -v[66:67]
	;; [unrolled: 7-line block ×4, first 2 shown]
	v_add_f64 v[6:7], v[6:7], v[144:145]
	v_add_f64 v[4:5], v[4:5], v[52:53]
	v_fmac_f64_e32 v[148:149], v[126:127], v[76:77]
	v_fma_f64 v[56:57], v[124:125], v[76:77], -v[78:79]
	v_add_f64 v[6:7], v[6:7], v[146:147]
	v_add_f64 v[4:5], v[4:5], v[54:55]
	;; [unrolled: 1-line block ×4, first 2 shown]
	s_waitcnt vmcnt(0)
	v_add_f64 v[4:5], v[80:81], -v[4:5]
	v_add_f64 v[6:7], v[82:83], -v[6:7]
	scratch_store_dwordx4 off, v[4:7], off offset:48
	s_and_saveexec_b64 s[2:3], vcc
	s_cbranch_execz .LBB78_99
; %bb.98:
	scratch_load_dwordx4 v[6:9], off, s30
	v_mov_b32_e32 v3, v2
	v_mov_b32_e32 v4, v2
	;; [unrolled: 1-line block ×3, first 2 shown]
	scratch_store_dwordx4 off, v[2:5], off offset:32
	s_waitcnt vmcnt(1)
	ds_write_b128 v46, v[6:9]
.LBB78_99:
	s_or_b64 exec, exec, s[2:3]
	s_waitcnt lgkmcnt(0)
	; wave barrier
	scratch_load_dwordx4 v[4:7], off, off offset:48
	scratch_load_dwordx4 v[8:11], off, off offset:64
	;; [unrolled: 1-line block ×12, first 2 shown]
	ds_read_b128 v[84:87], v2 offset:288
	ds_read_b128 v[88:91], v2 offset:304
	;; [unrolled: 1-line block ×4, first 2 shown]
	scratch_load_dwordx4 v[100:103], off, off offset:32
	ds_read_b128 v[104:107], v2 offset:352
	ds_read_b128 v[108:111], v2 offset:368
	;; [unrolled: 1-line block ×8, first 2 shown]
	v_cmp_lt_u32_e32 vcc, 1, v1
	s_waitcnt vmcnt(12) lgkmcnt(11)
	v_mul_f64 v[2:3], v[84:85], v[6:7]
	s_waitcnt vmcnt(11) lgkmcnt(10)
	v_mul_f64 v[136:137], v[88:89], v[10:11]
	v_fmac_f64_e32 v[2:3], v[86:87], v[4:5]
	s_waitcnt vmcnt(10) lgkmcnt(9)
	v_mul_f64 v[138:139], v[92:93], v[14:15]
	v_mul_f64 v[6:7], v[86:87], v[6:7]
	v_fmac_f64_e32 v[136:137], v[90:91], v[8:9]
	v_add_f64 v[2:3], v[2:3], 0
	s_waitcnt vmcnt(9) lgkmcnt(8)
	v_mul_f64 v[140:141], v[96:97], v[50:51]
	v_mul_f64 v[10:11], v[90:91], v[10:11]
	v_fma_f64 v[4:5], v[84:85], v[4:5], -v[6:7]
	v_fmac_f64_e32 v[138:139], v[94:95], v[12:13]
	v_add_f64 v[2:3], v[2:3], v[136:137]
	s_waitcnt vmcnt(8) lgkmcnt(7)
	v_mul_f64 v[142:143], v[104:105], v[54:55]
	v_mul_f64 v[14:15], v[94:95], v[14:15]
	v_fma_f64 v[6:7], v[88:89], v[8:9], -v[10:11]
	v_fmac_f64_e32 v[140:141], v[98:99], v[48:49]
	v_add_f64 v[4:5], v[4:5], 0
	v_add_f64 v[2:3], v[2:3], v[138:139]
	s_waitcnt vmcnt(7) lgkmcnt(6)
	v_mul_f64 v[144:145], v[108:109], v[58:59]
	v_mul_f64 v[50:51], v[98:99], v[50:51]
	v_fma_f64 v[8:9], v[92:93], v[12:13], -v[14:15]
	v_fmac_f64_e32 v[142:143], v[106:107], v[52:53]
	v_add_f64 v[4:5], v[4:5], v[6:7]
	;; [unrolled: 7-line block ×3, first 2 shown]
	v_add_f64 v[2:3], v[2:3], v[142:143]
	s_waitcnt vmcnt(5) lgkmcnt(4)
	v_mul_f64 v[148:149], v[116:117], v[66:67]
	v_mul_f64 v[58:59], v[110:111], v[58:59]
	v_fmac_f64_e32 v[146:147], v[114:115], v[60:61]
	v_fma_f64 v[12:13], v[104:105], v[52:53], -v[54:55]
	v_add_f64 v[4:5], v[4:5], v[10:11]
	v_add_f64 v[2:3], v[2:3], v[144:145]
	s_waitcnt vmcnt(4) lgkmcnt(3)
	v_mul_f64 v[150:151], v[120:121], v[70:71]
	v_mul_f64 v[62:63], v[114:115], v[62:63]
	v_fmac_f64_e32 v[148:149], v[118:119], v[64:65]
	v_fma_f64 v[14:15], v[108:109], v[56:57], -v[58:59]
	v_add_f64 v[4:5], v[4:5], v[12:13]
	;; [unrolled: 7-line block ×5, first 2 shown]
	v_add_f64 v[2:3], v[2:3], v[152:153]
	v_mul_f64 v[78:79], v[130:131], v[78:79]
	v_fmac_f64_e32 v[156:157], v[134:135], v[80:81]
	v_fma_f64 v[54:55], v[124:125], v[72:73], -v[74:75]
	v_add_f64 v[4:5], v[4:5], v[52:53]
	v_add_f64 v[2:3], v[2:3], v[154:155]
	;; [unrolled: 1-line block ×4, first 2 shown]
	v_fma_f64 v[2:3], v[128:129], v[76:77], -v[78:79]
	v_add_f64 v[2:3], v[4:5], v[2:3]
	v_mul_f64 v[4:5], v[134:135], v[82:83]
	v_fma_f64 v[4:5], v[132:133], v[80:81], -v[4:5]
	v_add_f64 v[2:3], v[2:3], v[4:5]
	s_waitcnt vmcnt(0)
	v_add_f64 v[2:3], v[100:101], -v[2:3]
	v_add_f64 v[4:5], v[102:103], -v[6:7]
	scratch_store_dwordx4 off, v[2:5], off offset:32
	s_and_saveexec_b64 s[2:3], vcc
	s_cbranch_execz .LBB78_101
; %bb.100:
	scratch_load_dwordx4 v[2:5], off, s31
	v_mov_b32_e32 v6, 0
	v_mov_b32_e32 v7, v6
	;; [unrolled: 1-line block ×4, first 2 shown]
	scratch_store_dwordx4 off, v[6:9], off offset:16
	s_waitcnt vmcnt(1)
	ds_write_b128 v46, v[2:5]
.LBB78_101:
	s_or_b64 exec, exec, s[2:3]
	v_mov_b32_e32 v2, 0
	s_waitcnt lgkmcnt(0)
	; wave barrier
	ds_read_b128 v[4:7], v2 offset:272
	ds_read_b128 v[8:11], v2 offset:288
	;; [unrolled: 1-line block ×4, first 2 shown]
	scratch_load_dwordx4 v[52:55], off, off offset:32
	scratch_load_dwordx4 v[72:75], off, off offset:96
	;; [unrolled: 1-line block ×7, first 2 shown]
	v_cmp_ne_u32_e32 vcc, 0, v1
	scratch_load_dwordx4 v[80:83], off, off offset:112
	scratch_load_dwordx4 v[88:91], off, off offset:128
	;; [unrolled: 1-line block ×3, first 2 shown]
	s_waitcnt vmcnt(9) lgkmcnt(3)
	v_mul_f64 v[56:57], v[4:5], v[54:55]
	v_fmac_f64_e32 v[56:57], v[6:7], v[52:53]
	v_add_f64 v[60:61], v[56:57], 0
	scratch_load_dwordx4 v[56:59], off, off offset:48
	v_mul_f64 v[6:7], v[6:7], v[54:55]
	v_fma_f64 v[4:5], v[4:5], v[52:53], -v[6:7]
	v_add_f64 v[4:5], v[4:5], 0
	s_waitcnt vmcnt(0) lgkmcnt(2)
	v_mul_f64 v[62:63], v[8:9], v[58:59]
	v_fmac_f64_e32 v[62:63], v[10:11], v[56:57]
	v_add_f64 v[64:65], v[60:61], v[62:63]
	scratch_load_dwordx4 v[60:63], off, off offset:64
	v_mul_f64 v[6:7], v[10:11], v[58:59]
	v_fma_f64 v[6:7], v[8:9], v[56:57], -v[6:7]
	v_add_f64 v[4:5], v[4:5], v[6:7]
	;; [unrolled: 8-line block ×3, first 2 shown]
	s_waitcnt vmcnt(0) lgkmcnt(0)
	v_mul_f64 v[70:71], v[48:49], v[66:67]
	v_fmac_f64_e32 v[70:71], v[50:51], v[64:65]
	v_add_f64 v[76:77], v[68:69], v[70:71]
	ds_read_b128 v[68:71], v2 offset:336
	v_mul_f64 v[6:7], v[50:51], v[66:67]
	v_fma_f64 v[6:7], v[48:49], v[64:65], -v[6:7]
	v_add_f64 v[4:5], v[4:5], v[6:7]
	s_waitcnt lgkmcnt(0)
	v_mul_f64 v[78:79], v[68:69], v[74:75]
	v_fmac_f64_e32 v[78:79], v[70:71], v[72:73]
	v_add_f64 v[84:85], v[76:77], v[78:79]
	ds_read_b128 v[76:79], v2 offset:352
	v_mul_f64 v[6:7], v[70:71], v[74:75]
	v_fma_f64 v[6:7], v[68:69], v[72:73], -v[6:7]
	v_add_f64 v[4:5], v[4:5], v[6:7]
	s_waitcnt lgkmcnt(0)
	;; [unrolled: 8-line block ×9, first 2 shown]
	v_mul_f64 v[6:7], v[134:135], v[138:139]
	v_fma_f64 v[6:7], v[132:133], v[136:137], -v[6:7]
	v_add_f64 v[8:9], v[4:5], v[6:7]
	scratch_load_dwordx4 v[4:7], off, off offset:16
	v_mul_f64 v[142:143], v[132:133], v[138:139]
	v_fmac_f64_e32 v[142:143], v[134:135], v[136:137]
	v_add_f64 v[140:141], v[140:141], v[142:143]
	s_waitcnt vmcnt(0)
	v_add_f64 v[4:5], v[4:5], -v[8:9]
	v_add_f64 v[6:7], v[6:7], -v[140:141]
	scratch_store_dwordx4 off, v[4:7], off offset:16
	s_and_saveexec_b64 s[2:3], vcc
	s_cbranch_execz .LBB78_103
; %bb.102:
	scratch_load_dwordx4 v[6:9], off, off
	v_mov_b32_e32 v3, v2
	v_mov_b32_e32 v4, v2
	;; [unrolled: 1-line block ×3, first 2 shown]
	scratch_store_dwordx4 off, v[2:5], off
	s_waitcnt vmcnt(1)
	ds_write_b128 v46, v[6:9]
.LBB78_103:
	s_or_b64 exec, exec, s[2:3]
	s_waitcnt lgkmcnt(0)
	; wave barrier
	ds_read_b128 v[4:7], v2 offset:256
	ds_read_b128 v[8:11], v2 offset:272
	;; [unrolled: 1-line block ×4, first 2 shown]
	scratch_load_dwordx4 v[50:53], off, off offset:16
	scratch_load_dwordx4 v[70:73], off, off offset:80
	;; [unrolled: 1-line block ×8, first 2 shown]
	s_and_b64 vcc, exec, s[14:15]
	scratch_load_dwordx4 v[78:81], off, off offset:96
	scratch_load_dwordx4 v[86:89], off, off offset:112
	;; [unrolled: 1-line block ×3, first 2 shown]
	s_waitcnt vmcnt(10) lgkmcnt(3)
	v_mul_f64 v[54:55], v[4:5], v[52:53]
	v_fmac_f64_e32 v[54:55], v[6:7], v[50:51]
	v_add_f64 v[58:59], v[54:55], 0
	scratch_load_dwordx4 v[54:57], off, off offset:32
	s_waitcnt vmcnt(0) lgkmcnt(2)
	v_mul_f64 v[60:61], v[8:9], v[56:57]
	v_fmac_f64_e32 v[60:61], v[10:11], v[54:55]
	v_add_f64 v[62:63], v[58:59], v[60:61]
	scratch_load_dwordx4 v[58:61], off, off offset:48
	;; [unrolled: 5-line block ×3, first 2 shown]
	s_waitcnt vmcnt(0) lgkmcnt(0)
	v_mul_f64 v[68:69], v[46:47], v[64:65]
	v_fmac_f64_e32 v[68:69], v[48:49], v[62:63]
	v_add_f64 v[74:75], v[66:67], v[68:69]
	ds_read_b128 v[66:69], v2 offset:320
	s_waitcnt lgkmcnt(0)
	v_mul_f64 v[76:77], v[66:67], v[72:73]
	v_fmac_f64_e32 v[76:77], v[68:69], v[70:71]
	v_add_f64 v[82:83], v[74:75], v[76:77]
	ds_read_b128 v[74:77], v2 offset:336
	s_waitcnt lgkmcnt(0)
	;; [unrolled: 5-line block ×10, first 2 shown]
	v_mul_f64 v[2:3], v[138:139], v[144:145]
	v_fmac_f64_e32 v[2:3], v[140:141], v[142:143]
	v_add_f64 v[146:147], v[146:147], v[2:3]
	v_mul_f64 v[2:3], v[6:7], v[52:53]
	v_fma_f64 v[2:3], v[4:5], v[50:51], -v[2:3]
	v_mul_f64 v[4:5], v[10:11], v[56:57]
	v_add_f64 v[2:3], v[2:3], 0
	v_fma_f64 v[4:5], v[8:9], v[54:55], -v[4:5]
	v_add_f64 v[2:3], v[2:3], v[4:5]
	v_mul_f64 v[4:5], v[14:15], v[60:61]
	v_fma_f64 v[4:5], v[12:13], v[58:59], -v[4:5]
	v_add_f64 v[2:3], v[2:3], v[4:5]
	v_mul_f64 v[4:5], v[48:49], v[64:65]
	;; [unrolled: 3-line block ×12, first 2 shown]
	v_fma_f64 v[4:5], v[138:139], v[142:143], -v[4:5]
	v_add_f64 v[6:7], v[2:3], v[4:5]
	scratch_load_dwordx4 v[2:5], off, off
	s_waitcnt vmcnt(0)
	v_add_f64 v[2:3], v[2:3], -v[6:7]
	v_add_f64 v[4:5], v[4:5], -v[146:147]
	scratch_store_dwordx4 off, v[2:5], off
	s_cbranch_vccz .LBB78_132
; %bb.104:
	s_nop 0
	v_mov_b32_e32 v2, 0
	global_load_dword v3, v2, s[12:13] offset:52
	s_load_dwordx2 s[2:3], s[0:1], 0x4
	v_bfe_u32 v4, v0, 10, 10
	v_bfe_u32 v0, v0, 20, 10
	s_waitcnt lgkmcnt(0)
	s_lshr_b32 s0, s2, 16
	s_mul_i32 s0, s0, s3
	v_mul_u32_u24_e32 v1, s0, v1
	v_mul_u32_u24_e32 v4, s3, v4
	v_add3_u32 v0, v1, v4, v0
	v_mov_b32_e32 v1, 0x1e8
	v_lshl_add_u32 v0, v0, 4, v1
	s_waitcnt vmcnt(0)
	v_readfirstlane_b32 s0, v3
	s_add_i32 s0, s0, -1
	s_cmp_lg_u32 s0, 13
	s_cbranch_scc0 .LBB78_106
; %bb.105:
	s_lshl_b32 s0, s0, 4
	scratch_load_dwordx4 v[4:7], off, s19
	scratch_load_dwordx4 v[8:11], off, s0
	s_waitcnt vmcnt(1)
	ds_write2_b64 v0, v[4:5], v[6:7] offset1:1
	s_waitcnt vmcnt(0)
	scratch_store_dwordx4 off, v[8:11], s19
	scratch_store_dwordx4 off, v[4:7], s0
.LBB78_106:
	global_load_dword v1, v2, s[12:13] offset:48
	s_waitcnt vmcnt(0)
	v_readfirstlane_b32 s0, v1
	s_add_i32 s0, s0, -1
	s_cmp_eq_u32 s0, 12
	s_cbranch_scc1 .LBB78_108
; %bb.107:
	s_lshl_b32 s0, s0, 4
	scratch_load_dwordx4 v[2:5], off, s20
	scratch_load_dwordx4 v[6:9], off, s0
	s_waitcnt vmcnt(1)
	ds_write2_b64 v0, v[2:3], v[4:5] offset1:1
	s_waitcnt vmcnt(0)
	scratch_store_dwordx4 off, v[6:9], s20
	scratch_store_dwordx4 off, v[2:5], s0
.LBB78_108:
	v_mov_b32_e32 v1, 0
	global_load_dword v2, v1, s[12:13] offset:44
	s_waitcnt vmcnt(0)
	v_readfirstlane_b32 s0, v2
	s_add_i32 s0, s0, -1
	s_cmp_eq_u32 s0, 11
	s_cbranch_scc1 .LBB78_110
; %bb.109:
	s_lshl_b32 s0, s0, 4
	scratch_load_dwordx4 v[2:5], off, s21
	scratch_load_dwordx4 v[6:9], off, s0
	s_waitcnt vmcnt(1)
	ds_write2_b64 v0, v[2:3], v[4:5] offset1:1
	s_waitcnt vmcnt(0)
	scratch_store_dwordx4 off, v[6:9], s21
	scratch_store_dwordx4 off, v[2:5], s0
.LBB78_110:
	global_load_dword v1, v1, s[12:13] offset:40
	s_waitcnt vmcnt(0)
	v_readfirstlane_b32 s0, v1
	s_add_i32 s0, s0, -1
	s_cmp_eq_u32 s0, 10
	s_cbranch_scc1 .LBB78_112
; %bb.111:
	s_lshl_b32 s0, s0, 4
	scratch_load_dwordx4 v[2:5], off, s22
	scratch_load_dwordx4 v[6:9], off, s0
	s_waitcnt vmcnt(1)
	ds_write2_b64 v0, v[2:3], v[4:5] offset1:1
	s_waitcnt vmcnt(0)
	scratch_store_dwordx4 off, v[6:9], s22
	scratch_store_dwordx4 off, v[2:5], s0
.LBB78_112:
	v_mov_b32_e32 v1, 0
	global_load_dword v2, v1, s[12:13] offset:36
	s_waitcnt vmcnt(0)
	v_readfirstlane_b32 s0, v2
	s_add_i32 s0, s0, -1
	s_cmp_eq_u32 s0, 9
	s_cbranch_scc1 .LBB78_114
; %bb.113:
	s_lshl_b32 s0, s0, 4
	scratch_load_dwordx4 v[2:5], off, s23
	scratch_load_dwordx4 v[6:9], off, s0
	s_waitcnt vmcnt(1)
	ds_write2_b64 v0, v[2:3], v[4:5] offset1:1
	s_waitcnt vmcnt(0)
	scratch_store_dwordx4 off, v[6:9], s23
	scratch_store_dwordx4 off, v[2:5], s0
.LBB78_114:
	;; [unrolled: 33-line block ×6, first 2 shown]
	global_load_dword v1, v1, s[12:13]
	s_waitcnt vmcnt(0)
	v_readfirstlane_b32 s0, v1
	s_add_i32 s0, s0, -1
	s_cmp_eq_u32 s0, 0
	s_cbranch_scc1 .LBB78_132
; %bb.131:
	s_lshl_b32 s0, s0, 4
	scratch_load_dwordx4 v[2:5], off, off
	scratch_load_dwordx4 v[6:9], off, s0
	s_waitcnt vmcnt(1)
	ds_write2_b64 v0, v[2:3], v[4:5] offset1:1
	s_waitcnt vmcnt(0)
	scratch_store_dwordx4 off, v[6:9], off
	scratch_store_dwordx4 off, v[2:5], s0
.LBB78_132:
	scratch_load_dwordx4 v[0:3], off, off
	s_waitcnt vmcnt(0)
	flat_store_dwordx4 v[16:17], v[0:3]
	scratch_load_dwordx4 v[0:3], off, s31
	s_waitcnt vmcnt(0)
	flat_store_dwordx4 v[18:19], v[0:3]
	scratch_load_dwordx4 v[0:3], off, s30
	;; [unrolled: 3-line block ×14, first 2 shown]
	s_waitcnt vmcnt(0)
	flat_store_dwordx4 v[44:45], v[0:3]
	s_endpgm
	.section	.rodata,"a",@progbits
	.p2align	6, 0x0
	.amdhsa_kernel _ZN9rocsolver6v33100L18getri_kernel_smallILi15E19rocblas_complex_numIdEPKPS3_EEvT1_iilPiilS8_bb
		.amdhsa_group_segment_fixed_size 1512
		.amdhsa_private_segment_fixed_size 256
		.amdhsa_kernarg_size 60
		.amdhsa_user_sgpr_count 4
		.amdhsa_user_sgpr_dispatch_ptr 1
		.amdhsa_user_sgpr_queue_ptr 0
		.amdhsa_user_sgpr_kernarg_segment_ptr 1
		.amdhsa_user_sgpr_dispatch_id 0
		.amdhsa_user_sgpr_kernarg_preload_length 0
		.amdhsa_user_sgpr_kernarg_preload_offset 0
		.amdhsa_user_sgpr_private_segment_size 0
		.amdhsa_uses_dynamic_stack 0
		.amdhsa_enable_private_segment 1
		.amdhsa_system_sgpr_workgroup_id_x 1
		.amdhsa_system_sgpr_workgroup_id_y 0
		.amdhsa_system_sgpr_workgroup_id_z 0
		.amdhsa_system_sgpr_workgroup_info 0
		.amdhsa_system_vgpr_workitem_id 2
		.amdhsa_next_free_vgpr 158
		.amdhsa_next_free_sgpr 35
		.amdhsa_accum_offset 160
		.amdhsa_reserve_vcc 1
		.amdhsa_float_round_mode_32 0
		.amdhsa_float_round_mode_16_64 0
		.amdhsa_float_denorm_mode_32 3
		.amdhsa_float_denorm_mode_16_64 3
		.amdhsa_dx10_clamp 1
		.amdhsa_ieee_mode 1
		.amdhsa_fp16_overflow 0
		.amdhsa_tg_split 0
		.amdhsa_exception_fp_ieee_invalid_op 0
		.amdhsa_exception_fp_denorm_src 0
		.amdhsa_exception_fp_ieee_div_zero 0
		.amdhsa_exception_fp_ieee_overflow 0
		.amdhsa_exception_fp_ieee_underflow 0
		.amdhsa_exception_fp_ieee_inexact 0
		.amdhsa_exception_int_div_zero 0
	.end_amdhsa_kernel
	.section	.text._ZN9rocsolver6v33100L18getri_kernel_smallILi15E19rocblas_complex_numIdEPKPS3_EEvT1_iilPiilS8_bb,"axG",@progbits,_ZN9rocsolver6v33100L18getri_kernel_smallILi15E19rocblas_complex_numIdEPKPS3_EEvT1_iilPiilS8_bb,comdat
.Lfunc_end78:
	.size	_ZN9rocsolver6v33100L18getri_kernel_smallILi15E19rocblas_complex_numIdEPKPS3_EEvT1_iilPiilS8_bb, .Lfunc_end78-_ZN9rocsolver6v33100L18getri_kernel_smallILi15E19rocblas_complex_numIdEPKPS3_EEvT1_iilPiilS8_bb
                                        ; -- End function
	.set _ZN9rocsolver6v33100L18getri_kernel_smallILi15E19rocblas_complex_numIdEPKPS3_EEvT1_iilPiilS8_bb.num_vgpr, 158
	.set _ZN9rocsolver6v33100L18getri_kernel_smallILi15E19rocblas_complex_numIdEPKPS3_EEvT1_iilPiilS8_bb.num_agpr, 0
	.set _ZN9rocsolver6v33100L18getri_kernel_smallILi15E19rocblas_complex_numIdEPKPS3_EEvT1_iilPiilS8_bb.numbered_sgpr, 35
	.set _ZN9rocsolver6v33100L18getri_kernel_smallILi15E19rocblas_complex_numIdEPKPS3_EEvT1_iilPiilS8_bb.num_named_barrier, 0
	.set _ZN9rocsolver6v33100L18getri_kernel_smallILi15E19rocblas_complex_numIdEPKPS3_EEvT1_iilPiilS8_bb.private_seg_size, 256
	.set _ZN9rocsolver6v33100L18getri_kernel_smallILi15E19rocblas_complex_numIdEPKPS3_EEvT1_iilPiilS8_bb.uses_vcc, 1
	.set _ZN9rocsolver6v33100L18getri_kernel_smallILi15E19rocblas_complex_numIdEPKPS3_EEvT1_iilPiilS8_bb.uses_flat_scratch, 0
	.set _ZN9rocsolver6v33100L18getri_kernel_smallILi15E19rocblas_complex_numIdEPKPS3_EEvT1_iilPiilS8_bb.has_dyn_sized_stack, 0
	.set _ZN9rocsolver6v33100L18getri_kernel_smallILi15E19rocblas_complex_numIdEPKPS3_EEvT1_iilPiilS8_bb.has_recursion, 0
	.set _ZN9rocsolver6v33100L18getri_kernel_smallILi15E19rocblas_complex_numIdEPKPS3_EEvT1_iilPiilS8_bb.has_indirect_call, 0
	.section	.AMDGPU.csdata,"",@progbits
; Kernel info:
; codeLenInByte = 14208
; TotalNumSgprs: 41
; NumVgprs: 158
; NumAgprs: 0
; TotalNumVgprs: 158
; ScratchSize: 256
; MemoryBound: 0
; FloatMode: 240
; IeeeMode: 1
; LDSByteSize: 1512 bytes/workgroup (compile time only)
; SGPRBlocks: 5
; VGPRBlocks: 19
; NumSGPRsForWavesPerEU: 41
; NumVGPRsForWavesPerEU: 158
; AccumOffset: 160
; Occupancy: 3
; WaveLimiterHint : 1
; COMPUTE_PGM_RSRC2:SCRATCH_EN: 1
; COMPUTE_PGM_RSRC2:USER_SGPR: 4
; COMPUTE_PGM_RSRC2:TRAP_HANDLER: 0
; COMPUTE_PGM_RSRC2:TGID_X_EN: 1
; COMPUTE_PGM_RSRC2:TGID_Y_EN: 0
; COMPUTE_PGM_RSRC2:TGID_Z_EN: 0
; COMPUTE_PGM_RSRC2:TIDIG_COMP_CNT: 2
; COMPUTE_PGM_RSRC3_GFX90A:ACCUM_OFFSET: 39
; COMPUTE_PGM_RSRC3_GFX90A:TG_SPLIT: 0
	.section	.text._ZN9rocsolver6v33100L18getri_kernel_smallILi16E19rocblas_complex_numIdEPKPS3_EEvT1_iilPiilS8_bb,"axG",@progbits,_ZN9rocsolver6v33100L18getri_kernel_smallILi16E19rocblas_complex_numIdEPKPS3_EEvT1_iilPiilS8_bb,comdat
	.globl	_ZN9rocsolver6v33100L18getri_kernel_smallILi16E19rocblas_complex_numIdEPKPS3_EEvT1_iilPiilS8_bb ; -- Begin function _ZN9rocsolver6v33100L18getri_kernel_smallILi16E19rocblas_complex_numIdEPKPS3_EEvT1_iilPiilS8_bb
	.p2align	8
	.type	_ZN9rocsolver6v33100L18getri_kernel_smallILi16E19rocblas_complex_numIdEPKPS3_EEvT1_iilPiilS8_bb,@function
_ZN9rocsolver6v33100L18getri_kernel_smallILi16E19rocblas_complex_numIdEPKPS3_EEvT1_iilPiilS8_bb: ; @_ZN9rocsolver6v33100L18getri_kernel_smallILi16E19rocblas_complex_numIdEPKPS3_EEvT1_iilPiilS8_bb
; %bb.0:
	v_and_b32_e32 v1, 0x3ff, v0
	v_cmp_gt_u32_e32 vcc, 16, v1
	s_and_saveexec_b64 s[6:7], vcc
	s_cbranch_execz .LBB79_78
; %bb.1:
	s_load_dword s18, s[2:3], 0x38
	s_load_dwordx2 s[6:7], s[2:3], 0x0
	s_load_dwordx4 s[8:11], s[2:3], 0x28
	s_waitcnt lgkmcnt(0)
	s_bitcmp1_b32 s18, 8
	s_cselect_b64 s[14:15], -1, 0
	s_ashr_i32 s5, s4, 31
	s_lshl_b64 s[12:13], s[4:5], 3
	s_add_u32 s6, s6, s12
	s_addc_u32 s7, s7, s13
	s_load_dwordx2 s[16:17], s[6:7], 0x0
	s_bfe_u32 s6, s18, 0x10008
	s_cmp_eq_u32 s6, 0
                                        ; implicit-def: $sgpr12_sgpr13
	s_cbranch_scc1 .LBB79_3
; %bb.2:
	s_load_dword s6, s[2:3], 0x20
	s_load_dwordx2 s[12:13], s[2:3], 0x18
	s_mul_i32 s7, s8, s5
	s_mul_hi_u32 s18, s8, s4
	s_add_i32 s18, s18, s7
	s_mul_i32 s9, s9, s4
	s_add_i32 s9, s18, s9
	s_mul_i32 s8, s8, s4
	s_waitcnt lgkmcnt(0)
	s_ashr_i32 s7, s6, 31
	s_lshl_b64 s[8:9], s[8:9], 2
	s_add_u32 s8, s12, s8
	s_addc_u32 s9, s13, s9
	s_lshl_b64 s[6:7], s[6:7], 2
	s_add_u32 s12, s8, s6
	s_addc_u32 s13, s9, s7
.LBB79_3:
	s_load_dwordx2 s[6:7], s[2:3], 0x8
	s_load_dword s34, s[2:3], 0x38
	v_lshlrev_b32_e32 v14, 4, v1
	v_mov_b32_e32 v15, 0
	s_movk_i32 s35, 0xf0
	s_waitcnt lgkmcnt(0)
	s_ashr_i32 s3, s6, 31
	s_mov_b32 s2, s6
	s_lshl_b64 s[2:3], s[2:3], 4
	s_add_u32 s2, s16, s2
	s_addc_u32 s3, s17, s3
	v_lshl_add_u64 v[38:39], s[2:3], 0, v[14:15]
	flat_load_dwordx4 v[2:5], v[38:39]
	s_mov_b32 s8, s7
	s_ashr_i32 s9, s7, 31
	v_lshl_add_u64 v[40:41], s[8:9], 4, v[38:39]
	s_add_i32 s6, s7, s7
	v_add_u32_e32 v6, s6, v1
	v_ashrrev_i32_e32 v7, 31, v6
	v_lshl_add_u64 v[42:43], v[6:7], 4, s[2:3]
	v_add_u32_e32 v6, s7, v6
	v_ashrrev_i32_e32 v7, 31, v6
	v_lshl_add_u64 v[44:45], v[6:7], 4, s[2:3]
	;; [unrolled: 3-line block ×14, first 2 shown]
	s_movk_i32 s28, 0x50
	s_movk_i32 s27, 0x60
	;; [unrolled: 1-line block ×10, first 2 shown]
	s_mov_b32 s33, 16
	s_mov_b32 s31, 32
	;; [unrolled: 1-line block ×5, first 2 shown]
	s_bitcmp0_b32 s34, 0
	s_mov_b64 s[6:7], -1
	s_waitcnt vmcnt(0) lgkmcnt(0)
	scratch_store_dwordx4 off, v[2:5], off
	flat_load_dwordx4 v[2:5], v[40:41]
	s_waitcnt vmcnt(0) lgkmcnt(0)
	scratch_store_dwordx4 off, v[2:5], off offset:16
	flat_load_dwordx4 v[2:5], v[42:43]
	s_waitcnt vmcnt(0) lgkmcnt(0)
	scratch_store_dwordx4 off, v[2:5], off offset:32
	;; [unrolled: 3-line block ×15, first 2 shown]
	s_cbranch_scc1 .LBB79_76
; %bb.4:
	v_cmp_eq_u32_e64 s[2:3], 0, v1
	s_and_saveexec_b64 s[6:7], s[2:3]
; %bb.5:
	v_mov_b32_e32 v2, 0
	ds_write_b32 v2, v2 offset:512
; %bb.6:
	s_or_b64 exec, exec, s[6:7]
	s_waitcnt lgkmcnt(0)
	; wave barrier
	scratch_load_dwordx4 v[2:5], v14, off
	s_waitcnt vmcnt(0)
	v_cmp_eq_f64_e32 vcc, 0, v[2:3]
	v_cmp_eq_f64_e64 s[6:7], 0, v[4:5]
	s_and_b64 s[6:7], vcc, s[6:7]
	s_and_saveexec_b64 s[8:9], s[6:7]
	s_cbranch_execz .LBB79_10
; %bb.7:
	v_mov_b32_e32 v2, 0
	ds_read_b32 v4, v2 offset:512
	v_add_u32_e32 v3, 1, v1
	s_waitcnt lgkmcnt(0)
	v_readfirstlane_b32 s6, v4
	s_cmp_eq_u32 s6, 0
	s_cselect_b64 s[16:17], -1, 0
	v_cmp_gt_i32_e32 vcc, s6, v3
	s_or_b64 s[16:17], s[16:17], vcc
	s_and_b64 exec, exec, s[16:17]
	s_cbranch_execz .LBB79_10
; %bb.8:
	s_mov_b64 s[16:17], 0
	v_mov_b32_e32 v4, s6
.LBB79_9:                               ; =>This Inner Loop Header: Depth=1
	ds_cmpst_rtn_b32 v4, v2, v4, v3 offset:512
	s_waitcnt lgkmcnt(0)
	v_cmp_ne_u32_e32 vcc, 0, v4
	v_cmp_le_i32_e64 s[6:7], v4, v3
	s_and_b64 s[6:7], vcc, s[6:7]
	s_and_b64 s[6:7], exec, s[6:7]
	s_or_b64 s[16:17], s[6:7], s[16:17]
	s_andn2_b64 exec, exec, s[16:17]
	s_cbranch_execnz .LBB79_9
.LBB79_10:
	s_or_b64 exec, exec, s[8:9]
	v_mov_b32_e32 v3, 0
	; wave barrier
	ds_read_b32 v2, v3 offset:512
	s_and_saveexec_b64 s[6:7], s[2:3]
	s_cbranch_execz .LBB79_12
; %bb.11:
	s_lshl_b64 s[8:9], s[4:5], 2
	s_add_u32 s8, s10, s8
	s_addc_u32 s9, s11, s9
	s_waitcnt lgkmcnt(0)
	global_store_dword v3, v2, s[8:9]
.LBB79_12:
	s_or_b64 exec, exec, s[6:7]
	s_waitcnt lgkmcnt(0)
	v_cmp_ne_u32_e32 vcc, 0, v2
	s_mov_b64 s[6:7], 0
	s_cbranch_vccnz .LBB79_76
; %bb.13:
	v_mov_b32_e32 v15, v14
	scratch_load_dwordx4 v[2:5], v15, off
                                        ; implicit-def: $vgpr6_vgpr7
                                        ; implicit-def: $vgpr10_vgpr11
	s_waitcnt vmcnt(0)
	v_cmp_ngt_f64_e64 s[6:7], |v[2:3]|, |v[4:5]|
	s_and_saveexec_b64 s[8:9], s[6:7]
	s_xor_b64 s[6:7], exec, s[8:9]
	s_cbranch_execz .LBB79_15
; %bb.14:
	v_div_scale_f64 v[6:7], s[8:9], v[4:5], v[4:5], v[2:3]
	v_rcp_f64_e32 v[8:9], v[6:7]
	v_div_scale_f64 v[10:11], vcc, v[2:3], v[4:5], v[2:3]
	v_fma_f64 v[12:13], -v[6:7], v[8:9], 1.0
	v_fmac_f64_e32 v[8:9], v[8:9], v[12:13]
	v_fma_f64 v[12:13], -v[6:7], v[8:9], 1.0
	v_fmac_f64_e32 v[8:9], v[8:9], v[12:13]
	v_mul_f64 v[12:13], v[10:11], v[8:9]
	v_fma_f64 v[6:7], -v[6:7], v[12:13], v[10:11]
	v_div_fmas_f64 v[6:7], v[6:7], v[8:9], v[12:13]
	v_div_fixup_f64 v[6:7], v[6:7], v[4:5], v[2:3]
	v_fmac_f64_e32 v[4:5], v[2:3], v[6:7]
	v_div_scale_f64 v[2:3], s[8:9], v[4:5], v[4:5], 1.0
	v_rcp_f64_e32 v[8:9], v[2:3]
	s_nop 0
	v_fma_f64 v[10:11], -v[2:3], v[8:9], 1.0
	v_fmac_f64_e32 v[8:9], v[8:9], v[10:11]
	v_fma_f64 v[10:11], -v[2:3], v[8:9], 1.0
	v_fmac_f64_e32 v[8:9], v[8:9], v[10:11]
	v_div_scale_f64 v[10:11], vcc, 1.0, v[4:5], 1.0
	v_mul_f64 v[12:13], v[10:11], v[8:9]
	v_fma_f64 v[2:3], -v[2:3], v[12:13], v[10:11]
	s_nop 1
	v_div_fmas_f64 v[2:3], v[2:3], v[8:9], v[12:13]
	v_div_fixup_f64 v[8:9], v[2:3], v[4:5], 1.0
	v_mul_f64 v[6:7], v[6:7], v[8:9]
	v_xor_b32_e32 v9, 0x80000000, v9
	v_xor_b32_e32 v11, 0x80000000, v7
	v_mov_b32_e32 v10, v6
                                        ; implicit-def: $vgpr2_vgpr3
.LBB79_15:
	s_andn2_saveexec_b64 s[6:7], s[6:7]
	s_cbranch_execz .LBB79_17
; %bb.16:
	v_div_scale_f64 v[6:7], s[8:9], v[2:3], v[2:3], v[4:5]
	v_rcp_f64_e32 v[8:9], v[6:7]
	v_div_scale_f64 v[10:11], vcc, v[4:5], v[2:3], v[4:5]
	v_fma_f64 v[12:13], -v[6:7], v[8:9], 1.0
	v_fmac_f64_e32 v[8:9], v[8:9], v[12:13]
	v_fma_f64 v[12:13], -v[6:7], v[8:9], 1.0
	v_fmac_f64_e32 v[8:9], v[8:9], v[12:13]
	v_mul_f64 v[12:13], v[10:11], v[8:9]
	v_fma_f64 v[6:7], -v[6:7], v[12:13], v[10:11]
	v_div_fmas_f64 v[6:7], v[6:7], v[8:9], v[12:13]
	v_div_fixup_f64 v[8:9], v[6:7], v[2:3], v[4:5]
	v_fmac_f64_e32 v[2:3], v[4:5], v[8:9]
	v_div_scale_f64 v[4:5], s[8:9], v[2:3], v[2:3], 1.0
	v_rcp_f64_e32 v[6:7], v[4:5]
	s_nop 0
	v_fma_f64 v[10:11], -v[4:5], v[6:7], 1.0
	v_fmac_f64_e32 v[6:7], v[6:7], v[10:11]
	v_fma_f64 v[10:11], -v[4:5], v[6:7], 1.0
	v_fmac_f64_e32 v[6:7], v[6:7], v[10:11]
	v_div_scale_f64 v[10:11], vcc, 1.0, v[2:3], 1.0
	v_mul_f64 v[12:13], v[10:11], v[6:7]
	v_fma_f64 v[4:5], -v[4:5], v[12:13], v[10:11]
	s_nop 1
	v_div_fmas_f64 v[4:5], v[4:5], v[6:7], v[12:13]
	v_div_fixup_f64 v[6:7], v[4:5], v[2:3], 1.0
	v_xor_b32_e32 v11, 0x80000000, v7
	v_mov_b32_e32 v10, v6
	v_mul_f64 v[8:9], v[8:9], -v[6:7]
.LBB79_17:
	s_or_b64 exec, exec, s[6:7]
	scratch_store_dwordx4 v15, v[6:9], off
	scratch_load_dwordx4 v[2:5], off, s33
	v_xor_b32_e32 v13, 0x80000000, v9
	v_mov_b32_e32 v12, v8
	v_add_u32_e32 v6, 0x100, v14
	ds_write_b128 v14, v[10:13]
	s_waitcnt vmcnt(0)
	ds_write_b128 v14, v[2:5] offset:256
	s_waitcnt lgkmcnt(0)
	; wave barrier
	s_and_saveexec_b64 s[6:7], s[2:3]
	s_cbranch_execz .LBB79_19
; %bb.18:
	scratch_load_dwordx4 v[2:5], v15, off
	ds_read_b128 v[8:11], v6
	v_mov_b32_e32 v7, 0
	ds_read_b128 v[16:19], v7 offset:16
	s_waitcnt vmcnt(0) lgkmcnt(1)
	v_mul_f64 v[12:13], v[10:11], v[4:5]
	v_mul_f64 v[4:5], v[8:9], v[4:5]
	v_fma_f64 v[8:9], v[8:9], v[2:3], -v[12:13]
	v_fmac_f64_e32 v[4:5], v[10:11], v[2:3]
	v_add_f64 v[2:3], v[8:9], 0
	v_add_f64 v[8:9], v[4:5], 0
	s_waitcnt lgkmcnt(0)
	v_mul_f64 v[10:11], v[8:9], v[18:19]
	v_mul_f64 v[4:5], v[2:3], v[18:19]
	v_fma_f64 v[2:3], v[2:3], v[16:17], -v[10:11]
	v_fmac_f64_e32 v[4:5], v[8:9], v[16:17]
	scratch_store_dwordx4 off, v[2:5], off offset:16
.LBB79_19:
	s_or_b64 exec, exec, s[6:7]
	; wave barrier
	scratch_load_dwordx4 v[2:5], off, s31
	v_cmp_gt_u32_e32 vcc, 2, v1
	s_waitcnt vmcnt(0)
	ds_write_b128 v6, v[2:5]
	s_waitcnt lgkmcnt(0)
	; wave barrier
	s_and_saveexec_b64 s[6:7], vcc
	s_cbranch_execz .LBB79_23
; %bb.20:
	scratch_load_dwordx4 v[2:5], v15, off
	ds_read_b128 v[8:11], v6
	s_waitcnt vmcnt(0) lgkmcnt(0)
	v_mul_f64 v[12:13], v[10:11], v[4:5]
	v_mul_f64 v[16:17], v[8:9], v[4:5]
	v_fma_f64 v[4:5], v[8:9], v[2:3], -v[12:13]
	v_fmac_f64_e32 v[16:17], v[10:11], v[2:3]
	v_add_f64 v[4:5], v[4:5], 0
	v_add_f64 v[2:3], v[16:17], 0
	s_and_saveexec_b64 s[8:9], s[2:3]
	s_cbranch_execz .LBB79_22
; %bb.21:
	scratch_load_dwordx4 v[8:11], off, off offset:16
	v_mov_b32_e32 v7, 0
	ds_read_b128 v[16:19], v7 offset:272
	s_waitcnt vmcnt(0) lgkmcnt(0)
	v_mul_f64 v[12:13], v[16:17], v[10:11]
	v_mul_f64 v[10:11], v[18:19], v[10:11]
	v_fmac_f64_e32 v[12:13], v[18:19], v[8:9]
	v_fma_f64 v[8:9], v[16:17], v[8:9], -v[10:11]
	v_add_f64 v[2:3], v[2:3], v[12:13]
	v_add_f64 v[4:5], v[4:5], v[8:9]
.LBB79_22:
	s_or_b64 exec, exec, s[8:9]
	v_mov_b32_e32 v7, 0
	ds_read_b128 v[8:11], v7 offset:32
	s_waitcnt lgkmcnt(0)
	v_mul_f64 v[16:17], v[2:3], v[10:11]
	v_mul_f64 v[12:13], v[4:5], v[10:11]
	v_fma_f64 v[10:11], v[4:5], v[8:9], -v[16:17]
	v_fmac_f64_e32 v[12:13], v[2:3], v[8:9]
	scratch_store_dwordx4 off, v[10:13], off offset:32
.LBB79_23:
	s_or_b64 exec, exec, s[6:7]
	; wave barrier
	scratch_load_dwordx4 v[2:5], off, s30
	v_cmp_gt_u32_e32 vcc, 3, v1
	v_add_u32_e32 v7, -1, v1
	s_waitcnt vmcnt(0)
	ds_write_b128 v6, v[2:5]
	s_waitcnt lgkmcnt(0)
	; wave barrier
	s_and_saveexec_b64 s[2:3], vcc
	s_cbranch_execz .LBB79_27
; %bb.24:
	v_add_u32_e32 v8, -1, v1
	v_add_u32_e32 v9, 0x100, v14
	v_mov_b32_e32 v10, v14
	v_mov_b64_e32 v[2:3], 0
	s_mov_b64 s[6:7], 0
	v_mov_b64_e32 v[4:5], 0
.LBB79_25:                              ; =>This Inner Loop Header: Depth=1
	scratch_load_dwordx4 v[16:19], v10, off
	ds_read_b128 v[20:23], v9
	v_add_u32_e32 v8, 1, v8
	v_cmp_lt_u32_e32 vcc, 1, v8
	v_add_u32_e32 v9, 16, v9
	v_add_u32_e32 v10, 16, v10
	s_or_b64 s[6:7], vcc, s[6:7]
	s_waitcnt vmcnt(0) lgkmcnt(0)
	v_mul_f64 v[12:13], v[22:23], v[18:19]
	v_mul_f64 v[18:19], v[20:21], v[18:19]
	v_fma_f64 v[12:13], v[20:21], v[16:17], -v[12:13]
	v_fmac_f64_e32 v[18:19], v[22:23], v[16:17]
	v_add_f64 v[4:5], v[4:5], v[12:13]
	v_add_f64 v[2:3], v[2:3], v[18:19]
	s_andn2_b64 exec, exec, s[6:7]
	s_cbranch_execnz .LBB79_25
; %bb.26:
	s_or_b64 exec, exec, s[6:7]
	v_mov_b32_e32 v8, 0
	ds_read_b128 v[8:11], v8 offset:48
	s_waitcnt lgkmcnt(0)
	v_mul_f64 v[16:17], v[2:3], v[10:11]
	v_mul_f64 v[12:13], v[4:5], v[10:11]
	v_fma_f64 v[10:11], v[4:5], v[8:9], -v[16:17]
	v_fmac_f64_e32 v[12:13], v[2:3], v[8:9]
	scratch_store_dwordx4 off, v[10:13], off offset:48
.LBB79_27:
	s_or_b64 exec, exec, s[2:3]
	; wave barrier
	scratch_load_dwordx4 v[2:5], off, s29
	v_cmp_gt_u32_e32 vcc, 4, v1
	s_waitcnt vmcnt(0)
	ds_write_b128 v6, v[2:5]
	s_waitcnt lgkmcnt(0)
	; wave barrier
	s_and_saveexec_b64 s[2:3], vcc
	s_cbranch_execz .LBB79_31
; %bb.28:
	v_add_u32_e32 v8, -1, v1
	v_add_u32_e32 v9, 0x100, v14
	v_mov_b32_e32 v10, v14
	v_mov_b64_e32 v[2:3], 0
	s_mov_b64 s[6:7], 0
	v_mov_b64_e32 v[4:5], 0
.LBB79_29:                              ; =>This Inner Loop Header: Depth=1
	scratch_load_dwordx4 v[16:19], v10, off
	ds_read_b128 v[20:23], v9
	v_add_u32_e32 v8, 1, v8
	v_cmp_lt_u32_e32 vcc, 2, v8
	v_add_u32_e32 v9, 16, v9
	v_add_u32_e32 v10, 16, v10
	s_or_b64 s[6:7], vcc, s[6:7]
	s_waitcnt vmcnt(0) lgkmcnt(0)
	v_mul_f64 v[12:13], v[22:23], v[18:19]
	v_mul_f64 v[18:19], v[20:21], v[18:19]
	v_fma_f64 v[12:13], v[20:21], v[16:17], -v[12:13]
	v_fmac_f64_e32 v[18:19], v[22:23], v[16:17]
	v_add_f64 v[4:5], v[4:5], v[12:13]
	v_add_f64 v[2:3], v[2:3], v[18:19]
	s_andn2_b64 exec, exec, s[6:7]
	s_cbranch_execnz .LBB79_29
; %bb.30:
	s_or_b64 exec, exec, s[6:7]
	v_mov_b32_e32 v8, 0
	ds_read_b128 v[8:11], v8 offset:64
	s_waitcnt lgkmcnt(0)
	v_mul_f64 v[16:17], v[2:3], v[10:11]
	v_mul_f64 v[12:13], v[4:5], v[10:11]
	v_fma_f64 v[10:11], v[4:5], v[8:9], -v[16:17]
	v_fmac_f64_e32 v[12:13], v[2:3], v[8:9]
	scratch_store_dwordx4 off, v[10:13], off offset:64
.LBB79_31:
	s_or_b64 exec, exec, s[2:3]
	; wave barrier
	scratch_load_dwordx4 v[2:5], off, s28
	v_cmp_gt_u32_e32 vcc, 5, v1
	;; [unrolled: 45-line block ×11, first 2 shown]
	s_waitcnt vmcnt(0)
	ds_write_b128 v6, v[2:5]
	s_waitcnt lgkmcnt(0)
	; wave barrier
	s_and_saveexec_b64 s[2:3], vcc
	s_cbranch_execz .LBB79_71
; %bb.68:
	v_add_u32_e32 v8, -1, v1
	v_add_u32_e32 v9, 0x100, v14
	v_mov_b32_e32 v10, v14
	v_mov_b64_e32 v[2:3], 0
	s_mov_b64 s[6:7], 0
	v_mov_b64_e32 v[4:5], 0
.LBB79_69:                              ; =>This Inner Loop Header: Depth=1
	scratch_load_dwordx4 v[16:19], v10, off
	ds_read_b128 v[20:23], v9
	v_add_u32_e32 v8, 1, v8
	v_cmp_lt_u32_e32 vcc, 12, v8
	v_add_u32_e32 v9, 16, v9
	v_add_u32_e32 v10, 16, v10
	s_or_b64 s[6:7], vcc, s[6:7]
	s_waitcnt vmcnt(0) lgkmcnt(0)
	v_mul_f64 v[12:13], v[22:23], v[18:19]
	v_mul_f64 v[18:19], v[20:21], v[18:19]
	v_fma_f64 v[12:13], v[20:21], v[16:17], -v[12:13]
	v_fmac_f64_e32 v[18:19], v[22:23], v[16:17]
	v_add_f64 v[4:5], v[4:5], v[12:13]
	v_add_f64 v[2:3], v[2:3], v[18:19]
	s_andn2_b64 exec, exec, s[6:7]
	s_cbranch_execnz .LBB79_69
; %bb.70:
	s_or_b64 exec, exec, s[6:7]
	v_mov_b32_e32 v8, 0
	ds_read_b128 v[8:11], v8 offset:224
	s_waitcnt lgkmcnt(0)
	v_mul_f64 v[16:17], v[2:3], v[10:11]
	v_mul_f64 v[12:13], v[4:5], v[10:11]
	v_fma_f64 v[10:11], v[4:5], v[8:9], -v[16:17]
	v_fmac_f64_e32 v[12:13], v[2:3], v[8:9]
	scratch_store_dwordx4 off, v[10:13], off offset:224
.LBB79_71:
	s_or_b64 exec, exec, s[2:3]
	; wave barrier
	scratch_load_dwordx4 v[2:5], off, s18
	v_cmp_ne_u32_e32 vcc, 15, v1
	s_waitcnt vmcnt(0)
	ds_write_b128 v6, v[2:5]
	s_waitcnt lgkmcnt(0)
	; wave barrier
	s_and_saveexec_b64 s[2:3], vcc
	s_cbranch_execz .LBB79_75
; %bb.72:
	v_add_u32_e32 v6, 0x100, v14
	v_mov_b32_e32 v8, v14
	v_mov_b64_e32 v[2:3], 0
	s_mov_b64 s[6:7], 0
	v_mov_b64_e32 v[4:5], 0
.LBB79_73:                              ; =>This Inner Loop Header: Depth=1
	scratch_load_dwordx4 v[10:13], v8, off
	ds_read_b128 v[14:17], v6
	v_add_u32_e32 v7, 1, v7
	v_cmp_lt_u32_e32 vcc, 13, v7
	v_add_u32_e32 v6, 16, v6
	v_add_u32_e32 v8, 16, v8
	s_or_b64 s[6:7], vcc, s[6:7]
	s_waitcnt vmcnt(0) lgkmcnt(0)
	v_mul_f64 v[18:19], v[16:17], v[12:13]
	v_mul_f64 v[12:13], v[14:15], v[12:13]
	v_fma_f64 v[14:15], v[14:15], v[10:11], -v[18:19]
	v_fmac_f64_e32 v[12:13], v[16:17], v[10:11]
	v_add_f64 v[4:5], v[4:5], v[14:15]
	v_add_f64 v[2:3], v[2:3], v[12:13]
	s_andn2_b64 exec, exec, s[6:7]
	s_cbranch_execnz .LBB79_73
; %bb.74:
	s_or_b64 exec, exec, s[6:7]
	v_mov_b32_e32 v6, 0
	ds_read_b128 v[6:9], v6 offset:240
	s_waitcnt lgkmcnt(0)
	v_mul_f64 v[12:13], v[2:3], v[8:9]
	v_mul_f64 v[10:11], v[4:5], v[8:9]
	v_fma_f64 v[8:9], v[4:5], v[6:7], -v[12:13]
	v_fmac_f64_e32 v[10:11], v[2:3], v[6:7]
	scratch_store_dwordx4 off, v[8:11], off offset:240
.LBB79_75:
	s_or_b64 exec, exec, s[2:3]
	s_mov_b64 s[6:7], -1
	; wave barrier
.LBB79_76:
	s_and_b64 vcc, exec, s[6:7]
	s_cbranch_vccz .LBB79_78
; %bb.77:
	s_lshl_b64 s[2:3], s[4:5], 2
	s_add_u32 s2, s10, s2
	s_addc_u32 s3, s11, s3
	v_mov_b32_e32 v2, 0
	global_load_dword v2, v2, s[2:3]
	s_waitcnt vmcnt(0)
	v_cmp_ne_u32_e32 vcc, 0, v2
	s_cbranch_vccz .LBB79_79
.LBB79_78:
	s_endpgm
.LBB79_79:
	v_mov_b32_e32 v2, 0x100
	v_lshl_add_u32 v8, v1, 4, v2
	v_cmp_eq_u32_e32 vcc, 15, v1
	s_and_saveexec_b64 s[2:3], vcc
	s_cbranch_execz .LBB79_81
; %bb.80:
	scratch_load_dwordx4 v[2:5], off, s19
	v_mov_b32_e32 v10, 0
	v_mov_b32_e32 v11, v10
	v_mov_b32_e32 v12, v10
	v_mov_b32_e32 v13, v10
	scratch_store_dwordx4 off, v[10:13], off offset:224
	s_waitcnt vmcnt(1)
	ds_write_b128 v8, v[2:5]
.LBB79_81:
	s_or_b64 exec, exec, s[2:3]
	s_waitcnt lgkmcnt(0)
	; wave barrier
	scratch_load_dwordx4 v[4:7], off, off offset:240
	scratch_load_dwordx4 v[10:13], off, off offset:224
	v_mov_b32_e32 v2, 0
	ds_read_b128 v[14:17], v2 offset:496
	v_cmp_lt_u32_e32 vcc, 13, v1
	s_waitcnt vmcnt(1) lgkmcnt(0)
	v_mul_f64 v[18:19], v[14:15], v[6:7]
	v_mul_f64 v[6:7], v[16:17], v[6:7]
	v_fmac_f64_e32 v[18:19], v[16:17], v[4:5]
	v_fma_f64 v[4:5], v[14:15], v[4:5], -v[6:7]
	v_add_f64 v[6:7], v[18:19], 0
	v_add_f64 v[4:5], v[4:5], 0
	s_waitcnt vmcnt(0)
	v_add_f64 v[4:5], v[10:11], -v[4:5]
	v_add_f64 v[6:7], v[12:13], -v[6:7]
	scratch_store_dwordx4 off, v[4:7], off offset:224
	s_and_saveexec_b64 s[2:3], vcc
	s_cbranch_execz .LBB79_83
; %bb.82:
	scratch_load_dwordx4 v[10:13], off, s20
	v_mov_b32_e32 v3, v2
	v_mov_b32_e32 v4, v2
	;; [unrolled: 1-line block ×3, first 2 shown]
	scratch_store_dwordx4 off, v[2:5], off offset:208
	s_waitcnt vmcnt(1)
	ds_write_b128 v8, v[10:13]
.LBB79_83:
	s_or_b64 exec, exec, s[2:3]
	s_waitcnt lgkmcnt(0)
	; wave barrier
	scratch_load_dwordx4 v[4:7], off, off offset:224
	scratch_load_dwordx4 v[10:13], off, off offset:240
	;; [unrolled: 1-line block ×3, first 2 shown]
	ds_read_b128 v[18:21], v2 offset:480
	ds_read_b128 v[22:25], v2 offset:496
	v_cmp_lt_u32_e32 vcc, 12, v1
	s_waitcnt vmcnt(2) lgkmcnt(1)
	v_mul_f64 v[2:3], v[18:19], v[6:7]
	v_mul_f64 v[6:7], v[20:21], v[6:7]
	s_waitcnt vmcnt(1) lgkmcnt(0)
	v_mul_f64 v[26:27], v[22:23], v[12:13]
	v_mul_f64 v[12:13], v[24:25], v[12:13]
	v_fmac_f64_e32 v[2:3], v[20:21], v[4:5]
	v_fma_f64 v[4:5], v[18:19], v[4:5], -v[6:7]
	v_fmac_f64_e32 v[26:27], v[24:25], v[10:11]
	v_fma_f64 v[6:7], v[22:23], v[10:11], -v[12:13]
	v_add_f64 v[2:3], v[2:3], 0
	v_add_f64 v[4:5], v[4:5], 0
	;; [unrolled: 1-line block ×4, first 2 shown]
	s_waitcnt vmcnt(0)
	v_add_f64 v[2:3], v[14:15], -v[2:3]
	v_add_f64 v[4:5], v[16:17], -v[10:11]
	scratch_store_dwordx4 off, v[2:5], off offset:208
	s_and_saveexec_b64 s[2:3], vcc
	s_cbranch_execz .LBB79_85
; %bb.84:
	scratch_load_dwordx4 v[2:5], off, s21
	v_mov_b32_e32 v10, 0
	v_mov_b32_e32 v11, v10
	;; [unrolled: 1-line block ×4, first 2 shown]
	scratch_store_dwordx4 off, v[10:13], off offset:192
	s_waitcnt vmcnt(1)
	ds_write_b128 v8, v[2:5]
.LBB79_85:
	s_or_b64 exec, exec, s[2:3]
	s_waitcnt lgkmcnt(0)
	; wave barrier
	scratch_load_dwordx4 v[4:7], off, off offset:208
	scratch_load_dwordx4 v[10:13], off, off offset:224
	;; [unrolled: 1-line block ×4, first 2 shown]
	v_mov_b32_e32 v2, 0
	ds_read_b128 v[22:25], v2 offset:464
	ds_read_b128 v[26:29], v2 offset:480
	ds_read_b128 v[30:33], v2 offset:496
	v_cmp_lt_u32_e32 vcc, 11, v1
	s_waitcnt vmcnt(3) lgkmcnt(2)
	v_mul_f64 v[34:35], v[22:23], v[6:7]
	v_mul_f64 v[6:7], v[24:25], v[6:7]
	s_waitcnt vmcnt(2) lgkmcnt(1)
	v_mul_f64 v[36:37], v[26:27], v[12:13]
	v_mul_f64 v[12:13], v[28:29], v[12:13]
	v_fmac_f64_e32 v[34:35], v[24:25], v[4:5]
	v_fma_f64 v[4:5], v[22:23], v[4:5], -v[6:7]
	s_waitcnt vmcnt(1) lgkmcnt(0)
	v_mul_f64 v[70:71], v[30:31], v[16:17]
	v_mul_f64 v[16:17], v[32:33], v[16:17]
	v_fmac_f64_e32 v[36:37], v[28:29], v[10:11]
	v_fma_f64 v[6:7], v[26:27], v[10:11], -v[12:13]
	v_add_f64 v[12:13], v[34:35], 0
	v_add_f64 v[4:5], v[4:5], 0
	v_fmac_f64_e32 v[70:71], v[32:33], v[14:15]
	v_fma_f64 v[10:11], v[30:31], v[14:15], -v[16:17]
	v_add_f64 v[12:13], v[12:13], v[36:37]
	v_add_f64 v[4:5], v[4:5], v[6:7]
	v_add_f64 v[6:7], v[12:13], v[70:71]
	v_add_f64 v[4:5], v[4:5], v[10:11]
	s_waitcnt vmcnt(0)
	v_add_f64 v[4:5], v[18:19], -v[4:5]
	v_add_f64 v[6:7], v[20:21], -v[6:7]
	scratch_store_dwordx4 off, v[4:7], off offset:192
	s_and_saveexec_b64 s[2:3], vcc
	s_cbranch_execz .LBB79_87
; %bb.86:
	scratch_load_dwordx4 v[10:13], off, s22
	v_mov_b32_e32 v3, v2
	v_mov_b32_e32 v4, v2
	;; [unrolled: 1-line block ×3, first 2 shown]
	scratch_store_dwordx4 off, v[2:5], off offset:176
	s_waitcnt vmcnt(1)
	ds_write_b128 v8, v[10:13]
.LBB79_87:
	s_or_b64 exec, exec, s[2:3]
	s_waitcnt lgkmcnt(0)
	; wave barrier
	scratch_load_dwordx4 v[4:7], off, off offset:192
	scratch_load_dwordx4 v[10:13], off, off offset:208
	;; [unrolled: 1-line block ×5, first 2 shown]
	ds_read_b128 v[26:29], v2 offset:448
	ds_read_b128 v[30:33], v2 offset:464
	;; [unrolled: 1-line block ×4, first 2 shown]
	v_cmp_lt_u32_e32 vcc, 10, v1
	s_waitcnt vmcnt(4) lgkmcnt(3)
	v_mul_f64 v[2:3], v[26:27], v[6:7]
	v_mul_f64 v[6:7], v[28:29], v[6:7]
	s_waitcnt vmcnt(3) lgkmcnt(2)
	v_mul_f64 v[74:75], v[30:31], v[12:13]
	v_mul_f64 v[12:13], v[32:33], v[12:13]
	v_fmac_f64_e32 v[2:3], v[28:29], v[4:5]
	v_fma_f64 v[4:5], v[26:27], v[4:5], -v[6:7]
	s_waitcnt vmcnt(2) lgkmcnt(1)
	v_mul_f64 v[76:77], v[34:35], v[16:17]
	v_mul_f64 v[16:17], v[36:37], v[16:17]
	v_fmac_f64_e32 v[74:75], v[32:33], v[10:11]
	v_fma_f64 v[6:7], v[30:31], v[10:11], -v[12:13]
	v_add_f64 v[2:3], v[2:3], 0
	v_add_f64 v[4:5], v[4:5], 0
	s_waitcnt vmcnt(1) lgkmcnt(0)
	v_mul_f64 v[78:79], v[70:71], v[20:21]
	v_mul_f64 v[20:21], v[72:73], v[20:21]
	v_fmac_f64_e32 v[76:77], v[36:37], v[14:15]
	v_fma_f64 v[10:11], v[34:35], v[14:15], -v[16:17]
	v_add_f64 v[2:3], v[2:3], v[74:75]
	v_add_f64 v[4:5], v[4:5], v[6:7]
	v_fmac_f64_e32 v[78:79], v[72:73], v[18:19]
	v_fma_f64 v[12:13], v[70:71], v[18:19], -v[20:21]
	v_add_f64 v[2:3], v[2:3], v[76:77]
	v_add_f64 v[4:5], v[4:5], v[10:11]
	v_add_f64 v[6:7], v[2:3], v[78:79]
	v_add_f64 v[2:3], v[4:5], v[12:13]
	s_waitcnt vmcnt(0)
	v_add_f64 v[2:3], v[22:23], -v[2:3]
	v_add_f64 v[4:5], v[24:25], -v[6:7]
	scratch_store_dwordx4 off, v[2:5], off offset:176
	s_and_saveexec_b64 s[2:3], vcc
	s_cbranch_execz .LBB79_89
; %bb.88:
	scratch_load_dwordx4 v[2:5], off, s23
	v_mov_b32_e32 v10, 0
	v_mov_b32_e32 v11, v10
	;; [unrolled: 1-line block ×4, first 2 shown]
	scratch_store_dwordx4 off, v[10:13], off offset:160
	s_waitcnt vmcnt(1)
	ds_write_b128 v8, v[2:5]
.LBB79_89:
	s_or_b64 exec, exec, s[2:3]
	s_waitcnt lgkmcnt(0)
	; wave barrier
	scratch_load_dwordx4 v[4:7], off, off offset:176
	scratch_load_dwordx4 v[10:13], off, off offset:192
	;; [unrolled: 1-line block ×6, first 2 shown]
	v_mov_b32_e32 v2, 0
	ds_read_b128 v[30:33], v2 offset:432
	ds_read_b128 v[34:37], v2 offset:448
	;; [unrolled: 1-line block ×5, first 2 shown]
	v_cmp_lt_u32_e32 vcc, 9, v1
	s_waitcnt vmcnt(5) lgkmcnt(4)
	v_mul_f64 v[82:83], v[30:31], v[6:7]
	v_mul_f64 v[6:7], v[32:33], v[6:7]
	s_waitcnt vmcnt(4) lgkmcnt(3)
	v_mul_f64 v[84:85], v[34:35], v[12:13]
	s_waitcnt vmcnt(3) lgkmcnt(2)
	v_mul_f64 v[86:87], v[70:71], v[16:17]
	v_mul_f64 v[12:13], v[36:37], v[12:13]
	;; [unrolled: 1-line block ×3, first 2 shown]
	v_fmac_f64_e32 v[82:83], v[32:33], v[4:5]
	v_fma_f64 v[4:5], v[30:31], v[4:5], -v[6:7]
	v_fmac_f64_e32 v[84:85], v[36:37], v[10:11]
	v_fma_f64 v[6:7], v[34:35], v[10:11], -v[12:13]
	v_fma_f64 v[10:11], v[70:71], v[14:15], -v[16:17]
	v_add_f64 v[16:17], v[82:83], 0
	v_add_f64 v[4:5], v[4:5], 0
	s_waitcnt vmcnt(2) lgkmcnt(1)
	v_mul_f64 v[88:89], v[74:75], v[20:21]
	v_mul_f64 v[20:21], v[76:77], v[20:21]
	v_fmac_f64_e32 v[86:87], v[72:73], v[14:15]
	v_add_f64 v[16:17], v[16:17], v[84:85]
	v_add_f64 v[4:5], v[4:5], v[6:7]
	s_waitcnt vmcnt(1) lgkmcnt(0)
	v_mul_f64 v[90:91], v[78:79], v[24:25]
	v_mul_f64 v[24:25], v[80:81], v[24:25]
	v_fmac_f64_e32 v[88:89], v[76:77], v[18:19]
	v_fma_f64 v[12:13], v[74:75], v[18:19], -v[20:21]
	v_add_f64 v[6:7], v[16:17], v[86:87]
	v_add_f64 v[4:5], v[4:5], v[10:11]
	v_fmac_f64_e32 v[90:91], v[80:81], v[22:23]
	v_fma_f64 v[14:15], v[78:79], v[22:23], -v[24:25]
	v_add_f64 v[6:7], v[6:7], v[88:89]
	v_add_f64 v[4:5], v[4:5], v[12:13]
	;; [unrolled: 1-line block ×4, first 2 shown]
	s_waitcnt vmcnt(0)
	v_add_f64 v[4:5], v[26:27], -v[4:5]
	v_add_f64 v[6:7], v[28:29], -v[6:7]
	scratch_store_dwordx4 off, v[4:7], off offset:160
	s_and_saveexec_b64 s[2:3], vcc
	s_cbranch_execz .LBB79_91
; %bb.90:
	scratch_load_dwordx4 v[10:13], off, s24
	v_mov_b32_e32 v3, v2
	v_mov_b32_e32 v4, v2
	;; [unrolled: 1-line block ×3, first 2 shown]
	scratch_store_dwordx4 off, v[2:5], off offset:144
	s_waitcnt vmcnt(1)
	ds_write_b128 v8, v[10:13]
.LBB79_91:
	s_or_b64 exec, exec, s[2:3]
	s_waitcnt lgkmcnt(0)
	; wave barrier
	scratch_load_dwordx4 v[4:7], off, off offset:160
	scratch_load_dwordx4 v[10:13], off, off offset:176
	;; [unrolled: 1-line block ×7, first 2 shown]
	ds_read_b128 v[34:37], v2 offset:416
	ds_read_b128 v[70:73], v2 offset:432
	;; [unrolled: 1-line block ×6, first 2 shown]
	v_cmp_lt_u32_e32 vcc, 8, v1
	s_waitcnt vmcnt(6) lgkmcnt(5)
	v_mul_f64 v[2:3], v[34:35], v[6:7]
	v_mul_f64 v[6:7], v[36:37], v[6:7]
	s_waitcnt vmcnt(5) lgkmcnt(4)
	v_mul_f64 v[90:91], v[70:71], v[12:13]
	v_mul_f64 v[12:13], v[72:73], v[12:13]
	v_fmac_f64_e32 v[2:3], v[36:37], v[4:5]
	v_fma_f64 v[4:5], v[34:35], v[4:5], -v[6:7]
	s_waitcnt vmcnt(4) lgkmcnt(3)
	v_mul_f64 v[92:93], v[74:75], v[16:17]
	v_mul_f64 v[16:17], v[76:77], v[16:17]
	v_fmac_f64_e32 v[90:91], v[72:73], v[10:11]
	v_fma_f64 v[6:7], v[70:71], v[10:11], -v[12:13]
	v_add_f64 v[2:3], v[2:3], 0
	v_add_f64 v[4:5], v[4:5], 0
	s_waitcnt vmcnt(3) lgkmcnt(2)
	v_mul_f64 v[94:95], v[78:79], v[20:21]
	v_mul_f64 v[20:21], v[80:81], v[20:21]
	v_fmac_f64_e32 v[92:93], v[76:77], v[14:15]
	v_fma_f64 v[10:11], v[74:75], v[14:15], -v[16:17]
	v_add_f64 v[2:3], v[2:3], v[90:91]
	v_add_f64 v[4:5], v[4:5], v[6:7]
	;; [unrolled: 7-line block ×4, first 2 shown]
	v_fmac_f64_e32 v[98:99], v[88:89], v[26:27]
	v_fma_f64 v[16:17], v[86:87], v[26:27], -v[28:29]
	v_add_f64 v[2:3], v[2:3], v[96:97]
	v_add_f64 v[4:5], v[4:5], v[14:15]
	;; [unrolled: 1-line block ×4, first 2 shown]
	s_waitcnt vmcnt(0)
	v_add_f64 v[2:3], v[30:31], -v[2:3]
	v_add_f64 v[4:5], v[32:33], -v[6:7]
	scratch_store_dwordx4 off, v[2:5], off offset:144
	s_and_saveexec_b64 s[2:3], vcc
	s_cbranch_execz .LBB79_93
; %bb.92:
	scratch_load_dwordx4 v[2:5], off, s25
	v_mov_b32_e32 v10, 0
	v_mov_b32_e32 v11, v10
	;; [unrolled: 1-line block ×4, first 2 shown]
	scratch_store_dwordx4 off, v[10:13], off offset:128
	s_waitcnt vmcnt(1)
	ds_write_b128 v8, v[2:5]
.LBB79_93:
	s_or_b64 exec, exec, s[2:3]
	s_waitcnt lgkmcnt(0)
	; wave barrier
	scratch_load_dwordx4 v[4:7], off, off offset:144
	scratch_load_dwordx4 v[10:13], off, off offset:160
	;; [unrolled: 1-line block ×8, first 2 shown]
	v_mov_b32_e32 v2, 0
	ds_read_b128 v[70:73], v2 offset:400
	ds_read_b128 v[74:77], v2 offset:416
	;; [unrolled: 1-line block ×7, first 2 shown]
	v_cmp_lt_u32_e32 vcc, 7, v1
	s_waitcnt vmcnt(7) lgkmcnt(6)
	v_mul_f64 v[98:99], v[70:71], v[6:7]
	v_mul_f64 v[6:7], v[72:73], v[6:7]
	s_waitcnt vmcnt(6) lgkmcnt(5)
	v_mul_f64 v[100:101], v[74:75], v[12:13]
	s_waitcnt vmcnt(4) lgkmcnt(3)
	v_mul_f64 v[104:105], v[82:83], v[20:21]
	v_mul_f64 v[12:13], v[76:77], v[12:13]
	;; [unrolled: 1-line block ×3, first 2 shown]
	v_fmac_f64_e32 v[98:99], v[72:73], v[4:5]
	v_fma_f64 v[4:5], v[70:71], v[4:5], -v[6:7]
	v_mul_f64 v[102:103], v[78:79], v[16:17]
	v_mul_f64 v[16:17], v[80:81], v[16:17]
	v_fmac_f64_e32 v[100:101], v[76:77], v[10:11]
	v_fma_f64 v[6:7], v[74:75], v[10:11], -v[12:13]
	v_fma_f64 v[12:13], v[82:83], v[18:19], -v[20:21]
	v_add_f64 v[20:21], v[98:99], 0
	v_add_f64 v[4:5], v[4:5], 0
	v_fmac_f64_e32 v[102:103], v[80:81], v[14:15]
	v_fma_f64 v[10:11], v[78:79], v[14:15], -v[16:17]
	v_add_f64 v[20:21], v[20:21], v[100:101]
	v_add_f64 v[4:5], v[4:5], v[6:7]
	s_waitcnt vmcnt(3) lgkmcnt(2)
	v_mul_f64 v[106:107], v[86:87], v[24:25]
	v_mul_f64 v[24:25], v[88:89], v[24:25]
	v_fmac_f64_e32 v[104:105], v[84:85], v[18:19]
	v_add_f64 v[6:7], v[20:21], v[102:103]
	v_add_f64 v[4:5], v[4:5], v[10:11]
	s_waitcnt vmcnt(2) lgkmcnt(1)
	v_mul_f64 v[108:109], v[90:91], v[28:29]
	v_mul_f64 v[28:29], v[92:93], v[28:29]
	v_fmac_f64_e32 v[106:107], v[88:89], v[22:23]
	v_fma_f64 v[14:15], v[86:87], v[22:23], -v[24:25]
	v_add_f64 v[6:7], v[6:7], v[104:105]
	v_add_f64 v[4:5], v[4:5], v[12:13]
	s_waitcnt vmcnt(1) lgkmcnt(0)
	v_mul_f64 v[110:111], v[94:95], v[32:33]
	v_mul_f64 v[32:33], v[96:97], v[32:33]
	v_fmac_f64_e32 v[108:109], v[92:93], v[26:27]
	v_fma_f64 v[16:17], v[90:91], v[26:27], -v[28:29]
	v_add_f64 v[6:7], v[6:7], v[106:107]
	v_add_f64 v[4:5], v[4:5], v[14:15]
	v_fmac_f64_e32 v[110:111], v[96:97], v[30:31]
	v_fma_f64 v[18:19], v[94:95], v[30:31], -v[32:33]
	v_add_f64 v[6:7], v[6:7], v[108:109]
	v_add_f64 v[4:5], v[4:5], v[16:17]
	;; [unrolled: 1-line block ×4, first 2 shown]
	s_waitcnt vmcnt(0)
	v_add_f64 v[4:5], v[34:35], -v[4:5]
	v_add_f64 v[6:7], v[36:37], -v[6:7]
	scratch_store_dwordx4 off, v[4:7], off offset:128
	s_and_saveexec_b64 s[2:3], vcc
	s_cbranch_execz .LBB79_95
; %bb.94:
	scratch_load_dwordx4 v[10:13], off, s26
	v_mov_b32_e32 v3, v2
	v_mov_b32_e32 v4, v2
	;; [unrolled: 1-line block ×3, first 2 shown]
	scratch_store_dwordx4 off, v[2:5], off offset:112
	s_waitcnt vmcnt(1)
	ds_write_b128 v8, v[10:13]
.LBB79_95:
	s_or_b64 exec, exec, s[2:3]
	s_waitcnt lgkmcnt(0)
	; wave barrier
	scratch_load_dwordx4 v[4:7], off, off offset:128
	scratch_load_dwordx4 v[10:13], off, off offset:144
	;; [unrolled: 1-line block ×9, first 2 shown]
	ds_read_b128 v[74:77], v2 offset:384
	ds_read_b128 v[78:81], v2 offset:400
	;; [unrolled: 1-line block ×8, first 2 shown]
	v_cmp_lt_u32_e32 vcc, 6, v1
	s_waitcnt vmcnt(8) lgkmcnt(7)
	v_mul_f64 v[2:3], v[74:75], v[6:7]
	v_mul_f64 v[6:7], v[76:77], v[6:7]
	s_waitcnt vmcnt(7) lgkmcnt(6)
	v_mul_f64 v[106:107], v[78:79], v[12:13]
	v_mul_f64 v[12:13], v[80:81], v[12:13]
	v_fmac_f64_e32 v[2:3], v[76:77], v[4:5]
	v_fma_f64 v[4:5], v[74:75], v[4:5], -v[6:7]
	s_waitcnt vmcnt(6) lgkmcnt(5)
	v_mul_f64 v[108:109], v[82:83], v[16:17]
	v_mul_f64 v[16:17], v[84:85], v[16:17]
	v_fmac_f64_e32 v[106:107], v[80:81], v[10:11]
	v_fma_f64 v[6:7], v[78:79], v[10:11], -v[12:13]
	v_add_f64 v[2:3], v[2:3], 0
	v_add_f64 v[4:5], v[4:5], 0
	s_waitcnt vmcnt(5) lgkmcnt(4)
	v_mul_f64 v[110:111], v[86:87], v[20:21]
	v_mul_f64 v[20:21], v[88:89], v[20:21]
	v_fmac_f64_e32 v[108:109], v[84:85], v[14:15]
	v_fma_f64 v[10:11], v[82:83], v[14:15], -v[16:17]
	v_add_f64 v[2:3], v[2:3], v[106:107]
	v_add_f64 v[4:5], v[4:5], v[6:7]
	;; [unrolled: 7-line block ×6, first 2 shown]
	v_fmac_f64_e32 v[118:119], v[104:105], v[34:35]
	v_fma_f64 v[20:21], v[102:103], v[34:35], -v[36:37]
	v_add_f64 v[2:3], v[2:3], v[116:117]
	v_add_f64 v[4:5], v[4:5], v[18:19]
	;; [unrolled: 1-line block ×4, first 2 shown]
	s_waitcnt vmcnt(0)
	v_add_f64 v[2:3], v[70:71], -v[2:3]
	v_add_f64 v[4:5], v[72:73], -v[6:7]
	scratch_store_dwordx4 off, v[2:5], off offset:112
	s_and_saveexec_b64 s[2:3], vcc
	s_cbranch_execz .LBB79_97
; %bb.96:
	scratch_load_dwordx4 v[2:5], off, s27
	v_mov_b32_e32 v10, 0
	v_mov_b32_e32 v11, v10
	;; [unrolled: 1-line block ×4, first 2 shown]
	scratch_store_dwordx4 off, v[10:13], off offset:96
	s_waitcnt vmcnt(1)
	ds_write_b128 v8, v[2:5]
.LBB79_97:
	s_or_b64 exec, exec, s[2:3]
	v_mov_b32_e32 v2, 0
	s_waitcnt lgkmcnt(0)
	; wave barrier
	ds_read_b128 v[4:7], v2 offset:368
	ds_read_b128 v[10:13], v2 offset:384
	;; [unrolled: 1-line block ×4, first 2 shown]
	scratch_load_dwordx4 v[22:25], off, off offset:112
	scratch_load_dwordx4 v[74:77], off, off offset:176
	;; [unrolled: 1-line block ×3, first 2 shown]
	v_cmp_lt_u32_e32 vcc, 5, v1
	scratch_load_dwordx4 v[82:85], off, off offset:192
	scratch_load_dwordx4 v[90:93], off, off offset:208
	;; [unrolled: 1-line block ×3, first 2 shown]
	s_waitcnt vmcnt(5) lgkmcnt(3)
	v_mul_f64 v[26:27], v[4:5], v[24:25]
	v_fmac_f64_e32 v[26:27], v[6:7], v[22:23]
	v_add_f64 v[30:31], v[26:27], 0
	scratch_load_dwordx4 v[26:29], off, off offset:128
	v_mul_f64 v[6:7], v[6:7], v[24:25]
	v_fma_f64 v[4:5], v[4:5], v[22:23], -v[6:7]
	v_add_f64 v[4:5], v[4:5], 0
	s_waitcnt vmcnt(0) lgkmcnt(2)
	v_mul_f64 v[32:33], v[10:11], v[28:29]
	v_fmac_f64_e32 v[32:33], v[12:13], v[26:27]
	v_add_f64 v[34:35], v[30:31], v[32:33]
	scratch_load_dwordx4 v[30:33], off, off offset:144
	v_mul_f64 v[6:7], v[12:13], v[28:29]
	v_fma_f64 v[6:7], v[10:11], v[26:27], -v[6:7]
	v_add_f64 v[4:5], v[4:5], v[6:7]
	;; [unrolled: 8-line block ×3, first 2 shown]
	s_waitcnt vmcnt(0) lgkmcnt(0)
	v_mul_f64 v[72:73], v[18:19], v[36:37]
	v_fmac_f64_e32 v[72:73], v[20:21], v[34:35]
	v_add_f64 v[78:79], v[70:71], v[72:73]
	ds_read_b128 v[70:73], v2 offset:432
	v_mul_f64 v[6:7], v[20:21], v[36:37]
	v_fma_f64 v[6:7], v[18:19], v[34:35], -v[6:7]
	v_add_f64 v[4:5], v[4:5], v[6:7]
	s_waitcnt lgkmcnt(0)
	v_mul_f64 v[80:81], v[70:71], v[76:77]
	v_fmac_f64_e32 v[80:81], v[72:73], v[74:75]
	v_add_f64 v[86:87], v[78:79], v[80:81]
	ds_read_b128 v[78:81], v2 offset:448
	v_mul_f64 v[6:7], v[72:73], v[76:77]
	v_fma_f64 v[6:7], v[70:71], v[74:75], -v[6:7]
	v_add_f64 v[4:5], v[4:5], v[6:7]
	s_waitcnt lgkmcnt(0)
	;; [unrolled: 8-line block ×5, first 2 shown]
	v_mul_f64 v[6:7], v[104:105], v[108:109]
	v_fma_f64 v[6:7], v[102:103], v[106:107], -v[6:7]
	v_add_f64 v[10:11], v[4:5], v[6:7]
	scratch_load_dwordx4 v[4:7], off, off offset:96
	v_mul_f64 v[112:113], v[102:103], v[108:109]
	v_fmac_f64_e32 v[112:113], v[104:105], v[106:107]
	v_add_f64 v[110:111], v[110:111], v[112:113]
	s_waitcnt vmcnt(0)
	v_add_f64 v[4:5], v[4:5], -v[10:11]
	v_add_f64 v[6:7], v[6:7], -v[110:111]
	scratch_store_dwordx4 off, v[4:7], off offset:96
	s_and_saveexec_b64 s[2:3], vcc
	s_cbranch_execz .LBB79_99
; %bb.98:
	scratch_load_dwordx4 v[10:13], off, s28
	v_mov_b32_e32 v3, v2
	v_mov_b32_e32 v4, v2
	;; [unrolled: 1-line block ×3, first 2 shown]
	scratch_store_dwordx4 off, v[2:5], off offset:80
	s_waitcnt vmcnt(1)
	ds_write_b128 v8, v[10:13]
.LBB79_99:
	s_or_b64 exec, exec, s[2:3]
	s_waitcnt lgkmcnt(0)
	; wave barrier
	scratch_load_dwordx4 v[4:7], off, off offset:96
	scratch_load_dwordx4 v[10:13], off, off offset:112
	;; [unrolled: 1-line block ×11, first 2 shown]
	ds_read_b128 v[82:85], v2 offset:352
	ds_read_b128 v[86:89], v2 offset:368
	;; [unrolled: 1-line block ×10, first 2 shown]
	v_cmp_lt_u32_e32 vcc, 4, v1
	s_waitcnt vmcnt(10) lgkmcnt(9)
	v_mul_f64 v[2:3], v[82:83], v[6:7]
	v_mul_f64 v[6:7], v[84:85], v[6:7]
	s_waitcnt vmcnt(9) lgkmcnt(8)
	v_mul_f64 v[122:123], v[86:87], v[12:13]
	v_mul_f64 v[12:13], v[88:89], v[12:13]
	v_fmac_f64_e32 v[2:3], v[84:85], v[4:5]
	v_fma_f64 v[4:5], v[82:83], v[4:5], -v[6:7]
	s_waitcnt vmcnt(8) lgkmcnt(7)
	v_mul_f64 v[124:125], v[90:91], v[16:17]
	v_mul_f64 v[16:17], v[92:93], v[16:17]
	v_fmac_f64_e32 v[122:123], v[88:89], v[10:11]
	v_fma_f64 v[6:7], v[86:87], v[10:11], -v[12:13]
	v_add_f64 v[2:3], v[2:3], 0
	v_add_f64 v[4:5], v[4:5], 0
	s_waitcnt vmcnt(7) lgkmcnt(6)
	v_mul_f64 v[126:127], v[94:95], v[20:21]
	v_mul_f64 v[20:21], v[96:97], v[20:21]
	v_fmac_f64_e32 v[124:125], v[92:93], v[14:15]
	v_fma_f64 v[10:11], v[90:91], v[14:15], -v[16:17]
	v_add_f64 v[2:3], v[2:3], v[122:123]
	v_add_f64 v[4:5], v[4:5], v[6:7]
	;; [unrolled: 7-line block ×8, first 2 shown]
	v_fmac_f64_e32 v[138:139], v[120:121], v[74:75]
	v_fma_f64 v[24:25], v[118:119], v[74:75], -v[76:77]
	v_add_f64 v[2:3], v[2:3], v[136:137]
	v_add_f64 v[4:5], v[4:5], v[22:23]
	;; [unrolled: 1-line block ×4, first 2 shown]
	s_waitcnt vmcnt(0)
	v_add_f64 v[2:3], v[78:79], -v[2:3]
	v_add_f64 v[4:5], v[80:81], -v[6:7]
	scratch_store_dwordx4 off, v[2:5], off offset:80
	s_and_saveexec_b64 s[2:3], vcc
	s_cbranch_execz .LBB79_101
; %bb.100:
	scratch_load_dwordx4 v[2:5], off, s29
	v_mov_b32_e32 v10, 0
	v_mov_b32_e32 v11, v10
	;; [unrolled: 1-line block ×4, first 2 shown]
	scratch_store_dwordx4 off, v[10:13], off offset:64
	s_waitcnt vmcnt(1)
	ds_write_b128 v8, v[2:5]
.LBB79_101:
	s_or_b64 exec, exec, s[2:3]
	s_waitcnt lgkmcnt(0)
	; wave barrier
	scratch_load_dwordx4 v[4:7], off, off offset:80
	scratch_load_dwordx4 v[10:13], off, off offset:96
	scratch_load_dwordx4 v[14:17], off, off offset:112
	scratch_load_dwordx4 v[18:21], off, off offset:128
	scratch_load_dwordx4 v[22:25], off, off offset:144
	scratch_load_dwordx4 v[26:29], off, off offset:160
	scratch_load_dwordx4 v[30:33], off, off offset:176
	scratch_load_dwordx4 v[34:37], off, off offset:192
	scratch_load_dwordx4 v[70:73], off, off offset:208
	scratch_load_dwordx4 v[74:77], off, off offset:224
	scratch_load_dwordx4 v[78:81], off, off offset:240
	scratch_load_dwordx4 v[82:85], off, off offset:64
	v_mov_b32_e32 v2, 0
	ds_read_b128 v[86:89], v2 offset:336
	ds_read_b128 v[90:93], v2 offset:352
	;; [unrolled: 1-line block ×11, first 2 shown]
	v_cmp_lt_u32_e32 vcc, 3, v1
	s_waitcnt vmcnt(11) lgkmcnt(10)
	v_mul_f64 v[130:131], v[86:87], v[6:7]
	v_mul_f64 v[6:7], v[88:89], v[6:7]
	s_waitcnt vmcnt(10) lgkmcnt(9)
	v_mul_f64 v[132:133], v[90:91], v[12:13]
	s_waitcnt vmcnt(9) lgkmcnt(8)
	v_mul_f64 v[134:135], v[94:95], v[16:17]
	v_mul_f64 v[12:13], v[92:93], v[12:13]
	s_waitcnt vmcnt(6) lgkmcnt(5)
	v_mul_f64 v[140:141], v[106:107], v[28:29]
	v_mul_f64 v[16:17], v[96:97], v[16:17]
	;; [unrolled: 1-line block ×3, first 2 shown]
	v_fmac_f64_e32 v[130:131], v[88:89], v[4:5]
	v_fma_f64 v[4:5], v[86:87], v[4:5], -v[6:7]
	v_fmac_f64_e32 v[132:133], v[92:93], v[10:11]
	v_fma_f64 v[6:7], v[90:91], v[10:11], -v[12:13]
	v_fma_f64 v[10:11], v[94:95], v[14:15], -v[16:17]
	;; [unrolled: 1-line block ×3, first 2 shown]
	v_add_f64 v[28:29], v[130:131], 0
	v_add_f64 v[4:5], v[4:5], 0
	v_mul_f64 v[136:137], v[98:99], v[20:21]
	v_mul_f64 v[20:21], v[100:101], v[20:21]
	v_fmac_f64_e32 v[134:135], v[96:97], v[14:15]
	v_add_f64 v[28:29], v[28:29], v[132:133]
	v_add_f64 v[4:5], v[4:5], v[6:7]
	v_mul_f64 v[138:139], v[102:103], v[24:25]
	v_mul_f64 v[24:25], v[104:105], v[24:25]
	v_fmac_f64_e32 v[136:137], v[100:101], v[18:19]
	v_fma_f64 v[12:13], v[98:99], v[18:19], -v[20:21]
	v_add_f64 v[6:7], v[28:29], v[134:135]
	v_add_f64 v[4:5], v[4:5], v[10:11]
	v_fmac_f64_e32 v[138:139], v[104:105], v[22:23]
	v_fma_f64 v[14:15], v[102:103], v[22:23], -v[24:25]
	v_add_f64 v[6:7], v[6:7], v[136:137]
	v_add_f64 v[4:5], v[4:5], v[12:13]
	s_waitcnt vmcnt(5) lgkmcnt(4)
	v_mul_f64 v[142:143], v[110:111], v[32:33]
	v_mul_f64 v[32:33], v[112:113], v[32:33]
	v_fmac_f64_e32 v[140:141], v[108:109], v[26:27]
	v_add_f64 v[6:7], v[6:7], v[138:139]
	v_add_f64 v[4:5], v[4:5], v[14:15]
	s_waitcnt vmcnt(4) lgkmcnt(3)
	v_mul_f64 v[144:145], v[114:115], v[36:37]
	v_mul_f64 v[36:37], v[116:117], v[36:37]
	v_fmac_f64_e32 v[142:143], v[112:113], v[30:31]
	v_fma_f64 v[18:19], v[110:111], v[30:31], -v[32:33]
	v_add_f64 v[6:7], v[6:7], v[140:141]
	v_add_f64 v[4:5], v[4:5], v[16:17]
	s_waitcnt vmcnt(3) lgkmcnt(2)
	v_mul_f64 v[146:147], v[118:119], v[72:73]
	v_mul_f64 v[72:73], v[120:121], v[72:73]
	v_fmac_f64_e32 v[144:145], v[116:117], v[34:35]
	v_fma_f64 v[20:21], v[114:115], v[34:35], -v[36:37]
	v_add_f64 v[6:7], v[6:7], v[142:143]
	v_add_f64 v[4:5], v[4:5], v[18:19]
	s_waitcnt vmcnt(2) lgkmcnt(1)
	v_mul_f64 v[148:149], v[122:123], v[76:77]
	v_mul_f64 v[76:77], v[124:125], v[76:77]
	v_fmac_f64_e32 v[146:147], v[120:121], v[70:71]
	v_fma_f64 v[22:23], v[118:119], v[70:71], -v[72:73]
	v_add_f64 v[6:7], v[6:7], v[144:145]
	v_add_f64 v[4:5], v[4:5], v[20:21]
	s_waitcnt vmcnt(1) lgkmcnt(0)
	v_mul_f64 v[150:151], v[126:127], v[80:81]
	v_mul_f64 v[80:81], v[128:129], v[80:81]
	v_fmac_f64_e32 v[148:149], v[124:125], v[74:75]
	v_fma_f64 v[24:25], v[122:123], v[74:75], -v[76:77]
	v_add_f64 v[6:7], v[6:7], v[146:147]
	v_add_f64 v[4:5], v[4:5], v[22:23]
	v_fmac_f64_e32 v[150:151], v[128:129], v[78:79]
	v_fma_f64 v[26:27], v[126:127], v[78:79], -v[80:81]
	v_add_f64 v[6:7], v[6:7], v[148:149]
	v_add_f64 v[4:5], v[4:5], v[24:25]
	v_add_f64 v[6:7], v[6:7], v[150:151]
	v_add_f64 v[4:5], v[4:5], v[26:27]
	s_waitcnt vmcnt(0)
	v_add_f64 v[4:5], v[82:83], -v[4:5]
	v_add_f64 v[6:7], v[84:85], -v[6:7]
	scratch_store_dwordx4 off, v[4:7], off offset:64
	s_and_saveexec_b64 s[2:3], vcc
	s_cbranch_execz .LBB79_103
; %bb.102:
	scratch_load_dwordx4 v[10:13], off, s30
	v_mov_b32_e32 v3, v2
	v_mov_b32_e32 v4, v2
	;; [unrolled: 1-line block ×3, first 2 shown]
	scratch_store_dwordx4 off, v[2:5], off offset:48
	s_waitcnt vmcnt(1)
	ds_write_b128 v8, v[10:13]
.LBB79_103:
	s_or_b64 exec, exec, s[2:3]
	s_waitcnt lgkmcnt(0)
	; wave barrier
	scratch_load_dwordx4 v[4:7], off, off offset:64
	scratch_load_dwordx4 v[10:13], off, off offset:80
	;; [unrolled: 1-line block ×12, first 2 shown]
	ds_read_b128 v[86:89], v2 offset:320
	ds_read_b128 v[90:93], v2 offset:336
	;; [unrolled: 1-line block ×4, first 2 shown]
	scratch_load_dwordx4 v[102:105], off, off offset:48
	ds_read_b128 v[106:109], v2 offset:384
	ds_read_b128 v[110:113], v2 offset:400
	;; [unrolled: 1-line block ×8, first 2 shown]
	v_cmp_lt_u32_e32 vcc, 2, v1
	s_waitcnt vmcnt(12) lgkmcnt(11)
	v_mul_f64 v[2:3], v[86:87], v[6:7]
	s_waitcnt vmcnt(11) lgkmcnt(10)
	v_mul_f64 v[138:139], v[90:91], v[12:13]
	v_fmac_f64_e32 v[2:3], v[88:89], v[4:5]
	s_waitcnt vmcnt(10) lgkmcnt(9)
	v_mul_f64 v[140:141], v[94:95], v[16:17]
	v_mul_f64 v[6:7], v[88:89], v[6:7]
	v_fmac_f64_e32 v[138:139], v[92:93], v[10:11]
	v_add_f64 v[2:3], v[2:3], 0
	s_waitcnt vmcnt(9) lgkmcnt(8)
	v_mul_f64 v[142:143], v[98:99], v[20:21]
	v_mul_f64 v[12:13], v[92:93], v[12:13]
	v_fmac_f64_e32 v[140:141], v[96:97], v[14:15]
	v_fma_f64 v[4:5], v[86:87], v[4:5], -v[6:7]
	v_add_f64 v[2:3], v[2:3], v[138:139]
	s_waitcnt vmcnt(8) lgkmcnt(7)
	v_mul_f64 v[144:145], v[106:107], v[24:25]
	v_mul_f64 v[16:17], v[96:97], v[16:17]
	v_fmac_f64_e32 v[142:143], v[100:101], v[18:19]
	v_fma_f64 v[6:7], v[90:91], v[10:11], -v[12:13]
	v_add_f64 v[4:5], v[4:5], 0
	v_add_f64 v[2:3], v[2:3], v[140:141]
	s_waitcnt vmcnt(7) lgkmcnt(6)
	v_mul_f64 v[146:147], v[110:111], v[28:29]
	v_mul_f64 v[20:21], v[100:101], v[20:21]
	v_fmac_f64_e32 v[144:145], v[108:109], v[22:23]
	v_fma_f64 v[10:11], v[94:95], v[14:15], -v[16:17]
	v_add_f64 v[4:5], v[4:5], v[6:7]
	;; [unrolled: 7-line block ×8, first 2 shown]
	v_add_f64 v[2:3], v[2:3], v[154:155]
	v_mul_f64 v[80:81], v[132:133], v[80:81]
	v_fmac_f64_e32 v[158:159], v[136:137], v[82:83]
	v_fma_f64 v[24:25], v[126:127], v[74:75], -v[76:77]
	v_add_f64 v[4:5], v[4:5], v[22:23]
	v_add_f64 v[2:3], v[2:3], v[156:157]
	;; [unrolled: 1-line block ×4, first 2 shown]
	v_fma_f64 v[2:3], v[130:131], v[78:79], -v[80:81]
	v_add_f64 v[2:3], v[4:5], v[2:3]
	v_mul_f64 v[4:5], v[136:137], v[84:85]
	v_fma_f64 v[4:5], v[134:135], v[82:83], -v[4:5]
	v_add_f64 v[2:3], v[2:3], v[4:5]
	s_waitcnt vmcnt(0)
	v_add_f64 v[2:3], v[102:103], -v[2:3]
	v_add_f64 v[4:5], v[104:105], -v[6:7]
	scratch_store_dwordx4 off, v[2:5], off offset:48
	s_and_saveexec_b64 s[2:3], vcc
	s_cbranch_execz .LBB79_105
; %bb.104:
	scratch_load_dwordx4 v[2:5], off, s31
	v_mov_b32_e32 v10, 0
	v_mov_b32_e32 v11, v10
	;; [unrolled: 1-line block ×4, first 2 shown]
	scratch_store_dwordx4 off, v[10:13], off offset:32
	s_waitcnt vmcnt(1)
	ds_write_b128 v8, v[2:5]
.LBB79_105:
	s_or_b64 exec, exec, s[2:3]
	v_mov_b32_e32 v2, 0
	s_waitcnt lgkmcnt(0)
	; wave barrier
	ds_read_b128 v[4:7], v2 offset:304
	ds_read_b128 v[10:13], v2 offset:320
	;; [unrolled: 1-line block ×4, first 2 shown]
	scratch_load_dwordx4 v[22:25], off, off offset:48
	scratch_load_dwordx4 v[74:77], off, off offset:112
	;; [unrolled: 1-line block ×7, first 2 shown]
	v_cmp_lt_u32_e32 vcc, 1, v1
	scratch_load_dwordx4 v[82:85], off, off offset:128
	scratch_load_dwordx4 v[90:93], off, off offset:144
	;; [unrolled: 1-line block ×3, first 2 shown]
	s_waitcnt vmcnt(9) lgkmcnt(3)
	v_mul_f64 v[26:27], v[4:5], v[24:25]
	v_fmac_f64_e32 v[26:27], v[6:7], v[22:23]
	v_add_f64 v[30:31], v[26:27], 0
	scratch_load_dwordx4 v[26:29], off, off offset:64
	v_mul_f64 v[6:7], v[6:7], v[24:25]
	v_fma_f64 v[4:5], v[4:5], v[22:23], -v[6:7]
	v_add_f64 v[4:5], v[4:5], 0
	s_waitcnt vmcnt(0) lgkmcnt(2)
	v_mul_f64 v[32:33], v[10:11], v[28:29]
	v_fmac_f64_e32 v[32:33], v[12:13], v[26:27]
	v_add_f64 v[34:35], v[30:31], v[32:33]
	scratch_load_dwordx4 v[30:33], off, off offset:80
	v_mul_f64 v[6:7], v[12:13], v[28:29]
	v_fma_f64 v[6:7], v[10:11], v[26:27], -v[6:7]
	v_add_f64 v[4:5], v[4:5], v[6:7]
	;; [unrolled: 8-line block ×3, first 2 shown]
	s_waitcnt vmcnt(0) lgkmcnt(0)
	v_mul_f64 v[72:73], v[18:19], v[36:37]
	v_fmac_f64_e32 v[72:73], v[20:21], v[34:35]
	v_add_f64 v[78:79], v[70:71], v[72:73]
	ds_read_b128 v[70:73], v2 offset:368
	v_mul_f64 v[6:7], v[20:21], v[36:37]
	v_fma_f64 v[6:7], v[18:19], v[34:35], -v[6:7]
	v_add_f64 v[4:5], v[4:5], v[6:7]
	s_waitcnt lgkmcnt(0)
	v_mul_f64 v[80:81], v[70:71], v[76:77]
	v_fmac_f64_e32 v[80:81], v[72:73], v[74:75]
	v_add_f64 v[86:87], v[78:79], v[80:81]
	ds_read_b128 v[78:81], v2 offset:384
	v_mul_f64 v[6:7], v[72:73], v[76:77]
	v_fma_f64 v[6:7], v[70:71], v[74:75], -v[6:7]
	v_add_f64 v[4:5], v[4:5], v[6:7]
	s_waitcnt lgkmcnt(0)
	;; [unrolled: 8-line block ×9, first 2 shown]
	v_mul_f64 v[6:7], v[136:137], v[140:141]
	v_fma_f64 v[6:7], v[134:135], v[138:139], -v[6:7]
	v_add_f64 v[10:11], v[4:5], v[6:7]
	scratch_load_dwordx4 v[4:7], off, off offset:32
	v_mul_f64 v[144:145], v[134:135], v[140:141]
	v_fmac_f64_e32 v[144:145], v[136:137], v[138:139]
	v_add_f64 v[142:143], v[142:143], v[144:145]
	s_waitcnt vmcnt(0)
	v_add_f64 v[4:5], v[4:5], -v[10:11]
	v_add_f64 v[6:7], v[6:7], -v[142:143]
	scratch_store_dwordx4 off, v[4:7], off offset:32
	s_and_saveexec_b64 s[2:3], vcc
	s_cbranch_execz .LBB79_107
; %bb.106:
	scratch_load_dwordx4 v[10:13], off, s33
	v_mov_b32_e32 v3, v2
	v_mov_b32_e32 v4, v2
	;; [unrolled: 1-line block ×3, first 2 shown]
	scratch_store_dwordx4 off, v[2:5], off offset:16
	s_waitcnt vmcnt(1)
	ds_write_b128 v8, v[10:13]
.LBB79_107:
	s_or_b64 exec, exec, s[2:3]
	s_waitcnt lgkmcnt(0)
	; wave barrier
	ds_read_b128 v[4:7], v2 offset:288
	ds_read_b128 v[10:13], v2 offset:304
	ds_read_b128 v[14:17], v2 offset:320
	ds_read_b128 v[18:21], v2 offset:336
	scratch_load_dwordx4 v[22:25], off, off offset:32
	scratch_load_dwordx4 v[74:77], off, off offset:96
	;; [unrolled: 1-line block ×8, first 2 shown]
	v_cmp_ne_u32_e32 vcc, 0, v1
	scratch_load_dwordx4 v[82:85], off, off offset:112
	scratch_load_dwordx4 v[90:93], off, off offset:128
	;; [unrolled: 1-line block ×3, first 2 shown]
	s_waitcnt vmcnt(10) lgkmcnt(3)
	v_mul_f64 v[26:27], v[4:5], v[24:25]
	v_fmac_f64_e32 v[26:27], v[6:7], v[22:23]
	v_add_f64 v[30:31], v[26:27], 0
	scratch_load_dwordx4 v[26:29], off, off offset:48
	s_waitcnt vmcnt(0) lgkmcnt(2)
	v_mul_f64 v[32:33], v[10:11], v[28:29]
	v_fmac_f64_e32 v[32:33], v[12:13], v[26:27]
	v_add_f64 v[34:35], v[30:31], v[32:33]
	scratch_load_dwordx4 v[30:33], off, off offset:64
	;; [unrolled: 5-line block ×3, first 2 shown]
	s_waitcnt vmcnt(0) lgkmcnt(0)
	v_mul_f64 v[72:73], v[18:19], v[36:37]
	v_fmac_f64_e32 v[72:73], v[20:21], v[34:35]
	v_add_f64 v[78:79], v[70:71], v[72:73]
	ds_read_b128 v[70:73], v2 offset:352
	s_waitcnt lgkmcnt(0)
	v_mul_f64 v[80:81], v[70:71], v[76:77]
	v_fmac_f64_e32 v[80:81], v[72:73], v[74:75]
	v_add_f64 v[86:87], v[78:79], v[80:81]
	ds_read_b128 v[78:81], v2 offset:368
	s_waitcnt lgkmcnt(0)
	;; [unrolled: 5-line block ×10, first 2 shown]
	v_mul_f64 v[2:3], v[142:143], v[148:149]
	v_fmac_f64_e32 v[2:3], v[144:145], v[146:147]
	v_add_f64 v[150:151], v[150:151], v[2:3]
	v_mul_f64 v[2:3], v[6:7], v[24:25]
	v_fma_f64 v[2:3], v[4:5], v[22:23], -v[2:3]
	v_mul_f64 v[4:5], v[12:13], v[28:29]
	v_add_f64 v[2:3], v[2:3], 0
	v_fma_f64 v[4:5], v[10:11], v[26:27], -v[4:5]
	v_add_f64 v[2:3], v[2:3], v[4:5]
	v_mul_f64 v[4:5], v[16:17], v[32:33]
	v_fma_f64 v[4:5], v[14:15], v[30:31], -v[4:5]
	v_add_f64 v[2:3], v[2:3], v[4:5]
	v_mul_f64 v[4:5], v[20:21], v[36:37]
	;; [unrolled: 3-line block ×12, first 2 shown]
	v_fma_f64 v[4:5], v[142:143], v[146:147], -v[4:5]
	v_add_f64 v[6:7], v[2:3], v[4:5]
	scratch_load_dwordx4 v[2:5], off, off offset:16
	s_waitcnt vmcnt(0)
	v_add_f64 v[2:3], v[2:3], -v[6:7]
	v_add_f64 v[4:5], v[4:5], -v[150:151]
	scratch_store_dwordx4 off, v[2:5], off offset:16
	s_and_saveexec_b64 s[2:3], vcc
	s_cbranch_execz .LBB79_109
; %bb.108:
	scratch_load_dwordx4 v[2:5], off, off
	v_mov_b32_e32 v10, 0
	v_mov_b32_e32 v11, v10
	;; [unrolled: 1-line block ×4, first 2 shown]
	scratch_store_dwordx4 off, v[10:13], off
	s_waitcnt vmcnt(1)
	ds_write_b128 v8, v[2:5]
.LBB79_109:
	s_or_b64 exec, exec, s[2:3]
	v_mov_b32_e32 v72, 0
	s_waitcnt lgkmcnt(0)
	; wave barrier
	ds_read_b128 v[14:17], v72 offset:272
	ds_read_b128 v[10:13], v72 offset:288
	ds_read_b128 v[6:9], v72 offset:304
	ds_read_b128 v[2:5], v72 offset:320
	scratch_load_dwordx4 v[18:21], off, off offset:16
	scratch_load_dwordx4 v[74:77], off, off offset:80
	;; [unrolled: 1-line block ×9, first 2 shown]
	s_and_b64 vcc, exec, s[14:15]
	scratch_load_dwordx4 v[82:85], off, off offset:96
	scratch_load_dwordx4 v[90:93], off, off offset:112
	;; [unrolled: 1-line block ×3, first 2 shown]
	s_waitcnt vmcnt(11) lgkmcnt(3)
	v_mul_f64 v[22:23], v[14:15], v[20:21]
	v_fmac_f64_e32 v[22:23], v[16:17], v[18:19]
	v_add_f64 v[26:27], v[22:23], 0
	scratch_load_dwordx4 v[22:25], off, off offset:32
	v_mul_f64 v[16:17], v[16:17], v[20:21]
	v_fma_f64 v[14:15], v[14:15], v[18:19], -v[16:17]
	v_add_f64 v[14:15], v[14:15], 0
	s_waitcnt vmcnt(0) lgkmcnt(2)
	v_mul_f64 v[28:29], v[10:11], v[24:25]
	v_fmac_f64_e32 v[28:29], v[12:13], v[22:23]
	v_add_f64 v[30:31], v[26:27], v[28:29]
	scratch_load_dwordx4 v[26:29], off, off offset:48
	v_mul_f64 v[12:13], v[12:13], v[24:25]
	v_fma_f64 v[10:11], v[10:11], v[22:23], -v[12:13]
	v_add_f64 v[10:11], v[14:15], v[10:11]
	;; [unrolled: 8-line block ×3, first 2 shown]
	s_waitcnt vmcnt(0) lgkmcnt(0)
	v_mul_f64 v[36:37], v[2:3], v[32:33]
	v_fmac_f64_e32 v[36:37], v[4:5], v[30:31]
	v_add_f64 v[70:71], v[34:35], v[36:37]
	ds_read_b128 v[34:37], v72 offset:336
	v_mul_f64 v[4:5], v[4:5], v[32:33]
	v_fma_f64 v[2:3], v[2:3], v[30:31], -v[4:5]
	v_add_f64 v[2:3], v[6:7], v[2:3]
	s_waitcnt lgkmcnt(0)
	v_mul_f64 v[78:79], v[34:35], v[76:77]
	v_fmac_f64_e32 v[78:79], v[36:37], v[74:75]
	v_add_f64 v[70:71], v[70:71], v[78:79]
	ds_read_b128 v[78:81], v72 offset:352
	v_mul_f64 v[4:5], v[36:37], v[76:77]
	v_fma_f64 v[4:5], v[34:35], v[74:75], -v[4:5]
	v_add_f64 v[2:3], v[2:3], v[4:5]
	s_waitcnt lgkmcnt(0)
	;; [unrolled: 8-line block ×11, first 2 shown]
	v_mul_f64 v[4:5], v[152:153], v[156:157]
	v_fma_f64 v[4:5], v[150:151], v[154:155], -v[4:5]
	v_add_f64 v[2:3], v[2:3], v[4:5]
	scratch_load_dwordx4 v[4:7], off, off
	v_mul_f64 v[158:159], v[150:151], v[156:157]
	v_fmac_f64_e32 v[158:159], v[152:153], v[154:155]
	v_add_f64 v[70:71], v[70:71], v[158:159]
	s_waitcnt vmcnt(0)
	v_add_f64 v[2:3], v[4:5], -v[2:3]
	v_add_f64 v[4:5], v[6:7], -v[70:71]
	scratch_store_dwordx4 off, v[2:5], off
	s_cbranch_vccz .LBB79_140
; %bb.110:
	global_load_dword v2, v72, s[12:13] offset:56
	s_load_dwordx2 s[2:3], s[0:1], 0x4
	v_bfe_u32 v3, v0, 10, 10
	v_bfe_u32 v0, v0, 20, 10
	s_waitcnt lgkmcnt(0)
	s_lshr_b32 s0, s2, 16
	s_mul_i32 s0, s0, s3
	v_mul_u32_u24_e32 v1, s0, v1
	v_mul_u32_u24_e32 v3, s3, v3
	v_add3_u32 v0, v1, v3, v0
	v_mov_b32_e32 v1, 0x208
	v_lshl_add_u32 v0, v0, 4, v1
	s_waitcnt vmcnt(0)
	v_readfirstlane_b32 s0, v2
	s_add_i32 s0, s0, -1
	s_cmp_lg_u32 s0, 14
	s_cbranch_scc0 .LBB79_112
; %bb.111:
	s_lshl_b32 s0, s0, 4
	scratch_load_dwordx4 v[2:5], off, s19
	scratch_load_dwordx4 v[6:9], off, s0
	s_waitcnt vmcnt(1)
	ds_write2_b64 v0, v[2:3], v[4:5] offset1:1
	s_waitcnt vmcnt(0)
	scratch_store_dwordx4 off, v[6:9], s19
	scratch_store_dwordx4 off, v[2:5], s0
.LBB79_112:
	v_mov_b32_e32 v1, 0
	global_load_dword v2, v1, s[12:13] offset:52
	s_waitcnt vmcnt(0)
	v_readfirstlane_b32 s0, v2
	s_add_i32 s0, s0, -1
	s_cmp_eq_u32 s0, 13
	s_cbranch_scc1 .LBB79_114
; %bb.113:
	s_lshl_b32 s0, s0, 4
	scratch_load_dwordx4 v[2:5], off, s20
	scratch_load_dwordx4 v[6:9], off, s0
	s_waitcnt vmcnt(1)
	ds_write2_b64 v0, v[2:3], v[4:5] offset1:1
	s_waitcnt vmcnt(0)
	scratch_store_dwordx4 off, v[6:9], s20
	scratch_store_dwordx4 off, v[2:5], s0
.LBB79_114:
	global_load_dword v1, v1, s[12:13] offset:48
	s_waitcnt vmcnt(0)
	v_readfirstlane_b32 s0, v1
	s_add_i32 s0, s0, -1
	s_cmp_eq_u32 s0, 12
	s_cbranch_scc1 .LBB79_116
; %bb.115:
	s_lshl_b32 s0, s0, 4
	scratch_load_dwordx4 v[2:5], off, s21
	scratch_load_dwordx4 v[6:9], off, s0
	s_waitcnt vmcnt(1)
	ds_write2_b64 v0, v[2:3], v[4:5] offset1:1
	s_waitcnt vmcnt(0)
	scratch_store_dwordx4 off, v[6:9], s21
	scratch_store_dwordx4 off, v[2:5], s0
.LBB79_116:
	v_mov_b32_e32 v1, 0
	global_load_dword v2, v1, s[12:13] offset:44
	s_waitcnt vmcnt(0)
	v_readfirstlane_b32 s0, v2
	s_add_i32 s0, s0, -1
	s_cmp_eq_u32 s0, 11
	s_cbranch_scc1 .LBB79_118
; %bb.117:
	s_lshl_b32 s0, s0, 4
	scratch_load_dwordx4 v[2:5], off, s22
	scratch_load_dwordx4 v[6:9], off, s0
	s_waitcnt vmcnt(1)
	ds_write2_b64 v0, v[2:3], v[4:5] offset1:1
	s_waitcnt vmcnt(0)
	scratch_store_dwordx4 off, v[6:9], s22
	scratch_store_dwordx4 off, v[2:5], s0
.LBB79_118:
	global_load_dword v1, v1, s[12:13] offset:40
	s_waitcnt vmcnt(0)
	v_readfirstlane_b32 s0, v1
	s_add_i32 s0, s0, -1
	s_cmp_eq_u32 s0, 10
	s_cbranch_scc1 .LBB79_120
; %bb.119:
	s_lshl_b32 s0, s0, 4
	scratch_load_dwordx4 v[2:5], off, s23
	scratch_load_dwordx4 v[6:9], off, s0
	s_waitcnt vmcnt(1)
	ds_write2_b64 v0, v[2:3], v[4:5] offset1:1
	s_waitcnt vmcnt(0)
	scratch_store_dwordx4 off, v[6:9], s23
	scratch_store_dwordx4 off, v[2:5], s0
.LBB79_120:
	;; [unrolled: 33-line block ×6, first 2 shown]
	v_mov_b32_e32 v1, 0
	global_load_dword v2, v1, s[12:13] offset:4
	s_waitcnt vmcnt(0)
	v_readfirstlane_b32 s0, v2
	s_add_i32 s0, s0, -1
	s_cmp_eq_u32 s0, 1
	s_cbranch_scc1 .LBB79_138
; %bb.137:
	s_lshl_b32 s0, s0, 4
	scratch_load_dwordx4 v[2:5], off, s33
	scratch_load_dwordx4 v[6:9], off, s0
	s_waitcnt vmcnt(1)
	ds_write2_b64 v0, v[2:3], v[4:5] offset1:1
	s_waitcnt vmcnt(0)
	scratch_store_dwordx4 off, v[6:9], s33
	scratch_store_dwordx4 off, v[2:5], s0
.LBB79_138:
	global_load_dword v1, v1, s[12:13]
	s_waitcnt vmcnt(0)
	v_readfirstlane_b32 s0, v1
	s_add_i32 s0, s0, -1
	s_cmp_eq_u32 s0, 0
	s_cbranch_scc1 .LBB79_140
; %bb.139:
	s_lshl_b32 s0, s0, 4
	scratch_load_dwordx4 v[2:5], off, off
	scratch_load_dwordx4 v[6:9], off, s0
	s_waitcnt vmcnt(1)
	ds_write2_b64 v0, v[2:3], v[4:5] offset1:1
	s_waitcnt vmcnt(0)
	scratch_store_dwordx4 off, v[6:9], off
	scratch_store_dwordx4 off, v[2:5], s0
.LBB79_140:
	scratch_load_dwordx4 v[0:3], off, off
	s_waitcnt vmcnt(0)
	flat_store_dwordx4 v[38:39], v[0:3]
	scratch_load_dwordx4 v[0:3], off, s33
	s_waitcnt vmcnt(0)
	flat_store_dwordx4 v[40:41], v[0:3]
	scratch_load_dwordx4 v[0:3], off, s31
	;; [unrolled: 3-line block ×15, first 2 shown]
	s_waitcnt vmcnt(0)
	flat_store_dwordx4 v[68:69], v[0:3]
	s_endpgm
	.section	.rodata,"a",@progbits
	.p2align	6, 0x0
	.amdhsa_kernel _ZN9rocsolver6v33100L18getri_kernel_smallILi16E19rocblas_complex_numIdEPKPS3_EEvT1_iilPiilS8_bb
		.amdhsa_group_segment_fixed_size 1544
		.amdhsa_private_segment_fixed_size 272
		.amdhsa_kernarg_size 60
		.amdhsa_user_sgpr_count 4
		.amdhsa_user_sgpr_dispatch_ptr 1
		.amdhsa_user_sgpr_queue_ptr 0
		.amdhsa_user_sgpr_kernarg_segment_ptr 1
		.amdhsa_user_sgpr_dispatch_id 0
		.amdhsa_user_sgpr_kernarg_preload_length 0
		.amdhsa_user_sgpr_kernarg_preload_offset 0
		.amdhsa_user_sgpr_private_segment_size 0
		.amdhsa_uses_dynamic_stack 0
		.amdhsa_enable_private_segment 1
		.amdhsa_system_sgpr_workgroup_id_x 1
		.amdhsa_system_sgpr_workgroup_id_y 0
		.amdhsa_system_sgpr_workgroup_id_z 0
		.amdhsa_system_sgpr_workgroup_info 0
		.amdhsa_system_vgpr_workitem_id 2
		.amdhsa_next_free_vgpr 160
		.amdhsa_next_free_sgpr 36
		.amdhsa_accum_offset 160
		.amdhsa_reserve_vcc 1
		.amdhsa_float_round_mode_32 0
		.amdhsa_float_round_mode_16_64 0
		.amdhsa_float_denorm_mode_32 3
		.amdhsa_float_denorm_mode_16_64 3
		.amdhsa_dx10_clamp 1
		.amdhsa_ieee_mode 1
		.amdhsa_fp16_overflow 0
		.amdhsa_tg_split 0
		.amdhsa_exception_fp_ieee_invalid_op 0
		.amdhsa_exception_fp_denorm_src 0
		.amdhsa_exception_fp_ieee_div_zero 0
		.amdhsa_exception_fp_ieee_overflow 0
		.amdhsa_exception_fp_ieee_underflow 0
		.amdhsa_exception_fp_ieee_inexact 0
		.amdhsa_exception_int_div_zero 0
	.end_amdhsa_kernel
	.section	.text._ZN9rocsolver6v33100L18getri_kernel_smallILi16E19rocblas_complex_numIdEPKPS3_EEvT1_iilPiilS8_bb,"axG",@progbits,_ZN9rocsolver6v33100L18getri_kernel_smallILi16E19rocblas_complex_numIdEPKPS3_EEvT1_iilPiilS8_bb,comdat
.Lfunc_end79:
	.size	_ZN9rocsolver6v33100L18getri_kernel_smallILi16E19rocblas_complex_numIdEPKPS3_EEvT1_iilPiilS8_bb, .Lfunc_end79-_ZN9rocsolver6v33100L18getri_kernel_smallILi16E19rocblas_complex_numIdEPKPS3_EEvT1_iilPiilS8_bb
                                        ; -- End function
	.set _ZN9rocsolver6v33100L18getri_kernel_smallILi16E19rocblas_complex_numIdEPKPS3_EEvT1_iilPiilS8_bb.num_vgpr, 160
	.set _ZN9rocsolver6v33100L18getri_kernel_smallILi16E19rocblas_complex_numIdEPKPS3_EEvT1_iilPiilS8_bb.num_agpr, 0
	.set _ZN9rocsolver6v33100L18getri_kernel_smallILi16E19rocblas_complex_numIdEPKPS3_EEvT1_iilPiilS8_bb.numbered_sgpr, 36
	.set _ZN9rocsolver6v33100L18getri_kernel_smallILi16E19rocblas_complex_numIdEPKPS3_EEvT1_iilPiilS8_bb.num_named_barrier, 0
	.set _ZN9rocsolver6v33100L18getri_kernel_smallILi16E19rocblas_complex_numIdEPKPS3_EEvT1_iilPiilS8_bb.private_seg_size, 272
	.set _ZN9rocsolver6v33100L18getri_kernel_smallILi16E19rocblas_complex_numIdEPKPS3_EEvT1_iilPiilS8_bb.uses_vcc, 1
	.set _ZN9rocsolver6v33100L18getri_kernel_smallILi16E19rocblas_complex_numIdEPKPS3_EEvT1_iilPiilS8_bb.uses_flat_scratch, 0
	.set _ZN9rocsolver6v33100L18getri_kernel_smallILi16E19rocblas_complex_numIdEPKPS3_EEvT1_iilPiilS8_bb.has_dyn_sized_stack, 0
	.set _ZN9rocsolver6v33100L18getri_kernel_smallILi16E19rocblas_complex_numIdEPKPS3_EEvT1_iilPiilS8_bb.has_recursion, 0
	.set _ZN9rocsolver6v33100L18getri_kernel_smallILi16E19rocblas_complex_numIdEPKPS3_EEvT1_iilPiilS8_bb.has_indirect_call, 0
	.section	.AMDGPU.csdata,"",@progbits
; Kernel info:
; codeLenInByte = 15624
; TotalNumSgprs: 42
; NumVgprs: 160
; NumAgprs: 0
; TotalNumVgprs: 160
; ScratchSize: 272
; MemoryBound: 0
; FloatMode: 240
; IeeeMode: 1
; LDSByteSize: 1544 bytes/workgroup (compile time only)
; SGPRBlocks: 5
; VGPRBlocks: 19
; NumSGPRsForWavesPerEU: 42
; NumVGPRsForWavesPerEU: 160
; AccumOffset: 160
; Occupancy: 3
; WaveLimiterHint : 1
; COMPUTE_PGM_RSRC2:SCRATCH_EN: 1
; COMPUTE_PGM_RSRC2:USER_SGPR: 4
; COMPUTE_PGM_RSRC2:TRAP_HANDLER: 0
; COMPUTE_PGM_RSRC2:TGID_X_EN: 1
; COMPUTE_PGM_RSRC2:TGID_Y_EN: 0
; COMPUTE_PGM_RSRC2:TGID_Z_EN: 0
; COMPUTE_PGM_RSRC2:TIDIG_COMP_CNT: 2
; COMPUTE_PGM_RSRC3_GFX90A:ACCUM_OFFSET: 39
; COMPUTE_PGM_RSRC3_GFX90A:TG_SPLIT: 0
	.section	.text._ZN9rocsolver6v33100L18getri_kernel_smallILi17E19rocblas_complex_numIdEPKPS3_EEvT1_iilPiilS8_bb,"axG",@progbits,_ZN9rocsolver6v33100L18getri_kernel_smallILi17E19rocblas_complex_numIdEPKPS3_EEvT1_iilPiilS8_bb,comdat
	.globl	_ZN9rocsolver6v33100L18getri_kernel_smallILi17E19rocblas_complex_numIdEPKPS3_EEvT1_iilPiilS8_bb ; -- Begin function _ZN9rocsolver6v33100L18getri_kernel_smallILi17E19rocblas_complex_numIdEPKPS3_EEvT1_iilPiilS8_bb
	.p2align	8
	.type	_ZN9rocsolver6v33100L18getri_kernel_smallILi17E19rocblas_complex_numIdEPKPS3_EEvT1_iilPiilS8_bb,@function
_ZN9rocsolver6v33100L18getri_kernel_smallILi17E19rocblas_complex_numIdEPKPS3_EEvT1_iilPiilS8_bb: ; @_ZN9rocsolver6v33100L18getri_kernel_smallILi17E19rocblas_complex_numIdEPKPS3_EEvT1_iilPiilS8_bb
; %bb.0:
	v_and_b32_e32 v1, 0x3ff, v0
	v_cmp_gt_u32_e32 vcc, 17, v1
	s_and_saveexec_b64 s[6:7], vcc
	s_cbranch_execz .LBB80_82
; %bb.1:
	s_load_dword s18, s[2:3], 0x38
	s_load_dwordx2 s[6:7], s[2:3], 0x0
	s_load_dwordx4 s[8:11], s[2:3], 0x28
	s_waitcnt lgkmcnt(0)
	s_bitcmp1_b32 s18, 8
	s_cselect_b64 s[14:15], -1, 0
	s_ashr_i32 s5, s4, 31
	s_lshl_b64 s[12:13], s[4:5], 3
	s_add_u32 s6, s6, s12
	s_addc_u32 s7, s7, s13
	s_load_dwordx2 s[16:17], s[6:7], 0x0
	s_bfe_u32 s6, s18, 0x10008
	s_cmp_eq_u32 s6, 0
                                        ; implicit-def: $sgpr12_sgpr13
	s_cbranch_scc1 .LBB80_3
; %bb.2:
	s_load_dword s6, s[2:3], 0x20
	s_load_dwordx2 s[12:13], s[2:3], 0x18
	s_mul_i32 s7, s8, s5
	s_mul_hi_u32 s18, s8, s4
	s_add_i32 s18, s18, s7
	s_mul_i32 s9, s9, s4
	s_add_i32 s9, s18, s9
	s_mul_i32 s8, s8, s4
	s_waitcnt lgkmcnt(0)
	s_ashr_i32 s7, s6, 31
	s_lshl_b64 s[8:9], s[8:9], 2
	s_add_u32 s8, s12, s8
	s_addc_u32 s9, s13, s9
	s_lshl_b64 s[6:7], s[6:7], 2
	s_add_u32 s12, s8, s6
	s_addc_u32 s13, s9, s7
.LBB80_3:
	s_load_dwordx2 s[6:7], s[2:3], 0x8
	s_load_dword s8, s[2:3], 0x38
	v_lshlrev_b32_e32 v14, 4, v1
	v_mov_b32_e32 v15, 0
	s_movk_i32 s35, 0xf0
	s_waitcnt lgkmcnt(0)
	s_ashr_i32 s3, s6, 31
	s_mov_b32 s2, s6
	s_lshl_b64 s[2:3], s[2:3], 4
	s_add_u32 s2, s16, s2
	s_addc_u32 s3, s17, s3
	v_lshl_add_u64 v[48:49], s[2:3], 0, v[14:15]
	flat_load_dwordx4 v[2:5], v[48:49]
	s_mov_b32 s16, s7
	s_ashr_i32 s17, s7, 31
	v_lshl_add_u64 v[50:51], s[16:17], 4, v[48:49]
	s_add_i32 s6, s7, s7
	v_add_u32_e32 v6, s6, v1
	v_ashrrev_i32_e32 v7, 31, v6
	v_lshl_add_u64 v[52:53], v[6:7], 4, s[2:3]
	v_add_u32_e32 v6, s7, v6
	v_ashrrev_i32_e32 v7, 31, v6
	v_lshl_add_u64 v[54:55], v[6:7], 4, s[2:3]
	;; [unrolled: 3-line block ×15, first 2 shown]
	s_movk_i32 s36, 0x100
	s_movk_i32 s29, 0x50
	s_movk_i32 s28, 0x60
	s_movk_i32 s27, 0x70
	s_movk_i32 s26, 0x80
	s_movk_i32 s25, 0x90
	s_movk_i32 s24, 0xa0
	s_movk_i32 s23, 0xb0
	s_movk_i32 s22, 0xc0
	s_movk_i32 s21, 0xd0
	s_movk_i32 s20, 0xe0
	s_mov_b32 s34, 16
	s_mov_b32 s33, 32
	;; [unrolled: 1-line block ×6, first 2 shown]
	s_bitcmp0_b32 s8, 0
	s_mov_b64 s[6:7], -1
	s_waitcnt vmcnt(0) lgkmcnt(0)
	scratch_store_dwordx4 off, v[2:5], off
	flat_load_dwordx4 v[2:5], v[50:51]
	s_waitcnt vmcnt(0) lgkmcnt(0)
	scratch_store_dwordx4 off, v[2:5], off offset:16
	flat_load_dwordx4 v[2:5], v[52:53]
	s_waitcnt vmcnt(0) lgkmcnt(0)
	scratch_store_dwordx4 off, v[2:5], off offset:32
	;; [unrolled: 3-line block ×16, first 2 shown]
	s_cbranch_scc1 .LBB80_80
; %bb.4:
	v_cmp_eq_u32_e64 s[2:3], 0, v1
	s_and_saveexec_b64 s[6:7], s[2:3]
; %bb.5:
	v_mov_b32_e32 v2, 0
	ds_write_b32 v2, v2 offset:544
; %bb.6:
	s_or_b64 exec, exec, s[6:7]
	s_waitcnt lgkmcnt(0)
	; wave barrier
	scratch_load_dwordx4 v[2:5], v14, off
	s_waitcnt vmcnt(0)
	v_cmp_eq_f64_e32 vcc, 0, v[2:3]
	v_cmp_eq_f64_e64 s[6:7], 0, v[4:5]
	s_and_b64 s[6:7], vcc, s[6:7]
	s_and_saveexec_b64 s[8:9], s[6:7]
	s_cbranch_execz .LBB80_10
; %bb.7:
	v_mov_b32_e32 v2, 0
	ds_read_b32 v4, v2 offset:544
	v_add_u32_e32 v3, 1, v1
	s_waitcnt lgkmcnt(0)
	v_readfirstlane_b32 s6, v4
	s_cmp_eq_u32 s6, 0
	s_cselect_b64 s[16:17], -1, 0
	v_cmp_gt_i32_e32 vcc, s6, v3
	s_or_b64 s[16:17], s[16:17], vcc
	s_and_b64 exec, exec, s[16:17]
	s_cbranch_execz .LBB80_10
; %bb.8:
	s_mov_b64 s[16:17], 0
	v_mov_b32_e32 v4, s6
.LBB80_9:                               ; =>This Inner Loop Header: Depth=1
	ds_cmpst_rtn_b32 v4, v2, v4, v3 offset:544
	s_waitcnt lgkmcnt(0)
	v_cmp_ne_u32_e32 vcc, 0, v4
	v_cmp_le_i32_e64 s[6:7], v4, v3
	s_and_b64 s[6:7], vcc, s[6:7]
	s_and_b64 s[6:7], exec, s[6:7]
	s_or_b64 s[16:17], s[6:7], s[16:17]
	s_andn2_b64 exec, exec, s[16:17]
	s_cbranch_execnz .LBB80_9
.LBB80_10:
	s_or_b64 exec, exec, s[8:9]
	v_mov_b32_e32 v3, 0
	; wave barrier
	ds_read_b32 v2, v3 offset:544
	s_and_saveexec_b64 s[6:7], s[2:3]
	s_cbranch_execz .LBB80_12
; %bb.11:
	s_lshl_b64 s[8:9], s[4:5], 2
	s_add_u32 s8, s10, s8
	s_addc_u32 s9, s11, s9
	s_waitcnt lgkmcnt(0)
	global_store_dword v3, v2, s[8:9]
.LBB80_12:
	s_or_b64 exec, exec, s[6:7]
	s_waitcnt lgkmcnt(0)
	v_cmp_ne_u32_e32 vcc, 0, v2
	s_mov_b64 s[6:7], 0
	s_cbranch_vccnz .LBB80_80
; %bb.13:
	v_mov_b32_e32 v15, v14
	scratch_load_dwordx4 v[2:5], v15, off
                                        ; implicit-def: $vgpr6_vgpr7
                                        ; implicit-def: $vgpr10_vgpr11
	s_waitcnt vmcnt(0)
	v_cmp_ngt_f64_e64 s[6:7], |v[2:3]|, |v[4:5]|
	s_and_saveexec_b64 s[8:9], s[6:7]
	s_xor_b64 s[6:7], exec, s[8:9]
	s_cbranch_execz .LBB80_15
; %bb.14:
	v_div_scale_f64 v[6:7], s[8:9], v[4:5], v[4:5], v[2:3]
	v_rcp_f64_e32 v[8:9], v[6:7]
	v_div_scale_f64 v[10:11], vcc, v[2:3], v[4:5], v[2:3]
	v_fma_f64 v[12:13], -v[6:7], v[8:9], 1.0
	v_fmac_f64_e32 v[8:9], v[8:9], v[12:13]
	v_fma_f64 v[12:13], -v[6:7], v[8:9], 1.0
	v_fmac_f64_e32 v[8:9], v[8:9], v[12:13]
	v_mul_f64 v[12:13], v[10:11], v[8:9]
	v_fma_f64 v[6:7], -v[6:7], v[12:13], v[10:11]
	v_div_fmas_f64 v[6:7], v[6:7], v[8:9], v[12:13]
	v_div_fixup_f64 v[6:7], v[6:7], v[4:5], v[2:3]
	v_fmac_f64_e32 v[4:5], v[2:3], v[6:7]
	v_div_scale_f64 v[2:3], s[8:9], v[4:5], v[4:5], 1.0
	v_rcp_f64_e32 v[8:9], v[2:3]
	s_nop 0
	v_fma_f64 v[10:11], -v[2:3], v[8:9], 1.0
	v_fmac_f64_e32 v[8:9], v[8:9], v[10:11]
	v_fma_f64 v[10:11], -v[2:3], v[8:9], 1.0
	v_fmac_f64_e32 v[8:9], v[8:9], v[10:11]
	v_div_scale_f64 v[10:11], vcc, 1.0, v[4:5], 1.0
	v_mul_f64 v[12:13], v[10:11], v[8:9]
	v_fma_f64 v[2:3], -v[2:3], v[12:13], v[10:11]
	s_nop 1
	v_div_fmas_f64 v[2:3], v[2:3], v[8:9], v[12:13]
	v_div_fixup_f64 v[8:9], v[2:3], v[4:5], 1.0
	v_mul_f64 v[6:7], v[6:7], v[8:9]
	v_xor_b32_e32 v9, 0x80000000, v9
	v_xor_b32_e32 v11, 0x80000000, v7
	v_mov_b32_e32 v10, v6
                                        ; implicit-def: $vgpr2_vgpr3
.LBB80_15:
	s_andn2_saveexec_b64 s[6:7], s[6:7]
	s_cbranch_execz .LBB80_17
; %bb.16:
	v_div_scale_f64 v[6:7], s[8:9], v[2:3], v[2:3], v[4:5]
	v_rcp_f64_e32 v[8:9], v[6:7]
	v_div_scale_f64 v[10:11], vcc, v[4:5], v[2:3], v[4:5]
	v_fma_f64 v[12:13], -v[6:7], v[8:9], 1.0
	v_fmac_f64_e32 v[8:9], v[8:9], v[12:13]
	v_fma_f64 v[12:13], -v[6:7], v[8:9], 1.0
	v_fmac_f64_e32 v[8:9], v[8:9], v[12:13]
	v_mul_f64 v[12:13], v[10:11], v[8:9]
	v_fma_f64 v[6:7], -v[6:7], v[12:13], v[10:11]
	v_div_fmas_f64 v[6:7], v[6:7], v[8:9], v[12:13]
	v_div_fixup_f64 v[8:9], v[6:7], v[2:3], v[4:5]
	v_fmac_f64_e32 v[2:3], v[4:5], v[8:9]
	v_div_scale_f64 v[4:5], s[8:9], v[2:3], v[2:3], 1.0
	v_rcp_f64_e32 v[6:7], v[4:5]
	s_nop 0
	v_fma_f64 v[10:11], -v[4:5], v[6:7], 1.0
	v_fmac_f64_e32 v[6:7], v[6:7], v[10:11]
	v_fma_f64 v[10:11], -v[4:5], v[6:7], 1.0
	v_fmac_f64_e32 v[6:7], v[6:7], v[10:11]
	v_div_scale_f64 v[10:11], vcc, 1.0, v[2:3], 1.0
	v_mul_f64 v[12:13], v[10:11], v[6:7]
	v_fma_f64 v[4:5], -v[4:5], v[12:13], v[10:11]
	s_nop 1
	v_div_fmas_f64 v[4:5], v[4:5], v[6:7], v[12:13]
	v_div_fixup_f64 v[6:7], v[4:5], v[2:3], 1.0
	v_xor_b32_e32 v11, 0x80000000, v7
	v_mov_b32_e32 v10, v6
	v_mul_f64 v[8:9], v[8:9], -v[6:7]
.LBB80_17:
	s_or_b64 exec, exec, s[6:7]
	scratch_store_dwordx4 v15, v[6:9], off
	scratch_load_dwordx4 v[2:5], off, s34
	v_xor_b32_e32 v13, 0x80000000, v9
	v_mov_b32_e32 v12, v8
	v_add_u32_e32 v6, 0x110, v14
	ds_write_b128 v14, v[10:13]
	s_waitcnt vmcnt(0)
	ds_write_b128 v14, v[2:5] offset:272
	s_waitcnt lgkmcnt(0)
	; wave barrier
	s_and_saveexec_b64 s[6:7], s[2:3]
	s_cbranch_execz .LBB80_19
; %bb.18:
	scratch_load_dwordx4 v[2:5], v15, off
	ds_read_b128 v[8:11], v6
	v_mov_b32_e32 v7, 0
	ds_read_b128 v[16:19], v7 offset:16
	s_waitcnt vmcnt(0) lgkmcnt(1)
	v_mul_f64 v[12:13], v[10:11], v[4:5]
	v_mul_f64 v[4:5], v[8:9], v[4:5]
	v_fma_f64 v[8:9], v[8:9], v[2:3], -v[12:13]
	v_fmac_f64_e32 v[4:5], v[10:11], v[2:3]
	v_add_f64 v[2:3], v[8:9], 0
	v_add_f64 v[8:9], v[4:5], 0
	s_waitcnt lgkmcnt(0)
	v_mul_f64 v[10:11], v[8:9], v[18:19]
	v_mul_f64 v[4:5], v[2:3], v[18:19]
	v_fma_f64 v[2:3], v[2:3], v[16:17], -v[10:11]
	v_fmac_f64_e32 v[4:5], v[8:9], v[16:17]
	scratch_store_dwordx4 off, v[2:5], off offset:16
.LBB80_19:
	s_or_b64 exec, exec, s[6:7]
	; wave barrier
	scratch_load_dwordx4 v[2:5], off, s33
	v_cmp_gt_u32_e32 vcc, 2, v1
	s_waitcnt vmcnt(0)
	ds_write_b128 v6, v[2:5]
	s_waitcnt lgkmcnt(0)
	; wave barrier
	s_and_saveexec_b64 s[6:7], vcc
	s_cbranch_execz .LBB80_23
; %bb.20:
	scratch_load_dwordx4 v[2:5], v15, off
	ds_read_b128 v[8:11], v6
	s_waitcnt vmcnt(0) lgkmcnt(0)
	v_mul_f64 v[12:13], v[10:11], v[4:5]
	v_mul_f64 v[16:17], v[8:9], v[4:5]
	v_fma_f64 v[4:5], v[8:9], v[2:3], -v[12:13]
	v_fmac_f64_e32 v[16:17], v[10:11], v[2:3]
	v_add_f64 v[4:5], v[4:5], 0
	v_add_f64 v[2:3], v[16:17], 0
	s_and_saveexec_b64 s[8:9], s[2:3]
	s_cbranch_execz .LBB80_22
; %bb.21:
	scratch_load_dwordx4 v[8:11], off, off offset:16
	v_mov_b32_e32 v7, 0
	ds_read_b128 v[16:19], v7 offset:288
	s_waitcnt vmcnt(0) lgkmcnt(0)
	v_mul_f64 v[12:13], v[16:17], v[10:11]
	v_mul_f64 v[10:11], v[18:19], v[10:11]
	v_fmac_f64_e32 v[12:13], v[18:19], v[8:9]
	v_fma_f64 v[8:9], v[16:17], v[8:9], -v[10:11]
	v_add_f64 v[2:3], v[2:3], v[12:13]
	v_add_f64 v[4:5], v[4:5], v[8:9]
.LBB80_22:
	s_or_b64 exec, exec, s[8:9]
	v_mov_b32_e32 v7, 0
	ds_read_b128 v[8:11], v7 offset:32
	s_waitcnt lgkmcnt(0)
	v_mul_f64 v[16:17], v[2:3], v[10:11]
	v_mul_f64 v[12:13], v[4:5], v[10:11]
	v_fma_f64 v[10:11], v[4:5], v[8:9], -v[16:17]
	v_fmac_f64_e32 v[12:13], v[2:3], v[8:9]
	scratch_store_dwordx4 off, v[10:13], off offset:32
.LBB80_23:
	s_or_b64 exec, exec, s[6:7]
	; wave barrier
	scratch_load_dwordx4 v[2:5], off, s31
	v_cmp_gt_u32_e32 vcc, 3, v1
	v_add_u32_e32 v7, -1, v1
	s_waitcnt vmcnt(0)
	ds_write_b128 v6, v[2:5]
	s_waitcnt lgkmcnt(0)
	; wave barrier
	s_and_saveexec_b64 s[2:3], vcc
	s_cbranch_execz .LBB80_27
; %bb.24:
	v_add_u32_e32 v8, -1, v1
	v_add_u32_e32 v9, 0x110, v14
	v_mov_b32_e32 v10, v14
	v_mov_b64_e32 v[2:3], 0
	s_mov_b64 s[6:7], 0
	v_mov_b64_e32 v[4:5], 0
.LBB80_25:                              ; =>This Inner Loop Header: Depth=1
	scratch_load_dwordx4 v[16:19], v10, off
	ds_read_b128 v[20:23], v9
	v_add_u32_e32 v8, 1, v8
	v_cmp_lt_u32_e32 vcc, 1, v8
	v_add_u32_e32 v9, 16, v9
	v_add_u32_e32 v10, 16, v10
	s_or_b64 s[6:7], vcc, s[6:7]
	s_waitcnt vmcnt(0) lgkmcnt(0)
	v_mul_f64 v[12:13], v[22:23], v[18:19]
	v_mul_f64 v[18:19], v[20:21], v[18:19]
	v_fma_f64 v[12:13], v[20:21], v[16:17], -v[12:13]
	v_fmac_f64_e32 v[18:19], v[22:23], v[16:17]
	v_add_f64 v[4:5], v[4:5], v[12:13]
	v_add_f64 v[2:3], v[2:3], v[18:19]
	s_andn2_b64 exec, exec, s[6:7]
	s_cbranch_execnz .LBB80_25
; %bb.26:
	s_or_b64 exec, exec, s[6:7]
	v_mov_b32_e32 v8, 0
	ds_read_b128 v[8:11], v8 offset:48
	s_waitcnt lgkmcnt(0)
	v_mul_f64 v[16:17], v[2:3], v[10:11]
	v_mul_f64 v[12:13], v[4:5], v[10:11]
	v_fma_f64 v[10:11], v[4:5], v[8:9], -v[16:17]
	v_fmac_f64_e32 v[12:13], v[2:3], v[8:9]
	scratch_store_dwordx4 off, v[10:13], off offset:48
.LBB80_27:
	s_or_b64 exec, exec, s[2:3]
	; wave barrier
	scratch_load_dwordx4 v[2:5], off, s30
	v_cmp_gt_u32_e32 vcc, 4, v1
	s_waitcnt vmcnt(0)
	ds_write_b128 v6, v[2:5]
	s_waitcnt lgkmcnt(0)
	; wave barrier
	s_and_saveexec_b64 s[2:3], vcc
	s_cbranch_execz .LBB80_31
; %bb.28:
	v_add_u32_e32 v8, -1, v1
	v_add_u32_e32 v9, 0x110, v14
	v_mov_b32_e32 v10, v14
	v_mov_b64_e32 v[2:3], 0
	s_mov_b64 s[6:7], 0
	v_mov_b64_e32 v[4:5], 0
.LBB80_29:                              ; =>This Inner Loop Header: Depth=1
	scratch_load_dwordx4 v[16:19], v10, off
	ds_read_b128 v[20:23], v9
	v_add_u32_e32 v8, 1, v8
	v_cmp_lt_u32_e32 vcc, 2, v8
	v_add_u32_e32 v9, 16, v9
	v_add_u32_e32 v10, 16, v10
	s_or_b64 s[6:7], vcc, s[6:7]
	s_waitcnt vmcnt(0) lgkmcnt(0)
	v_mul_f64 v[12:13], v[22:23], v[18:19]
	v_mul_f64 v[18:19], v[20:21], v[18:19]
	v_fma_f64 v[12:13], v[20:21], v[16:17], -v[12:13]
	v_fmac_f64_e32 v[18:19], v[22:23], v[16:17]
	v_add_f64 v[4:5], v[4:5], v[12:13]
	v_add_f64 v[2:3], v[2:3], v[18:19]
	s_andn2_b64 exec, exec, s[6:7]
	s_cbranch_execnz .LBB80_29
; %bb.30:
	s_or_b64 exec, exec, s[6:7]
	v_mov_b32_e32 v8, 0
	ds_read_b128 v[8:11], v8 offset:64
	s_waitcnt lgkmcnt(0)
	v_mul_f64 v[16:17], v[2:3], v[10:11]
	v_mul_f64 v[12:13], v[4:5], v[10:11]
	v_fma_f64 v[10:11], v[4:5], v[8:9], -v[16:17]
	v_fmac_f64_e32 v[12:13], v[2:3], v[8:9]
	scratch_store_dwordx4 off, v[10:13], off offset:64
.LBB80_31:
	s_or_b64 exec, exec, s[2:3]
	; wave barrier
	scratch_load_dwordx4 v[2:5], off, s29
	v_cmp_gt_u32_e32 vcc, 5, v1
	s_waitcnt vmcnt(0)
	ds_write_b128 v6, v[2:5]
	s_waitcnt lgkmcnt(0)
	; wave barrier
	s_and_saveexec_b64 s[2:3], vcc
	s_cbranch_execz .LBB80_35
; %bb.32:
	v_add_u32_e32 v8, -1, v1
	v_add_u32_e32 v9, 0x110, v14
	v_mov_b32_e32 v10, v14
	v_mov_b64_e32 v[2:3], 0
	s_mov_b64 s[6:7], 0
	v_mov_b64_e32 v[4:5], 0
.LBB80_33:                              ; =>This Inner Loop Header: Depth=1
	scratch_load_dwordx4 v[16:19], v10, off
	ds_read_b128 v[20:23], v9
	v_add_u32_e32 v8, 1, v8
	v_cmp_lt_u32_e32 vcc, 3, v8
	v_add_u32_e32 v9, 16, v9
	v_add_u32_e32 v10, 16, v10
	s_or_b64 s[6:7], vcc, s[6:7]
	s_waitcnt vmcnt(0) lgkmcnt(0)
	v_mul_f64 v[12:13], v[22:23], v[18:19]
	v_mul_f64 v[18:19], v[20:21], v[18:19]
	v_fma_f64 v[12:13], v[20:21], v[16:17], -v[12:13]
	v_fmac_f64_e32 v[18:19], v[22:23], v[16:17]
	v_add_f64 v[4:5], v[4:5], v[12:13]
	v_add_f64 v[2:3], v[2:3], v[18:19]
	s_andn2_b64 exec, exec, s[6:7]
	s_cbranch_execnz .LBB80_33
; %bb.34:
	s_or_b64 exec, exec, s[6:7]
	v_mov_b32_e32 v8, 0
	ds_read_b128 v[8:11], v8 offset:80
	s_waitcnt lgkmcnt(0)
	v_mul_f64 v[16:17], v[2:3], v[10:11]
	v_mul_f64 v[12:13], v[4:5], v[10:11]
	v_fma_f64 v[10:11], v[4:5], v[8:9], -v[16:17]
	v_fmac_f64_e32 v[12:13], v[2:3], v[8:9]
	scratch_store_dwordx4 off, v[10:13], off offset:80
.LBB80_35:
	s_or_b64 exec, exec, s[2:3]
	; wave barrier
	scratch_load_dwordx4 v[2:5], off, s28
	v_cmp_gt_u32_e32 vcc, 6, v1
	s_waitcnt vmcnt(0)
	ds_write_b128 v6, v[2:5]
	s_waitcnt lgkmcnt(0)
	; wave barrier
	s_and_saveexec_b64 s[2:3], vcc
	s_cbranch_execz .LBB80_39
; %bb.36:
	v_add_u32_e32 v8, -1, v1
	v_add_u32_e32 v9, 0x110, v14
	v_mov_b32_e32 v10, v14
	v_mov_b64_e32 v[2:3], 0
	s_mov_b64 s[6:7], 0
	v_mov_b64_e32 v[4:5], 0
.LBB80_37:                              ; =>This Inner Loop Header: Depth=1
	scratch_load_dwordx4 v[16:19], v10, off
	ds_read_b128 v[20:23], v9
	v_add_u32_e32 v8, 1, v8
	v_cmp_lt_u32_e32 vcc, 4, v8
	v_add_u32_e32 v9, 16, v9
	v_add_u32_e32 v10, 16, v10
	s_or_b64 s[6:7], vcc, s[6:7]
	s_waitcnt vmcnt(0) lgkmcnt(0)
	v_mul_f64 v[12:13], v[22:23], v[18:19]
	v_mul_f64 v[18:19], v[20:21], v[18:19]
	v_fma_f64 v[12:13], v[20:21], v[16:17], -v[12:13]
	v_fmac_f64_e32 v[18:19], v[22:23], v[16:17]
	v_add_f64 v[4:5], v[4:5], v[12:13]
	v_add_f64 v[2:3], v[2:3], v[18:19]
	s_andn2_b64 exec, exec, s[6:7]
	s_cbranch_execnz .LBB80_37
; %bb.38:
	s_or_b64 exec, exec, s[6:7]
	v_mov_b32_e32 v8, 0
	ds_read_b128 v[8:11], v8 offset:96
	s_waitcnt lgkmcnt(0)
	v_mul_f64 v[16:17], v[2:3], v[10:11]
	v_mul_f64 v[12:13], v[4:5], v[10:11]
	v_fma_f64 v[10:11], v[4:5], v[8:9], -v[16:17]
	v_fmac_f64_e32 v[12:13], v[2:3], v[8:9]
	scratch_store_dwordx4 off, v[10:13], off offset:96
.LBB80_39:
	s_or_b64 exec, exec, s[2:3]
	; wave barrier
	scratch_load_dwordx4 v[2:5], off, s27
	v_cmp_gt_u32_e32 vcc, 7, v1
	s_waitcnt vmcnt(0)
	ds_write_b128 v6, v[2:5]
	s_waitcnt lgkmcnt(0)
	; wave barrier
	s_and_saveexec_b64 s[2:3], vcc
	s_cbranch_execz .LBB80_43
; %bb.40:
	v_add_u32_e32 v8, -1, v1
	v_add_u32_e32 v9, 0x110, v14
	v_mov_b32_e32 v10, v14
	v_mov_b64_e32 v[2:3], 0
	s_mov_b64 s[6:7], 0
	v_mov_b64_e32 v[4:5], 0
.LBB80_41:                              ; =>This Inner Loop Header: Depth=1
	scratch_load_dwordx4 v[16:19], v10, off
	ds_read_b128 v[20:23], v9
	v_add_u32_e32 v8, 1, v8
	v_cmp_lt_u32_e32 vcc, 5, v8
	v_add_u32_e32 v9, 16, v9
	v_add_u32_e32 v10, 16, v10
	s_or_b64 s[6:7], vcc, s[6:7]
	s_waitcnt vmcnt(0) lgkmcnt(0)
	v_mul_f64 v[12:13], v[22:23], v[18:19]
	v_mul_f64 v[18:19], v[20:21], v[18:19]
	v_fma_f64 v[12:13], v[20:21], v[16:17], -v[12:13]
	v_fmac_f64_e32 v[18:19], v[22:23], v[16:17]
	v_add_f64 v[4:5], v[4:5], v[12:13]
	v_add_f64 v[2:3], v[2:3], v[18:19]
	s_andn2_b64 exec, exec, s[6:7]
	s_cbranch_execnz .LBB80_41
; %bb.42:
	s_or_b64 exec, exec, s[6:7]
	v_mov_b32_e32 v8, 0
	ds_read_b128 v[8:11], v8 offset:112
	s_waitcnt lgkmcnt(0)
	v_mul_f64 v[16:17], v[2:3], v[10:11]
	v_mul_f64 v[12:13], v[4:5], v[10:11]
	v_fma_f64 v[10:11], v[4:5], v[8:9], -v[16:17]
	v_fmac_f64_e32 v[12:13], v[2:3], v[8:9]
	scratch_store_dwordx4 off, v[10:13], off offset:112
.LBB80_43:
	s_or_b64 exec, exec, s[2:3]
	; wave barrier
	scratch_load_dwordx4 v[2:5], off, s26
	v_cmp_gt_u32_e32 vcc, 8, v1
	s_waitcnt vmcnt(0)
	ds_write_b128 v6, v[2:5]
	s_waitcnt lgkmcnt(0)
	; wave barrier
	s_and_saveexec_b64 s[2:3], vcc
	s_cbranch_execz .LBB80_47
; %bb.44:
	v_add_u32_e32 v8, -1, v1
	v_add_u32_e32 v9, 0x110, v14
	v_mov_b32_e32 v10, v14
	v_mov_b64_e32 v[2:3], 0
	s_mov_b64 s[6:7], 0
	v_mov_b64_e32 v[4:5], 0
.LBB80_45:                              ; =>This Inner Loop Header: Depth=1
	scratch_load_dwordx4 v[16:19], v10, off
	ds_read_b128 v[20:23], v9
	v_add_u32_e32 v8, 1, v8
	v_cmp_lt_u32_e32 vcc, 6, v8
	v_add_u32_e32 v9, 16, v9
	v_add_u32_e32 v10, 16, v10
	s_or_b64 s[6:7], vcc, s[6:7]
	s_waitcnt vmcnt(0) lgkmcnt(0)
	v_mul_f64 v[12:13], v[22:23], v[18:19]
	v_mul_f64 v[18:19], v[20:21], v[18:19]
	v_fma_f64 v[12:13], v[20:21], v[16:17], -v[12:13]
	v_fmac_f64_e32 v[18:19], v[22:23], v[16:17]
	v_add_f64 v[4:5], v[4:5], v[12:13]
	v_add_f64 v[2:3], v[2:3], v[18:19]
	s_andn2_b64 exec, exec, s[6:7]
	s_cbranch_execnz .LBB80_45
; %bb.46:
	s_or_b64 exec, exec, s[6:7]
	v_mov_b32_e32 v8, 0
	ds_read_b128 v[8:11], v8 offset:128
	s_waitcnt lgkmcnt(0)
	v_mul_f64 v[16:17], v[2:3], v[10:11]
	v_mul_f64 v[12:13], v[4:5], v[10:11]
	v_fma_f64 v[10:11], v[4:5], v[8:9], -v[16:17]
	v_fmac_f64_e32 v[12:13], v[2:3], v[8:9]
	scratch_store_dwordx4 off, v[10:13], off offset:128
.LBB80_47:
	s_or_b64 exec, exec, s[2:3]
	; wave barrier
	scratch_load_dwordx4 v[2:5], off, s25
	v_cmp_gt_u32_e32 vcc, 9, v1
	s_waitcnt vmcnt(0)
	ds_write_b128 v6, v[2:5]
	s_waitcnt lgkmcnt(0)
	; wave barrier
	s_and_saveexec_b64 s[2:3], vcc
	s_cbranch_execz .LBB80_51
; %bb.48:
	v_add_u32_e32 v8, -1, v1
	v_add_u32_e32 v9, 0x110, v14
	v_mov_b32_e32 v10, v14
	v_mov_b64_e32 v[2:3], 0
	s_mov_b64 s[6:7], 0
	v_mov_b64_e32 v[4:5], 0
.LBB80_49:                              ; =>This Inner Loop Header: Depth=1
	scratch_load_dwordx4 v[16:19], v10, off
	ds_read_b128 v[20:23], v9
	v_add_u32_e32 v8, 1, v8
	v_cmp_lt_u32_e32 vcc, 7, v8
	v_add_u32_e32 v9, 16, v9
	v_add_u32_e32 v10, 16, v10
	s_or_b64 s[6:7], vcc, s[6:7]
	s_waitcnt vmcnt(0) lgkmcnt(0)
	v_mul_f64 v[12:13], v[22:23], v[18:19]
	v_mul_f64 v[18:19], v[20:21], v[18:19]
	v_fma_f64 v[12:13], v[20:21], v[16:17], -v[12:13]
	v_fmac_f64_e32 v[18:19], v[22:23], v[16:17]
	v_add_f64 v[4:5], v[4:5], v[12:13]
	v_add_f64 v[2:3], v[2:3], v[18:19]
	s_andn2_b64 exec, exec, s[6:7]
	s_cbranch_execnz .LBB80_49
; %bb.50:
	s_or_b64 exec, exec, s[6:7]
	v_mov_b32_e32 v8, 0
	ds_read_b128 v[8:11], v8 offset:144
	s_waitcnt lgkmcnt(0)
	v_mul_f64 v[16:17], v[2:3], v[10:11]
	v_mul_f64 v[12:13], v[4:5], v[10:11]
	v_fma_f64 v[10:11], v[4:5], v[8:9], -v[16:17]
	v_fmac_f64_e32 v[12:13], v[2:3], v[8:9]
	scratch_store_dwordx4 off, v[10:13], off offset:144
.LBB80_51:
	s_or_b64 exec, exec, s[2:3]
	; wave barrier
	scratch_load_dwordx4 v[2:5], off, s24
	v_cmp_gt_u32_e32 vcc, 10, v1
	s_waitcnt vmcnt(0)
	ds_write_b128 v6, v[2:5]
	s_waitcnt lgkmcnt(0)
	; wave barrier
	s_and_saveexec_b64 s[2:3], vcc
	s_cbranch_execz .LBB80_55
; %bb.52:
	v_add_u32_e32 v8, -1, v1
	v_add_u32_e32 v9, 0x110, v14
	v_mov_b32_e32 v10, v14
	v_mov_b64_e32 v[2:3], 0
	s_mov_b64 s[6:7], 0
	v_mov_b64_e32 v[4:5], 0
.LBB80_53:                              ; =>This Inner Loop Header: Depth=1
	scratch_load_dwordx4 v[16:19], v10, off
	ds_read_b128 v[20:23], v9
	v_add_u32_e32 v8, 1, v8
	v_cmp_lt_u32_e32 vcc, 8, v8
	v_add_u32_e32 v9, 16, v9
	v_add_u32_e32 v10, 16, v10
	s_or_b64 s[6:7], vcc, s[6:7]
	s_waitcnt vmcnt(0) lgkmcnt(0)
	v_mul_f64 v[12:13], v[22:23], v[18:19]
	v_mul_f64 v[18:19], v[20:21], v[18:19]
	v_fma_f64 v[12:13], v[20:21], v[16:17], -v[12:13]
	v_fmac_f64_e32 v[18:19], v[22:23], v[16:17]
	v_add_f64 v[4:5], v[4:5], v[12:13]
	v_add_f64 v[2:3], v[2:3], v[18:19]
	s_andn2_b64 exec, exec, s[6:7]
	s_cbranch_execnz .LBB80_53
; %bb.54:
	s_or_b64 exec, exec, s[6:7]
	v_mov_b32_e32 v8, 0
	ds_read_b128 v[8:11], v8 offset:160
	s_waitcnt lgkmcnt(0)
	v_mul_f64 v[16:17], v[2:3], v[10:11]
	v_mul_f64 v[12:13], v[4:5], v[10:11]
	v_fma_f64 v[10:11], v[4:5], v[8:9], -v[16:17]
	v_fmac_f64_e32 v[12:13], v[2:3], v[8:9]
	scratch_store_dwordx4 off, v[10:13], off offset:160
.LBB80_55:
	s_or_b64 exec, exec, s[2:3]
	; wave barrier
	scratch_load_dwordx4 v[2:5], off, s23
	v_cmp_gt_u32_e32 vcc, 11, v1
	s_waitcnt vmcnt(0)
	ds_write_b128 v6, v[2:5]
	s_waitcnt lgkmcnt(0)
	; wave barrier
	s_and_saveexec_b64 s[2:3], vcc
	s_cbranch_execz .LBB80_59
; %bb.56:
	v_add_u32_e32 v8, -1, v1
	v_add_u32_e32 v9, 0x110, v14
	v_mov_b32_e32 v10, v14
	v_mov_b64_e32 v[2:3], 0
	s_mov_b64 s[6:7], 0
	v_mov_b64_e32 v[4:5], 0
.LBB80_57:                              ; =>This Inner Loop Header: Depth=1
	scratch_load_dwordx4 v[16:19], v10, off
	ds_read_b128 v[20:23], v9
	v_add_u32_e32 v8, 1, v8
	v_cmp_lt_u32_e32 vcc, 9, v8
	v_add_u32_e32 v9, 16, v9
	v_add_u32_e32 v10, 16, v10
	s_or_b64 s[6:7], vcc, s[6:7]
	s_waitcnt vmcnt(0) lgkmcnt(0)
	v_mul_f64 v[12:13], v[22:23], v[18:19]
	v_mul_f64 v[18:19], v[20:21], v[18:19]
	v_fma_f64 v[12:13], v[20:21], v[16:17], -v[12:13]
	v_fmac_f64_e32 v[18:19], v[22:23], v[16:17]
	v_add_f64 v[4:5], v[4:5], v[12:13]
	v_add_f64 v[2:3], v[2:3], v[18:19]
	s_andn2_b64 exec, exec, s[6:7]
	s_cbranch_execnz .LBB80_57
; %bb.58:
	s_or_b64 exec, exec, s[6:7]
	v_mov_b32_e32 v8, 0
	ds_read_b128 v[8:11], v8 offset:176
	s_waitcnt lgkmcnt(0)
	v_mul_f64 v[16:17], v[2:3], v[10:11]
	v_mul_f64 v[12:13], v[4:5], v[10:11]
	v_fma_f64 v[10:11], v[4:5], v[8:9], -v[16:17]
	v_fmac_f64_e32 v[12:13], v[2:3], v[8:9]
	scratch_store_dwordx4 off, v[10:13], off offset:176
.LBB80_59:
	s_or_b64 exec, exec, s[2:3]
	; wave barrier
	scratch_load_dwordx4 v[2:5], off, s22
	v_cmp_gt_u32_e32 vcc, 12, v1
	s_waitcnt vmcnt(0)
	ds_write_b128 v6, v[2:5]
	s_waitcnt lgkmcnt(0)
	; wave barrier
	s_and_saveexec_b64 s[2:3], vcc
	s_cbranch_execz .LBB80_63
; %bb.60:
	v_add_u32_e32 v8, -1, v1
	v_add_u32_e32 v9, 0x110, v14
	v_mov_b32_e32 v10, v14
	v_mov_b64_e32 v[2:3], 0
	s_mov_b64 s[6:7], 0
	v_mov_b64_e32 v[4:5], 0
.LBB80_61:                              ; =>This Inner Loop Header: Depth=1
	scratch_load_dwordx4 v[16:19], v10, off
	ds_read_b128 v[20:23], v9
	v_add_u32_e32 v8, 1, v8
	v_cmp_lt_u32_e32 vcc, 10, v8
	v_add_u32_e32 v9, 16, v9
	v_add_u32_e32 v10, 16, v10
	s_or_b64 s[6:7], vcc, s[6:7]
	s_waitcnt vmcnt(0) lgkmcnt(0)
	v_mul_f64 v[12:13], v[22:23], v[18:19]
	v_mul_f64 v[18:19], v[20:21], v[18:19]
	v_fma_f64 v[12:13], v[20:21], v[16:17], -v[12:13]
	v_fmac_f64_e32 v[18:19], v[22:23], v[16:17]
	v_add_f64 v[4:5], v[4:5], v[12:13]
	v_add_f64 v[2:3], v[2:3], v[18:19]
	s_andn2_b64 exec, exec, s[6:7]
	s_cbranch_execnz .LBB80_61
; %bb.62:
	s_or_b64 exec, exec, s[6:7]
	v_mov_b32_e32 v8, 0
	ds_read_b128 v[8:11], v8 offset:192
	s_waitcnt lgkmcnt(0)
	v_mul_f64 v[16:17], v[2:3], v[10:11]
	v_mul_f64 v[12:13], v[4:5], v[10:11]
	v_fma_f64 v[10:11], v[4:5], v[8:9], -v[16:17]
	v_fmac_f64_e32 v[12:13], v[2:3], v[8:9]
	scratch_store_dwordx4 off, v[10:13], off offset:192
.LBB80_63:
	s_or_b64 exec, exec, s[2:3]
	; wave barrier
	scratch_load_dwordx4 v[2:5], off, s21
	v_cmp_gt_u32_e32 vcc, 13, v1
	s_waitcnt vmcnt(0)
	ds_write_b128 v6, v[2:5]
	s_waitcnt lgkmcnt(0)
	; wave barrier
	s_and_saveexec_b64 s[2:3], vcc
	s_cbranch_execz .LBB80_67
; %bb.64:
	v_add_u32_e32 v8, -1, v1
	v_add_u32_e32 v9, 0x110, v14
	v_mov_b32_e32 v10, v14
	v_mov_b64_e32 v[2:3], 0
	s_mov_b64 s[6:7], 0
	v_mov_b64_e32 v[4:5], 0
.LBB80_65:                              ; =>This Inner Loop Header: Depth=1
	scratch_load_dwordx4 v[16:19], v10, off
	ds_read_b128 v[20:23], v9
	v_add_u32_e32 v8, 1, v8
	v_cmp_lt_u32_e32 vcc, 11, v8
	v_add_u32_e32 v9, 16, v9
	v_add_u32_e32 v10, 16, v10
	s_or_b64 s[6:7], vcc, s[6:7]
	s_waitcnt vmcnt(0) lgkmcnt(0)
	v_mul_f64 v[12:13], v[22:23], v[18:19]
	v_mul_f64 v[18:19], v[20:21], v[18:19]
	v_fma_f64 v[12:13], v[20:21], v[16:17], -v[12:13]
	v_fmac_f64_e32 v[18:19], v[22:23], v[16:17]
	v_add_f64 v[4:5], v[4:5], v[12:13]
	v_add_f64 v[2:3], v[2:3], v[18:19]
	s_andn2_b64 exec, exec, s[6:7]
	s_cbranch_execnz .LBB80_65
; %bb.66:
	s_or_b64 exec, exec, s[6:7]
	v_mov_b32_e32 v8, 0
	ds_read_b128 v[8:11], v8 offset:208
	s_waitcnt lgkmcnt(0)
	v_mul_f64 v[16:17], v[2:3], v[10:11]
	v_mul_f64 v[12:13], v[4:5], v[10:11]
	v_fma_f64 v[10:11], v[4:5], v[8:9], -v[16:17]
	v_fmac_f64_e32 v[12:13], v[2:3], v[8:9]
	scratch_store_dwordx4 off, v[10:13], off offset:208
.LBB80_67:
	s_or_b64 exec, exec, s[2:3]
	; wave barrier
	scratch_load_dwordx4 v[2:5], off, s20
	v_cmp_gt_u32_e32 vcc, 14, v1
	s_waitcnt vmcnt(0)
	ds_write_b128 v6, v[2:5]
	s_waitcnt lgkmcnt(0)
	; wave barrier
	s_and_saveexec_b64 s[2:3], vcc
	s_cbranch_execz .LBB80_71
; %bb.68:
	v_add_u32_e32 v8, -1, v1
	v_add_u32_e32 v9, 0x110, v14
	v_mov_b32_e32 v10, v14
	v_mov_b64_e32 v[2:3], 0
	s_mov_b64 s[6:7], 0
	v_mov_b64_e32 v[4:5], 0
.LBB80_69:                              ; =>This Inner Loop Header: Depth=1
	scratch_load_dwordx4 v[16:19], v10, off
	ds_read_b128 v[20:23], v9
	v_add_u32_e32 v8, 1, v8
	v_cmp_lt_u32_e32 vcc, 12, v8
	v_add_u32_e32 v9, 16, v9
	v_add_u32_e32 v10, 16, v10
	s_or_b64 s[6:7], vcc, s[6:7]
	s_waitcnt vmcnt(0) lgkmcnt(0)
	v_mul_f64 v[12:13], v[22:23], v[18:19]
	v_mul_f64 v[18:19], v[20:21], v[18:19]
	v_fma_f64 v[12:13], v[20:21], v[16:17], -v[12:13]
	v_fmac_f64_e32 v[18:19], v[22:23], v[16:17]
	v_add_f64 v[4:5], v[4:5], v[12:13]
	v_add_f64 v[2:3], v[2:3], v[18:19]
	s_andn2_b64 exec, exec, s[6:7]
	s_cbranch_execnz .LBB80_69
; %bb.70:
	s_or_b64 exec, exec, s[6:7]
	v_mov_b32_e32 v8, 0
	ds_read_b128 v[8:11], v8 offset:224
	s_waitcnt lgkmcnt(0)
	v_mul_f64 v[16:17], v[2:3], v[10:11]
	v_mul_f64 v[12:13], v[4:5], v[10:11]
	v_fma_f64 v[10:11], v[4:5], v[8:9], -v[16:17]
	v_fmac_f64_e32 v[12:13], v[2:3], v[8:9]
	scratch_store_dwordx4 off, v[10:13], off offset:224
.LBB80_71:
	s_or_b64 exec, exec, s[2:3]
	; wave barrier
	scratch_load_dwordx4 v[2:5], off, s19
	v_cmp_gt_u32_e32 vcc, 15, v1
	s_waitcnt vmcnt(0)
	ds_write_b128 v6, v[2:5]
	s_waitcnt lgkmcnt(0)
	; wave barrier
	s_and_saveexec_b64 s[2:3], vcc
	s_cbranch_execz .LBB80_75
; %bb.72:
	v_add_u32_e32 v8, -1, v1
	v_add_u32_e32 v9, 0x110, v14
	v_mov_b32_e32 v10, v14
	v_mov_b64_e32 v[2:3], 0
	s_mov_b64 s[6:7], 0
	v_mov_b64_e32 v[4:5], 0
.LBB80_73:                              ; =>This Inner Loop Header: Depth=1
	scratch_load_dwordx4 v[16:19], v10, off
	ds_read_b128 v[20:23], v9
	v_add_u32_e32 v8, 1, v8
	v_cmp_lt_u32_e32 vcc, 13, v8
	v_add_u32_e32 v9, 16, v9
	v_add_u32_e32 v10, 16, v10
	s_or_b64 s[6:7], vcc, s[6:7]
	s_waitcnt vmcnt(0) lgkmcnt(0)
	v_mul_f64 v[12:13], v[22:23], v[18:19]
	v_mul_f64 v[18:19], v[20:21], v[18:19]
	v_fma_f64 v[12:13], v[20:21], v[16:17], -v[12:13]
	v_fmac_f64_e32 v[18:19], v[22:23], v[16:17]
	v_add_f64 v[4:5], v[4:5], v[12:13]
	v_add_f64 v[2:3], v[2:3], v[18:19]
	s_andn2_b64 exec, exec, s[6:7]
	s_cbranch_execnz .LBB80_73
; %bb.74:
	s_or_b64 exec, exec, s[6:7]
	v_mov_b32_e32 v8, 0
	ds_read_b128 v[8:11], v8 offset:240
	s_waitcnt lgkmcnt(0)
	v_mul_f64 v[16:17], v[2:3], v[10:11]
	v_mul_f64 v[12:13], v[4:5], v[10:11]
	v_fma_f64 v[10:11], v[4:5], v[8:9], -v[16:17]
	v_fmac_f64_e32 v[12:13], v[2:3], v[8:9]
	scratch_store_dwordx4 off, v[10:13], off offset:240
.LBB80_75:
	s_or_b64 exec, exec, s[2:3]
	; wave barrier
	scratch_load_dwordx4 v[2:5], off, s18
	v_cmp_ne_u32_e32 vcc, 16, v1
	s_waitcnt vmcnt(0)
	ds_write_b128 v6, v[2:5]
	s_waitcnt lgkmcnt(0)
	; wave barrier
	s_and_saveexec_b64 s[2:3], vcc
	s_cbranch_execz .LBB80_79
; %bb.76:
	v_add_u32_e32 v6, 0x110, v14
	v_mov_b32_e32 v8, v14
	v_mov_b64_e32 v[2:3], 0
	s_mov_b64 s[6:7], 0
	v_mov_b64_e32 v[4:5], 0
.LBB80_77:                              ; =>This Inner Loop Header: Depth=1
	scratch_load_dwordx4 v[10:13], v8, off
	ds_read_b128 v[14:17], v6
	v_add_u32_e32 v7, 1, v7
	v_cmp_lt_u32_e32 vcc, 14, v7
	v_add_u32_e32 v6, 16, v6
	v_add_u32_e32 v8, 16, v8
	s_or_b64 s[6:7], vcc, s[6:7]
	s_waitcnt vmcnt(0) lgkmcnt(0)
	v_mul_f64 v[18:19], v[16:17], v[12:13]
	v_mul_f64 v[12:13], v[14:15], v[12:13]
	v_fma_f64 v[14:15], v[14:15], v[10:11], -v[18:19]
	v_fmac_f64_e32 v[12:13], v[16:17], v[10:11]
	v_add_f64 v[4:5], v[4:5], v[14:15]
	v_add_f64 v[2:3], v[2:3], v[12:13]
	s_andn2_b64 exec, exec, s[6:7]
	s_cbranch_execnz .LBB80_77
; %bb.78:
	s_or_b64 exec, exec, s[6:7]
	v_mov_b32_e32 v6, 0
	ds_read_b128 v[6:9], v6 offset:256
	s_waitcnt lgkmcnt(0)
	v_mul_f64 v[12:13], v[2:3], v[8:9]
	v_mul_f64 v[10:11], v[4:5], v[8:9]
	v_fma_f64 v[8:9], v[4:5], v[6:7], -v[12:13]
	v_fmac_f64_e32 v[10:11], v[2:3], v[6:7]
	scratch_store_dwordx4 off, v[8:11], off offset:256
.LBB80_79:
	s_or_b64 exec, exec, s[2:3]
	s_mov_b64 s[6:7], -1
	; wave barrier
.LBB80_80:
	s_and_b64 vcc, exec, s[6:7]
	s_cbranch_vccz .LBB80_82
; %bb.81:
	s_lshl_b64 s[2:3], s[4:5], 2
	s_add_u32 s2, s10, s2
	s_addc_u32 s3, s11, s3
	v_mov_b32_e32 v2, 0
	global_load_dword v2, v2, s[2:3]
	s_waitcnt vmcnt(0)
	v_cmp_ne_u32_e32 vcc, 0, v2
	s_cbranch_vccz .LBB80_83
.LBB80_82:
	s_endpgm
.LBB80_83:
	v_mov_b32_e32 v2, 0x110
	v_lshl_add_u32 v82, v1, 4, v2
	v_cmp_eq_u32_e32 vcc, 16, v1
	s_and_saveexec_b64 s[2:3], vcc
	s_cbranch_execz .LBB80_85
; %bb.84:
	scratch_load_dwordx4 v[2:5], off, s19
	v_mov_b32_e32 v6, 0
	v_mov_b32_e32 v7, v6
	;; [unrolled: 1-line block ×4, first 2 shown]
	scratch_store_dwordx4 off, v[6:9], off offset:240
	s_waitcnt vmcnt(1)
	ds_write_b128 v82, v[2:5]
.LBB80_85:
	s_or_b64 exec, exec, s[2:3]
	s_waitcnt lgkmcnt(0)
	; wave barrier
	scratch_load_dwordx4 v[4:7], off, off offset:256
	scratch_load_dwordx4 v[8:11], off, off offset:240
	v_mov_b32_e32 v2, 0
	ds_read_b128 v[12:15], v2 offset:528
	v_cmp_lt_u32_e32 vcc, 14, v1
	s_waitcnt vmcnt(1) lgkmcnt(0)
	v_mul_f64 v[16:17], v[12:13], v[6:7]
	v_mul_f64 v[6:7], v[14:15], v[6:7]
	v_fmac_f64_e32 v[16:17], v[14:15], v[4:5]
	v_fma_f64 v[4:5], v[12:13], v[4:5], -v[6:7]
	v_add_f64 v[6:7], v[16:17], 0
	v_add_f64 v[4:5], v[4:5], 0
	s_waitcnt vmcnt(0)
	v_add_f64 v[4:5], v[8:9], -v[4:5]
	v_add_f64 v[6:7], v[10:11], -v[6:7]
	scratch_store_dwordx4 off, v[4:7], off offset:240
	s_and_saveexec_b64 s[2:3], vcc
	s_cbranch_execz .LBB80_87
; %bb.86:
	scratch_load_dwordx4 v[6:9], off, s20
	v_mov_b32_e32 v3, v2
	v_mov_b32_e32 v4, v2
	v_mov_b32_e32 v5, v2
	scratch_store_dwordx4 off, v[2:5], off offset:224
	s_waitcnt vmcnt(1)
	ds_write_b128 v82, v[6:9]
.LBB80_87:
	s_or_b64 exec, exec, s[2:3]
	s_waitcnt lgkmcnt(0)
	; wave barrier
	scratch_load_dwordx4 v[4:7], off, off offset:240
	scratch_load_dwordx4 v[8:11], off, off offset:256
	;; [unrolled: 1-line block ×3, first 2 shown]
	ds_read_b128 v[16:19], v2 offset:512
	ds_read_b128 v[20:23], v2 offset:528
	v_cmp_lt_u32_e32 vcc, 13, v1
	s_waitcnt vmcnt(2) lgkmcnt(1)
	v_mul_f64 v[2:3], v[16:17], v[6:7]
	v_mul_f64 v[6:7], v[18:19], v[6:7]
	s_waitcnt vmcnt(1) lgkmcnt(0)
	v_mul_f64 v[24:25], v[20:21], v[10:11]
	v_mul_f64 v[10:11], v[22:23], v[10:11]
	v_fmac_f64_e32 v[2:3], v[18:19], v[4:5]
	v_fma_f64 v[4:5], v[16:17], v[4:5], -v[6:7]
	v_fmac_f64_e32 v[24:25], v[22:23], v[8:9]
	v_fma_f64 v[6:7], v[20:21], v[8:9], -v[10:11]
	v_add_f64 v[2:3], v[2:3], 0
	v_add_f64 v[4:5], v[4:5], 0
	;; [unrolled: 1-line block ×4, first 2 shown]
	s_waitcnt vmcnt(0)
	v_add_f64 v[2:3], v[12:13], -v[2:3]
	v_add_f64 v[4:5], v[14:15], -v[8:9]
	scratch_store_dwordx4 off, v[2:5], off offset:224
	s_and_saveexec_b64 s[2:3], vcc
	s_cbranch_execz .LBB80_89
; %bb.88:
	scratch_load_dwordx4 v[2:5], off, s21
	v_mov_b32_e32 v6, 0
	v_mov_b32_e32 v7, v6
	;; [unrolled: 1-line block ×4, first 2 shown]
	scratch_store_dwordx4 off, v[6:9], off offset:208
	s_waitcnt vmcnt(1)
	ds_write_b128 v82, v[2:5]
.LBB80_89:
	s_or_b64 exec, exec, s[2:3]
	s_waitcnt lgkmcnt(0)
	; wave barrier
	scratch_load_dwordx4 v[4:7], off, off offset:224
	scratch_load_dwordx4 v[8:11], off, off offset:240
	scratch_load_dwordx4 v[12:15], off, off offset:256
	scratch_load_dwordx4 v[16:19], off, off offset:208
	v_mov_b32_e32 v2, 0
	ds_read_b128 v[20:23], v2 offset:496
	ds_read_b128 v[24:27], v2 offset:512
	;; [unrolled: 1-line block ×3, first 2 shown]
	v_cmp_lt_u32_e32 vcc, 12, v1
	s_waitcnt vmcnt(3) lgkmcnt(2)
	v_mul_f64 v[32:33], v[20:21], v[6:7]
	v_mul_f64 v[6:7], v[22:23], v[6:7]
	s_waitcnt vmcnt(2) lgkmcnt(1)
	v_mul_f64 v[34:35], v[24:25], v[10:11]
	v_mul_f64 v[10:11], v[26:27], v[10:11]
	v_fmac_f64_e32 v[32:33], v[22:23], v[4:5]
	v_fma_f64 v[4:5], v[20:21], v[4:5], -v[6:7]
	s_waitcnt vmcnt(1) lgkmcnt(0)
	v_mul_f64 v[36:37], v[28:29], v[14:15]
	v_mul_f64 v[14:15], v[30:31], v[14:15]
	v_fmac_f64_e32 v[34:35], v[26:27], v[8:9]
	v_fma_f64 v[6:7], v[24:25], v[8:9], -v[10:11]
	v_add_f64 v[10:11], v[32:33], 0
	v_add_f64 v[4:5], v[4:5], 0
	v_fmac_f64_e32 v[36:37], v[30:31], v[12:13]
	v_fma_f64 v[8:9], v[28:29], v[12:13], -v[14:15]
	v_add_f64 v[10:11], v[10:11], v[34:35]
	v_add_f64 v[4:5], v[4:5], v[6:7]
	;; [unrolled: 1-line block ×4, first 2 shown]
	s_waitcnt vmcnt(0)
	v_add_f64 v[4:5], v[16:17], -v[4:5]
	v_add_f64 v[6:7], v[18:19], -v[6:7]
	scratch_store_dwordx4 off, v[4:7], off offset:208
	s_and_saveexec_b64 s[2:3], vcc
	s_cbranch_execz .LBB80_91
; %bb.90:
	scratch_load_dwordx4 v[6:9], off, s22
	v_mov_b32_e32 v3, v2
	v_mov_b32_e32 v4, v2
	;; [unrolled: 1-line block ×3, first 2 shown]
	scratch_store_dwordx4 off, v[2:5], off offset:192
	s_waitcnt vmcnt(1)
	ds_write_b128 v82, v[6:9]
.LBB80_91:
	s_or_b64 exec, exec, s[2:3]
	s_waitcnt lgkmcnt(0)
	; wave barrier
	scratch_load_dwordx4 v[4:7], off, off offset:208
	scratch_load_dwordx4 v[8:11], off, off offset:224
	;; [unrolled: 1-line block ×5, first 2 shown]
	ds_read_b128 v[24:27], v2 offset:480
	ds_read_b128 v[28:31], v2 offset:496
	;; [unrolled: 1-line block ×4, first 2 shown]
	v_cmp_lt_u32_e32 vcc, 11, v1
	s_waitcnt vmcnt(4) lgkmcnt(3)
	v_mul_f64 v[2:3], v[24:25], v[6:7]
	v_mul_f64 v[6:7], v[26:27], v[6:7]
	s_waitcnt vmcnt(3) lgkmcnt(2)
	v_mul_f64 v[40:41], v[28:29], v[10:11]
	v_mul_f64 v[10:11], v[30:31], v[10:11]
	v_fmac_f64_e32 v[2:3], v[26:27], v[4:5]
	v_fma_f64 v[4:5], v[24:25], v[4:5], -v[6:7]
	s_waitcnt vmcnt(2) lgkmcnt(1)
	v_mul_f64 v[42:43], v[32:33], v[14:15]
	v_mul_f64 v[14:15], v[34:35], v[14:15]
	v_fmac_f64_e32 v[40:41], v[30:31], v[8:9]
	v_fma_f64 v[6:7], v[28:29], v[8:9], -v[10:11]
	v_add_f64 v[2:3], v[2:3], 0
	v_add_f64 v[4:5], v[4:5], 0
	s_waitcnt vmcnt(1) lgkmcnt(0)
	v_mul_f64 v[44:45], v[36:37], v[18:19]
	v_mul_f64 v[18:19], v[38:39], v[18:19]
	v_fmac_f64_e32 v[42:43], v[34:35], v[12:13]
	v_fma_f64 v[8:9], v[32:33], v[12:13], -v[14:15]
	v_add_f64 v[2:3], v[2:3], v[40:41]
	v_add_f64 v[4:5], v[4:5], v[6:7]
	v_fmac_f64_e32 v[44:45], v[38:39], v[16:17]
	v_fma_f64 v[10:11], v[36:37], v[16:17], -v[18:19]
	v_add_f64 v[2:3], v[2:3], v[42:43]
	v_add_f64 v[4:5], v[4:5], v[8:9]
	;; [unrolled: 1-line block ×4, first 2 shown]
	s_waitcnt vmcnt(0)
	v_add_f64 v[2:3], v[20:21], -v[2:3]
	v_add_f64 v[4:5], v[22:23], -v[6:7]
	scratch_store_dwordx4 off, v[2:5], off offset:192
	s_and_saveexec_b64 s[2:3], vcc
	s_cbranch_execz .LBB80_93
; %bb.92:
	scratch_load_dwordx4 v[2:5], off, s23
	v_mov_b32_e32 v6, 0
	v_mov_b32_e32 v7, v6
	;; [unrolled: 1-line block ×4, first 2 shown]
	scratch_store_dwordx4 off, v[6:9], off offset:176
	s_waitcnt vmcnt(1)
	ds_write_b128 v82, v[2:5]
.LBB80_93:
	s_or_b64 exec, exec, s[2:3]
	s_waitcnt lgkmcnt(0)
	; wave barrier
	scratch_load_dwordx4 v[4:7], off, off offset:192
	scratch_load_dwordx4 v[8:11], off, off offset:208
	;; [unrolled: 1-line block ×6, first 2 shown]
	v_mov_b32_e32 v2, 0
	ds_read_b128 v[28:31], v2 offset:464
	ds_read_b128 v[32:35], v2 offset:480
	;; [unrolled: 1-line block ×5, first 2 shown]
	v_cmp_lt_u32_e32 vcc, 10, v1
	s_waitcnt vmcnt(5) lgkmcnt(4)
	v_mul_f64 v[84:85], v[28:29], v[6:7]
	v_mul_f64 v[6:7], v[30:31], v[6:7]
	s_waitcnt vmcnt(4) lgkmcnt(3)
	v_mul_f64 v[86:87], v[32:33], v[10:11]
	s_waitcnt vmcnt(3) lgkmcnt(2)
	v_mul_f64 v[88:89], v[36:37], v[14:15]
	v_mul_f64 v[10:11], v[34:35], v[10:11]
	;; [unrolled: 1-line block ×3, first 2 shown]
	v_fmac_f64_e32 v[84:85], v[30:31], v[4:5]
	v_fma_f64 v[4:5], v[28:29], v[4:5], -v[6:7]
	v_fmac_f64_e32 v[86:87], v[34:35], v[8:9]
	v_fma_f64 v[6:7], v[32:33], v[8:9], -v[10:11]
	v_fma_f64 v[8:9], v[36:37], v[12:13], -v[14:15]
	v_add_f64 v[14:15], v[84:85], 0
	v_add_f64 v[4:5], v[4:5], 0
	s_waitcnt vmcnt(2) lgkmcnt(1)
	v_mul_f64 v[90:91], v[40:41], v[18:19]
	v_mul_f64 v[18:19], v[42:43], v[18:19]
	v_fmac_f64_e32 v[88:89], v[38:39], v[12:13]
	v_add_f64 v[14:15], v[14:15], v[86:87]
	v_add_f64 v[4:5], v[4:5], v[6:7]
	s_waitcnt vmcnt(1) lgkmcnt(0)
	v_mul_f64 v[92:93], v[44:45], v[22:23]
	v_mul_f64 v[22:23], v[46:47], v[22:23]
	v_fmac_f64_e32 v[90:91], v[42:43], v[16:17]
	v_fma_f64 v[10:11], v[40:41], v[16:17], -v[18:19]
	v_add_f64 v[6:7], v[14:15], v[88:89]
	v_add_f64 v[4:5], v[4:5], v[8:9]
	v_fmac_f64_e32 v[92:93], v[46:47], v[20:21]
	v_fma_f64 v[12:13], v[44:45], v[20:21], -v[22:23]
	v_add_f64 v[6:7], v[6:7], v[90:91]
	v_add_f64 v[4:5], v[4:5], v[10:11]
	;; [unrolled: 1-line block ×4, first 2 shown]
	s_waitcnt vmcnt(0)
	v_add_f64 v[4:5], v[24:25], -v[4:5]
	v_add_f64 v[6:7], v[26:27], -v[6:7]
	scratch_store_dwordx4 off, v[4:7], off offset:176
	s_and_saveexec_b64 s[2:3], vcc
	s_cbranch_execz .LBB80_95
; %bb.94:
	scratch_load_dwordx4 v[6:9], off, s24
	v_mov_b32_e32 v3, v2
	v_mov_b32_e32 v4, v2
	;; [unrolled: 1-line block ×3, first 2 shown]
	scratch_store_dwordx4 off, v[2:5], off offset:160
	s_waitcnt vmcnt(1)
	ds_write_b128 v82, v[6:9]
.LBB80_95:
	s_or_b64 exec, exec, s[2:3]
	s_waitcnt lgkmcnt(0)
	; wave barrier
	scratch_load_dwordx4 v[4:7], off, off offset:176
	scratch_load_dwordx4 v[8:11], off, off offset:192
	;; [unrolled: 1-line block ×7, first 2 shown]
	ds_read_b128 v[32:35], v2 offset:448
	ds_read_b128 v[36:39], v2 offset:464
	;; [unrolled: 1-line block ×6, first 2 shown]
	v_cmp_lt_u32_e32 vcc, 9, v1
	s_waitcnt vmcnt(6) lgkmcnt(5)
	v_mul_f64 v[2:3], v[32:33], v[6:7]
	v_mul_f64 v[6:7], v[34:35], v[6:7]
	s_waitcnt vmcnt(5) lgkmcnt(4)
	v_mul_f64 v[92:93], v[36:37], v[10:11]
	v_mul_f64 v[10:11], v[38:39], v[10:11]
	v_fmac_f64_e32 v[2:3], v[34:35], v[4:5]
	v_fma_f64 v[4:5], v[32:33], v[4:5], -v[6:7]
	s_waitcnt vmcnt(4) lgkmcnt(3)
	v_mul_f64 v[94:95], v[40:41], v[14:15]
	v_mul_f64 v[14:15], v[42:43], v[14:15]
	v_fmac_f64_e32 v[92:93], v[38:39], v[8:9]
	v_fma_f64 v[6:7], v[36:37], v[8:9], -v[10:11]
	v_add_f64 v[2:3], v[2:3], 0
	v_add_f64 v[4:5], v[4:5], 0
	s_waitcnt vmcnt(3) lgkmcnt(2)
	v_mul_f64 v[96:97], v[44:45], v[18:19]
	v_mul_f64 v[18:19], v[46:47], v[18:19]
	v_fmac_f64_e32 v[94:95], v[42:43], v[12:13]
	v_fma_f64 v[8:9], v[40:41], v[12:13], -v[14:15]
	v_add_f64 v[2:3], v[2:3], v[92:93]
	v_add_f64 v[4:5], v[4:5], v[6:7]
	;; [unrolled: 7-line block ×4, first 2 shown]
	v_fmac_f64_e32 v[100:101], v[90:91], v[24:25]
	v_fma_f64 v[14:15], v[88:89], v[24:25], -v[26:27]
	v_add_f64 v[2:3], v[2:3], v[98:99]
	v_add_f64 v[4:5], v[4:5], v[12:13]
	;; [unrolled: 1-line block ×4, first 2 shown]
	s_waitcnt vmcnt(0)
	v_add_f64 v[2:3], v[28:29], -v[2:3]
	v_add_f64 v[4:5], v[30:31], -v[6:7]
	scratch_store_dwordx4 off, v[2:5], off offset:160
	s_and_saveexec_b64 s[2:3], vcc
	s_cbranch_execz .LBB80_97
; %bb.96:
	scratch_load_dwordx4 v[2:5], off, s25
	v_mov_b32_e32 v6, 0
	v_mov_b32_e32 v7, v6
	;; [unrolled: 1-line block ×4, first 2 shown]
	scratch_store_dwordx4 off, v[6:9], off offset:144
	s_waitcnt vmcnt(1)
	ds_write_b128 v82, v[2:5]
.LBB80_97:
	s_or_b64 exec, exec, s[2:3]
	s_waitcnt lgkmcnt(0)
	; wave barrier
	scratch_load_dwordx4 v[4:7], off, off offset:160
	scratch_load_dwordx4 v[8:11], off, off offset:176
	;; [unrolled: 1-line block ×8, first 2 shown]
	v_mov_b32_e32 v2, 0
	ds_read_b128 v[36:39], v2 offset:432
	ds_read_b128 v[40:43], v2 offset:448
	;; [unrolled: 1-line block ×7, first 2 shown]
	v_cmp_lt_u32_e32 vcc, 8, v1
	s_waitcnt vmcnt(7) lgkmcnt(6)
	v_mul_f64 v[100:101], v[36:37], v[6:7]
	v_mul_f64 v[6:7], v[38:39], v[6:7]
	s_waitcnt vmcnt(6) lgkmcnt(5)
	v_mul_f64 v[102:103], v[40:41], v[10:11]
	s_waitcnt vmcnt(4) lgkmcnt(3)
	v_mul_f64 v[106:107], v[84:85], v[18:19]
	v_mul_f64 v[10:11], v[42:43], v[10:11]
	;; [unrolled: 1-line block ×3, first 2 shown]
	v_fmac_f64_e32 v[100:101], v[38:39], v[4:5]
	v_fma_f64 v[4:5], v[36:37], v[4:5], -v[6:7]
	v_mul_f64 v[104:105], v[44:45], v[14:15]
	v_mul_f64 v[14:15], v[46:47], v[14:15]
	v_fmac_f64_e32 v[102:103], v[42:43], v[8:9]
	v_fma_f64 v[6:7], v[40:41], v[8:9], -v[10:11]
	v_fma_f64 v[10:11], v[84:85], v[16:17], -v[18:19]
	v_add_f64 v[18:19], v[100:101], 0
	v_add_f64 v[4:5], v[4:5], 0
	v_fmac_f64_e32 v[104:105], v[46:47], v[12:13]
	v_fma_f64 v[8:9], v[44:45], v[12:13], -v[14:15]
	v_add_f64 v[18:19], v[18:19], v[102:103]
	v_add_f64 v[4:5], v[4:5], v[6:7]
	s_waitcnt vmcnt(3) lgkmcnt(2)
	v_mul_f64 v[108:109], v[88:89], v[22:23]
	v_mul_f64 v[22:23], v[90:91], v[22:23]
	v_fmac_f64_e32 v[106:107], v[86:87], v[16:17]
	v_add_f64 v[6:7], v[18:19], v[104:105]
	v_add_f64 v[4:5], v[4:5], v[8:9]
	s_waitcnt vmcnt(2) lgkmcnt(1)
	v_mul_f64 v[110:111], v[92:93], v[26:27]
	v_mul_f64 v[26:27], v[94:95], v[26:27]
	v_fmac_f64_e32 v[108:109], v[90:91], v[20:21]
	v_fma_f64 v[12:13], v[88:89], v[20:21], -v[22:23]
	v_add_f64 v[6:7], v[6:7], v[106:107]
	v_add_f64 v[4:5], v[4:5], v[10:11]
	s_waitcnt vmcnt(1) lgkmcnt(0)
	v_mul_f64 v[112:113], v[96:97], v[30:31]
	v_mul_f64 v[30:31], v[98:99], v[30:31]
	v_fmac_f64_e32 v[110:111], v[94:95], v[24:25]
	v_fma_f64 v[14:15], v[92:93], v[24:25], -v[26:27]
	v_add_f64 v[6:7], v[6:7], v[108:109]
	v_add_f64 v[4:5], v[4:5], v[12:13]
	v_fmac_f64_e32 v[112:113], v[98:99], v[28:29]
	v_fma_f64 v[16:17], v[96:97], v[28:29], -v[30:31]
	v_add_f64 v[6:7], v[6:7], v[110:111]
	v_add_f64 v[4:5], v[4:5], v[14:15]
	;; [unrolled: 1-line block ×4, first 2 shown]
	s_waitcnt vmcnt(0)
	v_add_f64 v[4:5], v[32:33], -v[4:5]
	v_add_f64 v[6:7], v[34:35], -v[6:7]
	scratch_store_dwordx4 off, v[4:7], off offset:144
	s_and_saveexec_b64 s[2:3], vcc
	s_cbranch_execz .LBB80_99
; %bb.98:
	scratch_load_dwordx4 v[6:9], off, s26
	v_mov_b32_e32 v3, v2
	v_mov_b32_e32 v4, v2
	;; [unrolled: 1-line block ×3, first 2 shown]
	scratch_store_dwordx4 off, v[2:5], off offset:128
	s_waitcnt vmcnt(1)
	ds_write_b128 v82, v[6:9]
.LBB80_99:
	s_or_b64 exec, exec, s[2:3]
	s_waitcnt lgkmcnt(0)
	; wave barrier
	scratch_load_dwordx4 v[4:7], off, off offset:144
	scratch_load_dwordx4 v[8:11], off, off offset:160
	;; [unrolled: 1-line block ×9, first 2 shown]
	ds_read_b128 v[40:43], v2 offset:416
	ds_read_b128 v[44:47], v2 offset:432
	;; [unrolled: 1-line block ×8, first 2 shown]
	v_cmp_lt_u32_e32 vcc, 7, v1
	s_waitcnt vmcnt(8) lgkmcnt(7)
	v_mul_f64 v[2:3], v[40:41], v[6:7]
	v_mul_f64 v[6:7], v[42:43], v[6:7]
	s_waitcnt vmcnt(7) lgkmcnt(6)
	v_mul_f64 v[108:109], v[44:45], v[10:11]
	v_mul_f64 v[10:11], v[46:47], v[10:11]
	v_fmac_f64_e32 v[2:3], v[42:43], v[4:5]
	v_fma_f64 v[4:5], v[40:41], v[4:5], -v[6:7]
	s_waitcnt vmcnt(6) lgkmcnt(5)
	v_mul_f64 v[110:111], v[84:85], v[14:15]
	v_mul_f64 v[14:15], v[86:87], v[14:15]
	v_fmac_f64_e32 v[108:109], v[46:47], v[8:9]
	v_fma_f64 v[6:7], v[44:45], v[8:9], -v[10:11]
	v_add_f64 v[2:3], v[2:3], 0
	v_add_f64 v[4:5], v[4:5], 0
	s_waitcnt vmcnt(5) lgkmcnt(4)
	v_mul_f64 v[112:113], v[88:89], v[18:19]
	v_mul_f64 v[18:19], v[90:91], v[18:19]
	v_fmac_f64_e32 v[110:111], v[86:87], v[12:13]
	v_fma_f64 v[8:9], v[84:85], v[12:13], -v[14:15]
	v_add_f64 v[2:3], v[2:3], v[108:109]
	v_add_f64 v[4:5], v[4:5], v[6:7]
	;; [unrolled: 7-line block ×6, first 2 shown]
	v_fmac_f64_e32 v[120:121], v[106:107], v[32:33]
	v_fma_f64 v[18:19], v[104:105], v[32:33], -v[34:35]
	v_add_f64 v[2:3], v[2:3], v[118:119]
	v_add_f64 v[4:5], v[4:5], v[16:17]
	;; [unrolled: 1-line block ×4, first 2 shown]
	s_waitcnt vmcnt(0)
	v_add_f64 v[2:3], v[36:37], -v[2:3]
	v_add_f64 v[4:5], v[38:39], -v[6:7]
	scratch_store_dwordx4 off, v[2:5], off offset:128
	s_and_saveexec_b64 s[2:3], vcc
	s_cbranch_execz .LBB80_101
; %bb.100:
	scratch_load_dwordx4 v[2:5], off, s27
	v_mov_b32_e32 v6, 0
	v_mov_b32_e32 v7, v6
	;; [unrolled: 1-line block ×4, first 2 shown]
	scratch_store_dwordx4 off, v[6:9], off offset:112
	s_waitcnt vmcnt(1)
	ds_write_b128 v82, v[2:5]
.LBB80_101:
	s_or_b64 exec, exec, s[2:3]
	v_mov_b32_e32 v2, 0
	s_waitcnt lgkmcnt(0)
	; wave barrier
	ds_read_b128 v[4:7], v2 offset:400
	ds_read_b128 v[8:11], v2 offset:416
	ds_read_b128 v[12:15], v2 offset:432
	ds_read_b128 v[16:19], v2 offset:448
	scratch_load_dwordx4 v[20:23], off, off offset:128
	scratch_load_dwordx4 v[40:43], off, off offset:192
	;; [unrolled: 1-line block ×3, first 2 shown]
	v_cmp_lt_u32_e32 vcc, 6, v1
	scratch_load_dwordx4 v[84:87], off, off offset:208
	scratch_load_dwordx4 v[92:95], off, off offset:224
	;; [unrolled: 1-line block ×3, first 2 shown]
	s_waitcnt vmcnt(5) lgkmcnt(3)
	v_mul_f64 v[24:25], v[4:5], v[22:23]
	v_fmac_f64_e32 v[24:25], v[6:7], v[20:21]
	v_add_f64 v[28:29], v[24:25], 0
	scratch_load_dwordx4 v[24:27], off, off offset:144
	v_mul_f64 v[6:7], v[6:7], v[22:23]
	v_fma_f64 v[4:5], v[4:5], v[20:21], -v[6:7]
	v_add_f64 v[4:5], v[4:5], 0
	s_waitcnt vmcnt(0) lgkmcnt(2)
	v_mul_f64 v[30:31], v[8:9], v[26:27]
	v_fmac_f64_e32 v[30:31], v[10:11], v[24:25]
	v_add_f64 v[32:33], v[28:29], v[30:31]
	scratch_load_dwordx4 v[28:31], off, off offset:160
	v_mul_f64 v[6:7], v[10:11], v[26:27]
	v_fma_f64 v[6:7], v[8:9], v[24:25], -v[6:7]
	v_add_f64 v[4:5], v[4:5], v[6:7]
	;; [unrolled: 8-line block ×3, first 2 shown]
	s_waitcnt vmcnt(0) lgkmcnt(0)
	v_mul_f64 v[38:39], v[16:17], v[34:35]
	v_fmac_f64_e32 v[38:39], v[18:19], v[32:33]
	v_add_f64 v[44:45], v[36:37], v[38:39]
	ds_read_b128 v[36:39], v2 offset:464
	v_mul_f64 v[6:7], v[18:19], v[34:35]
	v_fma_f64 v[6:7], v[16:17], v[32:33], -v[6:7]
	v_add_f64 v[4:5], v[4:5], v[6:7]
	s_waitcnt lgkmcnt(0)
	v_mul_f64 v[46:47], v[36:37], v[42:43]
	v_fmac_f64_e32 v[46:47], v[38:39], v[40:41]
	v_add_f64 v[88:89], v[44:45], v[46:47]
	ds_read_b128 v[44:47], v2 offset:480
	v_mul_f64 v[6:7], v[38:39], v[42:43]
	v_fma_f64 v[6:7], v[36:37], v[40:41], -v[6:7]
	v_add_f64 v[4:5], v[4:5], v[6:7]
	s_waitcnt lgkmcnt(0)
	;; [unrolled: 8-line block ×5, first 2 shown]
	v_mul_f64 v[6:7], v[106:107], v[110:111]
	v_fma_f64 v[6:7], v[104:105], v[108:109], -v[6:7]
	v_add_f64 v[8:9], v[4:5], v[6:7]
	scratch_load_dwordx4 v[4:7], off, off offset:112
	v_mul_f64 v[114:115], v[104:105], v[110:111]
	v_fmac_f64_e32 v[114:115], v[106:107], v[108:109]
	v_add_f64 v[112:113], v[112:113], v[114:115]
	s_waitcnt vmcnt(0)
	v_add_f64 v[4:5], v[4:5], -v[8:9]
	v_add_f64 v[6:7], v[6:7], -v[112:113]
	scratch_store_dwordx4 off, v[4:7], off offset:112
	s_and_saveexec_b64 s[2:3], vcc
	s_cbranch_execz .LBB80_103
; %bb.102:
	scratch_load_dwordx4 v[6:9], off, s28
	v_mov_b32_e32 v3, v2
	v_mov_b32_e32 v4, v2
	;; [unrolled: 1-line block ×3, first 2 shown]
	scratch_store_dwordx4 off, v[2:5], off offset:96
	s_waitcnt vmcnt(1)
	ds_write_b128 v82, v[6:9]
.LBB80_103:
	s_or_b64 exec, exec, s[2:3]
	s_waitcnt lgkmcnt(0)
	; wave barrier
	scratch_load_dwordx4 v[4:7], off, off offset:112
	scratch_load_dwordx4 v[8:11], off, off offset:128
	;; [unrolled: 1-line block ×11, first 2 shown]
	ds_read_b128 v[84:87], v2 offset:384
	ds_read_b128 v[88:91], v2 offset:400
	ds_read_b128 v[92:95], v2 offset:416
	ds_read_b128 v[96:99], v2 offset:432
	ds_read_b128 v[100:103], v2 offset:448
	ds_read_b128 v[104:107], v2 offset:464
	ds_read_b128 v[108:111], v2 offset:480
	ds_read_b128 v[112:115], v2 offset:496
	ds_read_b128 v[116:119], v2 offset:512
	ds_read_b128 v[120:123], v2 offset:528
	v_cmp_lt_u32_e32 vcc, 5, v1
	s_waitcnt vmcnt(10) lgkmcnt(9)
	v_mul_f64 v[2:3], v[84:85], v[6:7]
	v_mul_f64 v[6:7], v[86:87], v[6:7]
	s_waitcnt vmcnt(9) lgkmcnt(8)
	v_mul_f64 v[124:125], v[88:89], v[10:11]
	v_mul_f64 v[10:11], v[90:91], v[10:11]
	v_fmac_f64_e32 v[2:3], v[86:87], v[4:5]
	v_fma_f64 v[4:5], v[84:85], v[4:5], -v[6:7]
	s_waitcnt vmcnt(8) lgkmcnt(7)
	v_mul_f64 v[126:127], v[92:93], v[14:15]
	v_mul_f64 v[14:15], v[94:95], v[14:15]
	v_fmac_f64_e32 v[124:125], v[90:91], v[8:9]
	v_fma_f64 v[6:7], v[88:89], v[8:9], -v[10:11]
	v_add_f64 v[2:3], v[2:3], 0
	v_add_f64 v[4:5], v[4:5], 0
	s_waitcnt vmcnt(7) lgkmcnt(6)
	v_mul_f64 v[128:129], v[96:97], v[18:19]
	v_mul_f64 v[18:19], v[98:99], v[18:19]
	v_fmac_f64_e32 v[126:127], v[94:95], v[12:13]
	v_fma_f64 v[8:9], v[92:93], v[12:13], -v[14:15]
	v_add_f64 v[2:3], v[2:3], v[124:125]
	v_add_f64 v[4:5], v[4:5], v[6:7]
	;; [unrolled: 7-line block ×8, first 2 shown]
	v_fmac_f64_e32 v[140:141], v[122:123], v[40:41]
	v_fma_f64 v[22:23], v[120:121], v[40:41], -v[42:43]
	v_add_f64 v[2:3], v[2:3], v[138:139]
	v_add_f64 v[4:5], v[4:5], v[20:21]
	;; [unrolled: 1-line block ×4, first 2 shown]
	s_waitcnt vmcnt(0)
	v_add_f64 v[2:3], v[44:45], -v[2:3]
	v_add_f64 v[4:5], v[46:47], -v[6:7]
	scratch_store_dwordx4 off, v[2:5], off offset:96
	s_and_saveexec_b64 s[2:3], vcc
	s_cbranch_execz .LBB80_105
; %bb.104:
	scratch_load_dwordx4 v[2:5], off, s29
	v_mov_b32_e32 v6, 0
	v_mov_b32_e32 v7, v6
	;; [unrolled: 1-line block ×4, first 2 shown]
	scratch_store_dwordx4 off, v[6:9], off offset:80
	s_waitcnt vmcnt(1)
	ds_write_b128 v82, v[2:5]
.LBB80_105:
	s_or_b64 exec, exec, s[2:3]
	s_waitcnt lgkmcnt(0)
	; wave barrier
	scratch_load_dwordx4 v[4:7], off, off offset:96
	scratch_load_dwordx4 v[8:11], off, off offset:112
	;; [unrolled: 1-line block ×12, first 2 shown]
	v_mov_b32_e32 v2, 0
	ds_read_b128 v[88:91], v2 offset:368
	ds_read_b128 v[92:95], v2 offset:384
	;; [unrolled: 1-line block ×11, first 2 shown]
	v_cmp_lt_u32_e32 vcc, 4, v1
	s_waitcnt vmcnt(11) lgkmcnt(10)
	v_mul_f64 v[132:133], v[88:89], v[6:7]
	v_mul_f64 v[6:7], v[90:91], v[6:7]
	s_waitcnt vmcnt(10) lgkmcnt(9)
	v_mul_f64 v[134:135], v[92:93], v[10:11]
	s_waitcnt vmcnt(9) lgkmcnt(8)
	v_mul_f64 v[136:137], v[96:97], v[14:15]
	v_mul_f64 v[10:11], v[94:95], v[10:11]
	s_waitcnt vmcnt(6) lgkmcnt(5)
	v_mul_f64 v[142:143], v[108:109], v[26:27]
	v_mul_f64 v[14:15], v[98:99], v[14:15]
	;; [unrolled: 1-line block ×3, first 2 shown]
	v_fmac_f64_e32 v[132:133], v[90:91], v[4:5]
	v_fma_f64 v[4:5], v[88:89], v[4:5], -v[6:7]
	v_fmac_f64_e32 v[134:135], v[94:95], v[8:9]
	v_fma_f64 v[6:7], v[92:93], v[8:9], -v[10:11]
	v_fma_f64 v[8:9], v[96:97], v[12:13], -v[14:15]
	;; [unrolled: 1-line block ×3, first 2 shown]
	v_add_f64 v[26:27], v[132:133], 0
	v_add_f64 v[4:5], v[4:5], 0
	v_mul_f64 v[138:139], v[100:101], v[18:19]
	v_mul_f64 v[18:19], v[102:103], v[18:19]
	v_fmac_f64_e32 v[136:137], v[98:99], v[12:13]
	v_add_f64 v[26:27], v[26:27], v[134:135]
	v_add_f64 v[4:5], v[4:5], v[6:7]
	v_mul_f64 v[140:141], v[104:105], v[22:23]
	v_mul_f64 v[22:23], v[106:107], v[22:23]
	v_fmac_f64_e32 v[138:139], v[102:103], v[16:17]
	v_fma_f64 v[10:11], v[100:101], v[16:17], -v[18:19]
	v_add_f64 v[6:7], v[26:27], v[136:137]
	v_add_f64 v[4:5], v[4:5], v[8:9]
	v_fmac_f64_e32 v[140:141], v[106:107], v[20:21]
	v_fma_f64 v[12:13], v[104:105], v[20:21], -v[22:23]
	v_add_f64 v[6:7], v[6:7], v[138:139]
	v_add_f64 v[4:5], v[4:5], v[10:11]
	s_waitcnt vmcnt(5) lgkmcnt(4)
	v_mul_f64 v[144:145], v[112:113], v[30:31]
	v_mul_f64 v[30:31], v[114:115], v[30:31]
	v_fmac_f64_e32 v[142:143], v[110:111], v[24:25]
	v_add_f64 v[6:7], v[6:7], v[140:141]
	v_add_f64 v[4:5], v[4:5], v[12:13]
	s_waitcnt vmcnt(4) lgkmcnt(3)
	v_mul_f64 v[146:147], v[116:117], v[34:35]
	v_mul_f64 v[34:35], v[118:119], v[34:35]
	v_fmac_f64_e32 v[144:145], v[114:115], v[28:29]
	v_fma_f64 v[16:17], v[112:113], v[28:29], -v[30:31]
	v_add_f64 v[6:7], v[6:7], v[142:143]
	v_add_f64 v[4:5], v[4:5], v[14:15]
	s_waitcnt vmcnt(3) lgkmcnt(2)
	v_mul_f64 v[148:149], v[120:121], v[38:39]
	v_mul_f64 v[38:39], v[122:123], v[38:39]
	v_fmac_f64_e32 v[146:147], v[118:119], v[32:33]
	v_fma_f64 v[18:19], v[116:117], v[32:33], -v[34:35]
	;; [unrolled: 7-line block ×4, first 2 shown]
	v_add_f64 v[6:7], v[6:7], v[148:149]
	v_add_f64 v[4:5], v[4:5], v[20:21]
	v_fmac_f64_e32 v[152:153], v[130:131], v[44:45]
	v_fma_f64 v[24:25], v[128:129], v[44:45], -v[46:47]
	v_add_f64 v[6:7], v[6:7], v[150:151]
	v_add_f64 v[4:5], v[4:5], v[22:23]
	;; [unrolled: 1-line block ×4, first 2 shown]
	s_waitcnt vmcnt(0)
	v_add_f64 v[4:5], v[84:85], -v[4:5]
	v_add_f64 v[6:7], v[86:87], -v[6:7]
	scratch_store_dwordx4 off, v[4:7], off offset:80
	s_and_saveexec_b64 s[2:3], vcc
	s_cbranch_execz .LBB80_107
; %bb.106:
	scratch_load_dwordx4 v[6:9], off, s30
	v_mov_b32_e32 v3, v2
	v_mov_b32_e32 v4, v2
	;; [unrolled: 1-line block ×3, first 2 shown]
	scratch_store_dwordx4 off, v[2:5], off offset:64
	s_waitcnt vmcnt(1)
	ds_write_b128 v82, v[6:9]
.LBB80_107:
	s_or_b64 exec, exec, s[2:3]
	s_waitcnt lgkmcnt(0)
	; wave barrier
	scratch_load_dwordx4 v[4:7], off, off offset:80
	scratch_load_dwordx4 v[8:11], off, off offset:96
	;; [unrolled: 1-line block ×12, first 2 shown]
	ds_read_b128 v[88:91], v2 offset:352
	ds_read_b128 v[92:95], v2 offset:368
	;; [unrolled: 1-line block ×4, first 2 shown]
	scratch_load_dwordx4 v[104:107], off, off offset:64
	ds_read_b128 v[108:111], v2 offset:416
	ds_read_b128 v[112:115], v2 offset:432
	;; [unrolled: 1-line block ×8, first 2 shown]
	v_cmp_lt_u32_e32 vcc, 3, v1
	s_waitcnt vmcnt(12) lgkmcnt(11)
	v_mul_f64 v[2:3], v[88:89], v[6:7]
	s_waitcnt vmcnt(11) lgkmcnt(10)
	v_mul_f64 v[140:141], v[92:93], v[10:11]
	v_fmac_f64_e32 v[2:3], v[90:91], v[4:5]
	s_waitcnt vmcnt(10) lgkmcnt(9)
	v_mul_f64 v[142:143], v[96:97], v[14:15]
	v_mul_f64 v[6:7], v[90:91], v[6:7]
	v_fmac_f64_e32 v[140:141], v[94:95], v[8:9]
	v_add_f64 v[2:3], v[2:3], 0
	s_waitcnt vmcnt(9) lgkmcnt(8)
	v_mul_f64 v[144:145], v[100:101], v[18:19]
	v_mul_f64 v[10:11], v[94:95], v[10:11]
	v_fmac_f64_e32 v[142:143], v[98:99], v[12:13]
	v_fma_f64 v[4:5], v[88:89], v[4:5], -v[6:7]
	v_add_f64 v[2:3], v[2:3], v[140:141]
	s_waitcnt vmcnt(8) lgkmcnt(7)
	v_mul_f64 v[146:147], v[108:109], v[22:23]
	v_mul_f64 v[14:15], v[98:99], v[14:15]
	v_fmac_f64_e32 v[144:145], v[102:103], v[16:17]
	v_fma_f64 v[6:7], v[92:93], v[8:9], -v[10:11]
	v_add_f64 v[4:5], v[4:5], 0
	v_add_f64 v[2:3], v[2:3], v[142:143]
	s_waitcnt vmcnt(7) lgkmcnt(6)
	v_mul_f64 v[148:149], v[112:113], v[26:27]
	v_mul_f64 v[18:19], v[102:103], v[18:19]
	v_fmac_f64_e32 v[146:147], v[110:111], v[20:21]
	v_fma_f64 v[8:9], v[96:97], v[12:13], -v[14:15]
	v_add_f64 v[4:5], v[4:5], v[6:7]
	;; [unrolled: 7-line block ×8, first 2 shown]
	v_add_f64 v[2:3], v[2:3], v[156:157]
	v_mul_f64 v[46:47], v[134:135], v[46:47]
	v_fmac_f64_e32 v[160:161], v[138:139], v[84:85]
	v_fma_f64 v[22:23], v[128:129], v[40:41], -v[42:43]
	v_add_f64 v[4:5], v[4:5], v[20:21]
	v_add_f64 v[2:3], v[2:3], v[158:159]
	;; [unrolled: 1-line block ×4, first 2 shown]
	v_fma_f64 v[2:3], v[132:133], v[44:45], -v[46:47]
	v_add_f64 v[2:3], v[4:5], v[2:3]
	v_mul_f64 v[4:5], v[138:139], v[86:87]
	v_fma_f64 v[4:5], v[136:137], v[84:85], -v[4:5]
	v_add_f64 v[2:3], v[2:3], v[4:5]
	s_waitcnt vmcnt(0)
	v_add_f64 v[2:3], v[104:105], -v[2:3]
	v_add_f64 v[4:5], v[106:107], -v[6:7]
	scratch_store_dwordx4 off, v[2:5], off offset:64
	s_and_saveexec_b64 s[2:3], vcc
	s_cbranch_execz .LBB80_109
; %bb.108:
	scratch_load_dwordx4 v[2:5], off, s31
	v_mov_b32_e32 v6, 0
	v_mov_b32_e32 v7, v6
	;; [unrolled: 1-line block ×4, first 2 shown]
	scratch_store_dwordx4 off, v[6:9], off offset:48
	s_waitcnt vmcnt(1)
	ds_write_b128 v82, v[2:5]
.LBB80_109:
	s_or_b64 exec, exec, s[2:3]
	v_mov_b32_e32 v2, 0
	s_waitcnt lgkmcnt(0)
	; wave barrier
	ds_read_b128 v[4:7], v2 offset:336
	ds_read_b128 v[8:11], v2 offset:352
	;; [unrolled: 1-line block ×4, first 2 shown]
	scratch_load_dwordx4 v[20:23], off, off offset:64
	scratch_load_dwordx4 v[40:43], off, off offset:128
	;; [unrolled: 1-line block ×7, first 2 shown]
	v_cmp_lt_u32_e32 vcc, 2, v1
	scratch_load_dwordx4 v[84:87], off, off offset:144
	scratch_load_dwordx4 v[92:95], off, off offset:160
	;; [unrolled: 1-line block ×3, first 2 shown]
	s_waitcnt vmcnt(9) lgkmcnt(3)
	v_mul_f64 v[24:25], v[4:5], v[22:23]
	v_fmac_f64_e32 v[24:25], v[6:7], v[20:21]
	v_add_f64 v[28:29], v[24:25], 0
	scratch_load_dwordx4 v[24:27], off, off offset:80
	v_mul_f64 v[6:7], v[6:7], v[22:23]
	v_fma_f64 v[4:5], v[4:5], v[20:21], -v[6:7]
	v_add_f64 v[4:5], v[4:5], 0
	s_waitcnt vmcnt(0) lgkmcnt(2)
	v_mul_f64 v[30:31], v[8:9], v[26:27]
	v_fmac_f64_e32 v[30:31], v[10:11], v[24:25]
	v_add_f64 v[32:33], v[28:29], v[30:31]
	scratch_load_dwordx4 v[28:31], off, off offset:96
	v_mul_f64 v[6:7], v[10:11], v[26:27]
	v_fma_f64 v[6:7], v[8:9], v[24:25], -v[6:7]
	v_add_f64 v[4:5], v[4:5], v[6:7]
	;; [unrolled: 8-line block ×3, first 2 shown]
	s_waitcnt vmcnt(0) lgkmcnt(0)
	v_mul_f64 v[38:39], v[16:17], v[34:35]
	v_fmac_f64_e32 v[38:39], v[18:19], v[32:33]
	v_add_f64 v[44:45], v[36:37], v[38:39]
	ds_read_b128 v[36:39], v2 offset:400
	v_mul_f64 v[6:7], v[18:19], v[34:35]
	v_fma_f64 v[6:7], v[16:17], v[32:33], -v[6:7]
	v_add_f64 v[4:5], v[4:5], v[6:7]
	s_waitcnt lgkmcnt(0)
	v_mul_f64 v[46:47], v[36:37], v[42:43]
	v_fmac_f64_e32 v[46:47], v[38:39], v[40:41]
	v_add_f64 v[88:89], v[44:45], v[46:47]
	ds_read_b128 v[44:47], v2 offset:416
	v_mul_f64 v[6:7], v[38:39], v[42:43]
	v_fma_f64 v[6:7], v[36:37], v[40:41], -v[6:7]
	v_add_f64 v[4:5], v[4:5], v[6:7]
	s_waitcnt lgkmcnt(0)
	;; [unrolled: 8-line block ×9, first 2 shown]
	v_mul_f64 v[6:7], v[138:139], v[142:143]
	v_fma_f64 v[6:7], v[136:137], v[140:141], -v[6:7]
	v_add_f64 v[8:9], v[4:5], v[6:7]
	scratch_load_dwordx4 v[4:7], off, off offset:48
	v_mul_f64 v[146:147], v[136:137], v[142:143]
	v_fmac_f64_e32 v[146:147], v[138:139], v[140:141]
	v_add_f64 v[144:145], v[144:145], v[146:147]
	s_waitcnt vmcnt(0)
	v_add_f64 v[4:5], v[4:5], -v[8:9]
	v_add_f64 v[6:7], v[6:7], -v[144:145]
	scratch_store_dwordx4 off, v[4:7], off offset:48
	s_and_saveexec_b64 s[2:3], vcc
	s_cbranch_execz .LBB80_111
; %bb.110:
	scratch_load_dwordx4 v[6:9], off, s33
	v_mov_b32_e32 v3, v2
	v_mov_b32_e32 v4, v2
	;; [unrolled: 1-line block ×3, first 2 shown]
	scratch_store_dwordx4 off, v[2:5], off offset:32
	s_waitcnt vmcnt(1)
	ds_write_b128 v82, v[6:9]
.LBB80_111:
	s_or_b64 exec, exec, s[2:3]
	s_waitcnt lgkmcnt(0)
	; wave barrier
	ds_read_b128 v[4:7], v2 offset:320
	ds_read_b128 v[8:11], v2 offset:336
	;; [unrolled: 1-line block ×4, first 2 shown]
	scratch_load_dwordx4 v[20:23], off, off offset:48
	scratch_load_dwordx4 v[40:43], off, off offset:112
	;; [unrolled: 1-line block ×8, first 2 shown]
	v_cmp_lt_u32_e32 vcc, 1, v1
	scratch_load_dwordx4 v[84:87], off, off offset:128
	scratch_load_dwordx4 v[92:95], off, off offset:144
	;; [unrolled: 1-line block ×3, first 2 shown]
	s_waitcnt vmcnt(10) lgkmcnt(3)
	v_mul_f64 v[24:25], v[4:5], v[22:23]
	v_fmac_f64_e32 v[24:25], v[6:7], v[20:21]
	v_add_f64 v[28:29], v[24:25], 0
	scratch_load_dwordx4 v[24:27], off, off offset:64
	s_waitcnt vmcnt(0) lgkmcnt(2)
	v_mul_f64 v[30:31], v[8:9], v[26:27]
	v_fmac_f64_e32 v[30:31], v[10:11], v[24:25]
	v_add_f64 v[32:33], v[28:29], v[30:31]
	scratch_load_dwordx4 v[28:31], off, off offset:80
	;; [unrolled: 5-line block ×3, first 2 shown]
	s_waitcnt vmcnt(0) lgkmcnt(0)
	v_mul_f64 v[38:39], v[16:17], v[34:35]
	v_fmac_f64_e32 v[38:39], v[18:19], v[32:33]
	v_add_f64 v[44:45], v[36:37], v[38:39]
	ds_read_b128 v[36:39], v2 offset:384
	s_waitcnt lgkmcnt(0)
	v_mul_f64 v[46:47], v[36:37], v[42:43]
	v_fmac_f64_e32 v[46:47], v[38:39], v[40:41]
	v_add_f64 v[88:89], v[44:45], v[46:47]
	ds_read_b128 v[44:47], v2 offset:400
	s_waitcnt lgkmcnt(0)
	;; [unrolled: 5-line block ×10, first 2 shown]
	v_mul_f64 v[2:3], v[144:145], v[150:151]
	v_fmac_f64_e32 v[2:3], v[146:147], v[148:149]
	v_add_f64 v[152:153], v[152:153], v[2:3]
	v_mul_f64 v[2:3], v[6:7], v[22:23]
	v_fma_f64 v[2:3], v[4:5], v[20:21], -v[2:3]
	v_mul_f64 v[4:5], v[10:11], v[26:27]
	v_add_f64 v[2:3], v[2:3], 0
	v_fma_f64 v[4:5], v[8:9], v[24:25], -v[4:5]
	v_add_f64 v[2:3], v[2:3], v[4:5]
	v_mul_f64 v[4:5], v[14:15], v[30:31]
	v_fma_f64 v[4:5], v[12:13], v[28:29], -v[4:5]
	v_add_f64 v[2:3], v[2:3], v[4:5]
	v_mul_f64 v[4:5], v[18:19], v[34:35]
	;; [unrolled: 3-line block ×12, first 2 shown]
	v_fma_f64 v[4:5], v[144:145], v[148:149], -v[4:5]
	v_add_f64 v[6:7], v[2:3], v[4:5]
	scratch_load_dwordx4 v[2:5], off, off offset:32
	s_waitcnt vmcnt(0)
	v_add_f64 v[2:3], v[2:3], -v[6:7]
	v_add_f64 v[4:5], v[4:5], -v[152:153]
	scratch_store_dwordx4 off, v[2:5], off offset:32
	s_and_saveexec_b64 s[2:3], vcc
	s_cbranch_execz .LBB80_113
; %bb.112:
	scratch_load_dwordx4 v[2:5], off, s34
	v_mov_b32_e32 v6, 0
	v_mov_b32_e32 v7, v6
	;; [unrolled: 1-line block ×4, first 2 shown]
	scratch_store_dwordx4 off, v[6:9], off offset:16
	s_waitcnt vmcnt(1)
	ds_write_b128 v82, v[2:5]
.LBB80_113:
	s_or_b64 exec, exec, s[2:3]
	s_waitcnt lgkmcnt(0)
	; wave barrier
	scratch_load_dwordx4 v[4:7], off, off offset:32
	scratch_load_dwordx4 v[8:11], off, off offset:48
	;; [unrolled: 1-line block ×16, first 2 shown]
	v_mov_b32_e32 v2, 0
	ds_read_b128 v[104:107], v2 offset:304
	ds_read_b128 v[108:111], v2 offset:320
	;; [unrolled: 1-line block ×15, first 2 shown]
	v_cmp_ne_u32_e32 vcc, 0, v1
	s_waitcnt vmcnt(15) lgkmcnt(14)
	v_mul_f64 v[164:165], v[104:105], v[6:7]
	v_mul_f64 v[6:7], v[106:107], v[6:7]
	s_waitcnt vmcnt(14) lgkmcnt(13)
	v_mul_f64 v[166:167], v[108:109], v[10:11]
	v_mul_f64 v[10:11], v[110:111], v[10:11]
	v_fmac_f64_e32 v[164:165], v[106:107], v[4:5]
	v_fma_f64 v[4:5], v[104:105], v[4:5], -v[6:7]
	s_waitcnt vmcnt(13) lgkmcnt(12)
	v_mul_f64 v[168:169], v[112:113], v[14:15]
	v_mul_f64 v[14:15], v[114:115], v[14:15]
	v_fma_f64 v[6:7], v[108:109], v[8:9], -v[10:11]
	v_add_f64 v[4:5], v[4:5], 0
	s_waitcnt vmcnt(12) lgkmcnt(11)
	v_mul_f64 v[170:171], v[116:117], v[18:19]
	v_mul_f64 v[18:19], v[118:119], v[18:19]
	v_fmac_f64_e32 v[166:167], v[110:111], v[8:9]
	v_fma_f64 v[8:9], v[112:113], v[12:13], -v[14:15]
	v_add_f64 v[4:5], v[4:5], v[6:7]
	s_waitcnt vmcnt(11) lgkmcnt(10)
	v_mul_f64 v[172:173], v[120:121], v[22:23]
	v_mul_f64 v[22:23], v[122:123], v[22:23]
	v_fma_f64 v[10:11], v[116:117], v[16:17], -v[18:19]
	v_add_f64 v[4:5], v[4:5], v[8:9]
	s_waitcnt vmcnt(10) lgkmcnt(9)
	v_mul_f64 v[174:175], v[124:125], v[30:31]
	v_mul_f64 v[30:31], v[126:127], v[30:31]
	v_fmac_f64_e32 v[168:169], v[114:115], v[12:13]
	v_fma_f64 v[12:13], v[120:121], v[20:21], -v[22:23]
	v_add_f64 v[4:5], v[4:5], v[10:11]
	v_fma_f64 v[14:15], v[124:125], v[28:29], -v[30:31]
	v_add_f64 v[4:5], v[4:5], v[12:13]
	s_waitcnt vmcnt(9) lgkmcnt(8)
	v_mul_f64 v[8:9], v[130:131], v[26:27]
	v_add_f64 v[4:5], v[4:5], v[14:15]
	v_fma_f64 v[8:9], v[128:129], v[24:25], -v[8:9]
	v_add_f64 v[4:5], v[4:5], v[8:9]
	s_waitcnt vmcnt(8) lgkmcnt(7)
	v_mul_f64 v[8:9], v[134:135], v[34:35]
	v_fma_f64 v[8:9], v[132:133], v[32:33], -v[8:9]
	v_fmac_f64_e32 v[170:171], v[118:119], v[16:17]
	v_add_f64 v[16:17], v[164:165], 0
	v_add_f64 v[4:5], v[4:5], v[8:9]
	s_waitcnt vmcnt(7) lgkmcnt(6)
	v_mul_f64 v[8:9], v[138:139], v[38:39]
	v_add_f64 v[16:17], v[16:17], v[166:167]
	v_fma_f64 v[8:9], v[136:137], v[36:37], -v[8:9]
	v_add_f64 v[6:7], v[16:17], v[168:169]
	v_add_f64 v[4:5], v[4:5], v[8:9]
	s_waitcnt vmcnt(6) lgkmcnt(5)
	v_mul_f64 v[8:9], v[142:143], v[42:43]
	v_fmac_f64_e32 v[172:173], v[122:123], v[20:21]
	v_add_f64 v[6:7], v[6:7], v[170:171]
	v_fma_f64 v[8:9], v[140:141], v[40:41], -v[8:9]
	v_mul_f64 v[176:177], v[128:129], v[26:27]
	v_fmac_f64_e32 v[174:175], v[126:127], v[28:29]
	v_add_f64 v[6:7], v[6:7], v[172:173]
	v_add_f64 v[4:5], v[4:5], v[8:9]
	s_waitcnt vmcnt(5) lgkmcnt(4)
	v_mul_f64 v[8:9], v[146:147], v[46:47]
	v_mul_f64 v[178:179], v[132:133], v[34:35]
	v_fmac_f64_e32 v[176:177], v[130:131], v[24:25]
	v_add_f64 v[6:7], v[6:7], v[174:175]
	v_fma_f64 v[8:9], v[144:145], v[44:45], -v[8:9]
	v_mul_f64 v[180:181], v[136:137], v[38:39]
	v_fmac_f64_e32 v[178:179], v[134:135], v[32:33]
	v_add_f64 v[6:7], v[6:7], v[176:177]
	v_add_f64 v[4:5], v[4:5], v[8:9]
	s_waitcnt vmcnt(4) lgkmcnt(3)
	v_mul_f64 v[8:9], v[150:151], v[86:87]
	;; [unrolled: 10-line block ×4, first 2 shown]
	v_mul_f64 v[190:191], v[156:157], v[94:95]
	v_fmac_f64_e32 v[188:189], v[154:155], v[88:89]
	v_add_f64 v[6:7], v[6:7], v[186:187]
	v_fma_f64 v[8:9], v[156:157], v[92:93], -v[8:9]
	s_waitcnt vmcnt(1) lgkmcnt(0)
	v_mul_f64 v[192:193], v[160:161], v[98:99]
	v_fmac_f64_e32 v[190:191], v[158:159], v[92:93]
	v_add_f64 v[6:7], v[6:7], v[188:189]
	v_add_f64 v[4:5], v[4:5], v[8:9]
	v_mul_f64 v[8:9], v[162:163], v[98:99]
	v_fmac_f64_e32 v[192:193], v[162:163], v[96:97]
	v_add_f64 v[6:7], v[6:7], v[190:191]
	v_fma_f64 v[8:9], v[160:161], v[96:97], -v[8:9]
	v_add_f64 v[6:7], v[6:7], v[192:193]
	v_add_f64 v[4:5], v[4:5], v[8:9]
	s_waitcnt vmcnt(0)
	v_add_f64 v[4:5], v[100:101], -v[4:5]
	v_add_f64 v[6:7], v[102:103], -v[6:7]
	scratch_store_dwordx4 off, v[4:7], off offset:16
	s_and_saveexec_b64 s[2:3], vcc
	s_cbranch_execz .LBB80_115
; %bb.114:
	scratch_load_dwordx4 v[6:9], off, off
	v_mov_b32_e32 v3, v2
	v_mov_b32_e32 v4, v2
	v_mov_b32_e32 v5, v2
	scratch_store_dwordx4 off, v[2:5], off
	s_waitcnt vmcnt(1)
	ds_write_b128 v82, v[6:9]
.LBB80_115:
	s_or_b64 exec, exec, s[2:3]
	s_waitcnt lgkmcnt(0)
	; wave barrier
	scratch_load_dwordx4 v[4:7], off, off offset:16
	scratch_load_dwordx4 v[8:11], off, off offset:32
	;; [unrolled: 1-line block ×16, first 2 shown]
	ds_read_b128 v[102:105], v2 offset:288
	ds_read_b128 v[106:109], v2 offset:304
	;; [unrolled: 1-line block ×16, first 2 shown]
	scratch_load_dwordx4 v[166:169], off, off
	s_and_b64 vcc, exec, s[14:15]
	s_waitcnt vmcnt(16) lgkmcnt(14)
	v_mul_f64 v[2:3], v[102:103], v[6:7]
	s_waitcnt vmcnt(15)
	v_mul_f64 v[170:171], v[106:107], v[10:11]
	v_fmac_f64_e32 v[2:3], v[104:105], v[4:5]
	s_waitcnt vmcnt(14) lgkmcnt(13)
	v_mul_f64 v[172:173], v[110:111], v[18:19]
	v_fmac_f64_e32 v[170:171], v[108:109], v[8:9]
	v_add_f64 v[2:3], v[2:3], 0
	s_waitcnt vmcnt(13) lgkmcnt(12)
	v_mul_f64 v[174:175], v[114:115], v[14:15]
	v_fmac_f64_e32 v[172:173], v[112:113], v[16:17]
	v_add_f64 v[2:3], v[2:3], v[170:171]
	;; [unrolled: 4-line block ×10, first 2 shown]
	v_mul_f64 v[6:7], v[104:105], v[6:7]
	s_waitcnt vmcnt(4) lgkmcnt(3)
	v_mul_f64 v[192:193], v[150:151], v[88:89]
	v_fmac_f64_e32 v[190:191], v[148:149], v[82:83]
	v_add_f64 v[2:3], v[2:3], v[188:189]
	s_waitcnt vmcnt(3) lgkmcnt(2)
	v_mul_f64 v[194:195], v[154:155], v[92:93]
	v_mul_f64 v[10:11], v[108:109], v[10:11]
	v_fma_f64 v[4:5], v[102:103], v[4:5], -v[6:7]
	v_fmac_f64_e32 v[192:193], v[152:153], v[86:87]
	v_add_f64 v[2:3], v[2:3], v[190:191]
	s_waitcnt vmcnt(2) lgkmcnt(1)
	v_mul_f64 v[196:197], v[158:159], v[96:97]
	v_mul_f64 v[18:19], v[112:113], v[18:19]
	v_fma_f64 v[6:7], v[106:107], v[8:9], -v[10:11]
	v_fmac_f64_e32 v[194:195], v[156:157], v[90:91]
	v_add_f64 v[4:5], v[4:5], 0
	v_add_f64 v[2:3], v[2:3], v[192:193]
	s_waitcnt vmcnt(1) lgkmcnt(0)
	v_mul_f64 v[198:199], v[162:163], v[100:101]
	v_mul_f64 v[14:15], v[116:117], v[14:15]
	v_fma_f64 v[8:9], v[110:111], v[16:17], -v[18:19]
	v_fmac_f64_e32 v[196:197], v[160:161], v[94:95]
	v_add_f64 v[4:5], v[4:5], v[6:7]
	v_add_f64 v[2:3], v[2:3], v[194:195]
	v_mul_f64 v[26:27], v[120:121], v[26:27]
	v_fmac_f64_e32 v[198:199], v[164:165], v[98:99]
	v_fma_f64 v[10:11], v[114:115], v[12:13], -v[14:15]
	v_add_f64 v[4:5], v[4:5], v[8:9]
	v_add_f64 v[2:3], v[2:3], v[196:197]
	v_fma_f64 v[12:13], v[118:119], v[24:25], -v[26:27]
	v_add_f64 v[4:5], v[4:5], v[10:11]
	v_add_f64 v[6:7], v[2:3], v[198:199]
	v_mul_f64 v[2:3], v[124:125], v[22:23]
	v_add_f64 v[4:5], v[4:5], v[12:13]
	v_fma_f64 v[2:3], v[122:123], v[20:21], -v[2:3]
	v_add_f64 v[2:3], v[4:5], v[2:3]
	v_mul_f64 v[4:5], v[128:129], v[30:31]
	v_fma_f64 v[4:5], v[126:127], v[28:29], -v[4:5]
	v_add_f64 v[2:3], v[2:3], v[4:5]
	v_mul_f64 v[4:5], v[132:133], v[34:35]
	;; [unrolled: 3-line block ×10, first 2 shown]
	v_fma_f64 v[4:5], v[162:163], v[98:99], -v[4:5]
	v_add_f64 v[2:3], v[2:3], v[4:5]
	s_waitcnt vmcnt(0)
	v_add_f64 v[2:3], v[166:167], -v[2:3]
	v_add_f64 v[4:5], v[168:169], -v[6:7]
	scratch_store_dwordx4 off, v[2:5], off
	s_cbranch_vccz .LBB80_148
; %bb.116:
	s_nop 0
	v_mov_b32_e32 v2, 0
	global_load_dword v3, v2, s[12:13] offset:60
	s_load_dwordx2 s[2:3], s[0:1], 0x4
	v_bfe_u32 v4, v0, 10, 10
	v_bfe_u32 v0, v0, 20, 10
	s_waitcnt lgkmcnt(0)
	s_lshr_b32 s0, s2, 16
	s_mul_i32 s0, s0, s3
	v_mul_u32_u24_e32 v1, s0, v1
	v_mul_u32_u24_e32 v4, s3, v4
	v_add3_u32 v0, v1, v4, v0
	v_mov_b32_e32 v1, 0x228
	v_lshl_add_u32 v0, v0, 4, v1
	s_waitcnt vmcnt(0)
	v_readfirstlane_b32 s0, v3
	s_add_i32 s0, s0, -1
	s_cmp_lg_u32 s0, 15
	s_cbranch_scc0 .LBB80_118
; %bb.117:
	s_lshl_b32 s0, s0, 4
	scratch_load_dwordx4 v[4:7], off, s19
	scratch_load_dwordx4 v[8:11], off, s0
	s_waitcnt vmcnt(1)
	ds_write2_b64 v0, v[4:5], v[6:7] offset1:1
	s_waitcnt vmcnt(0)
	scratch_store_dwordx4 off, v[8:11], s19
	scratch_store_dwordx4 off, v[4:7], s0
.LBB80_118:
	global_load_dword v1, v2, s[12:13] offset:56
	s_waitcnt vmcnt(0)
	v_readfirstlane_b32 s0, v1
	s_add_i32 s0, s0, -1
	s_cmp_eq_u32 s0, 14
	s_cbranch_scc1 .LBB80_120
; %bb.119:
	s_lshl_b32 s0, s0, 4
	scratch_load_dwordx4 v[2:5], off, s20
	scratch_load_dwordx4 v[6:9], off, s0
	s_waitcnt vmcnt(1)
	ds_write2_b64 v0, v[2:3], v[4:5] offset1:1
	s_waitcnt vmcnt(0)
	scratch_store_dwordx4 off, v[6:9], s20
	scratch_store_dwordx4 off, v[2:5], s0
.LBB80_120:
	v_mov_b32_e32 v1, 0
	global_load_dword v2, v1, s[12:13] offset:52
	s_waitcnt vmcnt(0)
	v_readfirstlane_b32 s0, v2
	s_add_i32 s0, s0, -1
	s_cmp_eq_u32 s0, 13
	s_cbranch_scc1 .LBB80_122
; %bb.121:
	s_lshl_b32 s0, s0, 4
	scratch_load_dwordx4 v[2:5], off, s21
	scratch_load_dwordx4 v[6:9], off, s0
	s_waitcnt vmcnt(1)
	ds_write2_b64 v0, v[2:3], v[4:5] offset1:1
	s_waitcnt vmcnt(0)
	scratch_store_dwordx4 off, v[6:9], s21
	scratch_store_dwordx4 off, v[2:5], s0
.LBB80_122:
	global_load_dword v1, v1, s[12:13] offset:48
	s_waitcnt vmcnt(0)
	v_readfirstlane_b32 s0, v1
	s_add_i32 s0, s0, -1
	s_cmp_eq_u32 s0, 12
	s_cbranch_scc1 .LBB80_124
; %bb.123:
	s_lshl_b32 s0, s0, 4
	scratch_load_dwordx4 v[2:5], off, s22
	scratch_load_dwordx4 v[6:9], off, s0
	s_waitcnt vmcnt(1)
	ds_write2_b64 v0, v[2:3], v[4:5] offset1:1
	s_waitcnt vmcnt(0)
	scratch_store_dwordx4 off, v[6:9], s22
	scratch_store_dwordx4 off, v[2:5], s0
.LBB80_124:
	v_mov_b32_e32 v1, 0
	global_load_dword v2, v1, s[12:13] offset:44
	s_waitcnt vmcnt(0)
	v_readfirstlane_b32 s0, v2
	s_add_i32 s0, s0, -1
	s_cmp_eq_u32 s0, 11
	s_cbranch_scc1 .LBB80_126
; %bb.125:
	s_lshl_b32 s0, s0, 4
	scratch_load_dwordx4 v[2:5], off, s23
	scratch_load_dwordx4 v[6:9], off, s0
	s_waitcnt vmcnt(1)
	ds_write2_b64 v0, v[2:3], v[4:5] offset1:1
	s_waitcnt vmcnt(0)
	scratch_store_dwordx4 off, v[6:9], s23
	scratch_store_dwordx4 off, v[2:5], s0
.LBB80_126:
	;; [unrolled: 33-line block ×7, first 2 shown]
	global_load_dword v1, v1, s[12:13]
	s_waitcnt vmcnt(0)
	v_readfirstlane_b32 s0, v1
	s_add_i32 s0, s0, -1
	s_cmp_eq_u32 s0, 0
	s_cbranch_scc1 .LBB80_148
; %bb.147:
	s_lshl_b32 s0, s0, 4
	scratch_load_dwordx4 v[2:5], off, off
	scratch_load_dwordx4 v[6:9], off, s0
	s_waitcnt vmcnt(1)
	ds_write2_b64 v0, v[2:3], v[4:5] offset1:1
	s_waitcnt vmcnt(0)
	scratch_store_dwordx4 off, v[6:9], off
	scratch_store_dwordx4 off, v[2:5], s0
.LBB80_148:
	scratch_load_dwordx4 v[0:3], off, off
	s_waitcnt vmcnt(0)
	flat_store_dwordx4 v[48:49], v[0:3]
	scratch_load_dwordx4 v[0:3], off, s34
	s_waitcnt vmcnt(0)
	flat_store_dwordx4 v[50:51], v[0:3]
	scratch_load_dwordx4 v[0:3], off, s33
	;; [unrolled: 3-line block ×16, first 2 shown]
	s_waitcnt vmcnt(0)
	flat_store_dwordx4 v[80:81], v[0:3]
	s_endpgm
	.section	.rodata,"a",@progbits
	.p2align	6, 0x0
	.amdhsa_kernel _ZN9rocsolver6v33100L18getri_kernel_smallILi17E19rocblas_complex_numIdEPKPS3_EEvT1_iilPiilS8_bb
		.amdhsa_group_segment_fixed_size 1576
		.amdhsa_private_segment_fixed_size 288
		.amdhsa_kernarg_size 60
		.amdhsa_user_sgpr_count 4
		.amdhsa_user_sgpr_dispatch_ptr 1
		.amdhsa_user_sgpr_queue_ptr 0
		.amdhsa_user_sgpr_kernarg_segment_ptr 1
		.amdhsa_user_sgpr_dispatch_id 0
		.amdhsa_user_sgpr_kernarg_preload_length 0
		.amdhsa_user_sgpr_kernarg_preload_offset 0
		.amdhsa_user_sgpr_private_segment_size 0
		.amdhsa_uses_dynamic_stack 0
		.amdhsa_enable_private_segment 1
		.amdhsa_system_sgpr_workgroup_id_x 1
		.amdhsa_system_sgpr_workgroup_id_y 0
		.amdhsa_system_sgpr_workgroup_id_z 0
		.amdhsa_system_sgpr_workgroup_info 0
		.amdhsa_system_vgpr_workitem_id 2
		.amdhsa_next_free_vgpr 200
		.amdhsa_next_free_sgpr 37
		.amdhsa_accum_offset 200
		.amdhsa_reserve_vcc 1
		.amdhsa_float_round_mode_32 0
		.amdhsa_float_round_mode_16_64 0
		.amdhsa_float_denorm_mode_32 3
		.amdhsa_float_denorm_mode_16_64 3
		.amdhsa_dx10_clamp 1
		.amdhsa_ieee_mode 1
		.amdhsa_fp16_overflow 0
		.amdhsa_tg_split 0
		.amdhsa_exception_fp_ieee_invalid_op 0
		.amdhsa_exception_fp_denorm_src 0
		.amdhsa_exception_fp_ieee_div_zero 0
		.amdhsa_exception_fp_ieee_overflow 0
		.amdhsa_exception_fp_ieee_underflow 0
		.amdhsa_exception_fp_ieee_inexact 0
		.amdhsa_exception_int_div_zero 0
	.end_amdhsa_kernel
	.section	.text._ZN9rocsolver6v33100L18getri_kernel_smallILi17E19rocblas_complex_numIdEPKPS3_EEvT1_iilPiilS8_bb,"axG",@progbits,_ZN9rocsolver6v33100L18getri_kernel_smallILi17E19rocblas_complex_numIdEPKPS3_EEvT1_iilPiilS8_bb,comdat
.Lfunc_end80:
	.size	_ZN9rocsolver6v33100L18getri_kernel_smallILi17E19rocblas_complex_numIdEPKPS3_EEvT1_iilPiilS8_bb, .Lfunc_end80-_ZN9rocsolver6v33100L18getri_kernel_smallILi17E19rocblas_complex_numIdEPKPS3_EEvT1_iilPiilS8_bb
                                        ; -- End function
	.set _ZN9rocsolver6v33100L18getri_kernel_smallILi17E19rocblas_complex_numIdEPKPS3_EEvT1_iilPiilS8_bb.num_vgpr, 200
	.set _ZN9rocsolver6v33100L18getri_kernel_smallILi17E19rocblas_complex_numIdEPKPS3_EEvT1_iilPiilS8_bb.num_agpr, 0
	.set _ZN9rocsolver6v33100L18getri_kernel_smallILi17E19rocblas_complex_numIdEPKPS3_EEvT1_iilPiilS8_bb.numbered_sgpr, 37
	.set _ZN9rocsolver6v33100L18getri_kernel_smallILi17E19rocblas_complex_numIdEPKPS3_EEvT1_iilPiilS8_bb.num_named_barrier, 0
	.set _ZN9rocsolver6v33100L18getri_kernel_smallILi17E19rocblas_complex_numIdEPKPS3_EEvT1_iilPiilS8_bb.private_seg_size, 288
	.set _ZN9rocsolver6v33100L18getri_kernel_smallILi17E19rocblas_complex_numIdEPKPS3_EEvT1_iilPiilS8_bb.uses_vcc, 1
	.set _ZN9rocsolver6v33100L18getri_kernel_smallILi17E19rocblas_complex_numIdEPKPS3_EEvT1_iilPiilS8_bb.uses_flat_scratch, 0
	.set _ZN9rocsolver6v33100L18getri_kernel_smallILi17E19rocblas_complex_numIdEPKPS3_EEvT1_iilPiilS8_bb.has_dyn_sized_stack, 0
	.set _ZN9rocsolver6v33100L18getri_kernel_smallILi17E19rocblas_complex_numIdEPKPS3_EEvT1_iilPiilS8_bb.has_recursion, 0
	.set _ZN9rocsolver6v33100L18getri_kernel_smallILi17E19rocblas_complex_numIdEPKPS3_EEvT1_iilPiilS8_bb.has_indirect_call, 0
	.section	.AMDGPU.csdata,"",@progbits
; Kernel info:
; codeLenInByte = 17112
; TotalNumSgprs: 43
; NumVgprs: 200
; NumAgprs: 0
; TotalNumVgprs: 200
; ScratchSize: 288
; MemoryBound: 0
; FloatMode: 240
; IeeeMode: 1
; LDSByteSize: 1576 bytes/workgroup (compile time only)
; SGPRBlocks: 5
; VGPRBlocks: 24
; NumSGPRsForWavesPerEU: 43
; NumVGPRsForWavesPerEU: 200
; AccumOffset: 200
; Occupancy: 2
; WaveLimiterHint : 1
; COMPUTE_PGM_RSRC2:SCRATCH_EN: 1
; COMPUTE_PGM_RSRC2:USER_SGPR: 4
; COMPUTE_PGM_RSRC2:TRAP_HANDLER: 0
; COMPUTE_PGM_RSRC2:TGID_X_EN: 1
; COMPUTE_PGM_RSRC2:TGID_Y_EN: 0
; COMPUTE_PGM_RSRC2:TGID_Z_EN: 0
; COMPUTE_PGM_RSRC2:TIDIG_COMP_CNT: 2
; COMPUTE_PGM_RSRC3_GFX90A:ACCUM_OFFSET: 49
; COMPUTE_PGM_RSRC3_GFX90A:TG_SPLIT: 0
	.section	.text._ZN9rocsolver6v33100L18getri_kernel_smallILi18E19rocblas_complex_numIdEPKPS3_EEvT1_iilPiilS8_bb,"axG",@progbits,_ZN9rocsolver6v33100L18getri_kernel_smallILi18E19rocblas_complex_numIdEPKPS3_EEvT1_iilPiilS8_bb,comdat
	.globl	_ZN9rocsolver6v33100L18getri_kernel_smallILi18E19rocblas_complex_numIdEPKPS3_EEvT1_iilPiilS8_bb ; -- Begin function _ZN9rocsolver6v33100L18getri_kernel_smallILi18E19rocblas_complex_numIdEPKPS3_EEvT1_iilPiilS8_bb
	.p2align	8
	.type	_ZN9rocsolver6v33100L18getri_kernel_smallILi18E19rocblas_complex_numIdEPKPS3_EEvT1_iilPiilS8_bb,@function
_ZN9rocsolver6v33100L18getri_kernel_smallILi18E19rocblas_complex_numIdEPKPS3_EEvT1_iilPiilS8_bb: ; @_ZN9rocsolver6v33100L18getri_kernel_smallILi18E19rocblas_complex_numIdEPKPS3_EEvT1_iilPiilS8_bb
; %bb.0:
	v_and_b32_e32 v1, 0x3ff, v0
	v_cmp_gt_u32_e32 vcc, 18, v1
	s_and_saveexec_b64 s[6:7], vcc
	s_cbranch_execz .LBB81_86
; %bb.1:
	s_load_dword s18, s[2:3], 0x38
	s_load_dwordx2 s[6:7], s[2:3], 0x0
	s_load_dwordx4 s[8:11], s[2:3], 0x28
	s_waitcnt lgkmcnt(0)
	s_bitcmp1_b32 s18, 8
	s_cselect_b64 s[14:15], -1, 0
	s_ashr_i32 s5, s4, 31
	s_lshl_b64 s[12:13], s[4:5], 3
	s_add_u32 s6, s6, s12
	s_addc_u32 s7, s7, s13
	s_load_dwordx2 s[16:17], s[6:7], 0x0
	s_bfe_u32 s6, s18, 0x10008
	s_cmp_eq_u32 s6, 0
                                        ; implicit-def: $sgpr12_sgpr13
	s_cbranch_scc1 .LBB81_3
; %bb.2:
	s_load_dword s6, s[2:3], 0x20
	s_load_dwordx2 s[12:13], s[2:3], 0x18
	s_mul_i32 s7, s8, s5
	s_mul_hi_u32 s18, s8, s4
	s_add_i32 s18, s18, s7
	s_mul_i32 s9, s9, s4
	s_add_i32 s9, s18, s9
	s_mul_i32 s8, s8, s4
	s_waitcnt lgkmcnt(0)
	s_ashr_i32 s7, s6, 31
	s_lshl_b64 s[8:9], s[8:9], 2
	s_add_u32 s8, s12, s8
	s_addc_u32 s9, s13, s9
	s_lshl_b64 s[6:7], s[6:7], 2
	s_add_u32 s12, s8, s6
	s_addc_u32 s13, s9, s7
.LBB81_3:
	s_load_dwordx2 s[6:7], s[2:3], 0x8
	s_load_dword s8, s[2:3], 0x38
	v_lshlrev_b32_e32 v14, 4, v1
	v_mov_b32_e32 v15, 0
	s_movk_i32 s36, 0xf0
	s_waitcnt lgkmcnt(0)
	s_ashr_i32 s3, s6, 31
	s_mov_b32 s2, s6
	s_lshl_b64 s[2:3], s[2:3], 4
	s_add_u32 s2, s16, s2
	s_addc_u32 s3, s17, s3
	v_lshl_add_u64 v[48:49], s[2:3], 0, v[14:15]
	flat_load_dwordx4 v[2:5], v[48:49]
	s_mov_b32 s16, s7
	s_ashr_i32 s17, s7, 31
	v_lshl_add_u64 v[50:51], s[16:17], 4, v[48:49]
	s_add_i32 s6, s7, s7
	v_add_u32_e32 v6, s6, v1
	v_ashrrev_i32_e32 v7, 31, v6
	v_lshl_add_u64 v[52:53], v[6:7], 4, s[2:3]
	v_add_u32_e32 v6, s7, v6
	v_ashrrev_i32_e32 v7, 31, v6
	v_lshl_add_u64 v[54:55], v[6:7], 4, s[2:3]
	;; [unrolled: 3-line block ×16, first 2 shown]
	s_movk_i32 s37, 0x100
	s_movk_i32 s38, 0x110
	;; [unrolled: 1-line block ×12, first 2 shown]
	s_mov_b32 s35, 16
	s_mov_b32 s34, 32
	;; [unrolled: 1-line block ×7, first 2 shown]
	s_bitcmp0_b32 s8, 0
	s_mov_b64 s[6:7], -1
	s_waitcnt vmcnt(0) lgkmcnt(0)
	scratch_store_dwordx4 off, v[2:5], off
	flat_load_dwordx4 v[2:5], v[50:51]
	s_waitcnt vmcnt(0) lgkmcnt(0)
	scratch_store_dwordx4 off, v[2:5], off offset:16
	flat_load_dwordx4 v[2:5], v[52:53]
	s_waitcnt vmcnt(0) lgkmcnt(0)
	scratch_store_dwordx4 off, v[2:5], off offset:32
	;; [unrolled: 3-line block ×17, first 2 shown]
	s_cbranch_scc1 .LBB81_84
; %bb.4:
	v_cmp_eq_u32_e64 s[2:3], 0, v1
	s_and_saveexec_b64 s[6:7], s[2:3]
; %bb.5:
	v_mov_b32_e32 v2, 0
	ds_write_b32 v2, v2 offset:576
; %bb.6:
	s_or_b64 exec, exec, s[6:7]
	s_waitcnt lgkmcnt(0)
	; wave barrier
	scratch_load_dwordx4 v[2:5], v14, off
	s_waitcnt vmcnt(0)
	v_cmp_eq_f64_e32 vcc, 0, v[2:3]
	v_cmp_eq_f64_e64 s[6:7], 0, v[4:5]
	s_and_b64 s[6:7], vcc, s[6:7]
	s_and_saveexec_b64 s[8:9], s[6:7]
	s_cbranch_execz .LBB81_10
; %bb.7:
	v_mov_b32_e32 v2, 0
	ds_read_b32 v4, v2 offset:576
	v_add_u32_e32 v3, 1, v1
	s_waitcnt lgkmcnt(0)
	v_readfirstlane_b32 s6, v4
	s_cmp_eq_u32 s6, 0
	s_cselect_b64 s[16:17], -1, 0
	v_cmp_gt_i32_e32 vcc, s6, v3
	s_or_b64 s[16:17], s[16:17], vcc
	s_and_b64 exec, exec, s[16:17]
	s_cbranch_execz .LBB81_10
; %bb.8:
	s_mov_b64 s[16:17], 0
	v_mov_b32_e32 v4, s6
.LBB81_9:                               ; =>This Inner Loop Header: Depth=1
	ds_cmpst_rtn_b32 v4, v2, v4, v3 offset:576
	s_waitcnt lgkmcnt(0)
	v_cmp_ne_u32_e32 vcc, 0, v4
	v_cmp_le_i32_e64 s[6:7], v4, v3
	s_and_b64 s[6:7], vcc, s[6:7]
	s_and_b64 s[6:7], exec, s[6:7]
	s_or_b64 s[16:17], s[6:7], s[16:17]
	s_andn2_b64 exec, exec, s[16:17]
	s_cbranch_execnz .LBB81_9
.LBB81_10:
	s_or_b64 exec, exec, s[8:9]
	v_mov_b32_e32 v3, 0
	; wave barrier
	ds_read_b32 v2, v3 offset:576
	s_and_saveexec_b64 s[6:7], s[2:3]
	s_cbranch_execz .LBB81_12
; %bb.11:
	s_lshl_b64 s[8:9], s[4:5], 2
	s_add_u32 s8, s10, s8
	s_addc_u32 s9, s11, s9
	s_waitcnt lgkmcnt(0)
	global_store_dword v3, v2, s[8:9]
.LBB81_12:
	s_or_b64 exec, exec, s[6:7]
	s_waitcnt lgkmcnt(0)
	v_cmp_ne_u32_e32 vcc, 0, v2
	s_mov_b64 s[6:7], 0
	s_cbranch_vccnz .LBB81_84
; %bb.13:
	v_mov_b32_e32 v15, v14
	scratch_load_dwordx4 v[2:5], v15, off
                                        ; implicit-def: $vgpr6_vgpr7
                                        ; implicit-def: $vgpr10_vgpr11
	s_waitcnt vmcnt(0)
	v_cmp_ngt_f64_e64 s[6:7], |v[2:3]|, |v[4:5]|
	s_and_saveexec_b64 s[8:9], s[6:7]
	s_xor_b64 s[6:7], exec, s[8:9]
	s_cbranch_execz .LBB81_15
; %bb.14:
	v_div_scale_f64 v[6:7], s[8:9], v[4:5], v[4:5], v[2:3]
	v_rcp_f64_e32 v[8:9], v[6:7]
	v_div_scale_f64 v[10:11], vcc, v[2:3], v[4:5], v[2:3]
	v_fma_f64 v[12:13], -v[6:7], v[8:9], 1.0
	v_fmac_f64_e32 v[8:9], v[8:9], v[12:13]
	v_fma_f64 v[12:13], -v[6:7], v[8:9], 1.0
	v_fmac_f64_e32 v[8:9], v[8:9], v[12:13]
	v_mul_f64 v[12:13], v[10:11], v[8:9]
	v_fma_f64 v[6:7], -v[6:7], v[12:13], v[10:11]
	v_div_fmas_f64 v[6:7], v[6:7], v[8:9], v[12:13]
	v_div_fixup_f64 v[6:7], v[6:7], v[4:5], v[2:3]
	v_fmac_f64_e32 v[4:5], v[2:3], v[6:7]
	v_div_scale_f64 v[2:3], s[8:9], v[4:5], v[4:5], 1.0
	v_rcp_f64_e32 v[8:9], v[2:3]
	s_nop 0
	v_fma_f64 v[10:11], -v[2:3], v[8:9], 1.0
	v_fmac_f64_e32 v[8:9], v[8:9], v[10:11]
	v_fma_f64 v[10:11], -v[2:3], v[8:9], 1.0
	v_fmac_f64_e32 v[8:9], v[8:9], v[10:11]
	v_div_scale_f64 v[10:11], vcc, 1.0, v[4:5], 1.0
	v_mul_f64 v[12:13], v[10:11], v[8:9]
	v_fma_f64 v[2:3], -v[2:3], v[12:13], v[10:11]
	s_nop 1
	v_div_fmas_f64 v[2:3], v[2:3], v[8:9], v[12:13]
	v_div_fixup_f64 v[8:9], v[2:3], v[4:5], 1.0
	v_mul_f64 v[6:7], v[6:7], v[8:9]
	v_xor_b32_e32 v9, 0x80000000, v9
	v_xor_b32_e32 v11, 0x80000000, v7
	v_mov_b32_e32 v10, v6
                                        ; implicit-def: $vgpr2_vgpr3
.LBB81_15:
	s_andn2_saveexec_b64 s[6:7], s[6:7]
	s_cbranch_execz .LBB81_17
; %bb.16:
	v_div_scale_f64 v[6:7], s[8:9], v[2:3], v[2:3], v[4:5]
	v_rcp_f64_e32 v[8:9], v[6:7]
	v_div_scale_f64 v[10:11], vcc, v[4:5], v[2:3], v[4:5]
	v_fma_f64 v[12:13], -v[6:7], v[8:9], 1.0
	v_fmac_f64_e32 v[8:9], v[8:9], v[12:13]
	v_fma_f64 v[12:13], -v[6:7], v[8:9], 1.0
	v_fmac_f64_e32 v[8:9], v[8:9], v[12:13]
	v_mul_f64 v[12:13], v[10:11], v[8:9]
	v_fma_f64 v[6:7], -v[6:7], v[12:13], v[10:11]
	v_div_fmas_f64 v[6:7], v[6:7], v[8:9], v[12:13]
	v_div_fixup_f64 v[8:9], v[6:7], v[2:3], v[4:5]
	v_fmac_f64_e32 v[2:3], v[4:5], v[8:9]
	v_div_scale_f64 v[4:5], s[8:9], v[2:3], v[2:3], 1.0
	v_rcp_f64_e32 v[6:7], v[4:5]
	s_nop 0
	v_fma_f64 v[10:11], -v[4:5], v[6:7], 1.0
	v_fmac_f64_e32 v[6:7], v[6:7], v[10:11]
	v_fma_f64 v[10:11], -v[4:5], v[6:7], 1.0
	v_fmac_f64_e32 v[6:7], v[6:7], v[10:11]
	v_div_scale_f64 v[10:11], vcc, 1.0, v[2:3], 1.0
	v_mul_f64 v[12:13], v[10:11], v[6:7]
	v_fma_f64 v[4:5], -v[4:5], v[12:13], v[10:11]
	s_nop 1
	v_div_fmas_f64 v[4:5], v[4:5], v[6:7], v[12:13]
	v_div_fixup_f64 v[6:7], v[4:5], v[2:3], 1.0
	v_xor_b32_e32 v11, 0x80000000, v7
	v_mov_b32_e32 v10, v6
	v_mul_f64 v[8:9], v[8:9], -v[6:7]
.LBB81_17:
	s_or_b64 exec, exec, s[6:7]
	scratch_store_dwordx4 v15, v[6:9], off
	scratch_load_dwordx4 v[2:5], off, s35
	v_xor_b32_e32 v13, 0x80000000, v9
	v_mov_b32_e32 v12, v8
	v_add_u32_e32 v6, 0x120, v14
	ds_write_b128 v14, v[10:13]
	s_waitcnt vmcnt(0)
	ds_write_b128 v14, v[2:5] offset:288
	s_waitcnt lgkmcnt(0)
	; wave barrier
	s_and_saveexec_b64 s[6:7], s[2:3]
	s_cbranch_execz .LBB81_19
; %bb.18:
	scratch_load_dwordx4 v[2:5], v15, off
	ds_read_b128 v[8:11], v6
	v_mov_b32_e32 v7, 0
	ds_read_b128 v[16:19], v7 offset:16
	s_waitcnt vmcnt(0) lgkmcnt(1)
	v_mul_f64 v[12:13], v[10:11], v[4:5]
	v_mul_f64 v[4:5], v[8:9], v[4:5]
	v_fma_f64 v[8:9], v[8:9], v[2:3], -v[12:13]
	v_fmac_f64_e32 v[4:5], v[10:11], v[2:3]
	v_add_f64 v[2:3], v[8:9], 0
	v_add_f64 v[8:9], v[4:5], 0
	s_waitcnt lgkmcnt(0)
	v_mul_f64 v[10:11], v[8:9], v[18:19]
	v_mul_f64 v[4:5], v[2:3], v[18:19]
	v_fma_f64 v[2:3], v[2:3], v[16:17], -v[10:11]
	v_fmac_f64_e32 v[4:5], v[8:9], v[16:17]
	scratch_store_dwordx4 off, v[2:5], off offset:16
.LBB81_19:
	s_or_b64 exec, exec, s[6:7]
	; wave barrier
	scratch_load_dwordx4 v[2:5], off, s34
	v_cmp_gt_u32_e32 vcc, 2, v1
	s_waitcnt vmcnt(0)
	ds_write_b128 v6, v[2:5]
	s_waitcnt lgkmcnt(0)
	; wave barrier
	s_and_saveexec_b64 s[6:7], vcc
	s_cbranch_execz .LBB81_23
; %bb.20:
	scratch_load_dwordx4 v[2:5], v15, off
	ds_read_b128 v[8:11], v6
	s_waitcnt vmcnt(0) lgkmcnt(0)
	v_mul_f64 v[12:13], v[10:11], v[4:5]
	v_mul_f64 v[16:17], v[8:9], v[4:5]
	v_fma_f64 v[4:5], v[8:9], v[2:3], -v[12:13]
	v_fmac_f64_e32 v[16:17], v[10:11], v[2:3]
	v_add_f64 v[4:5], v[4:5], 0
	v_add_f64 v[2:3], v[16:17], 0
	s_and_saveexec_b64 s[8:9], s[2:3]
	s_cbranch_execz .LBB81_22
; %bb.21:
	scratch_load_dwordx4 v[8:11], off, off offset:16
	v_mov_b32_e32 v7, 0
	ds_read_b128 v[16:19], v7 offset:304
	s_waitcnt vmcnt(0) lgkmcnt(0)
	v_mul_f64 v[12:13], v[16:17], v[10:11]
	v_mul_f64 v[10:11], v[18:19], v[10:11]
	v_fmac_f64_e32 v[12:13], v[18:19], v[8:9]
	v_fma_f64 v[8:9], v[16:17], v[8:9], -v[10:11]
	v_add_f64 v[2:3], v[2:3], v[12:13]
	v_add_f64 v[4:5], v[4:5], v[8:9]
.LBB81_22:
	s_or_b64 exec, exec, s[8:9]
	v_mov_b32_e32 v7, 0
	ds_read_b128 v[8:11], v7 offset:32
	s_waitcnt lgkmcnt(0)
	v_mul_f64 v[16:17], v[2:3], v[10:11]
	v_mul_f64 v[12:13], v[4:5], v[10:11]
	v_fma_f64 v[10:11], v[4:5], v[8:9], -v[16:17]
	v_fmac_f64_e32 v[12:13], v[2:3], v[8:9]
	scratch_store_dwordx4 off, v[10:13], off offset:32
.LBB81_23:
	s_or_b64 exec, exec, s[6:7]
	; wave barrier
	scratch_load_dwordx4 v[2:5], off, s33
	v_cmp_gt_u32_e32 vcc, 3, v1
	v_add_u32_e32 v7, -1, v1
	s_waitcnt vmcnt(0)
	ds_write_b128 v6, v[2:5]
	s_waitcnt lgkmcnt(0)
	; wave barrier
	s_and_saveexec_b64 s[2:3], vcc
	s_cbranch_execz .LBB81_27
; %bb.24:
	v_add_u32_e32 v8, -1, v1
	v_add_u32_e32 v9, 0x120, v14
	v_mov_b32_e32 v10, v14
	v_mov_b64_e32 v[2:3], 0
	s_mov_b64 s[6:7], 0
	v_mov_b64_e32 v[4:5], 0
.LBB81_25:                              ; =>This Inner Loop Header: Depth=1
	scratch_load_dwordx4 v[16:19], v10, off
	ds_read_b128 v[20:23], v9
	v_add_u32_e32 v8, 1, v8
	v_cmp_lt_u32_e32 vcc, 1, v8
	v_add_u32_e32 v9, 16, v9
	v_add_u32_e32 v10, 16, v10
	s_or_b64 s[6:7], vcc, s[6:7]
	s_waitcnt vmcnt(0) lgkmcnt(0)
	v_mul_f64 v[12:13], v[22:23], v[18:19]
	v_mul_f64 v[18:19], v[20:21], v[18:19]
	v_fma_f64 v[12:13], v[20:21], v[16:17], -v[12:13]
	v_fmac_f64_e32 v[18:19], v[22:23], v[16:17]
	v_add_f64 v[4:5], v[4:5], v[12:13]
	v_add_f64 v[2:3], v[2:3], v[18:19]
	s_andn2_b64 exec, exec, s[6:7]
	s_cbranch_execnz .LBB81_25
; %bb.26:
	s_or_b64 exec, exec, s[6:7]
	v_mov_b32_e32 v8, 0
	ds_read_b128 v[8:11], v8 offset:48
	s_waitcnt lgkmcnt(0)
	v_mul_f64 v[16:17], v[2:3], v[10:11]
	v_mul_f64 v[12:13], v[4:5], v[10:11]
	v_fma_f64 v[10:11], v[4:5], v[8:9], -v[16:17]
	v_fmac_f64_e32 v[12:13], v[2:3], v[8:9]
	scratch_store_dwordx4 off, v[10:13], off offset:48
.LBB81_27:
	s_or_b64 exec, exec, s[2:3]
	; wave barrier
	scratch_load_dwordx4 v[2:5], off, s31
	v_cmp_gt_u32_e32 vcc, 4, v1
	s_waitcnt vmcnt(0)
	ds_write_b128 v6, v[2:5]
	s_waitcnt lgkmcnt(0)
	; wave barrier
	s_and_saveexec_b64 s[2:3], vcc
	s_cbranch_execz .LBB81_31
; %bb.28:
	v_add_u32_e32 v8, -1, v1
	v_add_u32_e32 v9, 0x120, v14
	v_mov_b32_e32 v10, v14
	v_mov_b64_e32 v[2:3], 0
	s_mov_b64 s[6:7], 0
	v_mov_b64_e32 v[4:5], 0
.LBB81_29:                              ; =>This Inner Loop Header: Depth=1
	scratch_load_dwordx4 v[16:19], v10, off
	ds_read_b128 v[20:23], v9
	v_add_u32_e32 v8, 1, v8
	v_cmp_lt_u32_e32 vcc, 2, v8
	v_add_u32_e32 v9, 16, v9
	v_add_u32_e32 v10, 16, v10
	s_or_b64 s[6:7], vcc, s[6:7]
	s_waitcnt vmcnt(0) lgkmcnt(0)
	v_mul_f64 v[12:13], v[22:23], v[18:19]
	v_mul_f64 v[18:19], v[20:21], v[18:19]
	v_fma_f64 v[12:13], v[20:21], v[16:17], -v[12:13]
	v_fmac_f64_e32 v[18:19], v[22:23], v[16:17]
	v_add_f64 v[4:5], v[4:5], v[12:13]
	v_add_f64 v[2:3], v[2:3], v[18:19]
	s_andn2_b64 exec, exec, s[6:7]
	s_cbranch_execnz .LBB81_29
; %bb.30:
	s_or_b64 exec, exec, s[6:7]
	v_mov_b32_e32 v8, 0
	ds_read_b128 v[8:11], v8 offset:64
	s_waitcnt lgkmcnt(0)
	v_mul_f64 v[16:17], v[2:3], v[10:11]
	v_mul_f64 v[12:13], v[4:5], v[10:11]
	v_fma_f64 v[10:11], v[4:5], v[8:9], -v[16:17]
	v_fmac_f64_e32 v[12:13], v[2:3], v[8:9]
	scratch_store_dwordx4 off, v[10:13], off offset:64
.LBB81_31:
	s_or_b64 exec, exec, s[2:3]
	; wave barrier
	scratch_load_dwordx4 v[2:5], off, s30
	v_cmp_gt_u32_e32 vcc, 5, v1
	s_waitcnt vmcnt(0)
	ds_write_b128 v6, v[2:5]
	s_waitcnt lgkmcnt(0)
	; wave barrier
	s_and_saveexec_b64 s[2:3], vcc
	s_cbranch_execz .LBB81_35
; %bb.32:
	v_add_u32_e32 v8, -1, v1
	v_add_u32_e32 v9, 0x120, v14
	v_mov_b32_e32 v10, v14
	v_mov_b64_e32 v[2:3], 0
	s_mov_b64 s[6:7], 0
	v_mov_b64_e32 v[4:5], 0
.LBB81_33:                              ; =>This Inner Loop Header: Depth=1
	scratch_load_dwordx4 v[16:19], v10, off
	ds_read_b128 v[20:23], v9
	v_add_u32_e32 v8, 1, v8
	v_cmp_lt_u32_e32 vcc, 3, v8
	v_add_u32_e32 v9, 16, v9
	v_add_u32_e32 v10, 16, v10
	s_or_b64 s[6:7], vcc, s[6:7]
	s_waitcnt vmcnt(0) lgkmcnt(0)
	v_mul_f64 v[12:13], v[22:23], v[18:19]
	v_mul_f64 v[18:19], v[20:21], v[18:19]
	v_fma_f64 v[12:13], v[20:21], v[16:17], -v[12:13]
	v_fmac_f64_e32 v[18:19], v[22:23], v[16:17]
	v_add_f64 v[4:5], v[4:5], v[12:13]
	v_add_f64 v[2:3], v[2:3], v[18:19]
	s_andn2_b64 exec, exec, s[6:7]
	s_cbranch_execnz .LBB81_33
; %bb.34:
	s_or_b64 exec, exec, s[6:7]
	v_mov_b32_e32 v8, 0
	ds_read_b128 v[8:11], v8 offset:80
	s_waitcnt lgkmcnt(0)
	v_mul_f64 v[16:17], v[2:3], v[10:11]
	v_mul_f64 v[12:13], v[4:5], v[10:11]
	v_fma_f64 v[10:11], v[4:5], v[8:9], -v[16:17]
	v_fmac_f64_e32 v[12:13], v[2:3], v[8:9]
	scratch_store_dwordx4 off, v[10:13], off offset:80
.LBB81_35:
	s_or_b64 exec, exec, s[2:3]
	; wave barrier
	scratch_load_dwordx4 v[2:5], off, s29
	v_cmp_gt_u32_e32 vcc, 6, v1
	s_waitcnt vmcnt(0)
	ds_write_b128 v6, v[2:5]
	s_waitcnt lgkmcnt(0)
	; wave barrier
	s_and_saveexec_b64 s[2:3], vcc
	s_cbranch_execz .LBB81_39
; %bb.36:
	v_add_u32_e32 v8, -1, v1
	v_add_u32_e32 v9, 0x120, v14
	v_mov_b32_e32 v10, v14
	v_mov_b64_e32 v[2:3], 0
	s_mov_b64 s[6:7], 0
	v_mov_b64_e32 v[4:5], 0
.LBB81_37:                              ; =>This Inner Loop Header: Depth=1
	scratch_load_dwordx4 v[16:19], v10, off
	ds_read_b128 v[20:23], v9
	v_add_u32_e32 v8, 1, v8
	v_cmp_lt_u32_e32 vcc, 4, v8
	v_add_u32_e32 v9, 16, v9
	v_add_u32_e32 v10, 16, v10
	s_or_b64 s[6:7], vcc, s[6:7]
	s_waitcnt vmcnt(0) lgkmcnt(0)
	v_mul_f64 v[12:13], v[22:23], v[18:19]
	v_mul_f64 v[18:19], v[20:21], v[18:19]
	v_fma_f64 v[12:13], v[20:21], v[16:17], -v[12:13]
	v_fmac_f64_e32 v[18:19], v[22:23], v[16:17]
	v_add_f64 v[4:5], v[4:5], v[12:13]
	v_add_f64 v[2:3], v[2:3], v[18:19]
	s_andn2_b64 exec, exec, s[6:7]
	s_cbranch_execnz .LBB81_37
; %bb.38:
	s_or_b64 exec, exec, s[6:7]
	v_mov_b32_e32 v8, 0
	ds_read_b128 v[8:11], v8 offset:96
	s_waitcnt lgkmcnt(0)
	v_mul_f64 v[16:17], v[2:3], v[10:11]
	v_mul_f64 v[12:13], v[4:5], v[10:11]
	v_fma_f64 v[10:11], v[4:5], v[8:9], -v[16:17]
	v_fmac_f64_e32 v[12:13], v[2:3], v[8:9]
	scratch_store_dwordx4 off, v[10:13], off offset:96
.LBB81_39:
	s_or_b64 exec, exec, s[2:3]
	; wave barrier
	scratch_load_dwordx4 v[2:5], off, s28
	v_cmp_gt_u32_e32 vcc, 7, v1
	s_waitcnt vmcnt(0)
	ds_write_b128 v6, v[2:5]
	s_waitcnt lgkmcnt(0)
	; wave barrier
	s_and_saveexec_b64 s[2:3], vcc
	s_cbranch_execz .LBB81_43
; %bb.40:
	v_add_u32_e32 v8, -1, v1
	v_add_u32_e32 v9, 0x120, v14
	v_mov_b32_e32 v10, v14
	v_mov_b64_e32 v[2:3], 0
	s_mov_b64 s[6:7], 0
	v_mov_b64_e32 v[4:5], 0
.LBB81_41:                              ; =>This Inner Loop Header: Depth=1
	scratch_load_dwordx4 v[16:19], v10, off
	ds_read_b128 v[20:23], v9
	v_add_u32_e32 v8, 1, v8
	v_cmp_lt_u32_e32 vcc, 5, v8
	v_add_u32_e32 v9, 16, v9
	v_add_u32_e32 v10, 16, v10
	s_or_b64 s[6:7], vcc, s[6:7]
	s_waitcnt vmcnt(0) lgkmcnt(0)
	v_mul_f64 v[12:13], v[22:23], v[18:19]
	v_mul_f64 v[18:19], v[20:21], v[18:19]
	v_fma_f64 v[12:13], v[20:21], v[16:17], -v[12:13]
	v_fmac_f64_e32 v[18:19], v[22:23], v[16:17]
	v_add_f64 v[4:5], v[4:5], v[12:13]
	v_add_f64 v[2:3], v[2:3], v[18:19]
	s_andn2_b64 exec, exec, s[6:7]
	s_cbranch_execnz .LBB81_41
; %bb.42:
	s_or_b64 exec, exec, s[6:7]
	v_mov_b32_e32 v8, 0
	ds_read_b128 v[8:11], v8 offset:112
	s_waitcnt lgkmcnt(0)
	v_mul_f64 v[16:17], v[2:3], v[10:11]
	v_mul_f64 v[12:13], v[4:5], v[10:11]
	v_fma_f64 v[10:11], v[4:5], v[8:9], -v[16:17]
	v_fmac_f64_e32 v[12:13], v[2:3], v[8:9]
	scratch_store_dwordx4 off, v[10:13], off offset:112
.LBB81_43:
	s_or_b64 exec, exec, s[2:3]
	; wave barrier
	scratch_load_dwordx4 v[2:5], off, s27
	v_cmp_gt_u32_e32 vcc, 8, v1
	s_waitcnt vmcnt(0)
	ds_write_b128 v6, v[2:5]
	s_waitcnt lgkmcnt(0)
	; wave barrier
	s_and_saveexec_b64 s[2:3], vcc
	s_cbranch_execz .LBB81_47
; %bb.44:
	v_add_u32_e32 v8, -1, v1
	v_add_u32_e32 v9, 0x120, v14
	v_mov_b32_e32 v10, v14
	v_mov_b64_e32 v[2:3], 0
	s_mov_b64 s[6:7], 0
	v_mov_b64_e32 v[4:5], 0
.LBB81_45:                              ; =>This Inner Loop Header: Depth=1
	scratch_load_dwordx4 v[16:19], v10, off
	ds_read_b128 v[20:23], v9
	v_add_u32_e32 v8, 1, v8
	v_cmp_lt_u32_e32 vcc, 6, v8
	v_add_u32_e32 v9, 16, v9
	v_add_u32_e32 v10, 16, v10
	s_or_b64 s[6:7], vcc, s[6:7]
	s_waitcnt vmcnt(0) lgkmcnt(0)
	v_mul_f64 v[12:13], v[22:23], v[18:19]
	v_mul_f64 v[18:19], v[20:21], v[18:19]
	v_fma_f64 v[12:13], v[20:21], v[16:17], -v[12:13]
	v_fmac_f64_e32 v[18:19], v[22:23], v[16:17]
	v_add_f64 v[4:5], v[4:5], v[12:13]
	v_add_f64 v[2:3], v[2:3], v[18:19]
	s_andn2_b64 exec, exec, s[6:7]
	s_cbranch_execnz .LBB81_45
; %bb.46:
	s_or_b64 exec, exec, s[6:7]
	v_mov_b32_e32 v8, 0
	ds_read_b128 v[8:11], v8 offset:128
	s_waitcnt lgkmcnt(0)
	v_mul_f64 v[16:17], v[2:3], v[10:11]
	v_mul_f64 v[12:13], v[4:5], v[10:11]
	v_fma_f64 v[10:11], v[4:5], v[8:9], -v[16:17]
	v_fmac_f64_e32 v[12:13], v[2:3], v[8:9]
	scratch_store_dwordx4 off, v[10:13], off offset:128
.LBB81_47:
	s_or_b64 exec, exec, s[2:3]
	; wave barrier
	scratch_load_dwordx4 v[2:5], off, s26
	v_cmp_gt_u32_e32 vcc, 9, v1
	s_waitcnt vmcnt(0)
	ds_write_b128 v6, v[2:5]
	s_waitcnt lgkmcnt(0)
	; wave barrier
	s_and_saveexec_b64 s[2:3], vcc
	s_cbranch_execz .LBB81_51
; %bb.48:
	v_add_u32_e32 v8, -1, v1
	v_add_u32_e32 v9, 0x120, v14
	v_mov_b32_e32 v10, v14
	v_mov_b64_e32 v[2:3], 0
	s_mov_b64 s[6:7], 0
	v_mov_b64_e32 v[4:5], 0
.LBB81_49:                              ; =>This Inner Loop Header: Depth=1
	scratch_load_dwordx4 v[16:19], v10, off
	ds_read_b128 v[20:23], v9
	v_add_u32_e32 v8, 1, v8
	v_cmp_lt_u32_e32 vcc, 7, v8
	v_add_u32_e32 v9, 16, v9
	v_add_u32_e32 v10, 16, v10
	s_or_b64 s[6:7], vcc, s[6:7]
	s_waitcnt vmcnt(0) lgkmcnt(0)
	v_mul_f64 v[12:13], v[22:23], v[18:19]
	v_mul_f64 v[18:19], v[20:21], v[18:19]
	v_fma_f64 v[12:13], v[20:21], v[16:17], -v[12:13]
	v_fmac_f64_e32 v[18:19], v[22:23], v[16:17]
	v_add_f64 v[4:5], v[4:5], v[12:13]
	v_add_f64 v[2:3], v[2:3], v[18:19]
	s_andn2_b64 exec, exec, s[6:7]
	s_cbranch_execnz .LBB81_49
; %bb.50:
	s_or_b64 exec, exec, s[6:7]
	v_mov_b32_e32 v8, 0
	ds_read_b128 v[8:11], v8 offset:144
	s_waitcnt lgkmcnt(0)
	v_mul_f64 v[16:17], v[2:3], v[10:11]
	v_mul_f64 v[12:13], v[4:5], v[10:11]
	v_fma_f64 v[10:11], v[4:5], v[8:9], -v[16:17]
	v_fmac_f64_e32 v[12:13], v[2:3], v[8:9]
	scratch_store_dwordx4 off, v[10:13], off offset:144
.LBB81_51:
	s_or_b64 exec, exec, s[2:3]
	; wave barrier
	scratch_load_dwordx4 v[2:5], off, s25
	v_cmp_gt_u32_e32 vcc, 10, v1
	s_waitcnt vmcnt(0)
	ds_write_b128 v6, v[2:5]
	s_waitcnt lgkmcnt(0)
	; wave barrier
	s_and_saveexec_b64 s[2:3], vcc
	s_cbranch_execz .LBB81_55
; %bb.52:
	v_add_u32_e32 v8, -1, v1
	v_add_u32_e32 v9, 0x120, v14
	v_mov_b32_e32 v10, v14
	v_mov_b64_e32 v[2:3], 0
	s_mov_b64 s[6:7], 0
	v_mov_b64_e32 v[4:5], 0
.LBB81_53:                              ; =>This Inner Loop Header: Depth=1
	scratch_load_dwordx4 v[16:19], v10, off
	ds_read_b128 v[20:23], v9
	v_add_u32_e32 v8, 1, v8
	v_cmp_lt_u32_e32 vcc, 8, v8
	v_add_u32_e32 v9, 16, v9
	v_add_u32_e32 v10, 16, v10
	s_or_b64 s[6:7], vcc, s[6:7]
	s_waitcnt vmcnt(0) lgkmcnt(0)
	v_mul_f64 v[12:13], v[22:23], v[18:19]
	v_mul_f64 v[18:19], v[20:21], v[18:19]
	v_fma_f64 v[12:13], v[20:21], v[16:17], -v[12:13]
	v_fmac_f64_e32 v[18:19], v[22:23], v[16:17]
	v_add_f64 v[4:5], v[4:5], v[12:13]
	v_add_f64 v[2:3], v[2:3], v[18:19]
	s_andn2_b64 exec, exec, s[6:7]
	s_cbranch_execnz .LBB81_53
; %bb.54:
	s_or_b64 exec, exec, s[6:7]
	v_mov_b32_e32 v8, 0
	ds_read_b128 v[8:11], v8 offset:160
	s_waitcnt lgkmcnt(0)
	v_mul_f64 v[16:17], v[2:3], v[10:11]
	v_mul_f64 v[12:13], v[4:5], v[10:11]
	v_fma_f64 v[10:11], v[4:5], v[8:9], -v[16:17]
	v_fmac_f64_e32 v[12:13], v[2:3], v[8:9]
	scratch_store_dwordx4 off, v[10:13], off offset:160
.LBB81_55:
	s_or_b64 exec, exec, s[2:3]
	; wave barrier
	scratch_load_dwordx4 v[2:5], off, s24
	v_cmp_gt_u32_e32 vcc, 11, v1
	s_waitcnt vmcnt(0)
	ds_write_b128 v6, v[2:5]
	s_waitcnt lgkmcnt(0)
	; wave barrier
	s_and_saveexec_b64 s[2:3], vcc
	s_cbranch_execz .LBB81_59
; %bb.56:
	v_add_u32_e32 v8, -1, v1
	v_add_u32_e32 v9, 0x120, v14
	v_mov_b32_e32 v10, v14
	v_mov_b64_e32 v[2:3], 0
	s_mov_b64 s[6:7], 0
	v_mov_b64_e32 v[4:5], 0
.LBB81_57:                              ; =>This Inner Loop Header: Depth=1
	scratch_load_dwordx4 v[16:19], v10, off
	ds_read_b128 v[20:23], v9
	v_add_u32_e32 v8, 1, v8
	v_cmp_lt_u32_e32 vcc, 9, v8
	v_add_u32_e32 v9, 16, v9
	v_add_u32_e32 v10, 16, v10
	s_or_b64 s[6:7], vcc, s[6:7]
	s_waitcnt vmcnt(0) lgkmcnt(0)
	v_mul_f64 v[12:13], v[22:23], v[18:19]
	v_mul_f64 v[18:19], v[20:21], v[18:19]
	v_fma_f64 v[12:13], v[20:21], v[16:17], -v[12:13]
	v_fmac_f64_e32 v[18:19], v[22:23], v[16:17]
	v_add_f64 v[4:5], v[4:5], v[12:13]
	v_add_f64 v[2:3], v[2:3], v[18:19]
	s_andn2_b64 exec, exec, s[6:7]
	s_cbranch_execnz .LBB81_57
; %bb.58:
	s_or_b64 exec, exec, s[6:7]
	v_mov_b32_e32 v8, 0
	ds_read_b128 v[8:11], v8 offset:176
	s_waitcnt lgkmcnt(0)
	v_mul_f64 v[16:17], v[2:3], v[10:11]
	v_mul_f64 v[12:13], v[4:5], v[10:11]
	v_fma_f64 v[10:11], v[4:5], v[8:9], -v[16:17]
	v_fmac_f64_e32 v[12:13], v[2:3], v[8:9]
	scratch_store_dwordx4 off, v[10:13], off offset:176
.LBB81_59:
	s_or_b64 exec, exec, s[2:3]
	; wave barrier
	scratch_load_dwordx4 v[2:5], off, s23
	v_cmp_gt_u32_e32 vcc, 12, v1
	s_waitcnt vmcnt(0)
	ds_write_b128 v6, v[2:5]
	s_waitcnt lgkmcnt(0)
	; wave barrier
	s_and_saveexec_b64 s[2:3], vcc
	s_cbranch_execz .LBB81_63
; %bb.60:
	v_add_u32_e32 v8, -1, v1
	v_add_u32_e32 v9, 0x120, v14
	v_mov_b32_e32 v10, v14
	v_mov_b64_e32 v[2:3], 0
	s_mov_b64 s[6:7], 0
	v_mov_b64_e32 v[4:5], 0
.LBB81_61:                              ; =>This Inner Loop Header: Depth=1
	scratch_load_dwordx4 v[16:19], v10, off
	ds_read_b128 v[20:23], v9
	v_add_u32_e32 v8, 1, v8
	v_cmp_lt_u32_e32 vcc, 10, v8
	v_add_u32_e32 v9, 16, v9
	v_add_u32_e32 v10, 16, v10
	s_or_b64 s[6:7], vcc, s[6:7]
	s_waitcnt vmcnt(0) lgkmcnt(0)
	v_mul_f64 v[12:13], v[22:23], v[18:19]
	v_mul_f64 v[18:19], v[20:21], v[18:19]
	v_fma_f64 v[12:13], v[20:21], v[16:17], -v[12:13]
	v_fmac_f64_e32 v[18:19], v[22:23], v[16:17]
	v_add_f64 v[4:5], v[4:5], v[12:13]
	v_add_f64 v[2:3], v[2:3], v[18:19]
	s_andn2_b64 exec, exec, s[6:7]
	s_cbranch_execnz .LBB81_61
; %bb.62:
	s_or_b64 exec, exec, s[6:7]
	v_mov_b32_e32 v8, 0
	ds_read_b128 v[8:11], v8 offset:192
	s_waitcnt lgkmcnt(0)
	v_mul_f64 v[16:17], v[2:3], v[10:11]
	v_mul_f64 v[12:13], v[4:5], v[10:11]
	v_fma_f64 v[10:11], v[4:5], v[8:9], -v[16:17]
	v_fmac_f64_e32 v[12:13], v[2:3], v[8:9]
	scratch_store_dwordx4 off, v[10:13], off offset:192
.LBB81_63:
	s_or_b64 exec, exec, s[2:3]
	; wave barrier
	scratch_load_dwordx4 v[2:5], off, s22
	v_cmp_gt_u32_e32 vcc, 13, v1
	s_waitcnt vmcnt(0)
	ds_write_b128 v6, v[2:5]
	s_waitcnt lgkmcnt(0)
	; wave barrier
	s_and_saveexec_b64 s[2:3], vcc
	s_cbranch_execz .LBB81_67
; %bb.64:
	v_add_u32_e32 v8, -1, v1
	v_add_u32_e32 v9, 0x120, v14
	v_mov_b32_e32 v10, v14
	v_mov_b64_e32 v[2:3], 0
	s_mov_b64 s[6:7], 0
	v_mov_b64_e32 v[4:5], 0
.LBB81_65:                              ; =>This Inner Loop Header: Depth=1
	scratch_load_dwordx4 v[16:19], v10, off
	ds_read_b128 v[20:23], v9
	v_add_u32_e32 v8, 1, v8
	v_cmp_lt_u32_e32 vcc, 11, v8
	v_add_u32_e32 v9, 16, v9
	v_add_u32_e32 v10, 16, v10
	s_or_b64 s[6:7], vcc, s[6:7]
	s_waitcnt vmcnt(0) lgkmcnt(0)
	v_mul_f64 v[12:13], v[22:23], v[18:19]
	v_mul_f64 v[18:19], v[20:21], v[18:19]
	v_fma_f64 v[12:13], v[20:21], v[16:17], -v[12:13]
	v_fmac_f64_e32 v[18:19], v[22:23], v[16:17]
	v_add_f64 v[4:5], v[4:5], v[12:13]
	v_add_f64 v[2:3], v[2:3], v[18:19]
	s_andn2_b64 exec, exec, s[6:7]
	s_cbranch_execnz .LBB81_65
; %bb.66:
	s_or_b64 exec, exec, s[6:7]
	v_mov_b32_e32 v8, 0
	ds_read_b128 v[8:11], v8 offset:208
	s_waitcnt lgkmcnt(0)
	v_mul_f64 v[16:17], v[2:3], v[10:11]
	v_mul_f64 v[12:13], v[4:5], v[10:11]
	v_fma_f64 v[10:11], v[4:5], v[8:9], -v[16:17]
	v_fmac_f64_e32 v[12:13], v[2:3], v[8:9]
	scratch_store_dwordx4 off, v[10:13], off offset:208
.LBB81_67:
	s_or_b64 exec, exec, s[2:3]
	; wave barrier
	scratch_load_dwordx4 v[2:5], off, s21
	v_cmp_gt_u32_e32 vcc, 14, v1
	s_waitcnt vmcnt(0)
	ds_write_b128 v6, v[2:5]
	s_waitcnt lgkmcnt(0)
	; wave barrier
	s_and_saveexec_b64 s[2:3], vcc
	s_cbranch_execz .LBB81_71
; %bb.68:
	v_add_u32_e32 v8, -1, v1
	v_add_u32_e32 v9, 0x120, v14
	v_mov_b32_e32 v10, v14
	v_mov_b64_e32 v[2:3], 0
	s_mov_b64 s[6:7], 0
	v_mov_b64_e32 v[4:5], 0
.LBB81_69:                              ; =>This Inner Loop Header: Depth=1
	scratch_load_dwordx4 v[16:19], v10, off
	ds_read_b128 v[20:23], v9
	v_add_u32_e32 v8, 1, v8
	v_cmp_lt_u32_e32 vcc, 12, v8
	v_add_u32_e32 v9, 16, v9
	v_add_u32_e32 v10, 16, v10
	s_or_b64 s[6:7], vcc, s[6:7]
	s_waitcnt vmcnt(0) lgkmcnt(0)
	v_mul_f64 v[12:13], v[22:23], v[18:19]
	v_mul_f64 v[18:19], v[20:21], v[18:19]
	v_fma_f64 v[12:13], v[20:21], v[16:17], -v[12:13]
	v_fmac_f64_e32 v[18:19], v[22:23], v[16:17]
	v_add_f64 v[4:5], v[4:5], v[12:13]
	v_add_f64 v[2:3], v[2:3], v[18:19]
	s_andn2_b64 exec, exec, s[6:7]
	s_cbranch_execnz .LBB81_69
; %bb.70:
	s_or_b64 exec, exec, s[6:7]
	v_mov_b32_e32 v8, 0
	ds_read_b128 v[8:11], v8 offset:224
	s_waitcnt lgkmcnt(0)
	v_mul_f64 v[16:17], v[2:3], v[10:11]
	v_mul_f64 v[12:13], v[4:5], v[10:11]
	v_fma_f64 v[10:11], v[4:5], v[8:9], -v[16:17]
	v_fmac_f64_e32 v[12:13], v[2:3], v[8:9]
	scratch_store_dwordx4 off, v[10:13], off offset:224
.LBB81_71:
	s_or_b64 exec, exec, s[2:3]
	; wave barrier
	scratch_load_dwordx4 v[2:5], off, s20
	v_cmp_gt_u32_e32 vcc, 15, v1
	s_waitcnt vmcnt(0)
	ds_write_b128 v6, v[2:5]
	s_waitcnt lgkmcnt(0)
	; wave barrier
	s_and_saveexec_b64 s[2:3], vcc
	s_cbranch_execz .LBB81_75
; %bb.72:
	v_add_u32_e32 v8, -1, v1
	v_add_u32_e32 v9, 0x120, v14
	v_mov_b32_e32 v10, v14
	v_mov_b64_e32 v[2:3], 0
	s_mov_b64 s[6:7], 0
	v_mov_b64_e32 v[4:5], 0
.LBB81_73:                              ; =>This Inner Loop Header: Depth=1
	scratch_load_dwordx4 v[16:19], v10, off
	ds_read_b128 v[20:23], v9
	v_add_u32_e32 v8, 1, v8
	v_cmp_lt_u32_e32 vcc, 13, v8
	v_add_u32_e32 v9, 16, v9
	v_add_u32_e32 v10, 16, v10
	s_or_b64 s[6:7], vcc, s[6:7]
	s_waitcnt vmcnt(0) lgkmcnt(0)
	v_mul_f64 v[12:13], v[22:23], v[18:19]
	v_mul_f64 v[18:19], v[20:21], v[18:19]
	v_fma_f64 v[12:13], v[20:21], v[16:17], -v[12:13]
	v_fmac_f64_e32 v[18:19], v[22:23], v[16:17]
	v_add_f64 v[4:5], v[4:5], v[12:13]
	v_add_f64 v[2:3], v[2:3], v[18:19]
	s_andn2_b64 exec, exec, s[6:7]
	s_cbranch_execnz .LBB81_73
; %bb.74:
	s_or_b64 exec, exec, s[6:7]
	v_mov_b32_e32 v8, 0
	ds_read_b128 v[8:11], v8 offset:240
	s_waitcnt lgkmcnt(0)
	v_mul_f64 v[16:17], v[2:3], v[10:11]
	v_mul_f64 v[12:13], v[4:5], v[10:11]
	v_fma_f64 v[10:11], v[4:5], v[8:9], -v[16:17]
	v_fmac_f64_e32 v[12:13], v[2:3], v[8:9]
	scratch_store_dwordx4 off, v[10:13], off offset:240
.LBB81_75:
	s_or_b64 exec, exec, s[2:3]
	; wave barrier
	scratch_load_dwordx4 v[2:5], off, s19
	v_cmp_gt_u32_e32 vcc, 16, v1
	s_waitcnt vmcnt(0)
	ds_write_b128 v6, v[2:5]
	s_waitcnt lgkmcnt(0)
	; wave barrier
	s_and_saveexec_b64 s[2:3], vcc
	s_cbranch_execz .LBB81_79
; %bb.76:
	v_add_u32_e32 v8, -1, v1
	v_add_u32_e32 v9, 0x120, v14
	v_mov_b32_e32 v10, v14
	v_mov_b64_e32 v[2:3], 0
	s_mov_b64 s[6:7], 0
	v_mov_b64_e32 v[4:5], 0
.LBB81_77:                              ; =>This Inner Loop Header: Depth=1
	scratch_load_dwordx4 v[16:19], v10, off
	ds_read_b128 v[20:23], v9
	v_add_u32_e32 v8, 1, v8
	v_cmp_lt_u32_e32 vcc, 14, v8
	v_add_u32_e32 v9, 16, v9
	v_add_u32_e32 v10, 16, v10
	s_or_b64 s[6:7], vcc, s[6:7]
	s_waitcnt vmcnt(0) lgkmcnt(0)
	v_mul_f64 v[12:13], v[22:23], v[18:19]
	v_mul_f64 v[18:19], v[20:21], v[18:19]
	v_fma_f64 v[12:13], v[20:21], v[16:17], -v[12:13]
	v_fmac_f64_e32 v[18:19], v[22:23], v[16:17]
	v_add_f64 v[4:5], v[4:5], v[12:13]
	v_add_f64 v[2:3], v[2:3], v[18:19]
	s_andn2_b64 exec, exec, s[6:7]
	s_cbranch_execnz .LBB81_77
; %bb.78:
	s_or_b64 exec, exec, s[6:7]
	v_mov_b32_e32 v8, 0
	ds_read_b128 v[8:11], v8 offset:256
	s_waitcnt lgkmcnt(0)
	v_mul_f64 v[16:17], v[2:3], v[10:11]
	v_mul_f64 v[12:13], v[4:5], v[10:11]
	v_fma_f64 v[10:11], v[4:5], v[8:9], -v[16:17]
	v_fmac_f64_e32 v[12:13], v[2:3], v[8:9]
	scratch_store_dwordx4 off, v[10:13], off offset:256
.LBB81_79:
	s_or_b64 exec, exec, s[2:3]
	; wave barrier
	scratch_load_dwordx4 v[2:5], off, s18
	v_cmp_ne_u32_e32 vcc, 17, v1
	s_waitcnt vmcnt(0)
	ds_write_b128 v6, v[2:5]
	s_waitcnt lgkmcnt(0)
	; wave barrier
	s_and_saveexec_b64 s[2:3], vcc
	s_cbranch_execz .LBB81_83
; %bb.80:
	v_add_u32_e32 v6, 0x120, v14
	v_mov_b32_e32 v8, v14
	v_mov_b64_e32 v[2:3], 0
	s_mov_b64 s[6:7], 0
	v_mov_b64_e32 v[4:5], 0
.LBB81_81:                              ; =>This Inner Loop Header: Depth=1
	scratch_load_dwordx4 v[10:13], v8, off
	ds_read_b128 v[14:17], v6
	v_add_u32_e32 v7, 1, v7
	v_cmp_lt_u32_e32 vcc, 15, v7
	v_add_u32_e32 v6, 16, v6
	v_add_u32_e32 v8, 16, v8
	s_or_b64 s[6:7], vcc, s[6:7]
	s_waitcnt vmcnt(0) lgkmcnt(0)
	v_mul_f64 v[18:19], v[16:17], v[12:13]
	v_mul_f64 v[12:13], v[14:15], v[12:13]
	v_fma_f64 v[14:15], v[14:15], v[10:11], -v[18:19]
	v_fmac_f64_e32 v[12:13], v[16:17], v[10:11]
	v_add_f64 v[4:5], v[4:5], v[14:15]
	v_add_f64 v[2:3], v[2:3], v[12:13]
	s_andn2_b64 exec, exec, s[6:7]
	s_cbranch_execnz .LBB81_81
; %bb.82:
	s_or_b64 exec, exec, s[6:7]
	v_mov_b32_e32 v6, 0
	ds_read_b128 v[6:9], v6 offset:272
	s_waitcnt lgkmcnt(0)
	v_mul_f64 v[12:13], v[2:3], v[8:9]
	v_mul_f64 v[10:11], v[4:5], v[8:9]
	v_fma_f64 v[8:9], v[4:5], v[6:7], -v[12:13]
	v_fmac_f64_e32 v[10:11], v[2:3], v[6:7]
	scratch_store_dwordx4 off, v[8:11], off offset:272
.LBB81_83:
	s_or_b64 exec, exec, s[2:3]
	s_mov_b64 s[6:7], -1
	; wave barrier
.LBB81_84:
	s_and_b64 vcc, exec, s[6:7]
	s_cbranch_vccz .LBB81_86
; %bb.85:
	s_lshl_b64 s[2:3], s[4:5], 2
	s_add_u32 s2, s10, s2
	s_addc_u32 s3, s11, s3
	v_mov_b32_e32 v2, 0
	global_load_dword v2, v2, s[2:3]
	s_waitcnt vmcnt(0)
	v_cmp_ne_u32_e32 vcc, 0, v2
	s_cbranch_vccz .LBB81_87
.LBB81_86:
	s_endpgm
.LBB81_87:
	v_mov_b32_e32 v2, 0x120
	v_lshl_add_u32 v84, v1, 4, v2
	v_cmp_eq_u32_e32 vcc, 17, v1
	s_and_saveexec_b64 s[2:3], vcc
	s_cbranch_execz .LBB81_89
; %bb.88:
	scratch_load_dwordx4 v[2:5], off, s19
	v_mov_b32_e32 v6, 0
	v_mov_b32_e32 v7, v6
	;; [unrolled: 1-line block ×4, first 2 shown]
	scratch_store_dwordx4 off, v[6:9], off offset:256
	s_waitcnt vmcnt(1)
	ds_write_b128 v84, v[2:5]
.LBB81_89:
	s_or_b64 exec, exec, s[2:3]
	s_waitcnt lgkmcnt(0)
	; wave barrier
	scratch_load_dwordx4 v[4:7], off, off offset:272
	scratch_load_dwordx4 v[8:11], off, off offset:256
	v_mov_b32_e32 v2, 0
	ds_read_b128 v[12:15], v2 offset:560
	v_cmp_lt_u32_e32 vcc, 15, v1
	s_waitcnt vmcnt(1) lgkmcnt(0)
	v_mul_f64 v[16:17], v[12:13], v[6:7]
	v_mul_f64 v[6:7], v[14:15], v[6:7]
	v_fmac_f64_e32 v[16:17], v[14:15], v[4:5]
	v_fma_f64 v[4:5], v[12:13], v[4:5], -v[6:7]
	v_add_f64 v[6:7], v[16:17], 0
	v_add_f64 v[4:5], v[4:5], 0
	s_waitcnt vmcnt(0)
	v_add_f64 v[4:5], v[8:9], -v[4:5]
	v_add_f64 v[6:7], v[10:11], -v[6:7]
	scratch_store_dwordx4 off, v[4:7], off offset:256
	s_and_saveexec_b64 s[2:3], vcc
	s_cbranch_execz .LBB81_91
; %bb.90:
	scratch_load_dwordx4 v[6:9], off, s20
	v_mov_b32_e32 v3, v2
	v_mov_b32_e32 v4, v2
	v_mov_b32_e32 v5, v2
	scratch_store_dwordx4 off, v[2:5], off offset:240
	s_waitcnt vmcnt(1)
	ds_write_b128 v84, v[6:9]
.LBB81_91:
	s_or_b64 exec, exec, s[2:3]
	s_waitcnt lgkmcnt(0)
	; wave barrier
	scratch_load_dwordx4 v[4:7], off, off offset:256
	scratch_load_dwordx4 v[8:11], off, off offset:272
	;; [unrolled: 1-line block ×3, first 2 shown]
	ds_read_b128 v[16:19], v2 offset:544
	ds_read_b128 v[20:23], v2 offset:560
	v_cmp_lt_u32_e32 vcc, 14, v1
	s_waitcnt vmcnt(2) lgkmcnt(1)
	v_mul_f64 v[2:3], v[16:17], v[6:7]
	v_mul_f64 v[6:7], v[18:19], v[6:7]
	s_waitcnt vmcnt(1) lgkmcnt(0)
	v_mul_f64 v[24:25], v[20:21], v[10:11]
	v_mul_f64 v[10:11], v[22:23], v[10:11]
	v_fmac_f64_e32 v[2:3], v[18:19], v[4:5]
	v_fma_f64 v[4:5], v[16:17], v[4:5], -v[6:7]
	v_fmac_f64_e32 v[24:25], v[22:23], v[8:9]
	v_fma_f64 v[6:7], v[20:21], v[8:9], -v[10:11]
	v_add_f64 v[2:3], v[2:3], 0
	v_add_f64 v[4:5], v[4:5], 0
	;; [unrolled: 1-line block ×4, first 2 shown]
	s_waitcnt vmcnt(0)
	v_add_f64 v[2:3], v[12:13], -v[2:3]
	v_add_f64 v[4:5], v[14:15], -v[8:9]
	scratch_store_dwordx4 off, v[2:5], off offset:240
	s_and_saveexec_b64 s[2:3], vcc
	s_cbranch_execz .LBB81_93
; %bb.92:
	scratch_load_dwordx4 v[2:5], off, s21
	v_mov_b32_e32 v6, 0
	v_mov_b32_e32 v7, v6
	;; [unrolled: 1-line block ×4, first 2 shown]
	scratch_store_dwordx4 off, v[6:9], off offset:224
	s_waitcnt vmcnt(1)
	ds_write_b128 v84, v[2:5]
.LBB81_93:
	s_or_b64 exec, exec, s[2:3]
	s_waitcnt lgkmcnt(0)
	; wave barrier
	scratch_load_dwordx4 v[4:7], off, off offset:240
	scratch_load_dwordx4 v[8:11], off, off offset:256
	;; [unrolled: 1-line block ×4, first 2 shown]
	v_mov_b32_e32 v2, 0
	ds_read_b128 v[20:23], v2 offset:528
	ds_read_b128 v[24:27], v2 offset:544
	;; [unrolled: 1-line block ×3, first 2 shown]
	v_cmp_lt_u32_e32 vcc, 13, v1
	s_waitcnt vmcnt(3) lgkmcnt(2)
	v_mul_f64 v[32:33], v[20:21], v[6:7]
	v_mul_f64 v[6:7], v[22:23], v[6:7]
	s_waitcnt vmcnt(2) lgkmcnt(1)
	v_mul_f64 v[34:35], v[24:25], v[10:11]
	v_mul_f64 v[10:11], v[26:27], v[10:11]
	v_fmac_f64_e32 v[32:33], v[22:23], v[4:5]
	v_fma_f64 v[4:5], v[20:21], v[4:5], -v[6:7]
	s_waitcnt vmcnt(1) lgkmcnt(0)
	v_mul_f64 v[36:37], v[28:29], v[14:15]
	v_mul_f64 v[14:15], v[30:31], v[14:15]
	v_fmac_f64_e32 v[34:35], v[26:27], v[8:9]
	v_fma_f64 v[6:7], v[24:25], v[8:9], -v[10:11]
	v_add_f64 v[10:11], v[32:33], 0
	v_add_f64 v[4:5], v[4:5], 0
	v_fmac_f64_e32 v[36:37], v[30:31], v[12:13]
	v_fma_f64 v[8:9], v[28:29], v[12:13], -v[14:15]
	v_add_f64 v[10:11], v[10:11], v[34:35]
	v_add_f64 v[4:5], v[4:5], v[6:7]
	;; [unrolled: 1-line block ×4, first 2 shown]
	s_waitcnt vmcnt(0)
	v_add_f64 v[4:5], v[16:17], -v[4:5]
	v_add_f64 v[6:7], v[18:19], -v[6:7]
	scratch_store_dwordx4 off, v[4:7], off offset:224
	s_and_saveexec_b64 s[2:3], vcc
	s_cbranch_execz .LBB81_95
; %bb.94:
	scratch_load_dwordx4 v[6:9], off, s22
	v_mov_b32_e32 v3, v2
	v_mov_b32_e32 v4, v2
	;; [unrolled: 1-line block ×3, first 2 shown]
	scratch_store_dwordx4 off, v[2:5], off offset:208
	s_waitcnt vmcnt(1)
	ds_write_b128 v84, v[6:9]
.LBB81_95:
	s_or_b64 exec, exec, s[2:3]
	s_waitcnt lgkmcnt(0)
	; wave barrier
	scratch_load_dwordx4 v[4:7], off, off offset:224
	scratch_load_dwordx4 v[8:11], off, off offset:240
	;; [unrolled: 1-line block ×5, first 2 shown]
	ds_read_b128 v[24:27], v2 offset:512
	ds_read_b128 v[28:31], v2 offset:528
	;; [unrolled: 1-line block ×4, first 2 shown]
	v_cmp_lt_u32_e32 vcc, 12, v1
	s_waitcnt vmcnt(4) lgkmcnt(3)
	v_mul_f64 v[2:3], v[24:25], v[6:7]
	v_mul_f64 v[6:7], v[26:27], v[6:7]
	s_waitcnt vmcnt(3) lgkmcnt(2)
	v_mul_f64 v[40:41], v[28:29], v[10:11]
	v_mul_f64 v[10:11], v[30:31], v[10:11]
	v_fmac_f64_e32 v[2:3], v[26:27], v[4:5]
	v_fma_f64 v[4:5], v[24:25], v[4:5], -v[6:7]
	s_waitcnt vmcnt(2) lgkmcnt(1)
	v_mul_f64 v[42:43], v[32:33], v[14:15]
	v_mul_f64 v[14:15], v[34:35], v[14:15]
	v_fmac_f64_e32 v[40:41], v[30:31], v[8:9]
	v_fma_f64 v[6:7], v[28:29], v[8:9], -v[10:11]
	v_add_f64 v[2:3], v[2:3], 0
	v_add_f64 v[4:5], v[4:5], 0
	s_waitcnt vmcnt(1) lgkmcnt(0)
	v_mul_f64 v[44:45], v[36:37], v[18:19]
	v_mul_f64 v[18:19], v[38:39], v[18:19]
	v_fmac_f64_e32 v[42:43], v[34:35], v[12:13]
	v_fma_f64 v[8:9], v[32:33], v[12:13], -v[14:15]
	v_add_f64 v[2:3], v[2:3], v[40:41]
	v_add_f64 v[4:5], v[4:5], v[6:7]
	v_fmac_f64_e32 v[44:45], v[38:39], v[16:17]
	v_fma_f64 v[10:11], v[36:37], v[16:17], -v[18:19]
	v_add_f64 v[2:3], v[2:3], v[42:43]
	v_add_f64 v[4:5], v[4:5], v[8:9]
	v_add_f64 v[6:7], v[2:3], v[44:45]
	v_add_f64 v[2:3], v[4:5], v[10:11]
	s_waitcnt vmcnt(0)
	v_add_f64 v[2:3], v[20:21], -v[2:3]
	v_add_f64 v[4:5], v[22:23], -v[6:7]
	scratch_store_dwordx4 off, v[2:5], off offset:208
	s_and_saveexec_b64 s[2:3], vcc
	s_cbranch_execz .LBB81_97
; %bb.96:
	scratch_load_dwordx4 v[2:5], off, s23
	v_mov_b32_e32 v6, 0
	v_mov_b32_e32 v7, v6
	;; [unrolled: 1-line block ×4, first 2 shown]
	scratch_store_dwordx4 off, v[6:9], off offset:192
	s_waitcnt vmcnt(1)
	ds_write_b128 v84, v[2:5]
.LBB81_97:
	s_or_b64 exec, exec, s[2:3]
	s_waitcnt lgkmcnt(0)
	; wave barrier
	scratch_load_dwordx4 v[4:7], off, off offset:208
	scratch_load_dwordx4 v[8:11], off, off offset:224
	scratch_load_dwordx4 v[12:15], off, off offset:240
	scratch_load_dwordx4 v[16:19], off, off offset:256
	scratch_load_dwordx4 v[20:23], off, off offset:272
	scratch_load_dwordx4 v[24:27], off, off offset:192
	v_mov_b32_e32 v2, 0
	ds_read_b128 v[28:31], v2 offset:496
	ds_read_b128 v[32:35], v2 offset:512
	;; [unrolled: 1-line block ×5, first 2 shown]
	v_cmp_lt_u32_e32 vcc, 11, v1
	s_waitcnt vmcnt(5) lgkmcnt(4)
	v_mul_f64 v[86:87], v[28:29], v[6:7]
	v_mul_f64 v[6:7], v[30:31], v[6:7]
	s_waitcnt vmcnt(4) lgkmcnt(3)
	v_mul_f64 v[88:89], v[32:33], v[10:11]
	s_waitcnt vmcnt(3) lgkmcnt(2)
	v_mul_f64 v[90:91], v[36:37], v[14:15]
	v_mul_f64 v[10:11], v[34:35], v[10:11]
	;; [unrolled: 1-line block ×3, first 2 shown]
	v_fmac_f64_e32 v[86:87], v[30:31], v[4:5]
	v_fma_f64 v[4:5], v[28:29], v[4:5], -v[6:7]
	v_fmac_f64_e32 v[88:89], v[34:35], v[8:9]
	v_fma_f64 v[6:7], v[32:33], v[8:9], -v[10:11]
	v_fma_f64 v[8:9], v[36:37], v[12:13], -v[14:15]
	v_add_f64 v[14:15], v[86:87], 0
	v_add_f64 v[4:5], v[4:5], 0
	s_waitcnt vmcnt(2) lgkmcnt(1)
	v_mul_f64 v[92:93], v[40:41], v[18:19]
	v_mul_f64 v[18:19], v[42:43], v[18:19]
	v_fmac_f64_e32 v[90:91], v[38:39], v[12:13]
	v_add_f64 v[14:15], v[14:15], v[88:89]
	v_add_f64 v[4:5], v[4:5], v[6:7]
	s_waitcnt vmcnt(1) lgkmcnt(0)
	v_mul_f64 v[94:95], v[44:45], v[22:23]
	v_mul_f64 v[22:23], v[46:47], v[22:23]
	v_fmac_f64_e32 v[92:93], v[42:43], v[16:17]
	v_fma_f64 v[10:11], v[40:41], v[16:17], -v[18:19]
	v_add_f64 v[6:7], v[14:15], v[90:91]
	v_add_f64 v[4:5], v[4:5], v[8:9]
	v_fmac_f64_e32 v[94:95], v[46:47], v[20:21]
	v_fma_f64 v[12:13], v[44:45], v[20:21], -v[22:23]
	v_add_f64 v[6:7], v[6:7], v[92:93]
	v_add_f64 v[4:5], v[4:5], v[10:11]
	;; [unrolled: 1-line block ×4, first 2 shown]
	s_waitcnt vmcnt(0)
	v_add_f64 v[4:5], v[24:25], -v[4:5]
	v_add_f64 v[6:7], v[26:27], -v[6:7]
	scratch_store_dwordx4 off, v[4:7], off offset:192
	s_and_saveexec_b64 s[2:3], vcc
	s_cbranch_execz .LBB81_99
; %bb.98:
	scratch_load_dwordx4 v[6:9], off, s24
	v_mov_b32_e32 v3, v2
	v_mov_b32_e32 v4, v2
	;; [unrolled: 1-line block ×3, first 2 shown]
	scratch_store_dwordx4 off, v[2:5], off offset:176
	s_waitcnt vmcnt(1)
	ds_write_b128 v84, v[6:9]
.LBB81_99:
	s_or_b64 exec, exec, s[2:3]
	s_waitcnt lgkmcnt(0)
	; wave barrier
	scratch_load_dwordx4 v[4:7], off, off offset:192
	scratch_load_dwordx4 v[8:11], off, off offset:208
	;; [unrolled: 1-line block ×7, first 2 shown]
	ds_read_b128 v[32:35], v2 offset:480
	ds_read_b128 v[36:39], v2 offset:496
	;; [unrolled: 1-line block ×6, first 2 shown]
	v_cmp_lt_u32_e32 vcc, 10, v1
	s_waitcnt vmcnt(6) lgkmcnt(5)
	v_mul_f64 v[2:3], v[32:33], v[6:7]
	v_mul_f64 v[6:7], v[34:35], v[6:7]
	s_waitcnt vmcnt(5) lgkmcnt(4)
	v_mul_f64 v[94:95], v[36:37], v[10:11]
	v_mul_f64 v[10:11], v[38:39], v[10:11]
	v_fmac_f64_e32 v[2:3], v[34:35], v[4:5]
	v_fma_f64 v[4:5], v[32:33], v[4:5], -v[6:7]
	s_waitcnt vmcnt(4) lgkmcnt(3)
	v_mul_f64 v[96:97], v[40:41], v[14:15]
	v_mul_f64 v[14:15], v[42:43], v[14:15]
	v_fmac_f64_e32 v[94:95], v[38:39], v[8:9]
	v_fma_f64 v[6:7], v[36:37], v[8:9], -v[10:11]
	v_add_f64 v[2:3], v[2:3], 0
	v_add_f64 v[4:5], v[4:5], 0
	s_waitcnt vmcnt(3) lgkmcnt(2)
	v_mul_f64 v[98:99], v[44:45], v[18:19]
	v_mul_f64 v[18:19], v[46:47], v[18:19]
	v_fmac_f64_e32 v[96:97], v[42:43], v[12:13]
	v_fma_f64 v[8:9], v[40:41], v[12:13], -v[14:15]
	v_add_f64 v[2:3], v[2:3], v[94:95]
	v_add_f64 v[4:5], v[4:5], v[6:7]
	;; [unrolled: 7-line block ×4, first 2 shown]
	v_fmac_f64_e32 v[102:103], v[92:93], v[24:25]
	v_fma_f64 v[14:15], v[90:91], v[24:25], -v[26:27]
	v_add_f64 v[2:3], v[2:3], v[100:101]
	v_add_f64 v[4:5], v[4:5], v[12:13]
	;; [unrolled: 1-line block ×4, first 2 shown]
	s_waitcnt vmcnt(0)
	v_add_f64 v[2:3], v[28:29], -v[2:3]
	v_add_f64 v[4:5], v[30:31], -v[6:7]
	scratch_store_dwordx4 off, v[2:5], off offset:176
	s_and_saveexec_b64 s[2:3], vcc
	s_cbranch_execz .LBB81_101
; %bb.100:
	scratch_load_dwordx4 v[2:5], off, s25
	v_mov_b32_e32 v6, 0
	v_mov_b32_e32 v7, v6
	;; [unrolled: 1-line block ×4, first 2 shown]
	scratch_store_dwordx4 off, v[6:9], off offset:160
	s_waitcnt vmcnt(1)
	ds_write_b128 v84, v[2:5]
.LBB81_101:
	s_or_b64 exec, exec, s[2:3]
	s_waitcnt lgkmcnt(0)
	; wave barrier
	scratch_load_dwordx4 v[4:7], off, off offset:176
	scratch_load_dwordx4 v[8:11], off, off offset:192
	;; [unrolled: 1-line block ×8, first 2 shown]
	v_mov_b32_e32 v2, 0
	ds_read_b128 v[36:39], v2 offset:464
	ds_read_b128 v[40:43], v2 offset:480
	;; [unrolled: 1-line block ×7, first 2 shown]
	v_cmp_lt_u32_e32 vcc, 9, v1
	s_waitcnt vmcnt(7) lgkmcnt(6)
	v_mul_f64 v[102:103], v[36:37], v[6:7]
	v_mul_f64 v[6:7], v[38:39], v[6:7]
	s_waitcnt vmcnt(6) lgkmcnt(5)
	v_mul_f64 v[104:105], v[40:41], v[10:11]
	s_waitcnt vmcnt(4) lgkmcnt(3)
	v_mul_f64 v[108:109], v[86:87], v[18:19]
	v_mul_f64 v[10:11], v[42:43], v[10:11]
	;; [unrolled: 1-line block ×3, first 2 shown]
	v_fmac_f64_e32 v[102:103], v[38:39], v[4:5]
	v_fma_f64 v[4:5], v[36:37], v[4:5], -v[6:7]
	v_mul_f64 v[106:107], v[44:45], v[14:15]
	v_mul_f64 v[14:15], v[46:47], v[14:15]
	v_fmac_f64_e32 v[104:105], v[42:43], v[8:9]
	v_fma_f64 v[6:7], v[40:41], v[8:9], -v[10:11]
	v_fma_f64 v[10:11], v[86:87], v[16:17], -v[18:19]
	v_add_f64 v[18:19], v[102:103], 0
	v_add_f64 v[4:5], v[4:5], 0
	v_fmac_f64_e32 v[106:107], v[46:47], v[12:13]
	v_fma_f64 v[8:9], v[44:45], v[12:13], -v[14:15]
	v_add_f64 v[18:19], v[18:19], v[104:105]
	v_add_f64 v[4:5], v[4:5], v[6:7]
	s_waitcnt vmcnt(3) lgkmcnt(2)
	v_mul_f64 v[110:111], v[90:91], v[22:23]
	v_mul_f64 v[22:23], v[92:93], v[22:23]
	v_fmac_f64_e32 v[108:109], v[88:89], v[16:17]
	v_add_f64 v[6:7], v[18:19], v[106:107]
	v_add_f64 v[4:5], v[4:5], v[8:9]
	s_waitcnt vmcnt(2) lgkmcnt(1)
	v_mul_f64 v[112:113], v[94:95], v[26:27]
	v_mul_f64 v[26:27], v[96:97], v[26:27]
	v_fmac_f64_e32 v[110:111], v[92:93], v[20:21]
	v_fma_f64 v[12:13], v[90:91], v[20:21], -v[22:23]
	v_add_f64 v[6:7], v[6:7], v[108:109]
	v_add_f64 v[4:5], v[4:5], v[10:11]
	s_waitcnt vmcnt(1) lgkmcnt(0)
	v_mul_f64 v[114:115], v[98:99], v[30:31]
	v_mul_f64 v[30:31], v[100:101], v[30:31]
	v_fmac_f64_e32 v[112:113], v[96:97], v[24:25]
	v_fma_f64 v[14:15], v[94:95], v[24:25], -v[26:27]
	v_add_f64 v[6:7], v[6:7], v[110:111]
	v_add_f64 v[4:5], v[4:5], v[12:13]
	v_fmac_f64_e32 v[114:115], v[100:101], v[28:29]
	v_fma_f64 v[16:17], v[98:99], v[28:29], -v[30:31]
	v_add_f64 v[6:7], v[6:7], v[112:113]
	v_add_f64 v[4:5], v[4:5], v[14:15]
	;; [unrolled: 1-line block ×4, first 2 shown]
	s_waitcnt vmcnt(0)
	v_add_f64 v[4:5], v[32:33], -v[4:5]
	v_add_f64 v[6:7], v[34:35], -v[6:7]
	scratch_store_dwordx4 off, v[4:7], off offset:160
	s_and_saveexec_b64 s[2:3], vcc
	s_cbranch_execz .LBB81_103
; %bb.102:
	scratch_load_dwordx4 v[6:9], off, s26
	v_mov_b32_e32 v3, v2
	v_mov_b32_e32 v4, v2
	;; [unrolled: 1-line block ×3, first 2 shown]
	scratch_store_dwordx4 off, v[2:5], off offset:144
	s_waitcnt vmcnt(1)
	ds_write_b128 v84, v[6:9]
.LBB81_103:
	s_or_b64 exec, exec, s[2:3]
	s_waitcnt lgkmcnt(0)
	; wave barrier
	scratch_load_dwordx4 v[4:7], off, off offset:160
	scratch_load_dwordx4 v[8:11], off, off offset:176
	;; [unrolled: 1-line block ×9, first 2 shown]
	ds_read_b128 v[40:43], v2 offset:448
	ds_read_b128 v[44:47], v2 offset:464
	;; [unrolled: 1-line block ×8, first 2 shown]
	v_cmp_lt_u32_e32 vcc, 8, v1
	s_waitcnt vmcnt(8) lgkmcnt(7)
	v_mul_f64 v[2:3], v[40:41], v[6:7]
	v_mul_f64 v[6:7], v[42:43], v[6:7]
	s_waitcnt vmcnt(7) lgkmcnt(6)
	v_mul_f64 v[110:111], v[44:45], v[10:11]
	v_mul_f64 v[10:11], v[46:47], v[10:11]
	v_fmac_f64_e32 v[2:3], v[42:43], v[4:5]
	v_fma_f64 v[4:5], v[40:41], v[4:5], -v[6:7]
	s_waitcnt vmcnt(6) lgkmcnt(5)
	v_mul_f64 v[112:113], v[86:87], v[14:15]
	v_mul_f64 v[14:15], v[88:89], v[14:15]
	v_fmac_f64_e32 v[110:111], v[46:47], v[8:9]
	v_fma_f64 v[6:7], v[44:45], v[8:9], -v[10:11]
	v_add_f64 v[2:3], v[2:3], 0
	v_add_f64 v[4:5], v[4:5], 0
	s_waitcnt vmcnt(5) lgkmcnt(4)
	v_mul_f64 v[114:115], v[90:91], v[18:19]
	v_mul_f64 v[18:19], v[92:93], v[18:19]
	v_fmac_f64_e32 v[112:113], v[88:89], v[12:13]
	v_fma_f64 v[8:9], v[86:87], v[12:13], -v[14:15]
	v_add_f64 v[2:3], v[2:3], v[110:111]
	v_add_f64 v[4:5], v[4:5], v[6:7]
	;; [unrolled: 7-line block ×6, first 2 shown]
	v_fmac_f64_e32 v[122:123], v[108:109], v[32:33]
	v_fma_f64 v[18:19], v[106:107], v[32:33], -v[34:35]
	v_add_f64 v[2:3], v[2:3], v[120:121]
	v_add_f64 v[4:5], v[4:5], v[16:17]
	;; [unrolled: 1-line block ×4, first 2 shown]
	s_waitcnt vmcnt(0)
	v_add_f64 v[2:3], v[36:37], -v[2:3]
	v_add_f64 v[4:5], v[38:39], -v[6:7]
	scratch_store_dwordx4 off, v[2:5], off offset:144
	s_and_saveexec_b64 s[2:3], vcc
	s_cbranch_execz .LBB81_105
; %bb.104:
	scratch_load_dwordx4 v[2:5], off, s27
	v_mov_b32_e32 v6, 0
	v_mov_b32_e32 v7, v6
	;; [unrolled: 1-line block ×4, first 2 shown]
	scratch_store_dwordx4 off, v[6:9], off offset:128
	s_waitcnt vmcnt(1)
	ds_write_b128 v84, v[2:5]
.LBB81_105:
	s_or_b64 exec, exec, s[2:3]
	v_mov_b32_e32 v2, 0
	s_waitcnt lgkmcnt(0)
	; wave barrier
	ds_read_b128 v[4:7], v2 offset:432
	ds_read_b128 v[8:11], v2 offset:448
	;; [unrolled: 1-line block ×4, first 2 shown]
	scratch_load_dwordx4 v[20:23], off, off offset:144
	scratch_load_dwordx4 v[40:43], off, off offset:208
	scratch_load_dwordx4 v[110:113], off, off offset:272
	v_cmp_lt_u32_e32 vcc, 7, v1
	scratch_load_dwordx4 v[86:89], off, off offset:224
	scratch_load_dwordx4 v[94:97], off, off offset:240
	;; [unrolled: 1-line block ×3, first 2 shown]
	s_waitcnt vmcnt(5) lgkmcnt(3)
	v_mul_f64 v[24:25], v[4:5], v[22:23]
	v_fmac_f64_e32 v[24:25], v[6:7], v[20:21]
	v_add_f64 v[28:29], v[24:25], 0
	scratch_load_dwordx4 v[24:27], off, off offset:160
	v_mul_f64 v[6:7], v[6:7], v[22:23]
	v_fma_f64 v[4:5], v[4:5], v[20:21], -v[6:7]
	v_add_f64 v[4:5], v[4:5], 0
	s_waitcnt vmcnt(0) lgkmcnt(2)
	v_mul_f64 v[30:31], v[8:9], v[26:27]
	v_fmac_f64_e32 v[30:31], v[10:11], v[24:25]
	v_add_f64 v[32:33], v[28:29], v[30:31]
	scratch_load_dwordx4 v[28:31], off, off offset:176
	v_mul_f64 v[6:7], v[10:11], v[26:27]
	v_fma_f64 v[6:7], v[8:9], v[24:25], -v[6:7]
	v_add_f64 v[4:5], v[4:5], v[6:7]
	s_waitcnt vmcnt(0) lgkmcnt(1)
	v_mul_f64 v[34:35], v[12:13], v[30:31]
	v_fmac_f64_e32 v[34:35], v[14:15], v[28:29]
	v_add_f64 v[36:37], v[32:33], v[34:35]
	scratch_load_dwordx4 v[32:35], off, off offset:192
	v_mul_f64 v[6:7], v[14:15], v[30:31]
	v_fma_f64 v[6:7], v[12:13], v[28:29], -v[6:7]
	v_add_f64 v[4:5], v[4:5], v[6:7]
	s_waitcnt vmcnt(0) lgkmcnt(0)
	v_mul_f64 v[38:39], v[16:17], v[34:35]
	v_fmac_f64_e32 v[38:39], v[18:19], v[32:33]
	v_add_f64 v[44:45], v[36:37], v[38:39]
	ds_read_b128 v[36:39], v2 offset:496
	v_mul_f64 v[6:7], v[18:19], v[34:35]
	v_fma_f64 v[6:7], v[16:17], v[32:33], -v[6:7]
	v_add_f64 v[4:5], v[4:5], v[6:7]
	s_waitcnt lgkmcnt(0)
	v_mul_f64 v[46:47], v[36:37], v[42:43]
	v_fmac_f64_e32 v[46:47], v[38:39], v[40:41]
	v_add_f64 v[90:91], v[44:45], v[46:47]
	ds_read_b128 v[44:47], v2 offset:512
	v_mul_f64 v[6:7], v[38:39], v[42:43]
	v_fma_f64 v[6:7], v[36:37], v[40:41], -v[6:7]
	v_add_f64 v[4:5], v[4:5], v[6:7]
	s_waitcnt lgkmcnt(0)
	;; [unrolled: 8-line block ×5, first 2 shown]
	v_mul_f64 v[6:7], v[108:109], v[112:113]
	v_fma_f64 v[6:7], v[106:107], v[110:111], -v[6:7]
	v_add_f64 v[8:9], v[4:5], v[6:7]
	scratch_load_dwordx4 v[4:7], off, off offset:128
	v_mul_f64 v[116:117], v[106:107], v[112:113]
	v_fmac_f64_e32 v[116:117], v[108:109], v[110:111]
	v_add_f64 v[114:115], v[114:115], v[116:117]
	s_waitcnt vmcnt(0)
	v_add_f64 v[4:5], v[4:5], -v[8:9]
	v_add_f64 v[6:7], v[6:7], -v[114:115]
	scratch_store_dwordx4 off, v[4:7], off offset:128
	s_and_saveexec_b64 s[2:3], vcc
	s_cbranch_execz .LBB81_107
; %bb.106:
	scratch_load_dwordx4 v[6:9], off, s28
	v_mov_b32_e32 v3, v2
	v_mov_b32_e32 v4, v2
	;; [unrolled: 1-line block ×3, first 2 shown]
	scratch_store_dwordx4 off, v[2:5], off offset:112
	s_waitcnt vmcnt(1)
	ds_write_b128 v84, v[6:9]
.LBB81_107:
	s_or_b64 exec, exec, s[2:3]
	s_waitcnt lgkmcnt(0)
	; wave barrier
	scratch_load_dwordx4 v[4:7], off, off offset:128
	scratch_load_dwordx4 v[8:11], off, off offset:144
	;; [unrolled: 1-line block ×11, first 2 shown]
	ds_read_b128 v[86:89], v2 offset:416
	ds_read_b128 v[90:93], v2 offset:432
	;; [unrolled: 1-line block ×10, first 2 shown]
	v_cmp_lt_u32_e32 vcc, 6, v1
	s_waitcnt vmcnt(10) lgkmcnt(9)
	v_mul_f64 v[2:3], v[86:87], v[6:7]
	v_mul_f64 v[6:7], v[88:89], v[6:7]
	s_waitcnt vmcnt(9) lgkmcnt(8)
	v_mul_f64 v[126:127], v[90:91], v[10:11]
	v_mul_f64 v[10:11], v[92:93], v[10:11]
	v_fmac_f64_e32 v[2:3], v[88:89], v[4:5]
	v_fma_f64 v[4:5], v[86:87], v[4:5], -v[6:7]
	s_waitcnt vmcnt(8) lgkmcnt(7)
	v_mul_f64 v[128:129], v[94:95], v[14:15]
	v_mul_f64 v[14:15], v[96:97], v[14:15]
	v_fmac_f64_e32 v[126:127], v[92:93], v[8:9]
	v_fma_f64 v[6:7], v[90:91], v[8:9], -v[10:11]
	v_add_f64 v[2:3], v[2:3], 0
	v_add_f64 v[4:5], v[4:5], 0
	s_waitcnt vmcnt(7) lgkmcnt(6)
	v_mul_f64 v[130:131], v[98:99], v[18:19]
	v_mul_f64 v[18:19], v[100:101], v[18:19]
	v_fmac_f64_e32 v[128:129], v[96:97], v[12:13]
	v_fma_f64 v[8:9], v[94:95], v[12:13], -v[14:15]
	v_add_f64 v[2:3], v[2:3], v[126:127]
	v_add_f64 v[4:5], v[4:5], v[6:7]
	;; [unrolled: 7-line block ×8, first 2 shown]
	v_fmac_f64_e32 v[142:143], v[124:125], v[40:41]
	v_fma_f64 v[22:23], v[122:123], v[40:41], -v[42:43]
	v_add_f64 v[2:3], v[2:3], v[140:141]
	v_add_f64 v[4:5], v[4:5], v[20:21]
	;; [unrolled: 1-line block ×4, first 2 shown]
	s_waitcnt vmcnt(0)
	v_add_f64 v[2:3], v[44:45], -v[2:3]
	v_add_f64 v[4:5], v[46:47], -v[6:7]
	scratch_store_dwordx4 off, v[2:5], off offset:112
	s_and_saveexec_b64 s[2:3], vcc
	s_cbranch_execz .LBB81_109
; %bb.108:
	scratch_load_dwordx4 v[2:5], off, s29
	v_mov_b32_e32 v6, 0
	v_mov_b32_e32 v7, v6
	;; [unrolled: 1-line block ×4, first 2 shown]
	scratch_store_dwordx4 off, v[6:9], off offset:96
	s_waitcnt vmcnt(1)
	ds_write_b128 v84, v[2:5]
.LBB81_109:
	s_or_b64 exec, exec, s[2:3]
	s_waitcnt lgkmcnt(0)
	; wave barrier
	scratch_load_dwordx4 v[4:7], off, off offset:112
	scratch_load_dwordx4 v[8:11], off, off offset:128
	;; [unrolled: 1-line block ×12, first 2 shown]
	v_mov_b32_e32 v2, 0
	ds_read_b128 v[90:93], v2 offset:400
	ds_read_b128 v[94:97], v2 offset:416
	;; [unrolled: 1-line block ×11, first 2 shown]
	v_cmp_lt_u32_e32 vcc, 5, v1
	s_waitcnt vmcnt(11) lgkmcnt(10)
	v_mul_f64 v[134:135], v[90:91], v[6:7]
	v_mul_f64 v[6:7], v[92:93], v[6:7]
	s_waitcnt vmcnt(10) lgkmcnt(9)
	v_mul_f64 v[136:137], v[94:95], v[10:11]
	s_waitcnt vmcnt(9) lgkmcnt(8)
	v_mul_f64 v[138:139], v[98:99], v[14:15]
	v_mul_f64 v[10:11], v[96:97], v[10:11]
	s_waitcnt vmcnt(6) lgkmcnt(5)
	v_mul_f64 v[144:145], v[110:111], v[26:27]
	v_mul_f64 v[14:15], v[100:101], v[14:15]
	;; [unrolled: 1-line block ×3, first 2 shown]
	v_fmac_f64_e32 v[134:135], v[92:93], v[4:5]
	v_fma_f64 v[4:5], v[90:91], v[4:5], -v[6:7]
	v_fmac_f64_e32 v[136:137], v[96:97], v[8:9]
	v_fma_f64 v[6:7], v[94:95], v[8:9], -v[10:11]
	v_fma_f64 v[8:9], v[98:99], v[12:13], -v[14:15]
	;; [unrolled: 1-line block ×3, first 2 shown]
	v_add_f64 v[26:27], v[134:135], 0
	v_add_f64 v[4:5], v[4:5], 0
	v_mul_f64 v[140:141], v[102:103], v[18:19]
	v_mul_f64 v[18:19], v[104:105], v[18:19]
	v_fmac_f64_e32 v[138:139], v[100:101], v[12:13]
	v_add_f64 v[26:27], v[26:27], v[136:137]
	v_add_f64 v[4:5], v[4:5], v[6:7]
	v_mul_f64 v[142:143], v[106:107], v[22:23]
	v_mul_f64 v[22:23], v[108:109], v[22:23]
	v_fmac_f64_e32 v[140:141], v[104:105], v[16:17]
	v_fma_f64 v[10:11], v[102:103], v[16:17], -v[18:19]
	v_add_f64 v[6:7], v[26:27], v[138:139]
	v_add_f64 v[4:5], v[4:5], v[8:9]
	v_fmac_f64_e32 v[142:143], v[108:109], v[20:21]
	v_fma_f64 v[12:13], v[106:107], v[20:21], -v[22:23]
	v_add_f64 v[6:7], v[6:7], v[140:141]
	v_add_f64 v[4:5], v[4:5], v[10:11]
	s_waitcnt vmcnt(5) lgkmcnt(4)
	v_mul_f64 v[146:147], v[114:115], v[30:31]
	v_mul_f64 v[30:31], v[116:117], v[30:31]
	v_fmac_f64_e32 v[144:145], v[112:113], v[24:25]
	v_add_f64 v[6:7], v[6:7], v[142:143]
	v_add_f64 v[4:5], v[4:5], v[12:13]
	s_waitcnt vmcnt(4) lgkmcnt(3)
	v_mul_f64 v[148:149], v[118:119], v[34:35]
	v_mul_f64 v[34:35], v[120:121], v[34:35]
	v_fmac_f64_e32 v[146:147], v[116:117], v[28:29]
	v_fma_f64 v[16:17], v[114:115], v[28:29], -v[30:31]
	v_add_f64 v[6:7], v[6:7], v[144:145]
	v_add_f64 v[4:5], v[4:5], v[14:15]
	s_waitcnt vmcnt(3) lgkmcnt(2)
	v_mul_f64 v[150:151], v[122:123], v[38:39]
	v_mul_f64 v[38:39], v[124:125], v[38:39]
	v_fmac_f64_e32 v[148:149], v[120:121], v[32:33]
	v_fma_f64 v[18:19], v[118:119], v[32:33], -v[34:35]
	;; [unrolled: 7-line block ×4, first 2 shown]
	v_add_f64 v[6:7], v[6:7], v[150:151]
	v_add_f64 v[4:5], v[4:5], v[20:21]
	v_fmac_f64_e32 v[154:155], v[132:133], v[44:45]
	v_fma_f64 v[24:25], v[130:131], v[44:45], -v[46:47]
	v_add_f64 v[6:7], v[6:7], v[152:153]
	v_add_f64 v[4:5], v[4:5], v[22:23]
	v_add_f64 v[6:7], v[6:7], v[154:155]
	v_add_f64 v[4:5], v[4:5], v[24:25]
	s_waitcnt vmcnt(0)
	v_add_f64 v[4:5], v[86:87], -v[4:5]
	v_add_f64 v[6:7], v[88:89], -v[6:7]
	scratch_store_dwordx4 off, v[4:7], off offset:96
	s_and_saveexec_b64 s[2:3], vcc
	s_cbranch_execz .LBB81_111
; %bb.110:
	scratch_load_dwordx4 v[6:9], off, s30
	v_mov_b32_e32 v3, v2
	v_mov_b32_e32 v4, v2
	v_mov_b32_e32 v5, v2
	scratch_store_dwordx4 off, v[2:5], off offset:80
	s_waitcnt vmcnt(1)
	ds_write_b128 v84, v[6:9]
.LBB81_111:
	s_or_b64 exec, exec, s[2:3]
	s_waitcnt lgkmcnt(0)
	; wave barrier
	scratch_load_dwordx4 v[4:7], off, off offset:96
	scratch_load_dwordx4 v[8:11], off, off offset:112
	scratch_load_dwordx4 v[12:15], off, off offset:128
	scratch_load_dwordx4 v[16:19], off, off offset:144
	scratch_load_dwordx4 v[20:23], off, off offset:160
	scratch_load_dwordx4 v[24:27], off, off offset:176
	scratch_load_dwordx4 v[28:31], off, off offset:192
	scratch_load_dwordx4 v[32:35], off, off offset:208
	scratch_load_dwordx4 v[36:39], off, off offset:224
	scratch_load_dwordx4 v[40:43], off, off offset:240
	scratch_load_dwordx4 v[44:47], off, off offset:256
	scratch_load_dwordx4 v[86:89], off, off offset:272
	ds_read_b128 v[90:93], v2 offset:384
	ds_read_b128 v[94:97], v2 offset:400
	;; [unrolled: 1-line block ×4, first 2 shown]
	scratch_load_dwordx4 v[106:109], off, off offset:80
	ds_read_b128 v[110:113], v2 offset:448
	ds_read_b128 v[114:117], v2 offset:464
	;; [unrolled: 1-line block ×8, first 2 shown]
	v_cmp_lt_u32_e32 vcc, 4, v1
	s_waitcnt vmcnt(12) lgkmcnt(11)
	v_mul_f64 v[2:3], v[90:91], v[6:7]
	s_waitcnt vmcnt(11) lgkmcnt(10)
	v_mul_f64 v[142:143], v[94:95], v[10:11]
	v_fmac_f64_e32 v[2:3], v[92:93], v[4:5]
	s_waitcnt vmcnt(10) lgkmcnt(9)
	v_mul_f64 v[144:145], v[98:99], v[14:15]
	v_mul_f64 v[6:7], v[92:93], v[6:7]
	v_fmac_f64_e32 v[142:143], v[96:97], v[8:9]
	v_add_f64 v[2:3], v[2:3], 0
	s_waitcnt vmcnt(9) lgkmcnt(8)
	v_mul_f64 v[146:147], v[102:103], v[18:19]
	v_mul_f64 v[10:11], v[96:97], v[10:11]
	v_fmac_f64_e32 v[144:145], v[100:101], v[12:13]
	v_fma_f64 v[4:5], v[90:91], v[4:5], -v[6:7]
	v_add_f64 v[2:3], v[2:3], v[142:143]
	s_waitcnt vmcnt(8) lgkmcnt(7)
	v_mul_f64 v[148:149], v[110:111], v[22:23]
	v_mul_f64 v[14:15], v[100:101], v[14:15]
	v_fmac_f64_e32 v[146:147], v[104:105], v[16:17]
	v_fma_f64 v[6:7], v[94:95], v[8:9], -v[10:11]
	v_add_f64 v[4:5], v[4:5], 0
	v_add_f64 v[2:3], v[2:3], v[144:145]
	s_waitcnt vmcnt(7) lgkmcnt(6)
	v_mul_f64 v[150:151], v[114:115], v[26:27]
	v_mul_f64 v[18:19], v[104:105], v[18:19]
	v_fmac_f64_e32 v[148:149], v[112:113], v[20:21]
	v_fma_f64 v[8:9], v[98:99], v[12:13], -v[14:15]
	v_add_f64 v[4:5], v[4:5], v[6:7]
	;; [unrolled: 7-line block ×8, first 2 shown]
	v_add_f64 v[2:3], v[2:3], v[158:159]
	v_mul_f64 v[46:47], v[136:137], v[46:47]
	v_fmac_f64_e32 v[162:163], v[140:141], v[86:87]
	v_fma_f64 v[22:23], v[130:131], v[40:41], -v[42:43]
	v_add_f64 v[4:5], v[4:5], v[20:21]
	v_add_f64 v[2:3], v[2:3], v[160:161]
	;; [unrolled: 1-line block ×4, first 2 shown]
	v_fma_f64 v[2:3], v[134:135], v[44:45], -v[46:47]
	v_add_f64 v[2:3], v[4:5], v[2:3]
	v_mul_f64 v[4:5], v[140:141], v[88:89]
	v_fma_f64 v[4:5], v[138:139], v[86:87], -v[4:5]
	v_add_f64 v[2:3], v[2:3], v[4:5]
	s_waitcnt vmcnt(0)
	v_add_f64 v[2:3], v[106:107], -v[2:3]
	v_add_f64 v[4:5], v[108:109], -v[6:7]
	scratch_store_dwordx4 off, v[2:5], off offset:80
	s_and_saveexec_b64 s[2:3], vcc
	s_cbranch_execz .LBB81_113
; %bb.112:
	scratch_load_dwordx4 v[2:5], off, s31
	v_mov_b32_e32 v6, 0
	v_mov_b32_e32 v7, v6
	;; [unrolled: 1-line block ×4, first 2 shown]
	scratch_store_dwordx4 off, v[6:9], off offset:64
	s_waitcnt vmcnt(1)
	ds_write_b128 v84, v[2:5]
.LBB81_113:
	s_or_b64 exec, exec, s[2:3]
	v_mov_b32_e32 v2, 0
	s_waitcnt lgkmcnt(0)
	; wave barrier
	ds_read_b128 v[4:7], v2 offset:368
	ds_read_b128 v[8:11], v2 offset:384
	;; [unrolled: 1-line block ×4, first 2 shown]
	scratch_load_dwordx4 v[20:23], off, off offset:80
	scratch_load_dwordx4 v[40:43], off, off offset:144
	scratch_load_dwordx4 v[110:113], off, off offset:208
	scratch_load_dwordx4 v[118:121], off, off offset:224
	scratch_load_dwordx4 v[126:129], off, off offset:240
	scratch_load_dwordx4 v[134:137], off, off offset:256
	scratch_load_dwordx4 v[142:145], off, off offset:272
	v_cmp_lt_u32_e32 vcc, 3, v1
	scratch_load_dwordx4 v[86:89], off, off offset:160
	scratch_load_dwordx4 v[94:97], off, off offset:176
	;; [unrolled: 1-line block ×3, first 2 shown]
	s_waitcnt vmcnt(9) lgkmcnt(3)
	v_mul_f64 v[24:25], v[4:5], v[22:23]
	v_fmac_f64_e32 v[24:25], v[6:7], v[20:21]
	v_add_f64 v[28:29], v[24:25], 0
	scratch_load_dwordx4 v[24:27], off, off offset:96
	v_mul_f64 v[6:7], v[6:7], v[22:23]
	v_fma_f64 v[4:5], v[4:5], v[20:21], -v[6:7]
	v_add_f64 v[4:5], v[4:5], 0
	s_waitcnt vmcnt(0) lgkmcnt(2)
	v_mul_f64 v[30:31], v[8:9], v[26:27]
	v_fmac_f64_e32 v[30:31], v[10:11], v[24:25]
	v_add_f64 v[32:33], v[28:29], v[30:31]
	scratch_load_dwordx4 v[28:31], off, off offset:112
	v_mul_f64 v[6:7], v[10:11], v[26:27]
	v_fma_f64 v[6:7], v[8:9], v[24:25], -v[6:7]
	v_add_f64 v[4:5], v[4:5], v[6:7]
	;; [unrolled: 8-line block ×3, first 2 shown]
	s_waitcnt vmcnt(0) lgkmcnt(0)
	v_mul_f64 v[38:39], v[16:17], v[34:35]
	v_fmac_f64_e32 v[38:39], v[18:19], v[32:33]
	v_add_f64 v[44:45], v[36:37], v[38:39]
	ds_read_b128 v[36:39], v2 offset:432
	v_mul_f64 v[6:7], v[18:19], v[34:35]
	v_fma_f64 v[6:7], v[16:17], v[32:33], -v[6:7]
	v_add_f64 v[4:5], v[4:5], v[6:7]
	s_waitcnt lgkmcnt(0)
	v_mul_f64 v[46:47], v[36:37], v[42:43]
	v_fmac_f64_e32 v[46:47], v[38:39], v[40:41]
	v_add_f64 v[90:91], v[44:45], v[46:47]
	ds_read_b128 v[44:47], v2 offset:448
	v_mul_f64 v[6:7], v[38:39], v[42:43]
	v_fma_f64 v[6:7], v[36:37], v[40:41], -v[6:7]
	v_add_f64 v[4:5], v[4:5], v[6:7]
	s_waitcnt lgkmcnt(0)
	;; [unrolled: 8-line block ×9, first 2 shown]
	v_mul_f64 v[6:7], v[140:141], v[144:145]
	v_fma_f64 v[6:7], v[138:139], v[142:143], -v[6:7]
	v_add_f64 v[8:9], v[4:5], v[6:7]
	scratch_load_dwordx4 v[4:7], off, off offset:64
	v_mul_f64 v[148:149], v[138:139], v[144:145]
	v_fmac_f64_e32 v[148:149], v[140:141], v[142:143]
	v_add_f64 v[146:147], v[146:147], v[148:149]
	s_waitcnt vmcnt(0)
	v_add_f64 v[4:5], v[4:5], -v[8:9]
	v_add_f64 v[6:7], v[6:7], -v[146:147]
	scratch_store_dwordx4 off, v[4:7], off offset:64
	s_and_saveexec_b64 s[2:3], vcc
	s_cbranch_execz .LBB81_115
; %bb.114:
	scratch_load_dwordx4 v[6:9], off, s33
	v_mov_b32_e32 v3, v2
	v_mov_b32_e32 v4, v2
	;; [unrolled: 1-line block ×3, first 2 shown]
	scratch_store_dwordx4 off, v[2:5], off offset:48
	s_waitcnt vmcnt(1)
	ds_write_b128 v84, v[6:9]
.LBB81_115:
	s_or_b64 exec, exec, s[2:3]
	s_waitcnt lgkmcnt(0)
	; wave barrier
	ds_read_b128 v[4:7], v2 offset:352
	ds_read_b128 v[8:11], v2 offset:368
	ds_read_b128 v[12:15], v2 offset:384
	ds_read_b128 v[16:19], v2 offset:400
	scratch_load_dwordx4 v[20:23], off, off offset:64
	scratch_load_dwordx4 v[40:43], off, off offset:128
	;; [unrolled: 1-line block ×8, first 2 shown]
	v_cmp_lt_u32_e32 vcc, 2, v1
	scratch_load_dwordx4 v[86:89], off, off offset:144
	scratch_load_dwordx4 v[94:97], off, off offset:160
	;; [unrolled: 1-line block ×3, first 2 shown]
	s_waitcnt vmcnt(10) lgkmcnt(3)
	v_mul_f64 v[24:25], v[4:5], v[22:23]
	v_fmac_f64_e32 v[24:25], v[6:7], v[20:21]
	v_add_f64 v[28:29], v[24:25], 0
	scratch_load_dwordx4 v[24:27], off, off offset:80
	s_waitcnt vmcnt(0) lgkmcnt(2)
	v_mul_f64 v[30:31], v[8:9], v[26:27]
	v_fmac_f64_e32 v[30:31], v[10:11], v[24:25]
	v_add_f64 v[32:33], v[28:29], v[30:31]
	scratch_load_dwordx4 v[28:31], off, off offset:96
	;; [unrolled: 5-line block ×3, first 2 shown]
	s_waitcnt vmcnt(0) lgkmcnt(0)
	v_mul_f64 v[38:39], v[16:17], v[34:35]
	v_fmac_f64_e32 v[38:39], v[18:19], v[32:33]
	v_add_f64 v[44:45], v[36:37], v[38:39]
	ds_read_b128 v[36:39], v2 offset:416
	s_waitcnt lgkmcnt(0)
	v_mul_f64 v[46:47], v[36:37], v[42:43]
	v_fmac_f64_e32 v[46:47], v[38:39], v[40:41]
	v_add_f64 v[90:91], v[44:45], v[46:47]
	ds_read_b128 v[44:47], v2 offset:432
	s_waitcnt lgkmcnt(0)
	;; [unrolled: 5-line block ×10, first 2 shown]
	v_mul_f64 v[2:3], v[146:147], v[152:153]
	v_fmac_f64_e32 v[2:3], v[148:149], v[150:151]
	v_add_f64 v[154:155], v[154:155], v[2:3]
	v_mul_f64 v[2:3], v[6:7], v[22:23]
	v_fma_f64 v[2:3], v[4:5], v[20:21], -v[2:3]
	v_mul_f64 v[4:5], v[10:11], v[26:27]
	v_add_f64 v[2:3], v[2:3], 0
	v_fma_f64 v[4:5], v[8:9], v[24:25], -v[4:5]
	v_add_f64 v[2:3], v[2:3], v[4:5]
	v_mul_f64 v[4:5], v[14:15], v[30:31]
	v_fma_f64 v[4:5], v[12:13], v[28:29], -v[4:5]
	v_add_f64 v[2:3], v[2:3], v[4:5]
	v_mul_f64 v[4:5], v[18:19], v[34:35]
	;; [unrolled: 3-line block ×12, first 2 shown]
	v_fma_f64 v[4:5], v[146:147], v[150:151], -v[4:5]
	v_add_f64 v[6:7], v[2:3], v[4:5]
	scratch_load_dwordx4 v[2:5], off, off offset:48
	s_waitcnt vmcnt(0)
	v_add_f64 v[2:3], v[2:3], -v[6:7]
	v_add_f64 v[4:5], v[4:5], -v[154:155]
	scratch_store_dwordx4 off, v[2:5], off offset:48
	s_and_saveexec_b64 s[2:3], vcc
	s_cbranch_execz .LBB81_117
; %bb.116:
	scratch_load_dwordx4 v[2:5], off, s34
	v_mov_b32_e32 v6, 0
	v_mov_b32_e32 v7, v6
	;; [unrolled: 1-line block ×4, first 2 shown]
	scratch_store_dwordx4 off, v[6:9], off offset:32
	s_waitcnt vmcnt(1)
	ds_write_b128 v84, v[2:5]
.LBB81_117:
	s_or_b64 exec, exec, s[2:3]
	s_waitcnt lgkmcnt(0)
	; wave barrier
	scratch_load_dwordx4 v[4:7], off, off offset:48
	scratch_load_dwordx4 v[8:11], off, off offset:64
	;; [unrolled: 1-line block ×16, first 2 shown]
	v_mov_b32_e32 v2, 0
	ds_read_b128 v[106:109], v2 offset:336
	ds_read_b128 v[110:113], v2 offset:352
	;; [unrolled: 1-line block ×15, first 2 shown]
	v_cmp_lt_u32_e32 vcc, 1, v1
	s_waitcnt vmcnt(15) lgkmcnt(14)
	v_mul_f64 v[166:167], v[106:107], v[6:7]
	v_mul_f64 v[6:7], v[108:109], v[6:7]
	s_waitcnt vmcnt(14) lgkmcnt(13)
	v_mul_f64 v[168:169], v[110:111], v[10:11]
	v_mul_f64 v[10:11], v[112:113], v[10:11]
	v_fmac_f64_e32 v[166:167], v[108:109], v[4:5]
	v_fma_f64 v[4:5], v[106:107], v[4:5], -v[6:7]
	s_waitcnt vmcnt(13) lgkmcnt(12)
	v_mul_f64 v[170:171], v[114:115], v[14:15]
	v_mul_f64 v[14:15], v[116:117], v[14:15]
	v_fma_f64 v[6:7], v[110:111], v[8:9], -v[10:11]
	v_add_f64 v[4:5], v[4:5], 0
	s_waitcnt vmcnt(12) lgkmcnt(11)
	v_mul_f64 v[172:173], v[118:119], v[18:19]
	v_mul_f64 v[18:19], v[120:121], v[18:19]
	v_fmac_f64_e32 v[168:169], v[112:113], v[8:9]
	v_fma_f64 v[8:9], v[114:115], v[12:13], -v[14:15]
	v_add_f64 v[4:5], v[4:5], v[6:7]
	s_waitcnt vmcnt(11) lgkmcnt(10)
	v_mul_f64 v[174:175], v[122:123], v[22:23]
	v_mul_f64 v[22:23], v[124:125], v[22:23]
	v_fma_f64 v[10:11], v[118:119], v[16:17], -v[18:19]
	v_add_f64 v[4:5], v[4:5], v[8:9]
	s_waitcnt vmcnt(10) lgkmcnt(9)
	v_mul_f64 v[176:177], v[126:127], v[30:31]
	v_mul_f64 v[30:31], v[128:129], v[30:31]
	v_fmac_f64_e32 v[170:171], v[116:117], v[12:13]
	v_fma_f64 v[12:13], v[122:123], v[20:21], -v[22:23]
	v_add_f64 v[4:5], v[4:5], v[10:11]
	v_fma_f64 v[14:15], v[126:127], v[28:29], -v[30:31]
	v_add_f64 v[4:5], v[4:5], v[12:13]
	s_waitcnt vmcnt(9) lgkmcnt(8)
	v_mul_f64 v[8:9], v[132:133], v[26:27]
	v_add_f64 v[4:5], v[4:5], v[14:15]
	v_fma_f64 v[8:9], v[130:131], v[24:25], -v[8:9]
	v_add_f64 v[4:5], v[4:5], v[8:9]
	s_waitcnt vmcnt(8) lgkmcnt(7)
	v_mul_f64 v[8:9], v[136:137], v[34:35]
	v_fma_f64 v[8:9], v[134:135], v[32:33], -v[8:9]
	v_fmac_f64_e32 v[172:173], v[120:121], v[16:17]
	v_add_f64 v[16:17], v[166:167], 0
	v_add_f64 v[4:5], v[4:5], v[8:9]
	s_waitcnt vmcnt(7) lgkmcnt(6)
	v_mul_f64 v[8:9], v[140:141], v[38:39]
	v_add_f64 v[16:17], v[16:17], v[168:169]
	v_fma_f64 v[8:9], v[138:139], v[36:37], -v[8:9]
	v_add_f64 v[6:7], v[16:17], v[170:171]
	v_add_f64 v[4:5], v[4:5], v[8:9]
	s_waitcnt vmcnt(6) lgkmcnt(5)
	v_mul_f64 v[8:9], v[144:145], v[42:43]
	v_fmac_f64_e32 v[174:175], v[124:125], v[20:21]
	v_add_f64 v[6:7], v[6:7], v[172:173]
	v_fma_f64 v[8:9], v[142:143], v[40:41], -v[8:9]
	v_mul_f64 v[178:179], v[130:131], v[26:27]
	v_fmac_f64_e32 v[176:177], v[128:129], v[28:29]
	v_add_f64 v[6:7], v[6:7], v[174:175]
	v_add_f64 v[4:5], v[4:5], v[8:9]
	s_waitcnt vmcnt(5) lgkmcnt(4)
	v_mul_f64 v[8:9], v[148:149], v[46:47]
	v_mul_f64 v[180:181], v[134:135], v[34:35]
	v_fmac_f64_e32 v[178:179], v[132:133], v[24:25]
	v_add_f64 v[6:7], v[6:7], v[176:177]
	v_fma_f64 v[8:9], v[146:147], v[44:45], -v[8:9]
	v_mul_f64 v[182:183], v[138:139], v[38:39]
	v_fmac_f64_e32 v[180:181], v[136:137], v[32:33]
	v_add_f64 v[6:7], v[6:7], v[178:179]
	v_add_f64 v[4:5], v[4:5], v[8:9]
	s_waitcnt vmcnt(4) lgkmcnt(3)
	v_mul_f64 v[8:9], v[152:153], v[88:89]
	;; [unrolled: 10-line block ×4, first 2 shown]
	v_mul_f64 v[192:193], v[158:159], v[96:97]
	v_fmac_f64_e32 v[190:191], v[156:157], v[90:91]
	v_add_f64 v[6:7], v[6:7], v[188:189]
	v_fma_f64 v[8:9], v[158:159], v[94:95], -v[8:9]
	s_waitcnt vmcnt(1) lgkmcnt(0)
	v_mul_f64 v[194:195], v[162:163], v[100:101]
	v_fmac_f64_e32 v[192:193], v[160:161], v[94:95]
	v_add_f64 v[6:7], v[6:7], v[190:191]
	v_add_f64 v[4:5], v[4:5], v[8:9]
	v_mul_f64 v[8:9], v[164:165], v[100:101]
	v_fmac_f64_e32 v[194:195], v[164:165], v[98:99]
	v_add_f64 v[6:7], v[6:7], v[192:193]
	v_fma_f64 v[8:9], v[162:163], v[98:99], -v[8:9]
	v_add_f64 v[6:7], v[6:7], v[194:195]
	v_add_f64 v[4:5], v[4:5], v[8:9]
	s_waitcnt vmcnt(0)
	v_add_f64 v[4:5], v[102:103], -v[4:5]
	v_add_f64 v[6:7], v[104:105], -v[6:7]
	scratch_store_dwordx4 off, v[4:7], off offset:32
	s_and_saveexec_b64 s[2:3], vcc
	s_cbranch_execz .LBB81_119
; %bb.118:
	scratch_load_dwordx4 v[6:9], off, s35
	v_mov_b32_e32 v3, v2
	v_mov_b32_e32 v4, v2
	;; [unrolled: 1-line block ×3, first 2 shown]
	scratch_store_dwordx4 off, v[2:5], off offset:16
	s_waitcnt vmcnt(1)
	ds_write_b128 v84, v[6:9]
.LBB81_119:
	s_or_b64 exec, exec, s[2:3]
	s_waitcnt lgkmcnt(0)
	; wave barrier
	scratch_load_dwordx4 v[4:7], off, off offset:32
	scratch_load_dwordx4 v[8:11], off, off offset:48
	;; [unrolled: 1-line block ×16, first 2 shown]
	ds_read_b128 v[106:109], v2 offset:320
	ds_read_b128 v[110:113], v2 offset:336
	;; [unrolled: 1-line block ×16, first 2 shown]
	scratch_load_dwordx4 v[170:173], off, off offset:16
	v_cmp_ne_u32_e32 vcc, 0, v1
	s_waitcnt vmcnt(16) lgkmcnt(14)
	v_mul_f64 v[2:3], v[106:107], v[6:7]
	s_waitcnt vmcnt(15)
	v_mul_f64 v[174:175], v[110:111], v[10:11]
	v_fmac_f64_e32 v[2:3], v[108:109], v[4:5]
	s_waitcnt vmcnt(14) lgkmcnt(13)
	v_mul_f64 v[176:177], v[114:115], v[18:19]
	v_fmac_f64_e32 v[174:175], v[112:113], v[8:9]
	v_add_f64 v[2:3], v[2:3], 0
	s_waitcnt vmcnt(13) lgkmcnt(12)
	v_mul_f64 v[178:179], v[118:119], v[14:15]
	v_fmac_f64_e32 v[176:177], v[116:117], v[16:17]
	v_add_f64 v[2:3], v[2:3], v[174:175]
	;; [unrolled: 4-line block ×10, first 2 shown]
	v_mul_f64 v[6:7], v[108:109], v[6:7]
	s_waitcnt vmcnt(4) lgkmcnt(3)
	v_mul_f64 v[196:197], v[154:155], v[92:93]
	v_fmac_f64_e32 v[194:195], v[152:153], v[86:87]
	v_add_f64 v[2:3], v[2:3], v[192:193]
	s_waitcnt vmcnt(3) lgkmcnt(2)
	v_mul_f64 v[198:199], v[158:159], v[96:97]
	v_mul_f64 v[10:11], v[112:113], v[10:11]
	v_fma_f64 v[4:5], v[106:107], v[4:5], -v[6:7]
	v_fmac_f64_e32 v[196:197], v[156:157], v[90:91]
	v_add_f64 v[2:3], v[2:3], v[194:195]
	s_waitcnt vmcnt(2) lgkmcnt(1)
	v_mul_f64 v[200:201], v[162:163], v[100:101]
	v_mul_f64 v[18:19], v[116:117], v[18:19]
	v_fma_f64 v[6:7], v[110:111], v[8:9], -v[10:11]
	v_fmac_f64_e32 v[198:199], v[160:161], v[94:95]
	v_add_f64 v[4:5], v[4:5], 0
	v_add_f64 v[2:3], v[2:3], v[196:197]
	s_waitcnt vmcnt(1) lgkmcnt(0)
	v_mul_f64 v[202:203], v[166:167], v[104:105]
	v_mul_f64 v[14:15], v[120:121], v[14:15]
	v_fma_f64 v[8:9], v[114:115], v[16:17], -v[18:19]
	v_fmac_f64_e32 v[200:201], v[164:165], v[98:99]
	v_add_f64 v[4:5], v[4:5], v[6:7]
	v_add_f64 v[2:3], v[2:3], v[198:199]
	v_mul_f64 v[26:27], v[124:125], v[26:27]
	v_fmac_f64_e32 v[202:203], v[168:169], v[102:103]
	v_fma_f64 v[10:11], v[118:119], v[12:13], -v[14:15]
	v_add_f64 v[4:5], v[4:5], v[8:9]
	v_add_f64 v[2:3], v[2:3], v[200:201]
	v_fma_f64 v[12:13], v[122:123], v[24:25], -v[26:27]
	v_add_f64 v[4:5], v[4:5], v[10:11]
	v_add_f64 v[6:7], v[2:3], v[202:203]
	v_mul_f64 v[2:3], v[128:129], v[22:23]
	v_add_f64 v[4:5], v[4:5], v[12:13]
	v_fma_f64 v[2:3], v[126:127], v[20:21], -v[2:3]
	v_add_f64 v[2:3], v[4:5], v[2:3]
	v_mul_f64 v[4:5], v[132:133], v[30:31]
	v_fma_f64 v[4:5], v[130:131], v[28:29], -v[4:5]
	v_add_f64 v[2:3], v[2:3], v[4:5]
	v_mul_f64 v[4:5], v[136:137], v[34:35]
	v_fma_f64 v[4:5], v[134:135], v[32:33], -v[4:5]
	v_add_f64 v[2:3], v[2:3], v[4:5]
	v_mul_f64 v[4:5], v[140:141], v[38:39]
	v_fma_f64 v[4:5], v[138:139], v[36:37], -v[4:5]
	v_add_f64 v[2:3], v[2:3], v[4:5]
	v_mul_f64 v[4:5], v[144:145], v[42:43]
	v_fma_f64 v[4:5], v[142:143], v[40:41], -v[4:5]
	v_add_f64 v[2:3], v[2:3], v[4:5]
	v_mul_f64 v[4:5], v[148:149], v[46:47]
	v_fma_f64 v[4:5], v[146:147], v[44:45], -v[4:5]
	v_add_f64 v[2:3], v[2:3], v[4:5]
	v_mul_f64 v[4:5], v[152:153], v[88:89]
	v_fma_f64 v[4:5], v[150:151], v[86:87], -v[4:5]
	v_add_f64 v[2:3], v[2:3], v[4:5]
	v_mul_f64 v[4:5], v[156:157], v[92:93]
	v_fma_f64 v[4:5], v[154:155], v[90:91], -v[4:5]
	v_add_f64 v[2:3], v[2:3], v[4:5]
	v_mul_f64 v[4:5], v[160:161], v[96:97]
	v_fma_f64 v[4:5], v[158:159], v[94:95], -v[4:5]
	v_add_f64 v[2:3], v[2:3], v[4:5]
	v_mul_f64 v[4:5], v[164:165], v[100:101]
	v_fma_f64 v[4:5], v[162:163], v[98:99], -v[4:5]
	v_add_f64 v[2:3], v[2:3], v[4:5]
	v_mul_f64 v[4:5], v[168:169], v[104:105]
	v_fma_f64 v[4:5], v[166:167], v[102:103], -v[4:5]
	v_add_f64 v[2:3], v[2:3], v[4:5]
	s_waitcnt vmcnt(0)
	v_add_f64 v[2:3], v[170:171], -v[2:3]
	v_add_f64 v[4:5], v[172:173], -v[6:7]
	scratch_store_dwordx4 off, v[2:5], off offset:16
	s_and_saveexec_b64 s[2:3], vcc
	s_cbranch_execz .LBB81_121
; %bb.120:
	scratch_load_dwordx4 v[2:5], off, off
	v_mov_b32_e32 v6, 0
	v_mov_b32_e32 v7, v6
	;; [unrolled: 1-line block ×4, first 2 shown]
	scratch_store_dwordx4 off, v[6:9], off
	s_waitcnt vmcnt(1)
	ds_write_b128 v84, v[2:5]
.LBB81_121:
	s_or_b64 exec, exec, s[2:3]
	s_waitcnt lgkmcnt(0)
	; wave barrier
	scratch_load_dwordx4 v[2:5], off, off offset:16
	scratch_load_dwordx4 v[6:9], off, off offset:32
	;; [unrolled: 1-line block ×17, first 2 shown]
	scratch_load_dwordx4 v[108:111], off, off
	v_mov_b32_e32 v42, 0
	ds_read_b128 v[112:115], v42 offset:304
	ds_read_b128 v[116:119], v42 offset:320
	;; [unrolled: 1-line block ×17, first 2 shown]
	s_and_b64 vcc, exec, s[14:15]
	s_waitcnt vmcnt(17) lgkmcnt(14)
	v_mul_f64 v[180:181], v[112:113], v[4:5]
	v_mul_f64 v[4:5], v[114:115], v[4:5]
	s_waitcnt vmcnt(16)
	v_mul_f64 v[182:183], v[116:117], v[8:9]
	v_mul_f64 v[8:9], v[118:119], v[8:9]
	v_fmac_f64_e32 v[180:181], v[114:115], v[2:3]
	v_fma_f64 v[2:3], v[112:113], v[2:3], -v[4:5]
	s_waitcnt vmcnt(15)
	v_mul_f64 v[184:185], v[120:121], v[16:17]
	v_mul_f64 v[16:17], v[122:123], v[16:17]
	v_fma_f64 v[4:5], v[116:117], v[6:7], -v[8:9]
	v_add_f64 v[2:3], v[2:3], 0
	s_waitcnt vmcnt(14) lgkmcnt(13)
	v_mul_f64 v[186:187], v[124:125], v[12:13]
	v_mul_f64 v[12:13], v[126:127], v[12:13]
	v_fmac_f64_e32 v[182:183], v[118:119], v[6:7]
	v_fma_f64 v[6:7], v[120:121], v[14:15], -v[16:17]
	v_add_f64 v[2:3], v[2:3], v[4:5]
	v_add_f64 v[2:3], v[2:3], v[6:7]
	v_fma_f64 v[6:7], v[124:125], v[10:11], -v[12:13]
	v_add_f64 v[2:3], v[2:3], v[6:7]
	s_waitcnt vmcnt(13) lgkmcnt(12)
	v_mul_f64 v[6:7], v[130:131], v[20:21]
	v_fma_f64 v[6:7], v[128:129], v[18:19], -v[6:7]
	v_add_f64 v[2:3], v[2:3], v[6:7]
	s_waitcnt vmcnt(12) lgkmcnt(11)
	v_mul_f64 v[6:7], v[134:135], v[24:25]
	;; [unrolled: 4-line block ×5, first 2 shown]
	v_fma_f64 v[6:7], v[144:145], v[34:35], -v[6:7]
	v_add_f64 v[8:9], v[180:181], 0
	v_add_f64 v[2:3], v[2:3], v[6:7]
	s_waitcnt vmcnt(8) lgkmcnt(7)
	v_mul_f64 v[6:7], v[150:151], v[40:41]
	v_fmac_f64_e32 v[184:185], v[122:123], v[14:15]
	v_add_f64 v[8:9], v[8:9], v[182:183]
	v_fma_f64 v[6:7], v[148:149], v[38:39], -v[6:7]
	v_mul_f64 v[188:189], v[128:129], v[20:21]
	v_fmac_f64_e32 v[186:187], v[126:127], v[10:11]
	v_add_f64 v[4:5], v[8:9], v[184:185]
	v_add_f64 v[2:3], v[2:3], v[6:7]
	s_waitcnt vmcnt(7) lgkmcnt(6)
	v_mul_f64 v[6:7], v[154:155], v[46:47]
	v_mul_f64 v[190:191], v[132:133], v[24:25]
	v_fmac_f64_e32 v[188:189], v[130:131], v[18:19]
	v_add_f64 v[4:5], v[4:5], v[186:187]
	v_fma_f64 v[6:7], v[152:153], v[44:45], -v[6:7]
	v_mul_f64 v[192:193], v[136:137], v[28:29]
	v_fmac_f64_e32 v[190:191], v[134:135], v[22:23]
	v_add_f64 v[4:5], v[4:5], v[188:189]
	v_add_f64 v[2:3], v[2:3], v[6:7]
	s_waitcnt vmcnt(6) lgkmcnt(5)
	v_mul_f64 v[6:7], v[158:159], v[86:87]
	v_mul_f64 v[194:195], v[140:141], v[32:33]
	v_fmac_f64_e32 v[192:193], v[138:139], v[26:27]
	v_add_f64 v[4:5], v[4:5], v[190:191]
	v_fma_f64 v[6:7], v[156:157], v[84:85], -v[6:7]
	v_mul_f64 v[196:197], v[144:145], v[36:37]
	v_fmac_f64_e32 v[194:195], v[142:143], v[30:31]
	v_add_f64 v[4:5], v[4:5], v[192:193]
	v_add_f64 v[2:3], v[2:3], v[6:7]
	s_waitcnt vmcnt(5) lgkmcnt(4)
	v_mul_f64 v[6:7], v[162:163], v[90:91]
	v_mul_f64 v[198:199], v[148:149], v[40:41]
	v_fmac_f64_e32 v[196:197], v[146:147], v[34:35]
	v_add_f64 v[4:5], v[4:5], v[194:195]
	v_fma_f64 v[6:7], v[160:161], v[88:89], -v[6:7]
	v_mul_f64 v[200:201], v[152:153], v[46:47]
	v_fmac_f64_e32 v[198:199], v[150:151], v[38:39]
	v_add_f64 v[4:5], v[4:5], v[196:197]
	v_add_f64 v[2:3], v[2:3], v[6:7]
	s_waitcnt vmcnt(4) lgkmcnt(3)
	v_mul_f64 v[6:7], v[166:167], v[94:95]
	v_mul_f64 v[202:203], v[156:157], v[86:87]
	v_fmac_f64_e32 v[200:201], v[154:155], v[44:45]
	v_add_f64 v[4:5], v[4:5], v[198:199]
	v_fma_f64 v[6:7], v[164:165], v[92:93], -v[6:7]
	v_mul_f64 v[204:205], v[160:161], v[90:91]
	v_fmac_f64_e32 v[202:203], v[158:159], v[84:85]
	v_add_f64 v[4:5], v[4:5], v[200:201]
	v_add_f64 v[2:3], v[2:3], v[6:7]
	s_waitcnt vmcnt(3) lgkmcnt(2)
	v_mul_f64 v[6:7], v[170:171], v[98:99]
	v_mul_f64 v[206:207], v[164:165], v[94:95]
	v_fmac_f64_e32 v[204:205], v[162:163], v[88:89]
	v_add_f64 v[4:5], v[4:5], v[202:203]
	v_fma_f64 v[6:7], v[168:169], v[96:97], -v[6:7]
	v_mul_f64 v[208:209], v[168:169], v[98:99]
	v_fmac_f64_e32 v[206:207], v[166:167], v[92:93]
	v_add_f64 v[4:5], v[4:5], v[204:205]
	v_add_f64 v[2:3], v[2:3], v[6:7]
	s_waitcnt vmcnt(2) lgkmcnt(1)
	v_mul_f64 v[6:7], v[174:175], v[102:103]
	v_mul_f64 v[210:211], v[172:173], v[102:103]
	v_fmac_f64_e32 v[208:209], v[170:171], v[96:97]
	v_add_f64 v[4:5], v[4:5], v[206:207]
	v_fma_f64 v[6:7], v[172:173], v[100:101], -v[6:7]
	s_waitcnt vmcnt(1) lgkmcnt(0)
	v_mul_f64 v[212:213], v[176:177], v[106:107]
	v_fmac_f64_e32 v[210:211], v[174:175], v[100:101]
	v_add_f64 v[4:5], v[4:5], v[208:209]
	v_add_f64 v[2:3], v[2:3], v[6:7]
	v_mul_f64 v[6:7], v[178:179], v[106:107]
	v_fmac_f64_e32 v[212:213], v[178:179], v[104:105]
	v_add_f64 v[4:5], v[4:5], v[210:211]
	v_fma_f64 v[6:7], v[176:177], v[104:105], -v[6:7]
	v_add_f64 v[4:5], v[4:5], v[212:213]
	v_add_f64 v[2:3], v[2:3], v[6:7]
	s_waitcnt vmcnt(0)
	v_add_f64 v[2:3], v[108:109], -v[2:3]
	v_add_f64 v[4:5], v[110:111], -v[4:5]
	scratch_store_dwordx4 off, v[2:5], off
	s_cbranch_vccz .LBB81_156
; %bb.122:
	global_load_dword v2, v42, s[12:13] offset:64
	s_load_dwordx2 s[2:3], s[0:1], 0x4
	v_bfe_u32 v3, v0, 10, 10
	v_bfe_u32 v0, v0, 20, 10
	s_waitcnt lgkmcnt(0)
	s_lshr_b32 s0, s2, 16
	s_mul_i32 s0, s0, s3
	v_mul_u32_u24_e32 v1, s0, v1
	v_mul_u32_u24_e32 v3, s3, v3
	v_add3_u32 v0, v1, v3, v0
	v_mov_b32_e32 v1, 0x248
	v_lshl_add_u32 v0, v0, 4, v1
	s_waitcnt vmcnt(0)
	v_readfirstlane_b32 s0, v2
	s_add_i32 s0, s0, -1
	s_cmp_lg_u32 s0, 16
	s_cbranch_scc0 .LBB81_124
; %bb.123:
	s_lshl_b32 s0, s0, 4
	scratch_load_dwordx4 v[2:5], off, s19
	scratch_load_dwordx4 v[6:9], off, s0
	s_waitcnt vmcnt(1)
	ds_write2_b64 v0, v[2:3], v[4:5] offset1:1
	s_waitcnt vmcnt(0)
	scratch_store_dwordx4 off, v[6:9], s19
	scratch_store_dwordx4 off, v[2:5], s0
.LBB81_124:
	v_mov_b32_e32 v1, 0
	global_load_dword v2, v1, s[12:13] offset:60
	s_waitcnt vmcnt(0)
	v_readfirstlane_b32 s0, v2
	s_add_i32 s0, s0, -1
	s_cmp_eq_u32 s0, 15
	s_cbranch_scc1 .LBB81_126
; %bb.125:
	s_lshl_b32 s0, s0, 4
	scratch_load_dwordx4 v[2:5], off, s20
	scratch_load_dwordx4 v[6:9], off, s0
	s_waitcnt vmcnt(1)
	ds_write2_b64 v0, v[2:3], v[4:5] offset1:1
	s_waitcnt vmcnt(0)
	scratch_store_dwordx4 off, v[6:9], s20
	scratch_store_dwordx4 off, v[2:5], s0
.LBB81_126:
	global_load_dword v1, v1, s[12:13] offset:56
	s_waitcnt vmcnt(0)
	v_readfirstlane_b32 s0, v1
	s_add_i32 s0, s0, -1
	s_cmp_eq_u32 s0, 14
	s_cbranch_scc1 .LBB81_128
; %bb.127:
	s_lshl_b32 s0, s0, 4
	scratch_load_dwordx4 v[2:5], off, s21
	scratch_load_dwordx4 v[6:9], off, s0
	s_waitcnt vmcnt(1)
	ds_write2_b64 v0, v[2:3], v[4:5] offset1:1
	s_waitcnt vmcnt(0)
	scratch_store_dwordx4 off, v[6:9], s21
	scratch_store_dwordx4 off, v[2:5], s0
.LBB81_128:
	v_mov_b32_e32 v1, 0
	global_load_dword v2, v1, s[12:13] offset:52
	s_waitcnt vmcnt(0)
	v_readfirstlane_b32 s0, v2
	s_add_i32 s0, s0, -1
	s_cmp_eq_u32 s0, 13
	s_cbranch_scc1 .LBB81_130
; %bb.129:
	s_lshl_b32 s0, s0, 4
	scratch_load_dwordx4 v[2:5], off, s22
	scratch_load_dwordx4 v[6:9], off, s0
	s_waitcnt vmcnt(1)
	ds_write2_b64 v0, v[2:3], v[4:5] offset1:1
	s_waitcnt vmcnt(0)
	scratch_store_dwordx4 off, v[6:9], s22
	scratch_store_dwordx4 off, v[2:5], s0
.LBB81_130:
	global_load_dword v1, v1, s[12:13] offset:48
	s_waitcnt vmcnt(0)
	v_readfirstlane_b32 s0, v1
	s_add_i32 s0, s0, -1
	s_cmp_eq_u32 s0, 12
	s_cbranch_scc1 .LBB81_132
; %bb.131:
	s_lshl_b32 s0, s0, 4
	scratch_load_dwordx4 v[2:5], off, s23
	scratch_load_dwordx4 v[6:9], off, s0
	s_waitcnt vmcnt(1)
	ds_write2_b64 v0, v[2:3], v[4:5] offset1:1
	s_waitcnt vmcnt(0)
	scratch_store_dwordx4 off, v[6:9], s23
	scratch_store_dwordx4 off, v[2:5], s0
.LBB81_132:
	;; [unrolled: 33-line block ×7, first 2 shown]
	v_mov_b32_e32 v1, 0
	global_load_dword v2, v1, s[12:13] offset:4
	s_waitcnt vmcnt(0)
	v_readfirstlane_b32 s0, v2
	s_add_i32 s0, s0, -1
	s_cmp_eq_u32 s0, 1
	s_cbranch_scc1 .LBB81_154
; %bb.153:
	s_lshl_b32 s0, s0, 4
	scratch_load_dwordx4 v[2:5], off, s35
	scratch_load_dwordx4 v[6:9], off, s0
	s_waitcnt vmcnt(1)
	ds_write2_b64 v0, v[2:3], v[4:5] offset1:1
	s_waitcnt vmcnt(0)
	scratch_store_dwordx4 off, v[6:9], s35
	scratch_store_dwordx4 off, v[2:5], s0
.LBB81_154:
	global_load_dword v1, v1, s[12:13]
	s_waitcnt vmcnt(0)
	v_readfirstlane_b32 s0, v1
	s_add_i32 s0, s0, -1
	s_cmp_eq_u32 s0, 0
	s_cbranch_scc1 .LBB81_156
; %bb.155:
	s_lshl_b32 s0, s0, 4
	scratch_load_dwordx4 v[2:5], off, off
	scratch_load_dwordx4 v[6:9], off, s0
	s_waitcnt vmcnt(1)
	ds_write2_b64 v0, v[2:3], v[4:5] offset1:1
	s_waitcnt vmcnt(0)
	scratch_store_dwordx4 off, v[6:9], off
	scratch_store_dwordx4 off, v[2:5], s0
.LBB81_156:
	scratch_load_dwordx4 v[0:3], off, off
	s_waitcnt vmcnt(0)
	flat_store_dwordx4 v[48:49], v[0:3]
	scratch_load_dwordx4 v[0:3], off, s35
	s_waitcnt vmcnt(0)
	flat_store_dwordx4 v[50:51], v[0:3]
	scratch_load_dwordx4 v[0:3], off, s34
	;; [unrolled: 3-line block ×17, first 2 shown]
	s_waitcnt vmcnt(0)
	flat_store_dwordx4 v[82:83], v[0:3]
	s_endpgm
	.section	.rodata,"a",@progbits
	.p2align	6, 0x0
	.amdhsa_kernel _ZN9rocsolver6v33100L18getri_kernel_smallILi18E19rocblas_complex_numIdEPKPS3_EEvT1_iilPiilS8_bb
		.amdhsa_group_segment_fixed_size 1608
		.amdhsa_private_segment_fixed_size 304
		.amdhsa_kernarg_size 60
		.amdhsa_user_sgpr_count 4
		.amdhsa_user_sgpr_dispatch_ptr 1
		.amdhsa_user_sgpr_queue_ptr 0
		.amdhsa_user_sgpr_kernarg_segment_ptr 1
		.amdhsa_user_sgpr_dispatch_id 0
		.amdhsa_user_sgpr_kernarg_preload_length 0
		.amdhsa_user_sgpr_kernarg_preload_offset 0
		.amdhsa_user_sgpr_private_segment_size 0
		.amdhsa_uses_dynamic_stack 0
		.amdhsa_enable_private_segment 1
		.amdhsa_system_sgpr_workgroup_id_x 1
		.amdhsa_system_sgpr_workgroup_id_y 0
		.amdhsa_system_sgpr_workgroup_id_z 0
		.amdhsa_system_sgpr_workgroup_info 0
		.amdhsa_system_vgpr_workitem_id 2
		.amdhsa_next_free_vgpr 214
		.amdhsa_next_free_sgpr 39
		.amdhsa_accum_offset 216
		.amdhsa_reserve_vcc 1
		.amdhsa_float_round_mode_32 0
		.amdhsa_float_round_mode_16_64 0
		.amdhsa_float_denorm_mode_32 3
		.amdhsa_float_denorm_mode_16_64 3
		.amdhsa_dx10_clamp 1
		.amdhsa_ieee_mode 1
		.amdhsa_fp16_overflow 0
		.amdhsa_tg_split 0
		.amdhsa_exception_fp_ieee_invalid_op 0
		.amdhsa_exception_fp_denorm_src 0
		.amdhsa_exception_fp_ieee_div_zero 0
		.amdhsa_exception_fp_ieee_overflow 0
		.amdhsa_exception_fp_ieee_underflow 0
		.amdhsa_exception_fp_ieee_inexact 0
		.amdhsa_exception_int_div_zero 0
	.end_amdhsa_kernel
	.section	.text._ZN9rocsolver6v33100L18getri_kernel_smallILi18E19rocblas_complex_numIdEPKPS3_EEvT1_iilPiilS8_bb,"axG",@progbits,_ZN9rocsolver6v33100L18getri_kernel_smallILi18E19rocblas_complex_numIdEPKPS3_EEvT1_iilPiilS8_bb,comdat
.Lfunc_end81:
	.size	_ZN9rocsolver6v33100L18getri_kernel_smallILi18E19rocblas_complex_numIdEPKPS3_EEvT1_iilPiilS8_bb, .Lfunc_end81-_ZN9rocsolver6v33100L18getri_kernel_smallILi18E19rocblas_complex_numIdEPKPS3_EEvT1_iilPiilS8_bb
                                        ; -- End function
	.set _ZN9rocsolver6v33100L18getri_kernel_smallILi18E19rocblas_complex_numIdEPKPS3_EEvT1_iilPiilS8_bb.num_vgpr, 214
	.set _ZN9rocsolver6v33100L18getri_kernel_smallILi18E19rocblas_complex_numIdEPKPS3_EEvT1_iilPiilS8_bb.num_agpr, 0
	.set _ZN9rocsolver6v33100L18getri_kernel_smallILi18E19rocblas_complex_numIdEPKPS3_EEvT1_iilPiilS8_bb.numbered_sgpr, 39
	.set _ZN9rocsolver6v33100L18getri_kernel_smallILi18E19rocblas_complex_numIdEPKPS3_EEvT1_iilPiilS8_bb.num_named_barrier, 0
	.set _ZN9rocsolver6v33100L18getri_kernel_smallILi18E19rocblas_complex_numIdEPKPS3_EEvT1_iilPiilS8_bb.private_seg_size, 304
	.set _ZN9rocsolver6v33100L18getri_kernel_smallILi18E19rocblas_complex_numIdEPKPS3_EEvT1_iilPiilS8_bb.uses_vcc, 1
	.set _ZN9rocsolver6v33100L18getri_kernel_smallILi18E19rocblas_complex_numIdEPKPS3_EEvT1_iilPiilS8_bb.uses_flat_scratch, 0
	.set _ZN9rocsolver6v33100L18getri_kernel_smallILi18E19rocblas_complex_numIdEPKPS3_EEvT1_iilPiilS8_bb.has_dyn_sized_stack, 0
	.set _ZN9rocsolver6v33100L18getri_kernel_smallILi18E19rocblas_complex_numIdEPKPS3_EEvT1_iilPiilS8_bb.has_recursion, 0
	.set _ZN9rocsolver6v33100L18getri_kernel_smallILi18E19rocblas_complex_numIdEPKPS3_EEvT1_iilPiilS8_bb.has_indirect_call, 0
	.section	.AMDGPU.csdata,"",@progbits
; Kernel info:
; codeLenInByte = 18660
; TotalNumSgprs: 45
; NumVgprs: 214
; NumAgprs: 0
; TotalNumVgprs: 214
; ScratchSize: 304
; MemoryBound: 0
; FloatMode: 240
; IeeeMode: 1
; LDSByteSize: 1608 bytes/workgroup (compile time only)
; SGPRBlocks: 5
; VGPRBlocks: 26
; NumSGPRsForWavesPerEU: 45
; NumVGPRsForWavesPerEU: 214
; AccumOffset: 216
; Occupancy: 2
; WaveLimiterHint : 1
; COMPUTE_PGM_RSRC2:SCRATCH_EN: 1
; COMPUTE_PGM_RSRC2:USER_SGPR: 4
; COMPUTE_PGM_RSRC2:TRAP_HANDLER: 0
; COMPUTE_PGM_RSRC2:TGID_X_EN: 1
; COMPUTE_PGM_RSRC2:TGID_Y_EN: 0
; COMPUTE_PGM_RSRC2:TGID_Z_EN: 0
; COMPUTE_PGM_RSRC2:TIDIG_COMP_CNT: 2
; COMPUTE_PGM_RSRC3_GFX90A:ACCUM_OFFSET: 53
; COMPUTE_PGM_RSRC3_GFX90A:TG_SPLIT: 0
	.section	.text._ZN9rocsolver6v33100L18getri_kernel_smallILi19E19rocblas_complex_numIdEPKPS3_EEvT1_iilPiilS8_bb,"axG",@progbits,_ZN9rocsolver6v33100L18getri_kernel_smallILi19E19rocblas_complex_numIdEPKPS3_EEvT1_iilPiilS8_bb,comdat
	.globl	_ZN9rocsolver6v33100L18getri_kernel_smallILi19E19rocblas_complex_numIdEPKPS3_EEvT1_iilPiilS8_bb ; -- Begin function _ZN9rocsolver6v33100L18getri_kernel_smallILi19E19rocblas_complex_numIdEPKPS3_EEvT1_iilPiilS8_bb
	.p2align	8
	.type	_ZN9rocsolver6v33100L18getri_kernel_smallILi19E19rocblas_complex_numIdEPKPS3_EEvT1_iilPiilS8_bb,@function
_ZN9rocsolver6v33100L18getri_kernel_smallILi19E19rocblas_complex_numIdEPKPS3_EEvT1_iilPiilS8_bb: ; @_ZN9rocsolver6v33100L18getri_kernel_smallILi19E19rocblas_complex_numIdEPKPS3_EEvT1_iilPiilS8_bb
; %bb.0:
	v_and_b32_e32 v1, 0x3ff, v0
	v_cmp_gt_u32_e32 vcc, 19, v1
	s_and_saveexec_b64 s[6:7], vcc
	s_cbranch_execz .LBB82_90
; %bb.1:
	s_load_dword s18, s[2:3], 0x38
	s_load_dwordx2 s[6:7], s[2:3], 0x0
	s_load_dwordx4 s[8:11], s[2:3], 0x28
	s_waitcnt lgkmcnt(0)
	s_bitcmp1_b32 s18, 8
	s_cselect_b64 s[14:15], -1, 0
	s_ashr_i32 s5, s4, 31
	s_lshl_b64 s[12:13], s[4:5], 3
	s_add_u32 s6, s6, s12
	s_addc_u32 s7, s7, s13
	s_load_dwordx2 s[16:17], s[6:7], 0x0
	s_bfe_u32 s6, s18, 0x10008
	s_cmp_eq_u32 s6, 0
                                        ; implicit-def: $sgpr12_sgpr13
	s_cbranch_scc1 .LBB82_3
; %bb.2:
	s_load_dword s6, s[2:3], 0x20
	s_load_dwordx2 s[12:13], s[2:3], 0x18
	s_mul_i32 s7, s8, s5
	s_mul_hi_u32 s18, s8, s4
	s_add_i32 s18, s18, s7
	s_mul_i32 s9, s9, s4
	s_add_i32 s9, s18, s9
	s_mul_i32 s8, s8, s4
	s_waitcnt lgkmcnt(0)
	s_ashr_i32 s7, s6, 31
	s_lshl_b64 s[8:9], s[8:9], 2
	s_add_u32 s8, s12, s8
	s_addc_u32 s9, s13, s9
	s_lshl_b64 s[6:7], s[6:7], 2
	s_add_u32 s12, s8, s6
	s_addc_u32 s13, s9, s7
.LBB82_3:
	s_load_dwordx2 s[6:7], s[2:3], 0x8
	s_load_dword s8, s[2:3], 0x38
	v_lshlrev_b32_e32 v14, 4, v1
	v_mov_b32_e32 v15, 0
	s_movk_i32 s37, 0x100
	s_waitcnt lgkmcnt(0)
	s_ashr_i32 s3, s6, 31
	s_mov_b32 s2, s6
	s_lshl_b64 s[2:3], s[2:3], 4
	s_add_u32 s2, s16, s2
	s_addc_u32 s3, s17, s3
	v_lshl_add_u64 v[48:49], s[2:3], 0, v[14:15]
	flat_load_dwordx4 v[2:5], v[48:49]
	s_mov_b32 s16, s7
	s_ashr_i32 s17, s7, 31
	v_lshl_add_u64 v[50:51], s[16:17], 4, v[48:49]
	s_add_i32 s6, s7, s7
	v_add_u32_e32 v6, s6, v1
	v_ashrrev_i32_e32 v7, 31, v6
	v_lshl_add_u64 v[52:53], v[6:7], 4, s[2:3]
	v_add_u32_e32 v6, s7, v6
	v_ashrrev_i32_e32 v7, 31, v6
	v_lshl_add_u64 v[54:55], v[6:7], 4, s[2:3]
	v_add_u32_e32 v6, s7, v6
	v_ashrrev_i32_e32 v7, 31, v6
	v_lshl_add_u64 v[56:57], v[6:7], 4, s[2:3]
	v_add_u32_e32 v6, s7, v6
	v_ashrrev_i32_e32 v7, 31, v6
	v_lshl_add_u64 v[58:59], v[6:7], 4, s[2:3]
	v_add_u32_e32 v6, s7, v6
	v_ashrrev_i32_e32 v7, 31, v6
	v_lshl_add_u64 v[60:61], v[6:7], 4, s[2:3]
	v_add_u32_e32 v6, s7, v6
	v_ashrrev_i32_e32 v7, 31, v6
	v_lshl_add_u64 v[62:63], v[6:7], 4, s[2:3]
	v_add_u32_e32 v6, s7, v6
	v_ashrrev_i32_e32 v7, 31, v6
	v_lshl_add_u64 v[64:65], v[6:7], 4, s[2:3]
	v_add_u32_e32 v6, s7, v6
	v_ashrrev_i32_e32 v7, 31, v6
	v_lshl_add_u64 v[66:67], v[6:7], 4, s[2:3]
	v_add_u32_e32 v6, s7, v6
	v_ashrrev_i32_e32 v7, 31, v6
	v_lshl_add_u64 v[68:69], v[6:7], 4, s[2:3]
	v_add_u32_e32 v6, s7, v6
	v_ashrrev_i32_e32 v7, 31, v6
	v_lshl_add_u64 v[70:71], v[6:7], 4, s[2:3]
	v_add_u32_e32 v6, s7, v6
	v_ashrrev_i32_e32 v7, 31, v6
	v_lshl_add_u64 v[72:73], v[6:7], 4, s[2:3]
	v_add_u32_e32 v6, s7, v6
	v_ashrrev_i32_e32 v7, 31, v6
	v_lshl_add_u64 v[74:75], v[6:7], 4, s[2:3]
	v_add_u32_e32 v6, s7, v6
	v_ashrrev_i32_e32 v7, 31, v6
	v_lshl_add_u64 v[76:77], v[6:7], 4, s[2:3]
	v_add_u32_e32 v6, s7, v6
	v_ashrrev_i32_e32 v7, 31, v6
	v_lshl_add_u64 v[78:79], v[6:7], 4, s[2:3]
	v_add_u32_e32 v6, s7, v6
	v_ashrrev_i32_e32 v7, 31, v6
	v_lshl_add_u64 v[80:81], v[6:7], 4, s[2:3]
	v_add_u32_e32 v6, s7, v6
	v_ashrrev_i32_e32 v7, 31, v6
	v_lshl_add_u64 v[82:83], v[6:7], 4, s[2:3]
	v_add_u32_e32 v6, s7, v6
	v_ashrrev_i32_e32 v7, 31, v6
	v_lshl_add_u64 v[84:85], v[6:7], 4, s[2:3]
	s_movk_i32 s38, 0x110
	s_movk_i32 s39, 0x120
	;; [unrolled: 1-line block ×13, first 2 shown]
	s_mov_b32 s36, 16
	s_mov_b32 s35, 32
	;; [unrolled: 1-line block ×7, first 2 shown]
	s_bitcmp0_b32 s8, 0
	s_mov_b64 s[6:7], -1
	s_waitcnt vmcnt(0) lgkmcnt(0)
	scratch_store_dwordx4 off, v[2:5], off
	flat_load_dwordx4 v[2:5], v[50:51]
	s_waitcnt vmcnt(0) lgkmcnt(0)
	scratch_store_dwordx4 off, v[2:5], off offset:16
	flat_load_dwordx4 v[2:5], v[52:53]
	s_waitcnt vmcnt(0) lgkmcnt(0)
	scratch_store_dwordx4 off, v[2:5], off offset:32
	;; [unrolled: 3-line block ×18, first 2 shown]
	s_cbranch_scc1 .LBB82_88
; %bb.4:
	v_cmp_eq_u32_e64 s[2:3], 0, v1
	s_and_saveexec_b64 s[6:7], s[2:3]
; %bb.5:
	v_mov_b32_e32 v2, 0
	ds_write_b32 v2, v2 offset:608
; %bb.6:
	s_or_b64 exec, exec, s[6:7]
	s_waitcnt lgkmcnt(0)
	; wave barrier
	scratch_load_dwordx4 v[2:5], v14, off
	s_waitcnt vmcnt(0)
	v_cmp_eq_f64_e32 vcc, 0, v[2:3]
	v_cmp_eq_f64_e64 s[6:7], 0, v[4:5]
	s_and_b64 s[6:7], vcc, s[6:7]
	s_and_saveexec_b64 s[8:9], s[6:7]
	s_cbranch_execz .LBB82_10
; %bb.7:
	v_mov_b32_e32 v2, 0
	ds_read_b32 v4, v2 offset:608
	v_add_u32_e32 v3, 1, v1
	s_waitcnt lgkmcnt(0)
	v_readfirstlane_b32 s6, v4
	s_cmp_eq_u32 s6, 0
	s_cselect_b64 s[16:17], -1, 0
	v_cmp_gt_i32_e32 vcc, s6, v3
	s_or_b64 s[16:17], s[16:17], vcc
	s_and_b64 exec, exec, s[16:17]
	s_cbranch_execz .LBB82_10
; %bb.8:
	s_mov_b64 s[16:17], 0
	v_mov_b32_e32 v4, s6
.LBB82_9:                               ; =>This Inner Loop Header: Depth=1
	ds_cmpst_rtn_b32 v4, v2, v4, v3 offset:608
	s_waitcnt lgkmcnt(0)
	v_cmp_ne_u32_e32 vcc, 0, v4
	v_cmp_le_i32_e64 s[6:7], v4, v3
	s_and_b64 s[6:7], vcc, s[6:7]
	s_and_b64 s[6:7], exec, s[6:7]
	s_or_b64 s[16:17], s[6:7], s[16:17]
	s_andn2_b64 exec, exec, s[16:17]
	s_cbranch_execnz .LBB82_9
.LBB82_10:
	s_or_b64 exec, exec, s[8:9]
	v_mov_b32_e32 v3, 0
	; wave barrier
	ds_read_b32 v2, v3 offset:608
	s_and_saveexec_b64 s[6:7], s[2:3]
	s_cbranch_execz .LBB82_12
; %bb.11:
	s_lshl_b64 s[8:9], s[4:5], 2
	s_add_u32 s8, s10, s8
	s_addc_u32 s9, s11, s9
	s_waitcnt lgkmcnt(0)
	global_store_dword v3, v2, s[8:9]
.LBB82_12:
	s_or_b64 exec, exec, s[6:7]
	s_waitcnt lgkmcnt(0)
	v_cmp_ne_u32_e32 vcc, 0, v2
	s_mov_b64 s[6:7], 0
	s_cbranch_vccnz .LBB82_88
; %bb.13:
	v_mov_b32_e32 v15, v14
	scratch_load_dwordx4 v[2:5], v15, off
                                        ; implicit-def: $vgpr6_vgpr7
                                        ; implicit-def: $vgpr10_vgpr11
	s_waitcnt vmcnt(0)
	v_cmp_ngt_f64_e64 s[6:7], |v[2:3]|, |v[4:5]|
	s_and_saveexec_b64 s[8:9], s[6:7]
	s_xor_b64 s[6:7], exec, s[8:9]
	s_cbranch_execz .LBB82_15
; %bb.14:
	v_div_scale_f64 v[6:7], s[8:9], v[4:5], v[4:5], v[2:3]
	v_rcp_f64_e32 v[8:9], v[6:7]
	v_div_scale_f64 v[10:11], vcc, v[2:3], v[4:5], v[2:3]
	v_fma_f64 v[12:13], -v[6:7], v[8:9], 1.0
	v_fmac_f64_e32 v[8:9], v[8:9], v[12:13]
	v_fma_f64 v[12:13], -v[6:7], v[8:9], 1.0
	v_fmac_f64_e32 v[8:9], v[8:9], v[12:13]
	v_mul_f64 v[12:13], v[10:11], v[8:9]
	v_fma_f64 v[6:7], -v[6:7], v[12:13], v[10:11]
	v_div_fmas_f64 v[6:7], v[6:7], v[8:9], v[12:13]
	v_div_fixup_f64 v[6:7], v[6:7], v[4:5], v[2:3]
	v_fmac_f64_e32 v[4:5], v[2:3], v[6:7]
	v_div_scale_f64 v[2:3], s[8:9], v[4:5], v[4:5], 1.0
	v_rcp_f64_e32 v[8:9], v[2:3]
	s_nop 0
	v_fma_f64 v[10:11], -v[2:3], v[8:9], 1.0
	v_fmac_f64_e32 v[8:9], v[8:9], v[10:11]
	v_fma_f64 v[10:11], -v[2:3], v[8:9], 1.0
	v_fmac_f64_e32 v[8:9], v[8:9], v[10:11]
	v_div_scale_f64 v[10:11], vcc, 1.0, v[4:5], 1.0
	v_mul_f64 v[12:13], v[10:11], v[8:9]
	v_fma_f64 v[2:3], -v[2:3], v[12:13], v[10:11]
	s_nop 1
	v_div_fmas_f64 v[2:3], v[2:3], v[8:9], v[12:13]
	v_div_fixup_f64 v[8:9], v[2:3], v[4:5], 1.0
	v_mul_f64 v[6:7], v[6:7], v[8:9]
	v_xor_b32_e32 v9, 0x80000000, v9
	v_xor_b32_e32 v11, 0x80000000, v7
	v_mov_b32_e32 v10, v6
                                        ; implicit-def: $vgpr2_vgpr3
.LBB82_15:
	s_andn2_saveexec_b64 s[6:7], s[6:7]
	s_cbranch_execz .LBB82_17
; %bb.16:
	v_div_scale_f64 v[6:7], s[8:9], v[2:3], v[2:3], v[4:5]
	v_rcp_f64_e32 v[8:9], v[6:7]
	v_div_scale_f64 v[10:11], vcc, v[4:5], v[2:3], v[4:5]
	v_fma_f64 v[12:13], -v[6:7], v[8:9], 1.0
	v_fmac_f64_e32 v[8:9], v[8:9], v[12:13]
	v_fma_f64 v[12:13], -v[6:7], v[8:9], 1.0
	v_fmac_f64_e32 v[8:9], v[8:9], v[12:13]
	v_mul_f64 v[12:13], v[10:11], v[8:9]
	v_fma_f64 v[6:7], -v[6:7], v[12:13], v[10:11]
	v_div_fmas_f64 v[6:7], v[6:7], v[8:9], v[12:13]
	v_div_fixup_f64 v[8:9], v[6:7], v[2:3], v[4:5]
	v_fmac_f64_e32 v[2:3], v[4:5], v[8:9]
	v_div_scale_f64 v[4:5], s[8:9], v[2:3], v[2:3], 1.0
	v_rcp_f64_e32 v[6:7], v[4:5]
	s_nop 0
	v_fma_f64 v[10:11], -v[4:5], v[6:7], 1.0
	v_fmac_f64_e32 v[6:7], v[6:7], v[10:11]
	v_fma_f64 v[10:11], -v[4:5], v[6:7], 1.0
	v_fmac_f64_e32 v[6:7], v[6:7], v[10:11]
	v_div_scale_f64 v[10:11], vcc, 1.0, v[2:3], 1.0
	v_mul_f64 v[12:13], v[10:11], v[6:7]
	v_fma_f64 v[4:5], -v[4:5], v[12:13], v[10:11]
	s_nop 1
	v_div_fmas_f64 v[4:5], v[4:5], v[6:7], v[12:13]
	v_div_fixup_f64 v[6:7], v[4:5], v[2:3], 1.0
	v_xor_b32_e32 v11, 0x80000000, v7
	v_mov_b32_e32 v10, v6
	v_mul_f64 v[8:9], v[8:9], -v[6:7]
.LBB82_17:
	s_or_b64 exec, exec, s[6:7]
	scratch_store_dwordx4 v15, v[6:9], off
	scratch_load_dwordx4 v[2:5], off, s36
	v_xor_b32_e32 v13, 0x80000000, v9
	v_mov_b32_e32 v12, v8
	v_add_u32_e32 v6, 0x130, v14
	ds_write_b128 v14, v[10:13]
	s_waitcnt vmcnt(0)
	ds_write_b128 v14, v[2:5] offset:304
	s_waitcnt lgkmcnt(0)
	; wave barrier
	s_and_saveexec_b64 s[6:7], s[2:3]
	s_cbranch_execz .LBB82_19
; %bb.18:
	scratch_load_dwordx4 v[2:5], v15, off
	ds_read_b128 v[8:11], v6
	v_mov_b32_e32 v7, 0
	ds_read_b128 v[16:19], v7 offset:16
	s_waitcnt vmcnt(0) lgkmcnt(1)
	v_mul_f64 v[12:13], v[10:11], v[4:5]
	v_mul_f64 v[4:5], v[8:9], v[4:5]
	v_fma_f64 v[8:9], v[8:9], v[2:3], -v[12:13]
	v_fmac_f64_e32 v[4:5], v[10:11], v[2:3]
	v_add_f64 v[2:3], v[8:9], 0
	v_add_f64 v[8:9], v[4:5], 0
	s_waitcnt lgkmcnt(0)
	v_mul_f64 v[10:11], v[8:9], v[18:19]
	v_mul_f64 v[4:5], v[2:3], v[18:19]
	v_fma_f64 v[2:3], v[2:3], v[16:17], -v[10:11]
	v_fmac_f64_e32 v[4:5], v[8:9], v[16:17]
	scratch_store_dwordx4 off, v[2:5], off offset:16
.LBB82_19:
	s_or_b64 exec, exec, s[6:7]
	; wave barrier
	scratch_load_dwordx4 v[2:5], off, s35
	v_cmp_gt_u32_e32 vcc, 2, v1
	s_waitcnt vmcnt(0)
	ds_write_b128 v6, v[2:5]
	s_waitcnt lgkmcnt(0)
	; wave barrier
	s_and_saveexec_b64 s[6:7], vcc
	s_cbranch_execz .LBB82_23
; %bb.20:
	scratch_load_dwordx4 v[2:5], v15, off
	ds_read_b128 v[8:11], v6
	s_waitcnt vmcnt(0) lgkmcnt(0)
	v_mul_f64 v[12:13], v[10:11], v[4:5]
	v_mul_f64 v[16:17], v[8:9], v[4:5]
	v_fma_f64 v[4:5], v[8:9], v[2:3], -v[12:13]
	v_fmac_f64_e32 v[16:17], v[10:11], v[2:3]
	v_add_f64 v[4:5], v[4:5], 0
	v_add_f64 v[2:3], v[16:17], 0
	s_and_saveexec_b64 s[8:9], s[2:3]
	s_cbranch_execz .LBB82_22
; %bb.21:
	scratch_load_dwordx4 v[8:11], off, off offset:16
	v_mov_b32_e32 v7, 0
	ds_read_b128 v[16:19], v7 offset:320
	s_waitcnt vmcnt(0) lgkmcnt(0)
	v_mul_f64 v[12:13], v[16:17], v[10:11]
	v_mul_f64 v[10:11], v[18:19], v[10:11]
	v_fmac_f64_e32 v[12:13], v[18:19], v[8:9]
	v_fma_f64 v[8:9], v[16:17], v[8:9], -v[10:11]
	v_add_f64 v[2:3], v[2:3], v[12:13]
	v_add_f64 v[4:5], v[4:5], v[8:9]
.LBB82_22:
	s_or_b64 exec, exec, s[8:9]
	v_mov_b32_e32 v7, 0
	ds_read_b128 v[8:11], v7 offset:32
	s_waitcnt lgkmcnt(0)
	v_mul_f64 v[16:17], v[2:3], v[10:11]
	v_mul_f64 v[12:13], v[4:5], v[10:11]
	v_fma_f64 v[10:11], v[4:5], v[8:9], -v[16:17]
	v_fmac_f64_e32 v[12:13], v[2:3], v[8:9]
	scratch_store_dwordx4 off, v[10:13], off offset:32
.LBB82_23:
	s_or_b64 exec, exec, s[6:7]
	; wave barrier
	scratch_load_dwordx4 v[2:5], off, s34
	v_cmp_gt_u32_e32 vcc, 3, v1
	v_add_u32_e32 v7, -1, v1
	s_waitcnt vmcnt(0)
	ds_write_b128 v6, v[2:5]
	s_waitcnt lgkmcnt(0)
	; wave barrier
	s_and_saveexec_b64 s[2:3], vcc
	s_cbranch_execz .LBB82_27
; %bb.24:
	v_add_u32_e32 v8, -1, v1
	v_add_u32_e32 v9, 0x130, v14
	v_mov_b32_e32 v10, v14
	v_mov_b64_e32 v[2:3], 0
	s_mov_b64 s[6:7], 0
	v_mov_b64_e32 v[4:5], 0
.LBB82_25:                              ; =>This Inner Loop Header: Depth=1
	scratch_load_dwordx4 v[16:19], v10, off
	ds_read_b128 v[20:23], v9
	v_add_u32_e32 v8, 1, v8
	v_cmp_lt_u32_e32 vcc, 1, v8
	v_add_u32_e32 v9, 16, v9
	v_add_u32_e32 v10, 16, v10
	s_or_b64 s[6:7], vcc, s[6:7]
	s_waitcnt vmcnt(0) lgkmcnt(0)
	v_mul_f64 v[12:13], v[22:23], v[18:19]
	v_mul_f64 v[18:19], v[20:21], v[18:19]
	v_fma_f64 v[12:13], v[20:21], v[16:17], -v[12:13]
	v_fmac_f64_e32 v[18:19], v[22:23], v[16:17]
	v_add_f64 v[4:5], v[4:5], v[12:13]
	v_add_f64 v[2:3], v[2:3], v[18:19]
	s_andn2_b64 exec, exec, s[6:7]
	s_cbranch_execnz .LBB82_25
; %bb.26:
	s_or_b64 exec, exec, s[6:7]
	v_mov_b32_e32 v8, 0
	ds_read_b128 v[8:11], v8 offset:48
	s_waitcnt lgkmcnt(0)
	v_mul_f64 v[16:17], v[2:3], v[10:11]
	v_mul_f64 v[12:13], v[4:5], v[10:11]
	v_fma_f64 v[10:11], v[4:5], v[8:9], -v[16:17]
	v_fmac_f64_e32 v[12:13], v[2:3], v[8:9]
	scratch_store_dwordx4 off, v[10:13], off offset:48
.LBB82_27:
	s_or_b64 exec, exec, s[2:3]
	; wave barrier
	scratch_load_dwordx4 v[2:5], off, s33
	v_cmp_gt_u32_e32 vcc, 4, v1
	s_waitcnt vmcnt(0)
	ds_write_b128 v6, v[2:5]
	s_waitcnt lgkmcnt(0)
	; wave barrier
	s_and_saveexec_b64 s[2:3], vcc
	s_cbranch_execz .LBB82_31
; %bb.28:
	v_add_u32_e32 v8, -1, v1
	v_add_u32_e32 v9, 0x130, v14
	v_mov_b32_e32 v10, v14
	v_mov_b64_e32 v[2:3], 0
	s_mov_b64 s[6:7], 0
	v_mov_b64_e32 v[4:5], 0
.LBB82_29:                              ; =>This Inner Loop Header: Depth=1
	scratch_load_dwordx4 v[16:19], v10, off
	ds_read_b128 v[20:23], v9
	v_add_u32_e32 v8, 1, v8
	v_cmp_lt_u32_e32 vcc, 2, v8
	v_add_u32_e32 v9, 16, v9
	v_add_u32_e32 v10, 16, v10
	s_or_b64 s[6:7], vcc, s[6:7]
	s_waitcnt vmcnt(0) lgkmcnt(0)
	v_mul_f64 v[12:13], v[22:23], v[18:19]
	v_mul_f64 v[18:19], v[20:21], v[18:19]
	v_fma_f64 v[12:13], v[20:21], v[16:17], -v[12:13]
	v_fmac_f64_e32 v[18:19], v[22:23], v[16:17]
	v_add_f64 v[4:5], v[4:5], v[12:13]
	v_add_f64 v[2:3], v[2:3], v[18:19]
	s_andn2_b64 exec, exec, s[6:7]
	s_cbranch_execnz .LBB82_29
; %bb.30:
	s_or_b64 exec, exec, s[6:7]
	v_mov_b32_e32 v8, 0
	ds_read_b128 v[8:11], v8 offset:64
	s_waitcnt lgkmcnt(0)
	v_mul_f64 v[16:17], v[2:3], v[10:11]
	v_mul_f64 v[12:13], v[4:5], v[10:11]
	v_fma_f64 v[10:11], v[4:5], v[8:9], -v[16:17]
	v_fmac_f64_e32 v[12:13], v[2:3], v[8:9]
	scratch_store_dwordx4 off, v[10:13], off offset:64
.LBB82_31:
	s_or_b64 exec, exec, s[2:3]
	; wave barrier
	scratch_load_dwordx4 v[2:5], off, s31
	v_cmp_gt_u32_e32 vcc, 5, v1
	;; [unrolled: 45-line block ×14, first 2 shown]
	s_waitcnt vmcnt(0)
	ds_write_b128 v6, v[2:5]
	s_waitcnt lgkmcnt(0)
	; wave barrier
	s_and_saveexec_b64 s[2:3], vcc
	s_cbranch_execz .LBB82_83
; %bb.80:
	v_add_u32_e32 v8, -1, v1
	v_add_u32_e32 v9, 0x130, v14
	v_mov_b32_e32 v10, v14
	v_mov_b64_e32 v[2:3], 0
	s_mov_b64 s[6:7], 0
	v_mov_b64_e32 v[4:5], 0
.LBB82_81:                              ; =>This Inner Loop Header: Depth=1
	scratch_load_dwordx4 v[16:19], v10, off
	ds_read_b128 v[20:23], v9
	v_add_u32_e32 v8, 1, v8
	v_cmp_lt_u32_e32 vcc, 15, v8
	v_add_u32_e32 v9, 16, v9
	v_add_u32_e32 v10, 16, v10
	s_or_b64 s[6:7], vcc, s[6:7]
	s_waitcnt vmcnt(0) lgkmcnt(0)
	v_mul_f64 v[12:13], v[22:23], v[18:19]
	v_mul_f64 v[18:19], v[20:21], v[18:19]
	v_fma_f64 v[12:13], v[20:21], v[16:17], -v[12:13]
	v_fmac_f64_e32 v[18:19], v[22:23], v[16:17]
	v_add_f64 v[4:5], v[4:5], v[12:13]
	v_add_f64 v[2:3], v[2:3], v[18:19]
	s_andn2_b64 exec, exec, s[6:7]
	s_cbranch_execnz .LBB82_81
; %bb.82:
	s_or_b64 exec, exec, s[6:7]
	v_mov_b32_e32 v8, 0
	ds_read_b128 v[8:11], v8 offset:272
	s_waitcnt lgkmcnt(0)
	v_mul_f64 v[16:17], v[2:3], v[10:11]
	v_mul_f64 v[12:13], v[4:5], v[10:11]
	v_fma_f64 v[10:11], v[4:5], v[8:9], -v[16:17]
	v_fmac_f64_e32 v[12:13], v[2:3], v[8:9]
	scratch_store_dwordx4 off, v[10:13], off offset:272
.LBB82_83:
	s_or_b64 exec, exec, s[2:3]
	; wave barrier
	scratch_load_dwordx4 v[2:5], off, s18
	v_cmp_ne_u32_e32 vcc, 18, v1
	s_waitcnt vmcnt(0)
	ds_write_b128 v6, v[2:5]
	s_waitcnt lgkmcnt(0)
	; wave barrier
	s_and_saveexec_b64 s[2:3], vcc
	s_cbranch_execz .LBB82_87
; %bb.84:
	v_add_u32_e32 v6, 0x130, v14
	v_mov_b32_e32 v8, v14
	v_mov_b64_e32 v[2:3], 0
	s_mov_b64 s[6:7], 0
	v_mov_b64_e32 v[4:5], 0
.LBB82_85:                              ; =>This Inner Loop Header: Depth=1
	scratch_load_dwordx4 v[10:13], v8, off
	ds_read_b128 v[14:17], v6
	v_add_u32_e32 v7, 1, v7
	v_cmp_lt_u32_e32 vcc, 16, v7
	v_add_u32_e32 v6, 16, v6
	v_add_u32_e32 v8, 16, v8
	s_or_b64 s[6:7], vcc, s[6:7]
	s_waitcnt vmcnt(0) lgkmcnt(0)
	v_mul_f64 v[18:19], v[16:17], v[12:13]
	v_mul_f64 v[12:13], v[14:15], v[12:13]
	v_fma_f64 v[14:15], v[14:15], v[10:11], -v[18:19]
	v_fmac_f64_e32 v[12:13], v[16:17], v[10:11]
	v_add_f64 v[4:5], v[4:5], v[14:15]
	v_add_f64 v[2:3], v[2:3], v[12:13]
	s_andn2_b64 exec, exec, s[6:7]
	s_cbranch_execnz .LBB82_85
; %bb.86:
	s_or_b64 exec, exec, s[6:7]
	v_mov_b32_e32 v6, 0
	ds_read_b128 v[6:9], v6 offset:288
	s_waitcnt lgkmcnt(0)
	v_mul_f64 v[12:13], v[2:3], v[8:9]
	v_mul_f64 v[10:11], v[4:5], v[8:9]
	v_fma_f64 v[8:9], v[4:5], v[6:7], -v[12:13]
	v_fmac_f64_e32 v[10:11], v[2:3], v[6:7]
	scratch_store_dwordx4 off, v[8:11], off offset:288
.LBB82_87:
	s_or_b64 exec, exec, s[2:3]
	s_mov_b64 s[6:7], -1
	; wave barrier
.LBB82_88:
	s_and_b64 vcc, exec, s[6:7]
	s_cbranch_vccz .LBB82_90
; %bb.89:
	s_lshl_b64 s[2:3], s[4:5], 2
	s_add_u32 s2, s10, s2
	s_addc_u32 s3, s11, s3
	v_mov_b32_e32 v2, 0
	global_load_dword v2, v2, s[2:3]
	s_waitcnt vmcnt(0)
	v_cmp_ne_u32_e32 vcc, 0, v2
	s_cbranch_vccz .LBB82_91
.LBB82_90:
	s_endpgm
.LBB82_91:
	v_mov_b32_e32 v2, 0x130
	v_lshl_add_u32 v86, v1, 4, v2
	v_cmp_eq_u32_e32 vcc, 18, v1
	s_and_saveexec_b64 s[2:3], vcc
	s_cbranch_execz .LBB82_93
; %bb.92:
	scratch_load_dwordx4 v[2:5], off, s19
	v_mov_b32_e32 v6, 0
	v_mov_b32_e32 v7, v6
	v_mov_b32_e32 v8, v6
	v_mov_b32_e32 v9, v6
	scratch_store_dwordx4 off, v[6:9], off offset:272
	s_waitcnt vmcnt(1)
	ds_write_b128 v86, v[2:5]
.LBB82_93:
	s_or_b64 exec, exec, s[2:3]
	s_waitcnt lgkmcnt(0)
	; wave barrier
	scratch_load_dwordx4 v[4:7], off, off offset:288
	scratch_load_dwordx4 v[8:11], off, off offset:272
	v_mov_b32_e32 v2, 0
	ds_read_b128 v[12:15], v2 offset:592
	v_cmp_lt_u32_e32 vcc, 16, v1
	s_waitcnt vmcnt(1) lgkmcnt(0)
	v_mul_f64 v[16:17], v[12:13], v[6:7]
	v_mul_f64 v[6:7], v[14:15], v[6:7]
	v_fmac_f64_e32 v[16:17], v[14:15], v[4:5]
	v_fma_f64 v[4:5], v[12:13], v[4:5], -v[6:7]
	v_add_f64 v[6:7], v[16:17], 0
	v_add_f64 v[4:5], v[4:5], 0
	s_waitcnt vmcnt(0)
	v_add_f64 v[4:5], v[8:9], -v[4:5]
	v_add_f64 v[6:7], v[10:11], -v[6:7]
	scratch_store_dwordx4 off, v[4:7], off offset:272
	s_and_saveexec_b64 s[2:3], vcc
	s_cbranch_execz .LBB82_95
; %bb.94:
	scratch_load_dwordx4 v[6:9], off, s20
	v_mov_b32_e32 v3, v2
	v_mov_b32_e32 v4, v2
	;; [unrolled: 1-line block ×3, first 2 shown]
	scratch_store_dwordx4 off, v[2:5], off offset:256
	s_waitcnt vmcnt(1)
	ds_write_b128 v86, v[6:9]
.LBB82_95:
	s_or_b64 exec, exec, s[2:3]
	s_waitcnt lgkmcnt(0)
	; wave barrier
	scratch_load_dwordx4 v[4:7], off, off offset:272
	scratch_load_dwordx4 v[8:11], off, off offset:288
	;; [unrolled: 1-line block ×3, first 2 shown]
	ds_read_b128 v[16:19], v2 offset:576
	ds_read_b128 v[20:23], v2 offset:592
	v_cmp_lt_u32_e32 vcc, 15, v1
	s_waitcnt vmcnt(2) lgkmcnt(1)
	v_mul_f64 v[2:3], v[16:17], v[6:7]
	v_mul_f64 v[6:7], v[18:19], v[6:7]
	s_waitcnt vmcnt(1) lgkmcnt(0)
	v_mul_f64 v[24:25], v[20:21], v[10:11]
	v_mul_f64 v[10:11], v[22:23], v[10:11]
	v_fmac_f64_e32 v[2:3], v[18:19], v[4:5]
	v_fma_f64 v[4:5], v[16:17], v[4:5], -v[6:7]
	v_fmac_f64_e32 v[24:25], v[22:23], v[8:9]
	v_fma_f64 v[6:7], v[20:21], v[8:9], -v[10:11]
	v_add_f64 v[2:3], v[2:3], 0
	v_add_f64 v[4:5], v[4:5], 0
	;; [unrolled: 1-line block ×4, first 2 shown]
	s_waitcnt vmcnt(0)
	v_add_f64 v[2:3], v[12:13], -v[2:3]
	v_add_f64 v[4:5], v[14:15], -v[8:9]
	scratch_store_dwordx4 off, v[2:5], off offset:256
	s_and_saveexec_b64 s[2:3], vcc
	s_cbranch_execz .LBB82_97
; %bb.96:
	scratch_load_dwordx4 v[2:5], off, s21
	v_mov_b32_e32 v6, 0
	v_mov_b32_e32 v7, v6
	;; [unrolled: 1-line block ×4, first 2 shown]
	scratch_store_dwordx4 off, v[6:9], off offset:240
	s_waitcnt vmcnt(1)
	ds_write_b128 v86, v[2:5]
.LBB82_97:
	s_or_b64 exec, exec, s[2:3]
	s_waitcnt lgkmcnt(0)
	; wave barrier
	scratch_load_dwordx4 v[4:7], off, off offset:256
	scratch_load_dwordx4 v[8:11], off, off offset:272
	scratch_load_dwordx4 v[12:15], off, off offset:288
	scratch_load_dwordx4 v[16:19], off, off offset:240
	v_mov_b32_e32 v2, 0
	ds_read_b128 v[20:23], v2 offset:560
	ds_read_b128 v[24:27], v2 offset:576
	;; [unrolled: 1-line block ×3, first 2 shown]
	v_cmp_lt_u32_e32 vcc, 14, v1
	s_waitcnt vmcnt(3) lgkmcnt(2)
	v_mul_f64 v[32:33], v[20:21], v[6:7]
	v_mul_f64 v[6:7], v[22:23], v[6:7]
	s_waitcnt vmcnt(2) lgkmcnt(1)
	v_mul_f64 v[34:35], v[24:25], v[10:11]
	v_mul_f64 v[10:11], v[26:27], v[10:11]
	v_fmac_f64_e32 v[32:33], v[22:23], v[4:5]
	v_fma_f64 v[4:5], v[20:21], v[4:5], -v[6:7]
	s_waitcnt vmcnt(1) lgkmcnt(0)
	v_mul_f64 v[36:37], v[28:29], v[14:15]
	v_mul_f64 v[14:15], v[30:31], v[14:15]
	v_fmac_f64_e32 v[34:35], v[26:27], v[8:9]
	v_fma_f64 v[6:7], v[24:25], v[8:9], -v[10:11]
	v_add_f64 v[10:11], v[32:33], 0
	v_add_f64 v[4:5], v[4:5], 0
	v_fmac_f64_e32 v[36:37], v[30:31], v[12:13]
	v_fma_f64 v[8:9], v[28:29], v[12:13], -v[14:15]
	v_add_f64 v[10:11], v[10:11], v[34:35]
	v_add_f64 v[4:5], v[4:5], v[6:7]
	;; [unrolled: 1-line block ×4, first 2 shown]
	s_waitcnt vmcnt(0)
	v_add_f64 v[4:5], v[16:17], -v[4:5]
	v_add_f64 v[6:7], v[18:19], -v[6:7]
	scratch_store_dwordx4 off, v[4:7], off offset:240
	s_and_saveexec_b64 s[2:3], vcc
	s_cbranch_execz .LBB82_99
; %bb.98:
	scratch_load_dwordx4 v[6:9], off, s22
	v_mov_b32_e32 v3, v2
	v_mov_b32_e32 v4, v2
	;; [unrolled: 1-line block ×3, first 2 shown]
	scratch_store_dwordx4 off, v[2:5], off offset:224
	s_waitcnt vmcnt(1)
	ds_write_b128 v86, v[6:9]
.LBB82_99:
	s_or_b64 exec, exec, s[2:3]
	s_waitcnt lgkmcnt(0)
	; wave barrier
	scratch_load_dwordx4 v[4:7], off, off offset:240
	scratch_load_dwordx4 v[8:11], off, off offset:256
	;; [unrolled: 1-line block ×5, first 2 shown]
	ds_read_b128 v[24:27], v2 offset:544
	ds_read_b128 v[28:31], v2 offset:560
	;; [unrolled: 1-line block ×4, first 2 shown]
	v_cmp_lt_u32_e32 vcc, 13, v1
	s_waitcnt vmcnt(4) lgkmcnt(3)
	v_mul_f64 v[2:3], v[24:25], v[6:7]
	v_mul_f64 v[6:7], v[26:27], v[6:7]
	s_waitcnt vmcnt(3) lgkmcnt(2)
	v_mul_f64 v[40:41], v[28:29], v[10:11]
	v_mul_f64 v[10:11], v[30:31], v[10:11]
	v_fmac_f64_e32 v[2:3], v[26:27], v[4:5]
	v_fma_f64 v[4:5], v[24:25], v[4:5], -v[6:7]
	s_waitcnt vmcnt(2) lgkmcnt(1)
	v_mul_f64 v[42:43], v[32:33], v[14:15]
	v_mul_f64 v[14:15], v[34:35], v[14:15]
	v_fmac_f64_e32 v[40:41], v[30:31], v[8:9]
	v_fma_f64 v[6:7], v[28:29], v[8:9], -v[10:11]
	v_add_f64 v[2:3], v[2:3], 0
	v_add_f64 v[4:5], v[4:5], 0
	s_waitcnt vmcnt(1) lgkmcnt(0)
	v_mul_f64 v[44:45], v[36:37], v[18:19]
	v_mul_f64 v[18:19], v[38:39], v[18:19]
	v_fmac_f64_e32 v[42:43], v[34:35], v[12:13]
	v_fma_f64 v[8:9], v[32:33], v[12:13], -v[14:15]
	v_add_f64 v[2:3], v[2:3], v[40:41]
	v_add_f64 v[4:5], v[4:5], v[6:7]
	v_fmac_f64_e32 v[44:45], v[38:39], v[16:17]
	v_fma_f64 v[10:11], v[36:37], v[16:17], -v[18:19]
	v_add_f64 v[2:3], v[2:3], v[42:43]
	v_add_f64 v[4:5], v[4:5], v[8:9]
	;; [unrolled: 1-line block ×4, first 2 shown]
	s_waitcnt vmcnt(0)
	v_add_f64 v[2:3], v[20:21], -v[2:3]
	v_add_f64 v[4:5], v[22:23], -v[6:7]
	scratch_store_dwordx4 off, v[2:5], off offset:224
	s_and_saveexec_b64 s[2:3], vcc
	s_cbranch_execz .LBB82_101
; %bb.100:
	scratch_load_dwordx4 v[2:5], off, s23
	v_mov_b32_e32 v6, 0
	v_mov_b32_e32 v7, v6
	v_mov_b32_e32 v8, v6
	v_mov_b32_e32 v9, v6
	scratch_store_dwordx4 off, v[6:9], off offset:208
	s_waitcnt vmcnt(1)
	ds_write_b128 v86, v[2:5]
.LBB82_101:
	s_or_b64 exec, exec, s[2:3]
	s_waitcnt lgkmcnt(0)
	; wave barrier
	scratch_load_dwordx4 v[4:7], off, off offset:224
	scratch_load_dwordx4 v[8:11], off, off offset:240
	;; [unrolled: 1-line block ×6, first 2 shown]
	v_mov_b32_e32 v2, 0
	ds_read_b128 v[28:31], v2 offset:528
	ds_read_b128 v[32:35], v2 offset:544
	;; [unrolled: 1-line block ×5, first 2 shown]
	v_cmp_lt_u32_e32 vcc, 12, v1
	s_waitcnt vmcnt(5) lgkmcnt(4)
	v_mul_f64 v[88:89], v[28:29], v[6:7]
	v_mul_f64 v[6:7], v[30:31], v[6:7]
	s_waitcnt vmcnt(4) lgkmcnt(3)
	v_mul_f64 v[90:91], v[32:33], v[10:11]
	s_waitcnt vmcnt(3) lgkmcnt(2)
	v_mul_f64 v[92:93], v[36:37], v[14:15]
	v_mul_f64 v[10:11], v[34:35], v[10:11]
	;; [unrolled: 1-line block ×3, first 2 shown]
	v_fmac_f64_e32 v[88:89], v[30:31], v[4:5]
	v_fma_f64 v[4:5], v[28:29], v[4:5], -v[6:7]
	v_fmac_f64_e32 v[90:91], v[34:35], v[8:9]
	v_fma_f64 v[6:7], v[32:33], v[8:9], -v[10:11]
	v_fma_f64 v[8:9], v[36:37], v[12:13], -v[14:15]
	v_add_f64 v[14:15], v[88:89], 0
	v_add_f64 v[4:5], v[4:5], 0
	s_waitcnt vmcnt(2) lgkmcnt(1)
	v_mul_f64 v[94:95], v[40:41], v[18:19]
	v_mul_f64 v[18:19], v[42:43], v[18:19]
	v_fmac_f64_e32 v[92:93], v[38:39], v[12:13]
	v_add_f64 v[14:15], v[14:15], v[90:91]
	v_add_f64 v[4:5], v[4:5], v[6:7]
	s_waitcnt vmcnt(1) lgkmcnt(0)
	v_mul_f64 v[96:97], v[44:45], v[22:23]
	v_mul_f64 v[22:23], v[46:47], v[22:23]
	v_fmac_f64_e32 v[94:95], v[42:43], v[16:17]
	v_fma_f64 v[10:11], v[40:41], v[16:17], -v[18:19]
	v_add_f64 v[6:7], v[14:15], v[92:93]
	v_add_f64 v[4:5], v[4:5], v[8:9]
	v_fmac_f64_e32 v[96:97], v[46:47], v[20:21]
	v_fma_f64 v[12:13], v[44:45], v[20:21], -v[22:23]
	v_add_f64 v[6:7], v[6:7], v[94:95]
	v_add_f64 v[4:5], v[4:5], v[10:11]
	;; [unrolled: 1-line block ×4, first 2 shown]
	s_waitcnt vmcnt(0)
	v_add_f64 v[4:5], v[24:25], -v[4:5]
	v_add_f64 v[6:7], v[26:27], -v[6:7]
	scratch_store_dwordx4 off, v[4:7], off offset:208
	s_and_saveexec_b64 s[2:3], vcc
	s_cbranch_execz .LBB82_103
; %bb.102:
	scratch_load_dwordx4 v[6:9], off, s24
	v_mov_b32_e32 v3, v2
	v_mov_b32_e32 v4, v2
	;; [unrolled: 1-line block ×3, first 2 shown]
	scratch_store_dwordx4 off, v[2:5], off offset:192
	s_waitcnt vmcnt(1)
	ds_write_b128 v86, v[6:9]
.LBB82_103:
	s_or_b64 exec, exec, s[2:3]
	s_waitcnt lgkmcnt(0)
	; wave barrier
	scratch_load_dwordx4 v[4:7], off, off offset:208
	scratch_load_dwordx4 v[8:11], off, off offset:224
	;; [unrolled: 1-line block ×7, first 2 shown]
	ds_read_b128 v[32:35], v2 offset:512
	ds_read_b128 v[36:39], v2 offset:528
	;; [unrolled: 1-line block ×6, first 2 shown]
	v_cmp_lt_u32_e32 vcc, 11, v1
	s_waitcnt vmcnt(6) lgkmcnt(5)
	v_mul_f64 v[2:3], v[32:33], v[6:7]
	v_mul_f64 v[6:7], v[34:35], v[6:7]
	s_waitcnt vmcnt(5) lgkmcnt(4)
	v_mul_f64 v[96:97], v[36:37], v[10:11]
	v_mul_f64 v[10:11], v[38:39], v[10:11]
	v_fmac_f64_e32 v[2:3], v[34:35], v[4:5]
	v_fma_f64 v[4:5], v[32:33], v[4:5], -v[6:7]
	s_waitcnt vmcnt(4) lgkmcnt(3)
	v_mul_f64 v[98:99], v[40:41], v[14:15]
	v_mul_f64 v[14:15], v[42:43], v[14:15]
	v_fmac_f64_e32 v[96:97], v[38:39], v[8:9]
	v_fma_f64 v[6:7], v[36:37], v[8:9], -v[10:11]
	v_add_f64 v[2:3], v[2:3], 0
	v_add_f64 v[4:5], v[4:5], 0
	s_waitcnt vmcnt(3) lgkmcnt(2)
	v_mul_f64 v[100:101], v[44:45], v[18:19]
	v_mul_f64 v[18:19], v[46:47], v[18:19]
	v_fmac_f64_e32 v[98:99], v[42:43], v[12:13]
	v_fma_f64 v[8:9], v[40:41], v[12:13], -v[14:15]
	v_add_f64 v[2:3], v[2:3], v[96:97]
	v_add_f64 v[4:5], v[4:5], v[6:7]
	;; [unrolled: 7-line block ×4, first 2 shown]
	v_fmac_f64_e32 v[104:105], v[94:95], v[24:25]
	v_fma_f64 v[14:15], v[92:93], v[24:25], -v[26:27]
	v_add_f64 v[2:3], v[2:3], v[102:103]
	v_add_f64 v[4:5], v[4:5], v[12:13]
	;; [unrolled: 1-line block ×4, first 2 shown]
	s_waitcnt vmcnt(0)
	v_add_f64 v[2:3], v[28:29], -v[2:3]
	v_add_f64 v[4:5], v[30:31], -v[6:7]
	scratch_store_dwordx4 off, v[2:5], off offset:192
	s_and_saveexec_b64 s[2:3], vcc
	s_cbranch_execz .LBB82_105
; %bb.104:
	scratch_load_dwordx4 v[2:5], off, s25
	v_mov_b32_e32 v6, 0
	v_mov_b32_e32 v7, v6
	;; [unrolled: 1-line block ×4, first 2 shown]
	scratch_store_dwordx4 off, v[6:9], off offset:176
	s_waitcnt vmcnt(1)
	ds_write_b128 v86, v[2:5]
.LBB82_105:
	s_or_b64 exec, exec, s[2:3]
	s_waitcnt lgkmcnt(0)
	; wave barrier
	scratch_load_dwordx4 v[4:7], off, off offset:192
	scratch_load_dwordx4 v[8:11], off, off offset:208
	;; [unrolled: 1-line block ×8, first 2 shown]
	v_mov_b32_e32 v2, 0
	ds_read_b128 v[36:39], v2 offset:496
	ds_read_b128 v[40:43], v2 offset:512
	;; [unrolled: 1-line block ×7, first 2 shown]
	v_cmp_lt_u32_e32 vcc, 10, v1
	s_waitcnt vmcnt(7) lgkmcnt(6)
	v_mul_f64 v[104:105], v[36:37], v[6:7]
	v_mul_f64 v[6:7], v[38:39], v[6:7]
	s_waitcnt vmcnt(6) lgkmcnt(5)
	v_mul_f64 v[106:107], v[40:41], v[10:11]
	s_waitcnt vmcnt(4) lgkmcnt(3)
	v_mul_f64 v[110:111], v[88:89], v[18:19]
	v_mul_f64 v[10:11], v[42:43], v[10:11]
	;; [unrolled: 1-line block ×3, first 2 shown]
	v_fmac_f64_e32 v[104:105], v[38:39], v[4:5]
	v_fma_f64 v[4:5], v[36:37], v[4:5], -v[6:7]
	v_mul_f64 v[108:109], v[44:45], v[14:15]
	v_mul_f64 v[14:15], v[46:47], v[14:15]
	v_fmac_f64_e32 v[106:107], v[42:43], v[8:9]
	v_fma_f64 v[6:7], v[40:41], v[8:9], -v[10:11]
	v_fma_f64 v[10:11], v[88:89], v[16:17], -v[18:19]
	v_add_f64 v[18:19], v[104:105], 0
	v_add_f64 v[4:5], v[4:5], 0
	v_fmac_f64_e32 v[108:109], v[46:47], v[12:13]
	v_fma_f64 v[8:9], v[44:45], v[12:13], -v[14:15]
	v_add_f64 v[18:19], v[18:19], v[106:107]
	v_add_f64 v[4:5], v[4:5], v[6:7]
	s_waitcnt vmcnt(3) lgkmcnt(2)
	v_mul_f64 v[112:113], v[92:93], v[22:23]
	v_mul_f64 v[22:23], v[94:95], v[22:23]
	v_fmac_f64_e32 v[110:111], v[90:91], v[16:17]
	v_add_f64 v[6:7], v[18:19], v[108:109]
	v_add_f64 v[4:5], v[4:5], v[8:9]
	s_waitcnt vmcnt(2) lgkmcnt(1)
	v_mul_f64 v[114:115], v[96:97], v[26:27]
	v_mul_f64 v[26:27], v[98:99], v[26:27]
	v_fmac_f64_e32 v[112:113], v[94:95], v[20:21]
	v_fma_f64 v[12:13], v[92:93], v[20:21], -v[22:23]
	v_add_f64 v[6:7], v[6:7], v[110:111]
	v_add_f64 v[4:5], v[4:5], v[10:11]
	s_waitcnt vmcnt(1) lgkmcnt(0)
	v_mul_f64 v[116:117], v[100:101], v[30:31]
	v_mul_f64 v[30:31], v[102:103], v[30:31]
	v_fmac_f64_e32 v[114:115], v[98:99], v[24:25]
	v_fma_f64 v[14:15], v[96:97], v[24:25], -v[26:27]
	v_add_f64 v[6:7], v[6:7], v[112:113]
	v_add_f64 v[4:5], v[4:5], v[12:13]
	v_fmac_f64_e32 v[116:117], v[102:103], v[28:29]
	v_fma_f64 v[16:17], v[100:101], v[28:29], -v[30:31]
	v_add_f64 v[6:7], v[6:7], v[114:115]
	v_add_f64 v[4:5], v[4:5], v[14:15]
	;; [unrolled: 1-line block ×4, first 2 shown]
	s_waitcnt vmcnt(0)
	v_add_f64 v[4:5], v[32:33], -v[4:5]
	v_add_f64 v[6:7], v[34:35], -v[6:7]
	scratch_store_dwordx4 off, v[4:7], off offset:176
	s_and_saveexec_b64 s[2:3], vcc
	s_cbranch_execz .LBB82_107
; %bb.106:
	scratch_load_dwordx4 v[6:9], off, s26
	v_mov_b32_e32 v3, v2
	v_mov_b32_e32 v4, v2
	;; [unrolled: 1-line block ×3, first 2 shown]
	scratch_store_dwordx4 off, v[2:5], off offset:160
	s_waitcnt vmcnt(1)
	ds_write_b128 v86, v[6:9]
.LBB82_107:
	s_or_b64 exec, exec, s[2:3]
	s_waitcnt lgkmcnt(0)
	; wave barrier
	scratch_load_dwordx4 v[4:7], off, off offset:176
	scratch_load_dwordx4 v[8:11], off, off offset:192
	;; [unrolled: 1-line block ×9, first 2 shown]
	ds_read_b128 v[40:43], v2 offset:480
	ds_read_b128 v[44:47], v2 offset:496
	;; [unrolled: 1-line block ×8, first 2 shown]
	v_cmp_lt_u32_e32 vcc, 9, v1
	s_waitcnt vmcnt(8) lgkmcnt(7)
	v_mul_f64 v[2:3], v[40:41], v[6:7]
	v_mul_f64 v[6:7], v[42:43], v[6:7]
	s_waitcnt vmcnt(7) lgkmcnt(6)
	v_mul_f64 v[112:113], v[44:45], v[10:11]
	v_mul_f64 v[10:11], v[46:47], v[10:11]
	v_fmac_f64_e32 v[2:3], v[42:43], v[4:5]
	v_fma_f64 v[4:5], v[40:41], v[4:5], -v[6:7]
	s_waitcnt vmcnt(6) lgkmcnt(5)
	v_mul_f64 v[114:115], v[88:89], v[14:15]
	v_mul_f64 v[14:15], v[90:91], v[14:15]
	v_fmac_f64_e32 v[112:113], v[46:47], v[8:9]
	v_fma_f64 v[6:7], v[44:45], v[8:9], -v[10:11]
	v_add_f64 v[2:3], v[2:3], 0
	v_add_f64 v[4:5], v[4:5], 0
	s_waitcnt vmcnt(5) lgkmcnt(4)
	v_mul_f64 v[116:117], v[92:93], v[18:19]
	v_mul_f64 v[18:19], v[94:95], v[18:19]
	v_fmac_f64_e32 v[114:115], v[90:91], v[12:13]
	v_fma_f64 v[8:9], v[88:89], v[12:13], -v[14:15]
	v_add_f64 v[2:3], v[2:3], v[112:113]
	v_add_f64 v[4:5], v[4:5], v[6:7]
	;; [unrolled: 7-line block ×6, first 2 shown]
	v_fmac_f64_e32 v[124:125], v[110:111], v[32:33]
	v_fma_f64 v[18:19], v[108:109], v[32:33], -v[34:35]
	v_add_f64 v[2:3], v[2:3], v[122:123]
	v_add_f64 v[4:5], v[4:5], v[16:17]
	;; [unrolled: 1-line block ×4, first 2 shown]
	s_waitcnt vmcnt(0)
	v_add_f64 v[2:3], v[36:37], -v[2:3]
	v_add_f64 v[4:5], v[38:39], -v[6:7]
	scratch_store_dwordx4 off, v[2:5], off offset:160
	s_and_saveexec_b64 s[2:3], vcc
	s_cbranch_execz .LBB82_109
; %bb.108:
	scratch_load_dwordx4 v[2:5], off, s27
	v_mov_b32_e32 v6, 0
	v_mov_b32_e32 v7, v6
	;; [unrolled: 1-line block ×4, first 2 shown]
	scratch_store_dwordx4 off, v[6:9], off offset:144
	s_waitcnt vmcnt(1)
	ds_write_b128 v86, v[2:5]
.LBB82_109:
	s_or_b64 exec, exec, s[2:3]
	v_mov_b32_e32 v2, 0
	s_waitcnt lgkmcnt(0)
	; wave barrier
	ds_read_b128 v[4:7], v2 offset:464
	ds_read_b128 v[8:11], v2 offset:480
	ds_read_b128 v[12:15], v2 offset:496
	ds_read_b128 v[16:19], v2 offset:512
	scratch_load_dwordx4 v[20:23], off, off offset:160
	scratch_load_dwordx4 v[40:43], off, off offset:224
	;; [unrolled: 1-line block ×3, first 2 shown]
	v_cmp_lt_u32_e32 vcc, 8, v1
	scratch_load_dwordx4 v[88:91], off, off offset:240
	scratch_load_dwordx4 v[96:99], off, off offset:256
	;; [unrolled: 1-line block ×3, first 2 shown]
	s_waitcnt vmcnt(5) lgkmcnt(3)
	v_mul_f64 v[24:25], v[4:5], v[22:23]
	v_fmac_f64_e32 v[24:25], v[6:7], v[20:21]
	v_add_f64 v[28:29], v[24:25], 0
	scratch_load_dwordx4 v[24:27], off, off offset:176
	v_mul_f64 v[6:7], v[6:7], v[22:23]
	v_fma_f64 v[4:5], v[4:5], v[20:21], -v[6:7]
	v_add_f64 v[4:5], v[4:5], 0
	s_waitcnt vmcnt(0) lgkmcnt(2)
	v_mul_f64 v[30:31], v[8:9], v[26:27]
	v_fmac_f64_e32 v[30:31], v[10:11], v[24:25]
	v_add_f64 v[32:33], v[28:29], v[30:31]
	scratch_load_dwordx4 v[28:31], off, off offset:192
	v_mul_f64 v[6:7], v[10:11], v[26:27]
	v_fma_f64 v[6:7], v[8:9], v[24:25], -v[6:7]
	v_add_f64 v[4:5], v[4:5], v[6:7]
	;; [unrolled: 8-line block ×3, first 2 shown]
	s_waitcnt vmcnt(0) lgkmcnt(0)
	v_mul_f64 v[38:39], v[16:17], v[34:35]
	v_fmac_f64_e32 v[38:39], v[18:19], v[32:33]
	v_add_f64 v[44:45], v[36:37], v[38:39]
	ds_read_b128 v[36:39], v2 offset:528
	v_mul_f64 v[6:7], v[18:19], v[34:35]
	v_fma_f64 v[6:7], v[16:17], v[32:33], -v[6:7]
	v_add_f64 v[4:5], v[4:5], v[6:7]
	s_waitcnt lgkmcnt(0)
	v_mul_f64 v[46:47], v[36:37], v[42:43]
	v_fmac_f64_e32 v[46:47], v[38:39], v[40:41]
	v_add_f64 v[92:93], v[44:45], v[46:47]
	ds_read_b128 v[44:47], v2 offset:544
	v_mul_f64 v[6:7], v[38:39], v[42:43]
	v_fma_f64 v[6:7], v[36:37], v[40:41], -v[6:7]
	v_add_f64 v[4:5], v[4:5], v[6:7]
	s_waitcnt lgkmcnt(0)
	;; [unrolled: 8-line block ×5, first 2 shown]
	v_mul_f64 v[6:7], v[110:111], v[114:115]
	v_fma_f64 v[6:7], v[108:109], v[112:113], -v[6:7]
	v_add_f64 v[8:9], v[4:5], v[6:7]
	scratch_load_dwordx4 v[4:7], off, off offset:144
	v_mul_f64 v[118:119], v[108:109], v[114:115]
	v_fmac_f64_e32 v[118:119], v[110:111], v[112:113]
	v_add_f64 v[116:117], v[116:117], v[118:119]
	s_waitcnt vmcnt(0)
	v_add_f64 v[4:5], v[4:5], -v[8:9]
	v_add_f64 v[6:7], v[6:7], -v[116:117]
	scratch_store_dwordx4 off, v[4:7], off offset:144
	s_and_saveexec_b64 s[2:3], vcc
	s_cbranch_execz .LBB82_111
; %bb.110:
	scratch_load_dwordx4 v[6:9], off, s28
	v_mov_b32_e32 v3, v2
	v_mov_b32_e32 v4, v2
	;; [unrolled: 1-line block ×3, first 2 shown]
	scratch_store_dwordx4 off, v[2:5], off offset:128
	s_waitcnt vmcnt(1)
	ds_write_b128 v86, v[6:9]
.LBB82_111:
	s_or_b64 exec, exec, s[2:3]
	s_waitcnt lgkmcnt(0)
	; wave barrier
	scratch_load_dwordx4 v[4:7], off, off offset:144
	scratch_load_dwordx4 v[8:11], off, off offset:160
	;; [unrolled: 1-line block ×11, first 2 shown]
	ds_read_b128 v[88:91], v2 offset:448
	ds_read_b128 v[92:95], v2 offset:464
	;; [unrolled: 1-line block ×10, first 2 shown]
	v_cmp_lt_u32_e32 vcc, 7, v1
	s_waitcnt vmcnt(10) lgkmcnt(9)
	v_mul_f64 v[2:3], v[88:89], v[6:7]
	v_mul_f64 v[6:7], v[90:91], v[6:7]
	s_waitcnt vmcnt(9) lgkmcnt(8)
	v_mul_f64 v[128:129], v[92:93], v[10:11]
	v_mul_f64 v[10:11], v[94:95], v[10:11]
	v_fmac_f64_e32 v[2:3], v[90:91], v[4:5]
	v_fma_f64 v[4:5], v[88:89], v[4:5], -v[6:7]
	s_waitcnt vmcnt(8) lgkmcnt(7)
	v_mul_f64 v[130:131], v[96:97], v[14:15]
	v_mul_f64 v[14:15], v[98:99], v[14:15]
	v_fmac_f64_e32 v[128:129], v[94:95], v[8:9]
	v_fma_f64 v[6:7], v[92:93], v[8:9], -v[10:11]
	v_add_f64 v[2:3], v[2:3], 0
	v_add_f64 v[4:5], v[4:5], 0
	s_waitcnt vmcnt(7) lgkmcnt(6)
	v_mul_f64 v[132:133], v[100:101], v[18:19]
	v_mul_f64 v[18:19], v[102:103], v[18:19]
	v_fmac_f64_e32 v[130:131], v[98:99], v[12:13]
	v_fma_f64 v[8:9], v[96:97], v[12:13], -v[14:15]
	v_add_f64 v[2:3], v[2:3], v[128:129]
	v_add_f64 v[4:5], v[4:5], v[6:7]
	;; [unrolled: 7-line block ×8, first 2 shown]
	v_fmac_f64_e32 v[144:145], v[126:127], v[40:41]
	v_fma_f64 v[22:23], v[124:125], v[40:41], -v[42:43]
	v_add_f64 v[2:3], v[2:3], v[142:143]
	v_add_f64 v[4:5], v[4:5], v[20:21]
	;; [unrolled: 1-line block ×4, first 2 shown]
	s_waitcnt vmcnt(0)
	v_add_f64 v[2:3], v[44:45], -v[2:3]
	v_add_f64 v[4:5], v[46:47], -v[6:7]
	scratch_store_dwordx4 off, v[2:5], off offset:128
	s_and_saveexec_b64 s[2:3], vcc
	s_cbranch_execz .LBB82_113
; %bb.112:
	scratch_load_dwordx4 v[2:5], off, s29
	v_mov_b32_e32 v6, 0
	v_mov_b32_e32 v7, v6
	;; [unrolled: 1-line block ×4, first 2 shown]
	scratch_store_dwordx4 off, v[6:9], off offset:112
	s_waitcnt vmcnt(1)
	ds_write_b128 v86, v[2:5]
.LBB82_113:
	s_or_b64 exec, exec, s[2:3]
	s_waitcnt lgkmcnt(0)
	; wave barrier
	scratch_load_dwordx4 v[4:7], off, off offset:128
	scratch_load_dwordx4 v[8:11], off, off offset:144
	;; [unrolled: 1-line block ×12, first 2 shown]
	v_mov_b32_e32 v2, 0
	ds_read_b128 v[92:95], v2 offset:432
	ds_read_b128 v[96:99], v2 offset:448
	;; [unrolled: 1-line block ×11, first 2 shown]
	v_cmp_lt_u32_e32 vcc, 6, v1
	s_waitcnt vmcnt(11) lgkmcnt(10)
	v_mul_f64 v[136:137], v[92:93], v[6:7]
	v_mul_f64 v[6:7], v[94:95], v[6:7]
	s_waitcnt vmcnt(10) lgkmcnt(9)
	v_mul_f64 v[138:139], v[96:97], v[10:11]
	s_waitcnt vmcnt(9) lgkmcnt(8)
	v_mul_f64 v[140:141], v[100:101], v[14:15]
	v_mul_f64 v[10:11], v[98:99], v[10:11]
	s_waitcnt vmcnt(6) lgkmcnt(5)
	v_mul_f64 v[146:147], v[112:113], v[26:27]
	v_mul_f64 v[14:15], v[102:103], v[14:15]
	;; [unrolled: 1-line block ×3, first 2 shown]
	v_fmac_f64_e32 v[136:137], v[94:95], v[4:5]
	v_fma_f64 v[4:5], v[92:93], v[4:5], -v[6:7]
	v_fmac_f64_e32 v[138:139], v[98:99], v[8:9]
	v_fma_f64 v[6:7], v[96:97], v[8:9], -v[10:11]
	v_fma_f64 v[8:9], v[100:101], v[12:13], -v[14:15]
	;; [unrolled: 1-line block ×3, first 2 shown]
	v_add_f64 v[26:27], v[136:137], 0
	v_add_f64 v[4:5], v[4:5], 0
	v_mul_f64 v[142:143], v[104:105], v[18:19]
	v_mul_f64 v[18:19], v[106:107], v[18:19]
	v_fmac_f64_e32 v[140:141], v[102:103], v[12:13]
	v_add_f64 v[26:27], v[26:27], v[138:139]
	v_add_f64 v[4:5], v[4:5], v[6:7]
	v_mul_f64 v[144:145], v[108:109], v[22:23]
	v_mul_f64 v[22:23], v[110:111], v[22:23]
	v_fmac_f64_e32 v[142:143], v[106:107], v[16:17]
	v_fma_f64 v[10:11], v[104:105], v[16:17], -v[18:19]
	v_add_f64 v[6:7], v[26:27], v[140:141]
	v_add_f64 v[4:5], v[4:5], v[8:9]
	v_fmac_f64_e32 v[144:145], v[110:111], v[20:21]
	v_fma_f64 v[12:13], v[108:109], v[20:21], -v[22:23]
	v_add_f64 v[6:7], v[6:7], v[142:143]
	v_add_f64 v[4:5], v[4:5], v[10:11]
	s_waitcnt vmcnt(5) lgkmcnt(4)
	v_mul_f64 v[148:149], v[116:117], v[30:31]
	v_mul_f64 v[30:31], v[118:119], v[30:31]
	v_fmac_f64_e32 v[146:147], v[114:115], v[24:25]
	v_add_f64 v[6:7], v[6:7], v[144:145]
	v_add_f64 v[4:5], v[4:5], v[12:13]
	s_waitcnt vmcnt(4) lgkmcnt(3)
	v_mul_f64 v[150:151], v[120:121], v[34:35]
	v_mul_f64 v[34:35], v[122:123], v[34:35]
	v_fmac_f64_e32 v[148:149], v[118:119], v[28:29]
	v_fma_f64 v[16:17], v[116:117], v[28:29], -v[30:31]
	v_add_f64 v[6:7], v[6:7], v[146:147]
	v_add_f64 v[4:5], v[4:5], v[14:15]
	s_waitcnt vmcnt(3) lgkmcnt(2)
	v_mul_f64 v[152:153], v[124:125], v[38:39]
	v_mul_f64 v[38:39], v[126:127], v[38:39]
	v_fmac_f64_e32 v[150:151], v[122:123], v[32:33]
	v_fma_f64 v[18:19], v[120:121], v[32:33], -v[34:35]
	;; [unrolled: 7-line block ×4, first 2 shown]
	v_add_f64 v[6:7], v[6:7], v[152:153]
	v_add_f64 v[4:5], v[4:5], v[20:21]
	v_fmac_f64_e32 v[156:157], v[134:135], v[44:45]
	v_fma_f64 v[24:25], v[132:133], v[44:45], -v[46:47]
	v_add_f64 v[6:7], v[6:7], v[154:155]
	v_add_f64 v[4:5], v[4:5], v[22:23]
	;; [unrolled: 1-line block ×4, first 2 shown]
	s_waitcnt vmcnt(0)
	v_add_f64 v[4:5], v[88:89], -v[4:5]
	v_add_f64 v[6:7], v[90:91], -v[6:7]
	scratch_store_dwordx4 off, v[4:7], off offset:112
	s_and_saveexec_b64 s[2:3], vcc
	s_cbranch_execz .LBB82_115
; %bb.114:
	scratch_load_dwordx4 v[6:9], off, s30
	v_mov_b32_e32 v3, v2
	v_mov_b32_e32 v4, v2
	;; [unrolled: 1-line block ×3, first 2 shown]
	scratch_store_dwordx4 off, v[2:5], off offset:96
	s_waitcnt vmcnt(1)
	ds_write_b128 v86, v[6:9]
.LBB82_115:
	s_or_b64 exec, exec, s[2:3]
	s_waitcnt lgkmcnt(0)
	; wave barrier
	scratch_load_dwordx4 v[4:7], off, off offset:112
	scratch_load_dwordx4 v[8:11], off, off offset:128
	;; [unrolled: 1-line block ×12, first 2 shown]
	ds_read_b128 v[92:95], v2 offset:416
	ds_read_b128 v[96:99], v2 offset:432
	;; [unrolled: 1-line block ×4, first 2 shown]
	scratch_load_dwordx4 v[108:111], off, off offset:96
	ds_read_b128 v[112:115], v2 offset:480
	ds_read_b128 v[116:119], v2 offset:496
	;; [unrolled: 1-line block ×8, first 2 shown]
	v_cmp_lt_u32_e32 vcc, 5, v1
	s_waitcnt vmcnt(12) lgkmcnt(11)
	v_mul_f64 v[2:3], v[92:93], v[6:7]
	s_waitcnt vmcnt(11) lgkmcnt(10)
	v_mul_f64 v[144:145], v[96:97], v[10:11]
	v_fmac_f64_e32 v[2:3], v[94:95], v[4:5]
	s_waitcnt vmcnt(10) lgkmcnt(9)
	v_mul_f64 v[146:147], v[100:101], v[14:15]
	v_mul_f64 v[6:7], v[94:95], v[6:7]
	v_fmac_f64_e32 v[144:145], v[98:99], v[8:9]
	v_add_f64 v[2:3], v[2:3], 0
	s_waitcnt vmcnt(9) lgkmcnt(8)
	v_mul_f64 v[148:149], v[104:105], v[18:19]
	v_mul_f64 v[10:11], v[98:99], v[10:11]
	v_fmac_f64_e32 v[146:147], v[102:103], v[12:13]
	v_fma_f64 v[4:5], v[92:93], v[4:5], -v[6:7]
	v_add_f64 v[2:3], v[2:3], v[144:145]
	s_waitcnt vmcnt(8) lgkmcnt(7)
	v_mul_f64 v[150:151], v[112:113], v[22:23]
	v_mul_f64 v[14:15], v[102:103], v[14:15]
	v_fmac_f64_e32 v[148:149], v[106:107], v[16:17]
	v_fma_f64 v[6:7], v[96:97], v[8:9], -v[10:11]
	v_add_f64 v[4:5], v[4:5], 0
	v_add_f64 v[2:3], v[2:3], v[146:147]
	s_waitcnt vmcnt(7) lgkmcnt(6)
	v_mul_f64 v[152:153], v[116:117], v[26:27]
	v_mul_f64 v[18:19], v[106:107], v[18:19]
	v_fmac_f64_e32 v[150:151], v[114:115], v[20:21]
	v_fma_f64 v[8:9], v[100:101], v[12:13], -v[14:15]
	v_add_f64 v[4:5], v[4:5], v[6:7]
	;; [unrolled: 7-line block ×8, first 2 shown]
	v_add_f64 v[2:3], v[2:3], v[160:161]
	v_mul_f64 v[46:47], v[138:139], v[46:47]
	v_fmac_f64_e32 v[164:165], v[142:143], v[88:89]
	v_fma_f64 v[22:23], v[132:133], v[40:41], -v[42:43]
	v_add_f64 v[4:5], v[4:5], v[20:21]
	v_add_f64 v[2:3], v[2:3], v[162:163]
	v_add_f64 v[4:5], v[4:5], v[22:23]
	v_add_f64 v[6:7], v[2:3], v[164:165]
	v_fma_f64 v[2:3], v[136:137], v[44:45], -v[46:47]
	v_add_f64 v[2:3], v[4:5], v[2:3]
	v_mul_f64 v[4:5], v[142:143], v[90:91]
	v_fma_f64 v[4:5], v[140:141], v[88:89], -v[4:5]
	v_add_f64 v[2:3], v[2:3], v[4:5]
	s_waitcnt vmcnt(0)
	v_add_f64 v[2:3], v[108:109], -v[2:3]
	v_add_f64 v[4:5], v[110:111], -v[6:7]
	scratch_store_dwordx4 off, v[2:5], off offset:96
	s_and_saveexec_b64 s[2:3], vcc
	s_cbranch_execz .LBB82_117
; %bb.116:
	scratch_load_dwordx4 v[2:5], off, s31
	v_mov_b32_e32 v6, 0
	v_mov_b32_e32 v7, v6
	;; [unrolled: 1-line block ×4, first 2 shown]
	scratch_store_dwordx4 off, v[6:9], off offset:80
	s_waitcnt vmcnt(1)
	ds_write_b128 v86, v[2:5]
.LBB82_117:
	s_or_b64 exec, exec, s[2:3]
	v_mov_b32_e32 v2, 0
	s_waitcnt lgkmcnt(0)
	; wave barrier
	ds_read_b128 v[4:7], v2 offset:400
	ds_read_b128 v[8:11], v2 offset:416
	;; [unrolled: 1-line block ×4, first 2 shown]
	scratch_load_dwordx4 v[20:23], off, off offset:96
	scratch_load_dwordx4 v[40:43], off, off offset:160
	;; [unrolled: 1-line block ×7, first 2 shown]
	v_cmp_lt_u32_e32 vcc, 4, v1
	scratch_load_dwordx4 v[88:91], off, off offset:176
	scratch_load_dwordx4 v[96:99], off, off offset:192
	;; [unrolled: 1-line block ×3, first 2 shown]
	s_waitcnt vmcnt(9) lgkmcnt(3)
	v_mul_f64 v[24:25], v[4:5], v[22:23]
	v_fmac_f64_e32 v[24:25], v[6:7], v[20:21]
	v_add_f64 v[28:29], v[24:25], 0
	scratch_load_dwordx4 v[24:27], off, off offset:112
	v_mul_f64 v[6:7], v[6:7], v[22:23]
	v_fma_f64 v[4:5], v[4:5], v[20:21], -v[6:7]
	v_add_f64 v[4:5], v[4:5], 0
	s_waitcnt vmcnt(0) lgkmcnt(2)
	v_mul_f64 v[30:31], v[8:9], v[26:27]
	v_fmac_f64_e32 v[30:31], v[10:11], v[24:25]
	v_add_f64 v[32:33], v[28:29], v[30:31]
	scratch_load_dwordx4 v[28:31], off, off offset:128
	v_mul_f64 v[6:7], v[10:11], v[26:27]
	v_fma_f64 v[6:7], v[8:9], v[24:25], -v[6:7]
	v_add_f64 v[4:5], v[4:5], v[6:7]
	;; [unrolled: 8-line block ×3, first 2 shown]
	s_waitcnt vmcnt(0) lgkmcnt(0)
	v_mul_f64 v[38:39], v[16:17], v[34:35]
	v_fmac_f64_e32 v[38:39], v[18:19], v[32:33]
	v_add_f64 v[44:45], v[36:37], v[38:39]
	ds_read_b128 v[36:39], v2 offset:464
	v_mul_f64 v[6:7], v[18:19], v[34:35]
	v_fma_f64 v[6:7], v[16:17], v[32:33], -v[6:7]
	v_add_f64 v[4:5], v[4:5], v[6:7]
	s_waitcnt lgkmcnt(0)
	v_mul_f64 v[46:47], v[36:37], v[42:43]
	v_fmac_f64_e32 v[46:47], v[38:39], v[40:41]
	v_add_f64 v[92:93], v[44:45], v[46:47]
	ds_read_b128 v[44:47], v2 offset:480
	v_mul_f64 v[6:7], v[38:39], v[42:43]
	v_fma_f64 v[6:7], v[36:37], v[40:41], -v[6:7]
	v_add_f64 v[4:5], v[4:5], v[6:7]
	s_waitcnt lgkmcnt(0)
	;; [unrolled: 8-line block ×9, first 2 shown]
	v_mul_f64 v[6:7], v[142:143], v[146:147]
	v_fma_f64 v[6:7], v[140:141], v[144:145], -v[6:7]
	v_add_f64 v[8:9], v[4:5], v[6:7]
	scratch_load_dwordx4 v[4:7], off, off offset:80
	v_mul_f64 v[150:151], v[140:141], v[146:147]
	v_fmac_f64_e32 v[150:151], v[142:143], v[144:145]
	v_add_f64 v[148:149], v[148:149], v[150:151]
	s_waitcnt vmcnt(0)
	v_add_f64 v[4:5], v[4:5], -v[8:9]
	v_add_f64 v[6:7], v[6:7], -v[148:149]
	scratch_store_dwordx4 off, v[4:7], off offset:80
	s_and_saveexec_b64 s[2:3], vcc
	s_cbranch_execz .LBB82_119
; %bb.118:
	scratch_load_dwordx4 v[6:9], off, s33
	v_mov_b32_e32 v3, v2
	v_mov_b32_e32 v4, v2
	;; [unrolled: 1-line block ×3, first 2 shown]
	scratch_store_dwordx4 off, v[2:5], off offset:64
	s_waitcnt vmcnt(1)
	ds_write_b128 v86, v[6:9]
.LBB82_119:
	s_or_b64 exec, exec, s[2:3]
	s_waitcnt lgkmcnt(0)
	; wave barrier
	ds_read_b128 v[4:7], v2 offset:384
	ds_read_b128 v[8:11], v2 offset:400
	;; [unrolled: 1-line block ×4, first 2 shown]
	scratch_load_dwordx4 v[20:23], off, off offset:80
	scratch_load_dwordx4 v[40:43], off, off offset:144
	;; [unrolled: 1-line block ×8, first 2 shown]
	v_cmp_lt_u32_e32 vcc, 3, v1
	scratch_load_dwordx4 v[88:91], off, off offset:160
	scratch_load_dwordx4 v[96:99], off, off offset:176
	;; [unrolled: 1-line block ×3, first 2 shown]
	s_waitcnt vmcnt(10) lgkmcnt(3)
	v_mul_f64 v[24:25], v[4:5], v[22:23]
	v_fmac_f64_e32 v[24:25], v[6:7], v[20:21]
	v_add_f64 v[28:29], v[24:25], 0
	scratch_load_dwordx4 v[24:27], off, off offset:96
	s_waitcnt vmcnt(0) lgkmcnt(2)
	v_mul_f64 v[30:31], v[8:9], v[26:27]
	v_fmac_f64_e32 v[30:31], v[10:11], v[24:25]
	v_add_f64 v[32:33], v[28:29], v[30:31]
	scratch_load_dwordx4 v[28:31], off, off offset:112
	s_waitcnt vmcnt(0) lgkmcnt(1)
	v_mul_f64 v[34:35], v[12:13], v[30:31]
	v_fmac_f64_e32 v[34:35], v[14:15], v[28:29]
	v_add_f64 v[36:37], v[32:33], v[34:35]
	scratch_load_dwordx4 v[32:35], off, off offset:128
	s_waitcnt vmcnt(0) lgkmcnt(0)
	v_mul_f64 v[38:39], v[16:17], v[34:35]
	v_fmac_f64_e32 v[38:39], v[18:19], v[32:33]
	v_add_f64 v[44:45], v[36:37], v[38:39]
	ds_read_b128 v[36:39], v2 offset:448
	s_waitcnt lgkmcnt(0)
	v_mul_f64 v[46:47], v[36:37], v[42:43]
	v_fmac_f64_e32 v[46:47], v[38:39], v[40:41]
	v_add_f64 v[92:93], v[44:45], v[46:47]
	ds_read_b128 v[44:47], v2 offset:464
	s_waitcnt lgkmcnt(0)
	v_mul_f64 v[94:95], v[44:45], v[90:91]
	v_fmac_f64_e32 v[94:95], v[46:47], v[88:89]
	v_add_f64 v[100:101], v[92:93], v[94:95]
	ds_read_b128 v[92:95], v2 offset:480
	s_waitcnt lgkmcnt(0)
	v_mul_f64 v[102:103], v[92:93], v[98:99]
	v_fmac_f64_e32 v[102:103], v[94:95], v[96:97]
	v_add_f64 v[108:109], v[100:101], v[102:103]
	ds_read_b128 v[100:103], v2 offset:496
	s_waitcnt lgkmcnt(0)
	v_mul_f64 v[110:111], v[100:101], v[106:107]
	v_fmac_f64_e32 v[110:111], v[102:103], v[104:105]
	v_add_f64 v[116:117], v[108:109], v[110:111]
	ds_read_b128 v[108:111], v2 offset:512
	s_waitcnt lgkmcnt(0)
	v_mul_f64 v[118:119], v[108:109], v[114:115]
	v_fmac_f64_e32 v[118:119], v[110:111], v[112:113]
	v_add_f64 v[124:125], v[116:117], v[118:119]
	ds_read_b128 v[116:119], v2 offset:528
	s_waitcnt lgkmcnt(0)
	v_mul_f64 v[126:127], v[116:117], v[122:123]
	v_fmac_f64_e32 v[126:127], v[118:119], v[120:121]
	v_add_f64 v[132:133], v[124:125], v[126:127]
	ds_read_b128 v[124:127], v2 offset:544
	s_waitcnt lgkmcnt(0)
	v_mul_f64 v[134:135], v[124:125], v[130:131]
	v_fmac_f64_e32 v[134:135], v[126:127], v[128:129]
	v_add_f64 v[140:141], v[132:133], v[134:135]
	ds_read_b128 v[132:135], v2 offset:560
	s_waitcnt lgkmcnt(0)
	v_mul_f64 v[142:143], v[132:133], v[138:139]
	v_fmac_f64_e32 v[142:143], v[134:135], v[136:137]
	v_add_f64 v[148:149], v[140:141], v[142:143]
	ds_read_b128 v[140:143], v2 offset:576
	s_waitcnt lgkmcnt(0)
	v_mul_f64 v[150:151], v[140:141], v[146:147]
	v_fmac_f64_e32 v[150:151], v[142:143], v[144:145]
	v_add_f64 v[156:157], v[148:149], v[150:151]
	ds_read_b128 v[148:151], v2 offset:592
	s_waitcnt lgkmcnt(0)
	v_mul_f64 v[2:3], v[148:149], v[154:155]
	v_fmac_f64_e32 v[2:3], v[150:151], v[152:153]
	v_add_f64 v[156:157], v[156:157], v[2:3]
	v_mul_f64 v[2:3], v[6:7], v[22:23]
	v_fma_f64 v[2:3], v[4:5], v[20:21], -v[2:3]
	v_mul_f64 v[4:5], v[10:11], v[26:27]
	v_add_f64 v[2:3], v[2:3], 0
	v_fma_f64 v[4:5], v[8:9], v[24:25], -v[4:5]
	v_add_f64 v[2:3], v[2:3], v[4:5]
	v_mul_f64 v[4:5], v[14:15], v[30:31]
	v_fma_f64 v[4:5], v[12:13], v[28:29], -v[4:5]
	v_add_f64 v[2:3], v[2:3], v[4:5]
	v_mul_f64 v[4:5], v[18:19], v[34:35]
	;; [unrolled: 3-line block ×12, first 2 shown]
	v_fma_f64 v[4:5], v[148:149], v[152:153], -v[4:5]
	v_add_f64 v[6:7], v[2:3], v[4:5]
	scratch_load_dwordx4 v[2:5], off, off offset:64
	s_waitcnt vmcnt(0)
	v_add_f64 v[2:3], v[2:3], -v[6:7]
	v_add_f64 v[4:5], v[4:5], -v[156:157]
	scratch_store_dwordx4 off, v[2:5], off offset:64
	s_and_saveexec_b64 s[2:3], vcc
	s_cbranch_execz .LBB82_121
; %bb.120:
	scratch_load_dwordx4 v[2:5], off, s34
	v_mov_b32_e32 v6, 0
	v_mov_b32_e32 v7, v6
	;; [unrolled: 1-line block ×4, first 2 shown]
	scratch_store_dwordx4 off, v[6:9], off offset:48
	s_waitcnt vmcnt(1)
	ds_write_b128 v86, v[2:5]
.LBB82_121:
	s_or_b64 exec, exec, s[2:3]
	s_waitcnt lgkmcnt(0)
	; wave barrier
	scratch_load_dwordx4 v[4:7], off, off offset:64
	scratch_load_dwordx4 v[8:11], off, off offset:80
	;; [unrolled: 1-line block ×16, first 2 shown]
	v_mov_b32_e32 v2, 0
	ds_read_b128 v[108:111], v2 offset:368
	ds_read_b128 v[112:115], v2 offset:384
	;; [unrolled: 1-line block ×15, first 2 shown]
	v_cmp_lt_u32_e32 vcc, 2, v1
	s_waitcnt vmcnt(15) lgkmcnt(14)
	v_mul_f64 v[168:169], v[108:109], v[6:7]
	v_mul_f64 v[6:7], v[110:111], v[6:7]
	s_waitcnt vmcnt(14) lgkmcnt(13)
	v_mul_f64 v[170:171], v[112:113], v[10:11]
	v_mul_f64 v[10:11], v[114:115], v[10:11]
	v_fmac_f64_e32 v[168:169], v[110:111], v[4:5]
	v_fma_f64 v[4:5], v[108:109], v[4:5], -v[6:7]
	s_waitcnt vmcnt(13) lgkmcnt(12)
	v_mul_f64 v[172:173], v[116:117], v[14:15]
	v_mul_f64 v[14:15], v[118:119], v[14:15]
	v_fma_f64 v[6:7], v[112:113], v[8:9], -v[10:11]
	v_add_f64 v[4:5], v[4:5], 0
	s_waitcnt vmcnt(12) lgkmcnt(11)
	v_mul_f64 v[174:175], v[120:121], v[18:19]
	v_mul_f64 v[18:19], v[122:123], v[18:19]
	v_fmac_f64_e32 v[170:171], v[114:115], v[8:9]
	v_fma_f64 v[8:9], v[116:117], v[12:13], -v[14:15]
	v_add_f64 v[4:5], v[4:5], v[6:7]
	s_waitcnt vmcnt(11) lgkmcnt(10)
	v_mul_f64 v[176:177], v[124:125], v[22:23]
	v_mul_f64 v[22:23], v[126:127], v[22:23]
	v_fma_f64 v[10:11], v[120:121], v[16:17], -v[18:19]
	v_add_f64 v[4:5], v[4:5], v[8:9]
	s_waitcnt vmcnt(10) lgkmcnt(9)
	v_mul_f64 v[178:179], v[128:129], v[30:31]
	v_mul_f64 v[30:31], v[130:131], v[30:31]
	v_fmac_f64_e32 v[172:173], v[118:119], v[12:13]
	v_fma_f64 v[12:13], v[124:125], v[20:21], -v[22:23]
	v_add_f64 v[4:5], v[4:5], v[10:11]
	v_fma_f64 v[14:15], v[128:129], v[28:29], -v[30:31]
	v_add_f64 v[4:5], v[4:5], v[12:13]
	s_waitcnt vmcnt(9) lgkmcnt(8)
	v_mul_f64 v[8:9], v[134:135], v[26:27]
	v_add_f64 v[4:5], v[4:5], v[14:15]
	v_fma_f64 v[8:9], v[132:133], v[24:25], -v[8:9]
	v_add_f64 v[4:5], v[4:5], v[8:9]
	s_waitcnt vmcnt(8) lgkmcnt(7)
	v_mul_f64 v[8:9], v[138:139], v[34:35]
	v_fma_f64 v[8:9], v[136:137], v[32:33], -v[8:9]
	v_fmac_f64_e32 v[174:175], v[122:123], v[16:17]
	v_add_f64 v[16:17], v[168:169], 0
	v_add_f64 v[4:5], v[4:5], v[8:9]
	s_waitcnt vmcnt(7) lgkmcnt(6)
	v_mul_f64 v[8:9], v[142:143], v[38:39]
	v_add_f64 v[16:17], v[16:17], v[170:171]
	v_fma_f64 v[8:9], v[140:141], v[36:37], -v[8:9]
	v_add_f64 v[6:7], v[16:17], v[172:173]
	v_add_f64 v[4:5], v[4:5], v[8:9]
	s_waitcnt vmcnt(6) lgkmcnt(5)
	v_mul_f64 v[8:9], v[146:147], v[42:43]
	v_fmac_f64_e32 v[176:177], v[126:127], v[20:21]
	v_add_f64 v[6:7], v[6:7], v[174:175]
	v_fma_f64 v[8:9], v[144:145], v[40:41], -v[8:9]
	v_mul_f64 v[180:181], v[132:133], v[26:27]
	v_fmac_f64_e32 v[178:179], v[130:131], v[28:29]
	v_add_f64 v[6:7], v[6:7], v[176:177]
	v_add_f64 v[4:5], v[4:5], v[8:9]
	s_waitcnt vmcnt(5) lgkmcnt(4)
	v_mul_f64 v[8:9], v[150:151], v[46:47]
	v_mul_f64 v[182:183], v[136:137], v[34:35]
	v_fmac_f64_e32 v[180:181], v[134:135], v[24:25]
	v_add_f64 v[6:7], v[6:7], v[178:179]
	v_fma_f64 v[8:9], v[148:149], v[44:45], -v[8:9]
	v_mul_f64 v[184:185], v[140:141], v[38:39]
	v_fmac_f64_e32 v[182:183], v[138:139], v[32:33]
	v_add_f64 v[6:7], v[6:7], v[180:181]
	v_add_f64 v[4:5], v[4:5], v[8:9]
	s_waitcnt vmcnt(4) lgkmcnt(3)
	v_mul_f64 v[8:9], v[154:155], v[90:91]
	;; [unrolled: 10-line block ×4, first 2 shown]
	v_mul_f64 v[194:195], v[160:161], v[98:99]
	v_fmac_f64_e32 v[192:193], v[158:159], v[92:93]
	v_add_f64 v[6:7], v[6:7], v[190:191]
	v_fma_f64 v[8:9], v[160:161], v[96:97], -v[8:9]
	s_waitcnt vmcnt(1) lgkmcnt(0)
	v_mul_f64 v[196:197], v[164:165], v[102:103]
	v_fmac_f64_e32 v[194:195], v[162:163], v[96:97]
	v_add_f64 v[6:7], v[6:7], v[192:193]
	v_add_f64 v[4:5], v[4:5], v[8:9]
	v_mul_f64 v[8:9], v[166:167], v[102:103]
	v_fmac_f64_e32 v[196:197], v[166:167], v[100:101]
	v_add_f64 v[6:7], v[6:7], v[194:195]
	v_fma_f64 v[8:9], v[164:165], v[100:101], -v[8:9]
	v_add_f64 v[6:7], v[6:7], v[196:197]
	v_add_f64 v[4:5], v[4:5], v[8:9]
	s_waitcnt vmcnt(0)
	v_add_f64 v[4:5], v[104:105], -v[4:5]
	v_add_f64 v[6:7], v[106:107], -v[6:7]
	scratch_store_dwordx4 off, v[4:7], off offset:48
	s_and_saveexec_b64 s[2:3], vcc
	s_cbranch_execz .LBB82_123
; %bb.122:
	scratch_load_dwordx4 v[6:9], off, s35
	v_mov_b32_e32 v3, v2
	v_mov_b32_e32 v4, v2
	;; [unrolled: 1-line block ×3, first 2 shown]
	scratch_store_dwordx4 off, v[2:5], off offset:32
	s_waitcnt vmcnt(1)
	ds_write_b128 v86, v[6:9]
.LBB82_123:
	s_or_b64 exec, exec, s[2:3]
	s_waitcnt lgkmcnt(0)
	; wave barrier
	scratch_load_dwordx4 v[4:7], off, off offset:48
	scratch_load_dwordx4 v[8:11], off, off offset:64
	;; [unrolled: 1-line block ×16, first 2 shown]
	ds_read_b128 v[108:111], v2 offset:352
	ds_read_b128 v[112:115], v2 offset:368
	ds_read_b128 v[116:119], v2 offset:384
	ds_read_b128 v[120:123], v2 offset:400
	ds_read_b128 v[124:127], v2 offset:416
	ds_read_b128 v[128:131], v2 offset:432
	ds_read_b128 v[132:135], v2 offset:448
	ds_read_b128 v[136:139], v2 offset:464
	ds_read_b128 v[140:143], v2 offset:480
	ds_read_b128 v[144:147], v2 offset:496
	ds_read_b128 v[148:151], v2 offset:512
	ds_read_b128 v[152:155], v2 offset:528
	ds_read_b128 v[156:159], v2 offset:544
	ds_read_b128 v[160:163], v2 offset:560
	ds_read_b128 v[164:167], v2 offset:576
	ds_read_b128 v[168:171], v2 offset:592
	scratch_load_dwordx4 v[172:175], off, off offset:32
	v_cmp_lt_u32_e32 vcc, 1, v1
	s_waitcnt vmcnt(16) lgkmcnt(14)
	v_mul_f64 v[2:3], v[108:109], v[6:7]
	s_waitcnt vmcnt(15)
	v_mul_f64 v[176:177], v[112:113], v[10:11]
	v_fmac_f64_e32 v[2:3], v[110:111], v[4:5]
	s_waitcnt vmcnt(14) lgkmcnt(13)
	v_mul_f64 v[178:179], v[116:117], v[18:19]
	v_fmac_f64_e32 v[176:177], v[114:115], v[8:9]
	v_add_f64 v[2:3], v[2:3], 0
	s_waitcnt vmcnt(13) lgkmcnt(12)
	v_mul_f64 v[180:181], v[120:121], v[14:15]
	v_fmac_f64_e32 v[178:179], v[118:119], v[16:17]
	v_add_f64 v[2:3], v[2:3], v[176:177]
	;; [unrolled: 4-line block ×10, first 2 shown]
	v_mul_f64 v[6:7], v[110:111], v[6:7]
	s_waitcnt vmcnt(4) lgkmcnt(3)
	v_mul_f64 v[198:199], v[156:157], v[94:95]
	v_fmac_f64_e32 v[196:197], v[154:155], v[88:89]
	v_add_f64 v[2:3], v[2:3], v[194:195]
	s_waitcnt vmcnt(3) lgkmcnt(2)
	v_mul_f64 v[200:201], v[160:161], v[98:99]
	v_mul_f64 v[10:11], v[114:115], v[10:11]
	v_fma_f64 v[4:5], v[108:109], v[4:5], -v[6:7]
	v_fmac_f64_e32 v[198:199], v[158:159], v[92:93]
	v_add_f64 v[2:3], v[2:3], v[196:197]
	s_waitcnt vmcnt(2) lgkmcnt(1)
	v_mul_f64 v[202:203], v[164:165], v[102:103]
	v_mul_f64 v[18:19], v[118:119], v[18:19]
	v_fma_f64 v[6:7], v[112:113], v[8:9], -v[10:11]
	v_fmac_f64_e32 v[200:201], v[162:163], v[96:97]
	v_add_f64 v[4:5], v[4:5], 0
	v_add_f64 v[2:3], v[2:3], v[198:199]
	s_waitcnt vmcnt(1) lgkmcnt(0)
	v_mul_f64 v[204:205], v[168:169], v[106:107]
	v_mul_f64 v[14:15], v[122:123], v[14:15]
	v_fma_f64 v[8:9], v[116:117], v[16:17], -v[18:19]
	v_fmac_f64_e32 v[202:203], v[166:167], v[100:101]
	v_add_f64 v[4:5], v[4:5], v[6:7]
	v_add_f64 v[2:3], v[2:3], v[200:201]
	v_mul_f64 v[26:27], v[126:127], v[26:27]
	v_fmac_f64_e32 v[204:205], v[170:171], v[104:105]
	v_fma_f64 v[10:11], v[120:121], v[12:13], -v[14:15]
	v_add_f64 v[4:5], v[4:5], v[8:9]
	v_add_f64 v[2:3], v[2:3], v[202:203]
	v_fma_f64 v[12:13], v[124:125], v[24:25], -v[26:27]
	v_add_f64 v[4:5], v[4:5], v[10:11]
	v_add_f64 v[6:7], v[2:3], v[204:205]
	v_mul_f64 v[2:3], v[130:131], v[22:23]
	v_add_f64 v[4:5], v[4:5], v[12:13]
	v_fma_f64 v[2:3], v[128:129], v[20:21], -v[2:3]
	v_add_f64 v[2:3], v[4:5], v[2:3]
	v_mul_f64 v[4:5], v[134:135], v[30:31]
	v_fma_f64 v[4:5], v[132:133], v[28:29], -v[4:5]
	v_add_f64 v[2:3], v[2:3], v[4:5]
	v_mul_f64 v[4:5], v[138:139], v[34:35]
	;; [unrolled: 3-line block ×10, first 2 shown]
	v_fma_f64 v[4:5], v[168:169], v[104:105], -v[4:5]
	v_add_f64 v[2:3], v[2:3], v[4:5]
	s_waitcnt vmcnt(0)
	v_add_f64 v[2:3], v[172:173], -v[2:3]
	v_add_f64 v[4:5], v[174:175], -v[6:7]
	scratch_store_dwordx4 off, v[2:5], off offset:32
	s_and_saveexec_b64 s[2:3], vcc
	s_cbranch_execz .LBB82_125
; %bb.124:
	scratch_load_dwordx4 v[2:5], off, s36
	v_mov_b32_e32 v6, 0
	v_mov_b32_e32 v7, v6
	;; [unrolled: 1-line block ×4, first 2 shown]
	scratch_store_dwordx4 off, v[6:9], off offset:16
	s_waitcnt vmcnt(1)
	ds_write_b128 v86, v[2:5]
.LBB82_125:
	s_or_b64 exec, exec, s[2:3]
	s_waitcnt lgkmcnt(0)
	; wave barrier
	scratch_load_dwordx4 v[4:7], off, off offset:32
	scratch_load_dwordx4 v[8:11], off, off offset:48
	;; [unrolled: 1-line block ×18, first 2 shown]
	v_mov_b32_e32 v2, 0
	ds_read_b128 v[116:119], v2 offset:336
	ds_read_b128 v[120:123], v2 offset:352
	;; [unrolled: 1-line block ×17, first 2 shown]
	v_cmp_ne_u32_e32 vcc, 0, v1
	s_waitcnt vmcnt(17) lgkmcnt(14)
	v_mul_f64 v[184:185], v[116:117], v[6:7]
	v_mul_f64 v[6:7], v[118:119], v[6:7]
	s_waitcnt vmcnt(16)
	v_mul_f64 v[186:187], v[120:121], v[10:11]
	v_mul_f64 v[10:11], v[122:123], v[10:11]
	v_fmac_f64_e32 v[184:185], v[118:119], v[4:5]
	v_fma_f64 v[4:5], v[116:117], v[4:5], -v[6:7]
	s_waitcnt vmcnt(15)
	v_mul_f64 v[188:189], v[124:125], v[18:19]
	v_mul_f64 v[18:19], v[126:127], v[18:19]
	v_fma_f64 v[6:7], v[120:121], v[8:9], -v[10:11]
	v_add_f64 v[4:5], v[4:5], 0
	s_waitcnt vmcnt(14) lgkmcnt(13)
	v_mul_f64 v[190:191], v[128:129], v[14:15]
	v_mul_f64 v[14:15], v[130:131], v[14:15]
	v_fmac_f64_e32 v[186:187], v[122:123], v[8:9]
	v_fma_f64 v[8:9], v[124:125], v[16:17], -v[18:19]
	v_add_f64 v[4:5], v[4:5], v[6:7]
	v_add_f64 v[4:5], v[4:5], v[8:9]
	v_fma_f64 v[8:9], v[128:129], v[12:13], -v[14:15]
	v_add_f64 v[4:5], v[4:5], v[8:9]
	s_waitcnt vmcnt(13) lgkmcnt(12)
	v_mul_f64 v[8:9], v[134:135], v[22:23]
	v_fma_f64 v[8:9], v[132:133], v[20:21], -v[8:9]
	v_add_f64 v[4:5], v[4:5], v[8:9]
	s_waitcnt vmcnt(12) lgkmcnt(11)
	v_mul_f64 v[8:9], v[138:139], v[26:27]
	;; [unrolled: 4-line block ×5, first 2 shown]
	v_fma_f64 v[8:9], v[148:149], v[36:37], -v[8:9]
	v_add_f64 v[10:11], v[184:185], 0
	v_add_f64 v[4:5], v[4:5], v[8:9]
	s_waitcnt vmcnt(8) lgkmcnt(7)
	v_mul_f64 v[8:9], v[154:155], v[42:43]
	v_fmac_f64_e32 v[188:189], v[126:127], v[16:17]
	v_add_f64 v[10:11], v[10:11], v[186:187]
	v_fma_f64 v[8:9], v[152:153], v[40:41], -v[8:9]
	v_mul_f64 v[192:193], v[132:133], v[22:23]
	v_fmac_f64_e32 v[190:191], v[130:131], v[12:13]
	v_add_f64 v[6:7], v[10:11], v[188:189]
	v_add_f64 v[4:5], v[4:5], v[8:9]
	s_waitcnt vmcnt(7) lgkmcnt(6)
	v_mul_f64 v[8:9], v[158:159], v[46:47]
	v_mul_f64 v[194:195], v[136:137], v[26:27]
	v_fmac_f64_e32 v[192:193], v[134:135], v[20:21]
	v_add_f64 v[6:7], v[6:7], v[190:191]
	v_fma_f64 v[8:9], v[156:157], v[44:45], -v[8:9]
	v_mul_f64 v[196:197], v[140:141], v[30:31]
	v_fmac_f64_e32 v[194:195], v[138:139], v[24:25]
	v_add_f64 v[6:7], v[6:7], v[192:193]
	v_add_f64 v[4:5], v[4:5], v[8:9]
	s_waitcnt vmcnt(6) lgkmcnt(5)
	v_mul_f64 v[8:9], v[162:163], v[90:91]
	;; [unrolled: 10-line block ×6, first 2 shown]
	v_mul_f64 v[214:215], v[176:177], v[106:107]
	v_fmac_f64_e32 v[212:213], v[174:175], v[100:101]
	v_add_f64 v[6:7], v[6:7], v[210:211]
	v_fma_f64 v[8:9], v[176:177], v[104:105], -v[8:9]
	s_waitcnt vmcnt(1) lgkmcnt(0)
	v_mul_f64 v[216:217], v[180:181], v[110:111]
	v_fmac_f64_e32 v[214:215], v[178:179], v[104:105]
	v_add_f64 v[6:7], v[6:7], v[212:213]
	v_add_f64 v[4:5], v[4:5], v[8:9]
	v_mul_f64 v[8:9], v[182:183], v[110:111]
	v_fmac_f64_e32 v[216:217], v[182:183], v[108:109]
	v_add_f64 v[6:7], v[6:7], v[214:215]
	v_fma_f64 v[8:9], v[180:181], v[108:109], -v[8:9]
	v_add_f64 v[6:7], v[6:7], v[216:217]
	v_add_f64 v[4:5], v[4:5], v[8:9]
	s_waitcnt vmcnt(0)
	v_add_f64 v[4:5], v[112:113], -v[4:5]
	v_add_f64 v[6:7], v[114:115], -v[6:7]
	scratch_store_dwordx4 off, v[4:7], off offset:16
	s_and_saveexec_b64 s[2:3], vcc
	s_cbranch_execz .LBB82_127
; %bb.126:
	scratch_load_dwordx4 v[6:9], off, off
	v_mov_b32_e32 v3, v2
	v_mov_b32_e32 v4, v2
	;; [unrolled: 1-line block ×3, first 2 shown]
	scratch_store_dwordx4 off, v[2:5], off
	s_waitcnt vmcnt(1)
	ds_write_b128 v86, v[6:9]
.LBB82_127:
	s_or_b64 exec, exec, s[2:3]
	s_waitcnt lgkmcnt(0)
	; wave barrier
	scratch_load_dwordx4 v[4:7], off, off offset:16
	scratch_load_dwordx4 v[12:15], off, off offset:32
	;; [unrolled: 1-line block ×18, first 2 shown]
	ds_read_b128 v[114:117], v2 offset:320
	ds_read_b128 v[118:121], v2 offset:336
	;; [unrolled: 1-line block ×18, first 2 shown]
	scratch_load_dwordx4 v[186:189], off, off
	s_and_b64 vcc, exec, s[14:15]
	s_waitcnt vmcnt(18) lgkmcnt(14)
	v_mul_f64 v[2:3], v[114:115], v[6:7]
	s_waitcnt vmcnt(17)
	v_mul_f64 v[190:191], v[118:119], v[14:15]
	v_fmac_f64_e32 v[2:3], v[116:117], v[4:5]
	s_waitcnt vmcnt(16)
	v_mul_f64 v[192:193], v[122:123], v[10:11]
	v_fmac_f64_e32 v[190:191], v[120:121], v[12:13]
	v_add_f64 v[2:3], v[2:3], 0
	s_waitcnt vmcnt(15)
	v_mul_f64 v[194:195], v[126:127], v[18:19]
	v_fmac_f64_e32 v[192:193], v[124:125], v[8:9]
	v_add_f64 v[2:3], v[2:3], v[190:191]
	s_waitcnt vmcnt(14) lgkmcnt(13)
	v_mul_f64 v[196:197], v[130:131], v[22:23]
	v_fmac_f64_e32 v[194:195], v[128:129], v[16:17]
	v_add_f64 v[2:3], v[2:3], v[192:193]
	s_waitcnt vmcnt(13) lgkmcnt(12)
	;; [unrolled: 4-line block ×13, first 2 shown]
	v_mul_f64 v[220:221], v[178:179], v[108:109]
	v_mul_f64 v[6:7], v[116:117], v[6:7]
	v_fmac_f64_e32 v[218:219], v[176:177], v[102:103]
	v_add_f64 v[2:3], v[2:3], v[216:217]
	s_waitcnt vmcnt(1) lgkmcnt(0)
	v_mul_f64 v[222:223], v[182:183], v[112:113]
	v_mul_f64 v[14:15], v[120:121], v[14:15]
	v_fmac_f64_e32 v[220:221], v[180:181], v[106:107]
	v_fma_f64 v[4:5], v[114:115], v[4:5], -v[6:7]
	v_add_f64 v[2:3], v[2:3], v[218:219]
	v_mul_f64 v[10:11], v[124:125], v[10:11]
	v_fmac_f64_e32 v[222:223], v[184:185], v[110:111]
	v_fma_f64 v[6:7], v[118:119], v[12:13], -v[14:15]
	v_add_f64 v[4:5], v[4:5], 0
	v_add_f64 v[2:3], v[2:3], v[220:221]
	v_add_f64 v[4:5], v[4:5], v[6:7]
	v_add_f64 v[6:7], v[2:3], v[222:223]
	v_fma_f64 v[2:3], v[122:123], v[8:9], -v[10:11]
	v_add_f64 v[2:3], v[4:5], v[2:3]
	v_mul_f64 v[4:5], v[128:129], v[18:19]
	v_fma_f64 v[4:5], v[126:127], v[16:17], -v[4:5]
	v_add_f64 v[2:3], v[2:3], v[4:5]
	v_mul_f64 v[4:5], v[132:133], v[22:23]
	;; [unrolled: 3-line block ×15, first 2 shown]
	v_fma_f64 v[4:5], v[182:183], v[110:111], -v[4:5]
	v_add_f64 v[2:3], v[2:3], v[4:5]
	s_waitcnt vmcnt(0)
	v_add_f64 v[2:3], v[186:187], -v[2:3]
	v_add_f64 v[4:5], v[188:189], -v[6:7]
	scratch_store_dwordx4 off, v[2:5], off
	s_cbranch_vccz .LBB82_164
; %bb.128:
	s_nop 0
	v_mov_b32_e32 v2, 0
	global_load_dword v3, v2, s[12:13] offset:68
	s_load_dwordx2 s[2:3], s[0:1], 0x4
	v_bfe_u32 v4, v0, 10, 10
	v_bfe_u32 v0, v0, 20, 10
	s_waitcnt lgkmcnt(0)
	s_lshr_b32 s0, s2, 16
	s_mul_i32 s0, s0, s3
	v_mul_u32_u24_e32 v1, s0, v1
	v_mul_u32_u24_e32 v4, s3, v4
	v_add3_u32 v0, v1, v4, v0
	v_mov_b32_e32 v1, 0x268
	v_lshl_add_u32 v0, v0, 4, v1
	s_waitcnt vmcnt(0)
	v_readfirstlane_b32 s0, v3
	s_add_i32 s0, s0, -1
	s_cmp_lg_u32 s0, 17
	s_cbranch_scc0 .LBB82_130
; %bb.129:
	s_lshl_b32 s0, s0, 4
	scratch_load_dwordx4 v[4:7], off, s19
	scratch_load_dwordx4 v[8:11], off, s0
	s_waitcnt vmcnt(1)
	ds_write2_b64 v0, v[4:5], v[6:7] offset1:1
	s_waitcnt vmcnt(0)
	scratch_store_dwordx4 off, v[8:11], s19
	scratch_store_dwordx4 off, v[4:7], s0
.LBB82_130:
	global_load_dword v1, v2, s[12:13] offset:64
	s_waitcnt vmcnt(0)
	v_readfirstlane_b32 s0, v1
	s_add_i32 s0, s0, -1
	s_cmp_eq_u32 s0, 16
	s_cbranch_scc1 .LBB82_132
; %bb.131:
	s_lshl_b32 s0, s0, 4
	scratch_load_dwordx4 v[2:5], off, s20
	scratch_load_dwordx4 v[6:9], off, s0
	s_waitcnt vmcnt(1)
	ds_write2_b64 v0, v[2:3], v[4:5] offset1:1
	s_waitcnt vmcnt(0)
	scratch_store_dwordx4 off, v[6:9], s20
	scratch_store_dwordx4 off, v[2:5], s0
.LBB82_132:
	v_mov_b32_e32 v1, 0
	global_load_dword v2, v1, s[12:13] offset:60
	s_waitcnt vmcnt(0)
	v_readfirstlane_b32 s0, v2
	s_add_i32 s0, s0, -1
	s_cmp_eq_u32 s0, 15
	s_cbranch_scc1 .LBB82_134
; %bb.133:
	s_lshl_b32 s0, s0, 4
	scratch_load_dwordx4 v[2:5], off, s21
	scratch_load_dwordx4 v[6:9], off, s0
	s_waitcnt vmcnt(1)
	ds_write2_b64 v0, v[2:3], v[4:5] offset1:1
	s_waitcnt vmcnt(0)
	scratch_store_dwordx4 off, v[6:9], s21
	scratch_store_dwordx4 off, v[2:5], s0
.LBB82_134:
	global_load_dword v1, v1, s[12:13] offset:56
	s_waitcnt vmcnt(0)
	v_readfirstlane_b32 s0, v1
	s_add_i32 s0, s0, -1
	s_cmp_eq_u32 s0, 14
	s_cbranch_scc1 .LBB82_136
; %bb.135:
	s_lshl_b32 s0, s0, 4
	scratch_load_dwordx4 v[2:5], off, s22
	scratch_load_dwordx4 v[6:9], off, s0
	s_waitcnt vmcnt(1)
	ds_write2_b64 v0, v[2:3], v[4:5] offset1:1
	s_waitcnt vmcnt(0)
	scratch_store_dwordx4 off, v[6:9], s22
	scratch_store_dwordx4 off, v[2:5], s0
.LBB82_136:
	v_mov_b32_e32 v1, 0
	global_load_dword v2, v1, s[12:13] offset:52
	s_waitcnt vmcnt(0)
	v_readfirstlane_b32 s0, v2
	s_add_i32 s0, s0, -1
	s_cmp_eq_u32 s0, 13
	s_cbranch_scc1 .LBB82_138
; %bb.137:
	s_lshl_b32 s0, s0, 4
	scratch_load_dwordx4 v[2:5], off, s23
	scratch_load_dwordx4 v[6:9], off, s0
	s_waitcnt vmcnt(1)
	ds_write2_b64 v0, v[2:3], v[4:5] offset1:1
	s_waitcnt vmcnt(0)
	scratch_store_dwordx4 off, v[6:9], s23
	scratch_store_dwordx4 off, v[2:5], s0
.LBB82_138:
	;; [unrolled: 33-line block ×8, first 2 shown]
	global_load_dword v1, v1, s[12:13]
	s_waitcnt vmcnt(0)
	v_readfirstlane_b32 s0, v1
	s_add_i32 s0, s0, -1
	s_cmp_eq_u32 s0, 0
	s_cbranch_scc1 .LBB82_164
; %bb.163:
	s_lshl_b32 s0, s0, 4
	scratch_load_dwordx4 v[2:5], off, off
	scratch_load_dwordx4 v[6:9], off, s0
	s_waitcnt vmcnt(1)
	ds_write2_b64 v0, v[2:3], v[4:5] offset1:1
	s_waitcnt vmcnt(0)
	scratch_store_dwordx4 off, v[6:9], off
	scratch_store_dwordx4 off, v[2:5], s0
.LBB82_164:
	scratch_load_dwordx4 v[0:3], off, off
	s_waitcnt vmcnt(0)
	flat_store_dwordx4 v[48:49], v[0:3]
	scratch_load_dwordx4 v[0:3], off, s36
	s_waitcnt vmcnt(0)
	flat_store_dwordx4 v[50:51], v[0:3]
	scratch_load_dwordx4 v[0:3], off, s35
	;; [unrolled: 3-line block ×18, first 2 shown]
	s_waitcnt vmcnt(0)
	flat_store_dwordx4 v[84:85], v[0:3]
	s_endpgm
	.section	.rodata,"a",@progbits
	.p2align	6, 0x0
	.amdhsa_kernel _ZN9rocsolver6v33100L18getri_kernel_smallILi19E19rocblas_complex_numIdEPKPS3_EEvT1_iilPiilS8_bb
		.amdhsa_group_segment_fixed_size 1640
		.amdhsa_private_segment_fixed_size 320
		.amdhsa_kernarg_size 60
		.amdhsa_user_sgpr_count 4
		.amdhsa_user_sgpr_dispatch_ptr 1
		.amdhsa_user_sgpr_queue_ptr 0
		.amdhsa_user_sgpr_kernarg_segment_ptr 1
		.amdhsa_user_sgpr_dispatch_id 0
		.amdhsa_user_sgpr_kernarg_preload_length 0
		.amdhsa_user_sgpr_kernarg_preload_offset 0
		.amdhsa_user_sgpr_private_segment_size 0
		.amdhsa_uses_dynamic_stack 0
		.amdhsa_enable_private_segment 1
		.amdhsa_system_sgpr_workgroup_id_x 1
		.amdhsa_system_sgpr_workgroup_id_y 0
		.amdhsa_system_sgpr_workgroup_id_z 0
		.amdhsa_system_sgpr_workgroup_info 0
		.amdhsa_system_vgpr_workitem_id 2
		.amdhsa_next_free_vgpr 224
		.amdhsa_next_free_sgpr 40
		.amdhsa_accum_offset 224
		.amdhsa_reserve_vcc 1
		.amdhsa_float_round_mode_32 0
		.amdhsa_float_round_mode_16_64 0
		.amdhsa_float_denorm_mode_32 3
		.amdhsa_float_denorm_mode_16_64 3
		.amdhsa_dx10_clamp 1
		.amdhsa_ieee_mode 1
		.amdhsa_fp16_overflow 0
		.amdhsa_tg_split 0
		.amdhsa_exception_fp_ieee_invalid_op 0
		.amdhsa_exception_fp_denorm_src 0
		.amdhsa_exception_fp_ieee_div_zero 0
		.amdhsa_exception_fp_ieee_overflow 0
		.amdhsa_exception_fp_ieee_underflow 0
		.amdhsa_exception_fp_ieee_inexact 0
		.amdhsa_exception_int_div_zero 0
	.end_amdhsa_kernel
	.section	.text._ZN9rocsolver6v33100L18getri_kernel_smallILi19E19rocblas_complex_numIdEPKPS3_EEvT1_iilPiilS8_bb,"axG",@progbits,_ZN9rocsolver6v33100L18getri_kernel_smallILi19E19rocblas_complex_numIdEPKPS3_EEvT1_iilPiilS8_bb,comdat
.Lfunc_end82:
	.size	_ZN9rocsolver6v33100L18getri_kernel_smallILi19E19rocblas_complex_numIdEPKPS3_EEvT1_iilPiilS8_bb, .Lfunc_end82-_ZN9rocsolver6v33100L18getri_kernel_smallILi19E19rocblas_complex_numIdEPKPS3_EEvT1_iilPiilS8_bb
                                        ; -- End function
	.set _ZN9rocsolver6v33100L18getri_kernel_smallILi19E19rocblas_complex_numIdEPKPS3_EEvT1_iilPiilS8_bb.num_vgpr, 224
	.set _ZN9rocsolver6v33100L18getri_kernel_smallILi19E19rocblas_complex_numIdEPKPS3_EEvT1_iilPiilS8_bb.num_agpr, 0
	.set _ZN9rocsolver6v33100L18getri_kernel_smallILi19E19rocblas_complex_numIdEPKPS3_EEvT1_iilPiilS8_bb.numbered_sgpr, 40
	.set _ZN9rocsolver6v33100L18getri_kernel_smallILi19E19rocblas_complex_numIdEPKPS3_EEvT1_iilPiilS8_bb.num_named_barrier, 0
	.set _ZN9rocsolver6v33100L18getri_kernel_smallILi19E19rocblas_complex_numIdEPKPS3_EEvT1_iilPiilS8_bb.private_seg_size, 320
	.set _ZN9rocsolver6v33100L18getri_kernel_smallILi19E19rocblas_complex_numIdEPKPS3_EEvT1_iilPiilS8_bb.uses_vcc, 1
	.set _ZN9rocsolver6v33100L18getri_kernel_smallILi19E19rocblas_complex_numIdEPKPS3_EEvT1_iilPiilS8_bb.uses_flat_scratch, 0
	.set _ZN9rocsolver6v33100L18getri_kernel_smallILi19E19rocblas_complex_numIdEPKPS3_EEvT1_iilPiilS8_bb.has_dyn_sized_stack, 0
	.set _ZN9rocsolver6v33100L18getri_kernel_smallILi19E19rocblas_complex_numIdEPKPS3_EEvT1_iilPiilS8_bb.has_recursion, 0
	.set _ZN9rocsolver6v33100L18getri_kernel_smallILi19E19rocblas_complex_numIdEPKPS3_EEvT1_iilPiilS8_bb.has_indirect_call, 0
	.section	.AMDGPU.csdata,"",@progbits
; Kernel info:
; codeLenInByte = 20272
; TotalNumSgprs: 46
; NumVgprs: 224
; NumAgprs: 0
; TotalNumVgprs: 224
; ScratchSize: 320
; MemoryBound: 0
; FloatMode: 240
; IeeeMode: 1
; LDSByteSize: 1640 bytes/workgroup (compile time only)
; SGPRBlocks: 5
; VGPRBlocks: 27
; NumSGPRsForWavesPerEU: 46
; NumVGPRsForWavesPerEU: 224
; AccumOffset: 224
; Occupancy: 2
; WaveLimiterHint : 1
; COMPUTE_PGM_RSRC2:SCRATCH_EN: 1
; COMPUTE_PGM_RSRC2:USER_SGPR: 4
; COMPUTE_PGM_RSRC2:TRAP_HANDLER: 0
; COMPUTE_PGM_RSRC2:TGID_X_EN: 1
; COMPUTE_PGM_RSRC2:TGID_Y_EN: 0
; COMPUTE_PGM_RSRC2:TGID_Z_EN: 0
; COMPUTE_PGM_RSRC2:TIDIG_COMP_CNT: 2
; COMPUTE_PGM_RSRC3_GFX90A:ACCUM_OFFSET: 55
; COMPUTE_PGM_RSRC3_GFX90A:TG_SPLIT: 0
	.section	.text._ZN9rocsolver6v33100L18getri_kernel_smallILi20E19rocblas_complex_numIdEPKPS3_EEvT1_iilPiilS8_bb,"axG",@progbits,_ZN9rocsolver6v33100L18getri_kernel_smallILi20E19rocblas_complex_numIdEPKPS3_EEvT1_iilPiilS8_bb,comdat
	.globl	_ZN9rocsolver6v33100L18getri_kernel_smallILi20E19rocblas_complex_numIdEPKPS3_EEvT1_iilPiilS8_bb ; -- Begin function _ZN9rocsolver6v33100L18getri_kernel_smallILi20E19rocblas_complex_numIdEPKPS3_EEvT1_iilPiilS8_bb
	.p2align	8
	.type	_ZN9rocsolver6v33100L18getri_kernel_smallILi20E19rocblas_complex_numIdEPKPS3_EEvT1_iilPiilS8_bb,@function
_ZN9rocsolver6v33100L18getri_kernel_smallILi20E19rocblas_complex_numIdEPKPS3_EEvT1_iilPiilS8_bb: ; @_ZN9rocsolver6v33100L18getri_kernel_smallILi20E19rocblas_complex_numIdEPKPS3_EEvT1_iilPiilS8_bb
; %bb.0:
	v_and_b32_e32 v1, 0x3ff, v0
	v_cmp_gt_u32_e32 vcc, 20, v1
	s_and_saveexec_b64 s[6:7], vcc
	s_cbranch_execz .LBB83_94
; %bb.1:
	s_load_dword s18, s[2:3], 0x38
	s_load_dwordx2 s[6:7], s[2:3], 0x0
	s_load_dwordx4 s[8:11], s[2:3], 0x28
	s_waitcnt lgkmcnt(0)
	s_bitcmp1_b32 s18, 8
	s_cselect_b64 s[14:15], -1, 0
	s_ashr_i32 s5, s4, 31
	s_lshl_b64 s[12:13], s[4:5], 3
	s_add_u32 s6, s6, s12
	s_addc_u32 s7, s7, s13
	s_load_dwordx2 s[16:17], s[6:7], 0x0
	s_bfe_u32 s6, s18, 0x10008
	s_cmp_eq_u32 s6, 0
                                        ; implicit-def: $sgpr12_sgpr13
	s_cbranch_scc1 .LBB83_3
; %bb.2:
	s_load_dword s6, s[2:3], 0x20
	s_load_dwordx2 s[12:13], s[2:3], 0x18
	s_mul_i32 s7, s8, s5
	s_mul_hi_u32 s18, s8, s4
	s_add_i32 s18, s18, s7
	s_mul_i32 s9, s9, s4
	s_add_i32 s9, s18, s9
	s_mul_i32 s8, s8, s4
	s_waitcnt lgkmcnt(0)
	s_ashr_i32 s7, s6, 31
	s_lshl_b64 s[8:9], s[8:9], 2
	s_add_u32 s8, s12, s8
	s_addc_u32 s9, s13, s9
	s_lshl_b64 s[6:7], s[6:7], 2
	s_add_u32 s12, s8, s6
	s_addc_u32 s13, s9, s7
.LBB83_3:
	s_load_dwordx2 s[6:7], s[2:3], 0x8
	s_load_dword s8, s[2:3], 0x38
	v_lshlrev_b32_e32 v14, 4, v1
	v_mov_b32_e32 v15, 0
	s_movk_i32 s38, 0x100
	s_waitcnt lgkmcnt(0)
	s_ashr_i32 s3, s6, 31
	s_mov_b32 s2, s6
	s_lshl_b64 s[2:3], s[2:3], 4
	s_add_u32 s2, s16, s2
	s_addc_u32 s3, s17, s3
	v_lshl_add_u64 v[54:55], s[2:3], 0, v[14:15]
	flat_load_dwordx4 v[2:5], v[54:55]
	s_mov_b32 s16, s7
	s_ashr_i32 s17, s7, 31
	v_lshl_add_u64 v[56:57], s[16:17], 4, v[54:55]
	s_add_i32 s6, s7, s7
	v_add_u32_e32 v6, s6, v1
	v_ashrrev_i32_e32 v7, 31, v6
	v_lshl_add_u64 v[58:59], v[6:7], 4, s[2:3]
	v_add_u32_e32 v6, s7, v6
	v_ashrrev_i32_e32 v7, 31, v6
	v_lshl_add_u64 v[60:61], v[6:7], 4, s[2:3]
	;; [unrolled: 3-line block ×18, first 2 shown]
	s_movk_i32 s39, 0x110
	s_movk_i32 s40, 0x120
	;; [unrolled: 1-line block ×14, first 2 shown]
	s_mov_b32 s37, 16
	s_mov_b32 s36, 32
	;; [unrolled: 1-line block ×7, first 2 shown]
	s_waitcnt vmcnt(0) lgkmcnt(0)
	scratch_store_dwordx4 off, v[2:5], off
	flat_load_dwordx4 v[2:5], v[56:57]
	s_mov_b32 s18, s41
	s_bitcmp0_b32 s8, 0
	s_mov_b64 s[6:7], -1
	s_waitcnt vmcnt(0) lgkmcnt(0)
	scratch_store_dwordx4 off, v[2:5], off offset:16
	flat_load_dwordx4 v[2:5], v[58:59]
	s_waitcnt vmcnt(0) lgkmcnt(0)
	scratch_store_dwordx4 off, v[2:5], off offset:32
	flat_load_dwordx4 v[2:5], v[60:61]
	s_waitcnt vmcnt(0) lgkmcnt(0)
	scratch_store_dwordx4 off, v[2:5], off offset:48
	flat_load_dwordx4 v[2:5], v[62:63]
	s_waitcnt vmcnt(0) lgkmcnt(0)
	scratch_store_dwordx4 off, v[2:5], off offset:64
	flat_load_dwordx4 v[2:5], v[64:65]
	s_waitcnt vmcnt(0) lgkmcnt(0)
	scratch_store_dwordx4 off, v[2:5], off offset:80
	flat_load_dwordx4 v[2:5], v[66:67]
	s_waitcnt vmcnt(0) lgkmcnt(0)
	scratch_store_dwordx4 off, v[2:5], off offset:96
	flat_load_dwordx4 v[2:5], v[68:69]
	s_waitcnt vmcnt(0) lgkmcnt(0)
	scratch_store_dwordx4 off, v[2:5], off offset:112
	flat_load_dwordx4 v[2:5], v[70:71]
	s_waitcnt vmcnt(0) lgkmcnt(0)
	scratch_store_dwordx4 off, v[2:5], off offset:128
	flat_load_dwordx4 v[2:5], v[72:73]
	s_waitcnt vmcnt(0) lgkmcnt(0)
	scratch_store_dwordx4 off, v[2:5], off offset:144
	flat_load_dwordx4 v[2:5], v[74:75]
	s_waitcnt vmcnt(0) lgkmcnt(0)
	scratch_store_dwordx4 off, v[2:5], off offset:160
	flat_load_dwordx4 v[2:5], v[76:77]
	s_waitcnt vmcnt(0) lgkmcnt(0)
	scratch_store_dwordx4 off, v[2:5], off offset:176
	flat_load_dwordx4 v[2:5], v[78:79]
	s_waitcnt vmcnt(0) lgkmcnt(0)
	scratch_store_dwordx4 off, v[2:5], off offset:192
	flat_load_dwordx4 v[2:5], v[80:81]
	s_waitcnt vmcnt(0) lgkmcnt(0)
	scratch_store_dwordx4 off, v[2:5], off offset:208
	flat_load_dwordx4 v[2:5], v[82:83]
	s_waitcnt vmcnt(0) lgkmcnt(0)
	scratch_store_dwordx4 off, v[2:5], off offset:224
	flat_load_dwordx4 v[2:5], v[84:85]
	s_waitcnt vmcnt(0) lgkmcnt(0)
	scratch_store_dwordx4 off, v[2:5], off offset:240
	flat_load_dwordx4 v[2:5], v[86:87]
	s_waitcnt vmcnt(0) lgkmcnt(0)
	scratch_store_dwordx4 off, v[2:5], off offset:256
	flat_load_dwordx4 v[2:5], v[88:89]
	s_waitcnt vmcnt(0) lgkmcnt(0)
	scratch_store_dwordx4 off, v[2:5], off offset:272
	flat_load_dwordx4 v[2:5], v[90:91]
	s_waitcnt vmcnt(0) lgkmcnt(0)
	scratch_store_dwordx4 off, v[2:5], off offset:288
	flat_load_dwordx4 v[2:5], v[92:93]
	s_waitcnt vmcnt(0) lgkmcnt(0)
	scratch_store_dwordx4 off, v[2:5], off offset:304
	s_cbranch_scc1 .LBB83_92
; %bb.4:
	v_cmp_eq_u32_e64 s[2:3], 0, v1
	s_and_saveexec_b64 s[6:7], s[2:3]
; %bb.5:
	v_mov_b32_e32 v2, 0
	ds_write_b32 v2, v2 offset:640
; %bb.6:
	s_or_b64 exec, exec, s[6:7]
	s_waitcnt lgkmcnt(0)
	; wave barrier
	scratch_load_dwordx4 v[2:5], v14, off
	s_waitcnt vmcnt(0)
	v_cmp_eq_f64_e32 vcc, 0, v[2:3]
	v_cmp_eq_f64_e64 s[6:7], 0, v[4:5]
	s_and_b64 s[6:7], vcc, s[6:7]
	s_and_saveexec_b64 s[8:9], s[6:7]
	s_cbranch_execz .LBB83_10
; %bb.7:
	v_mov_b32_e32 v2, 0
	ds_read_b32 v4, v2 offset:640
	v_add_u32_e32 v3, 1, v1
	s_waitcnt lgkmcnt(0)
	v_readfirstlane_b32 s6, v4
	s_cmp_eq_u32 s6, 0
	s_cselect_b64 s[16:17], -1, 0
	v_cmp_gt_i32_e32 vcc, s6, v3
	s_or_b64 s[16:17], s[16:17], vcc
	s_and_b64 exec, exec, s[16:17]
	s_cbranch_execz .LBB83_10
; %bb.8:
	s_mov_b64 s[16:17], 0
	v_mov_b32_e32 v4, s6
.LBB83_9:                               ; =>This Inner Loop Header: Depth=1
	ds_cmpst_rtn_b32 v4, v2, v4, v3 offset:640
	s_waitcnt lgkmcnt(0)
	v_cmp_ne_u32_e32 vcc, 0, v4
	v_cmp_le_i32_e64 s[6:7], v4, v3
	s_and_b64 s[6:7], vcc, s[6:7]
	s_and_b64 s[6:7], exec, s[6:7]
	s_or_b64 s[16:17], s[6:7], s[16:17]
	s_andn2_b64 exec, exec, s[16:17]
	s_cbranch_execnz .LBB83_9
.LBB83_10:
	s_or_b64 exec, exec, s[8:9]
	v_mov_b32_e32 v3, 0
	; wave barrier
	ds_read_b32 v2, v3 offset:640
	s_and_saveexec_b64 s[6:7], s[2:3]
	s_cbranch_execz .LBB83_12
; %bb.11:
	s_lshl_b64 s[8:9], s[4:5], 2
	s_add_u32 s8, s10, s8
	s_addc_u32 s9, s11, s9
	s_waitcnt lgkmcnt(0)
	global_store_dword v3, v2, s[8:9]
.LBB83_12:
	s_or_b64 exec, exec, s[6:7]
	s_waitcnt lgkmcnt(0)
	v_cmp_ne_u32_e32 vcc, 0, v2
	s_mov_b64 s[6:7], 0
	s_cbranch_vccnz .LBB83_92
; %bb.13:
	v_mov_b32_e32 v15, v14
	scratch_load_dwordx4 v[2:5], v15, off
                                        ; implicit-def: $vgpr6_vgpr7
                                        ; implicit-def: $vgpr10_vgpr11
	s_waitcnt vmcnt(0)
	v_cmp_ngt_f64_e64 s[6:7], |v[2:3]|, |v[4:5]|
	s_and_saveexec_b64 s[8:9], s[6:7]
	s_xor_b64 s[6:7], exec, s[8:9]
	s_cbranch_execz .LBB83_15
; %bb.14:
	v_div_scale_f64 v[6:7], s[8:9], v[4:5], v[4:5], v[2:3]
	v_rcp_f64_e32 v[8:9], v[6:7]
	v_div_scale_f64 v[10:11], vcc, v[2:3], v[4:5], v[2:3]
	v_fma_f64 v[12:13], -v[6:7], v[8:9], 1.0
	v_fmac_f64_e32 v[8:9], v[8:9], v[12:13]
	v_fma_f64 v[12:13], -v[6:7], v[8:9], 1.0
	v_fmac_f64_e32 v[8:9], v[8:9], v[12:13]
	v_mul_f64 v[12:13], v[10:11], v[8:9]
	v_fma_f64 v[6:7], -v[6:7], v[12:13], v[10:11]
	v_div_fmas_f64 v[6:7], v[6:7], v[8:9], v[12:13]
	v_div_fixup_f64 v[6:7], v[6:7], v[4:5], v[2:3]
	v_fmac_f64_e32 v[4:5], v[2:3], v[6:7]
	v_div_scale_f64 v[2:3], s[8:9], v[4:5], v[4:5], 1.0
	v_rcp_f64_e32 v[8:9], v[2:3]
	s_nop 0
	v_fma_f64 v[10:11], -v[2:3], v[8:9], 1.0
	v_fmac_f64_e32 v[8:9], v[8:9], v[10:11]
	v_fma_f64 v[10:11], -v[2:3], v[8:9], 1.0
	v_fmac_f64_e32 v[8:9], v[8:9], v[10:11]
	v_div_scale_f64 v[10:11], vcc, 1.0, v[4:5], 1.0
	v_mul_f64 v[12:13], v[10:11], v[8:9]
	v_fma_f64 v[2:3], -v[2:3], v[12:13], v[10:11]
	s_nop 1
	v_div_fmas_f64 v[2:3], v[2:3], v[8:9], v[12:13]
	v_div_fixup_f64 v[8:9], v[2:3], v[4:5], 1.0
	v_mul_f64 v[6:7], v[6:7], v[8:9]
	v_xor_b32_e32 v9, 0x80000000, v9
	v_xor_b32_e32 v11, 0x80000000, v7
	v_mov_b32_e32 v10, v6
                                        ; implicit-def: $vgpr2_vgpr3
.LBB83_15:
	s_andn2_saveexec_b64 s[6:7], s[6:7]
	s_cbranch_execz .LBB83_17
; %bb.16:
	v_div_scale_f64 v[6:7], s[8:9], v[2:3], v[2:3], v[4:5]
	v_rcp_f64_e32 v[8:9], v[6:7]
	v_div_scale_f64 v[10:11], vcc, v[4:5], v[2:3], v[4:5]
	v_fma_f64 v[12:13], -v[6:7], v[8:9], 1.0
	v_fmac_f64_e32 v[8:9], v[8:9], v[12:13]
	v_fma_f64 v[12:13], -v[6:7], v[8:9], 1.0
	v_fmac_f64_e32 v[8:9], v[8:9], v[12:13]
	v_mul_f64 v[12:13], v[10:11], v[8:9]
	v_fma_f64 v[6:7], -v[6:7], v[12:13], v[10:11]
	v_div_fmas_f64 v[6:7], v[6:7], v[8:9], v[12:13]
	v_div_fixup_f64 v[8:9], v[6:7], v[2:3], v[4:5]
	v_fmac_f64_e32 v[2:3], v[4:5], v[8:9]
	v_div_scale_f64 v[4:5], s[8:9], v[2:3], v[2:3], 1.0
	v_rcp_f64_e32 v[6:7], v[4:5]
	s_nop 0
	v_fma_f64 v[10:11], -v[4:5], v[6:7], 1.0
	v_fmac_f64_e32 v[6:7], v[6:7], v[10:11]
	v_fma_f64 v[10:11], -v[4:5], v[6:7], 1.0
	v_fmac_f64_e32 v[6:7], v[6:7], v[10:11]
	v_div_scale_f64 v[10:11], vcc, 1.0, v[2:3], 1.0
	v_mul_f64 v[12:13], v[10:11], v[6:7]
	v_fma_f64 v[4:5], -v[4:5], v[12:13], v[10:11]
	s_nop 1
	v_div_fmas_f64 v[4:5], v[4:5], v[6:7], v[12:13]
	v_div_fixup_f64 v[6:7], v[4:5], v[2:3], 1.0
	v_xor_b32_e32 v11, 0x80000000, v7
	v_mov_b32_e32 v10, v6
	v_mul_f64 v[8:9], v[8:9], -v[6:7]
.LBB83_17:
	s_or_b64 exec, exec, s[6:7]
	scratch_store_dwordx4 v15, v[6:9], off
	scratch_load_dwordx4 v[2:5], off, s37
	v_xor_b32_e32 v13, 0x80000000, v9
	v_mov_b32_e32 v12, v8
	v_add_u32_e32 v6, 0x140, v14
	ds_write_b128 v14, v[10:13]
	s_waitcnt vmcnt(0)
	ds_write_b128 v14, v[2:5] offset:320
	s_waitcnt lgkmcnt(0)
	; wave barrier
	s_and_saveexec_b64 s[6:7], s[2:3]
	s_cbranch_execz .LBB83_19
; %bb.18:
	scratch_load_dwordx4 v[2:5], v15, off
	ds_read_b128 v[8:11], v6
	v_mov_b32_e32 v7, 0
	ds_read_b128 v[16:19], v7 offset:16
	s_waitcnt vmcnt(0) lgkmcnt(1)
	v_mul_f64 v[12:13], v[10:11], v[4:5]
	v_mul_f64 v[4:5], v[8:9], v[4:5]
	v_fma_f64 v[8:9], v[8:9], v[2:3], -v[12:13]
	v_fmac_f64_e32 v[4:5], v[10:11], v[2:3]
	v_add_f64 v[2:3], v[8:9], 0
	v_add_f64 v[8:9], v[4:5], 0
	s_waitcnt lgkmcnt(0)
	v_mul_f64 v[10:11], v[8:9], v[18:19]
	v_mul_f64 v[4:5], v[2:3], v[18:19]
	v_fma_f64 v[2:3], v[2:3], v[16:17], -v[10:11]
	v_fmac_f64_e32 v[4:5], v[8:9], v[16:17]
	scratch_store_dwordx4 off, v[2:5], off offset:16
.LBB83_19:
	s_or_b64 exec, exec, s[6:7]
	; wave barrier
	scratch_load_dwordx4 v[2:5], off, s36
	v_cmp_gt_u32_e32 vcc, 2, v1
	s_waitcnt vmcnt(0)
	ds_write_b128 v6, v[2:5]
	s_waitcnt lgkmcnt(0)
	; wave barrier
	s_and_saveexec_b64 s[6:7], vcc
	s_cbranch_execz .LBB83_23
; %bb.20:
	scratch_load_dwordx4 v[2:5], v15, off
	ds_read_b128 v[8:11], v6
	s_waitcnt vmcnt(0) lgkmcnt(0)
	v_mul_f64 v[12:13], v[10:11], v[4:5]
	v_mul_f64 v[16:17], v[8:9], v[4:5]
	v_fma_f64 v[4:5], v[8:9], v[2:3], -v[12:13]
	v_fmac_f64_e32 v[16:17], v[10:11], v[2:3]
	v_add_f64 v[4:5], v[4:5], 0
	v_add_f64 v[2:3], v[16:17], 0
	s_and_saveexec_b64 s[8:9], s[2:3]
	s_cbranch_execz .LBB83_22
; %bb.21:
	scratch_load_dwordx4 v[8:11], off, off offset:16
	v_mov_b32_e32 v7, 0
	ds_read_b128 v[16:19], v7 offset:336
	s_waitcnt vmcnt(0) lgkmcnt(0)
	v_mul_f64 v[12:13], v[16:17], v[10:11]
	v_mul_f64 v[10:11], v[18:19], v[10:11]
	v_fmac_f64_e32 v[12:13], v[18:19], v[8:9]
	v_fma_f64 v[8:9], v[16:17], v[8:9], -v[10:11]
	v_add_f64 v[2:3], v[2:3], v[12:13]
	v_add_f64 v[4:5], v[4:5], v[8:9]
.LBB83_22:
	s_or_b64 exec, exec, s[8:9]
	v_mov_b32_e32 v7, 0
	ds_read_b128 v[8:11], v7 offset:32
	s_waitcnt lgkmcnt(0)
	v_mul_f64 v[16:17], v[2:3], v[10:11]
	v_mul_f64 v[12:13], v[4:5], v[10:11]
	v_fma_f64 v[10:11], v[4:5], v[8:9], -v[16:17]
	v_fmac_f64_e32 v[12:13], v[2:3], v[8:9]
	scratch_store_dwordx4 off, v[10:13], off offset:32
.LBB83_23:
	s_or_b64 exec, exec, s[6:7]
	; wave barrier
	scratch_load_dwordx4 v[2:5], off, s35
	v_cmp_gt_u32_e32 vcc, 3, v1
	v_add_u32_e32 v7, -1, v1
	s_waitcnt vmcnt(0)
	ds_write_b128 v6, v[2:5]
	s_waitcnt lgkmcnt(0)
	; wave barrier
	s_and_saveexec_b64 s[2:3], vcc
	s_cbranch_execz .LBB83_27
; %bb.24:
	v_add_u32_e32 v8, -1, v1
	v_add_u32_e32 v9, 0x140, v14
	v_mov_b32_e32 v10, v14
	v_mov_b64_e32 v[2:3], 0
	s_mov_b64 s[6:7], 0
	v_mov_b64_e32 v[4:5], 0
.LBB83_25:                              ; =>This Inner Loop Header: Depth=1
	scratch_load_dwordx4 v[16:19], v10, off
	ds_read_b128 v[20:23], v9
	v_add_u32_e32 v8, 1, v8
	v_cmp_lt_u32_e32 vcc, 1, v8
	v_add_u32_e32 v9, 16, v9
	v_add_u32_e32 v10, 16, v10
	s_or_b64 s[6:7], vcc, s[6:7]
	s_waitcnt vmcnt(0) lgkmcnt(0)
	v_mul_f64 v[12:13], v[22:23], v[18:19]
	v_mul_f64 v[18:19], v[20:21], v[18:19]
	v_fma_f64 v[12:13], v[20:21], v[16:17], -v[12:13]
	v_fmac_f64_e32 v[18:19], v[22:23], v[16:17]
	v_add_f64 v[4:5], v[4:5], v[12:13]
	v_add_f64 v[2:3], v[2:3], v[18:19]
	s_andn2_b64 exec, exec, s[6:7]
	s_cbranch_execnz .LBB83_25
; %bb.26:
	s_or_b64 exec, exec, s[6:7]
	v_mov_b32_e32 v8, 0
	ds_read_b128 v[8:11], v8 offset:48
	s_waitcnt lgkmcnt(0)
	v_mul_f64 v[16:17], v[2:3], v[10:11]
	v_mul_f64 v[12:13], v[4:5], v[10:11]
	v_fma_f64 v[10:11], v[4:5], v[8:9], -v[16:17]
	v_fmac_f64_e32 v[12:13], v[2:3], v[8:9]
	scratch_store_dwordx4 off, v[10:13], off offset:48
.LBB83_27:
	s_or_b64 exec, exec, s[2:3]
	; wave barrier
	scratch_load_dwordx4 v[2:5], off, s34
	v_cmp_gt_u32_e32 vcc, 4, v1
	s_waitcnt vmcnt(0)
	ds_write_b128 v6, v[2:5]
	s_waitcnt lgkmcnt(0)
	; wave barrier
	s_and_saveexec_b64 s[2:3], vcc
	s_cbranch_execz .LBB83_31
; %bb.28:
	v_add_u32_e32 v8, -1, v1
	v_add_u32_e32 v9, 0x140, v14
	v_mov_b32_e32 v10, v14
	v_mov_b64_e32 v[2:3], 0
	s_mov_b64 s[6:7], 0
	v_mov_b64_e32 v[4:5], 0
.LBB83_29:                              ; =>This Inner Loop Header: Depth=1
	scratch_load_dwordx4 v[16:19], v10, off
	ds_read_b128 v[20:23], v9
	v_add_u32_e32 v8, 1, v8
	v_cmp_lt_u32_e32 vcc, 2, v8
	v_add_u32_e32 v9, 16, v9
	v_add_u32_e32 v10, 16, v10
	s_or_b64 s[6:7], vcc, s[6:7]
	s_waitcnt vmcnt(0) lgkmcnt(0)
	v_mul_f64 v[12:13], v[22:23], v[18:19]
	v_mul_f64 v[18:19], v[20:21], v[18:19]
	v_fma_f64 v[12:13], v[20:21], v[16:17], -v[12:13]
	v_fmac_f64_e32 v[18:19], v[22:23], v[16:17]
	v_add_f64 v[4:5], v[4:5], v[12:13]
	v_add_f64 v[2:3], v[2:3], v[18:19]
	s_andn2_b64 exec, exec, s[6:7]
	s_cbranch_execnz .LBB83_29
; %bb.30:
	s_or_b64 exec, exec, s[6:7]
	v_mov_b32_e32 v8, 0
	ds_read_b128 v[8:11], v8 offset:64
	s_waitcnt lgkmcnt(0)
	v_mul_f64 v[16:17], v[2:3], v[10:11]
	v_mul_f64 v[12:13], v[4:5], v[10:11]
	v_fma_f64 v[10:11], v[4:5], v[8:9], -v[16:17]
	v_fmac_f64_e32 v[12:13], v[2:3], v[8:9]
	scratch_store_dwordx4 off, v[10:13], off offset:64
.LBB83_31:
	s_or_b64 exec, exec, s[2:3]
	; wave barrier
	scratch_load_dwordx4 v[2:5], off, s33
	v_cmp_gt_u32_e32 vcc, 5, v1
	;; [unrolled: 45-line block ×15, first 2 shown]
	s_waitcnt vmcnt(0)
	ds_write_b128 v6, v[2:5]
	s_waitcnt lgkmcnt(0)
	; wave barrier
	s_and_saveexec_b64 s[2:3], vcc
	s_cbranch_execz .LBB83_87
; %bb.84:
	v_add_u32_e32 v8, -1, v1
	v_add_u32_e32 v9, 0x140, v14
	v_mov_b32_e32 v10, v14
	v_mov_b64_e32 v[2:3], 0
	s_mov_b64 s[6:7], 0
	v_mov_b64_e32 v[4:5], 0
.LBB83_85:                              ; =>This Inner Loop Header: Depth=1
	scratch_load_dwordx4 v[16:19], v10, off
	ds_read_b128 v[20:23], v9
	v_add_u32_e32 v8, 1, v8
	v_cmp_lt_u32_e32 vcc, 16, v8
	v_add_u32_e32 v9, 16, v9
	v_add_u32_e32 v10, 16, v10
	s_or_b64 s[6:7], vcc, s[6:7]
	s_waitcnt vmcnt(0) lgkmcnt(0)
	v_mul_f64 v[12:13], v[22:23], v[18:19]
	v_mul_f64 v[18:19], v[20:21], v[18:19]
	v_fma_f64 v[12:13], v[20:21], v[16:17], -v[12:13]
	v_fmac_f64_e32 v[18:19], v[22:23], v[16:17]
	v_add_f64 v[4:5], v[4:5], v[12:13]
	v_add_f64 v[2:3], v[2:3], v[18:19]
	s_andn2_b64 exec, exec, s[6:7]
	s_cbranch_execnz .LBB83_85
; %bb.86:
	s_or_b64 exec, exec, s[6:7]
	v_mov_b32_e32 v8, 0
	ds_read_b128 v[8:11], v8 offset:288
	s_waitcnt lgkmcnt(0)
	v_mul_f64 v[16:17], v[2:3], v[10:11]
	v_mul_f64 v[12:13], v[4:5], v[10:11]
	v_fma_f64 v[10:11], v[4:5], v[8:9], -v[16:17]
	v_fmac_f64_e32 v[12:13], v[2:3], v[8:9]
	scratch_store_dwordx4 off, v[10:13], off offset:288
.LBB83_87:
	s_or_b64 exec, exec, s[2:3]
	; wave barrier
	scratch_load_dwordx4 v[2:5], off, s18
	v_cmp_ne_u32_e32 vcc, 19, v1
	s_waitcnt vmcnt(0)
	ds_write_b128 v6, v[2:5]
	s_waitcnt lgkmcnt(0)
	; wave barrier
	s_and_saveexec_b64 s[2:3], vcc
	s_cbranch_execz .LBB83_91
; %bb.88:
	v_add_u32_e32 v6, 0x140, v14
	v_mov_b32_e32 v8, v14
	v_mov_b64_e32 v[2:3], 0
	s_mov_b64 s[6:7], 0
	v_mov_b64_e32 v[4:5], 0
.LBB83_89:                              ; =>This Inner Loop Header: Depth=1
	scratch_load_dwordx4 v[10:13], v8, off
	ds_read_b128 v[14:17], v6
	v_add_u32_e32 v7, 1, v7
	v_cmp_lt_u32_e32 vcc, 17, v7
	v_add_u32_e32 v6, 16, v6
	v_add_u32_e32 v8, 16, v8
	s_or_b64 s[6:7], vcc, s[6:7]
	s_waitcnt vmcnt(0) lgkmcnt(0)
	v_mul_f64 v[18:19], v[16:17], v[12:13]
	v_mul_f64 v[12:13], v[14:15], v[12:13]
	v_fma_f64 v[14:15], v[14:15], v[10:11], -v[18:19]
	v_fmac_f64_e32 v[12:13], v[16:17], v[10:11]
	v_add_f64 v[4:5], v[4:5], v[14:15]
	v_add_f64 v[2:3], v[2:3], v[12:13]
	s_andn2_b64 exec, exec, s[6:7]
	s_cbranch_execnz .LBB83_89
; %bb.90:
	s_or_b64 exec, exec, s[6:7]
	v_mov_b32_e32 v6, 0
	ds_read_b128 v[6:9], v6 offset:304
	s_waitcnt lgkmcnt(0)
	v_mul_f64 v[12:13], v[2:3], v[8:9]
	v_mul_f64 v[10:11], v[4:5], v[8:9]
	v_fma_f64 v[8:9], v[4:5], v[6:7], -v[12:13]
	v_fmac_f64_e32 v[10:11], v[2:3], v[6:7]
	scratch_store_dwordx4 off, v[8:11], off offset:304
.LBB83_91:
	s_or_b64 exec, exec, s[2:3]
	s_mov_b64 s[6:7], -1
	; wave barrier
.LBB83_92:
	s_and_b64 vcc, exec, s[6:7]
	s_cbranch_vccz .LBB83_94
; %bb.93:
	s_lshl_b64 s[2:3], s[4:5], 2
	s_add_u32 s2, s10, s2
	s_addc_u32 s3, s11, s3
	v_mov_b32_e32 v2, 0
	global_load_dword v2, v2, s[2:3]
	s_waitcnt vmcnt(0)
	v_cmp_ne_u32_e32 vcc, 0, v2
	s_cbranch_vccz .LBB83_95
.LBB83_94:
	s_endpgm
.LBB83_95:
	v_mov_b32_e32 v2, 0x140
	v_lshl_add_u32 v48, v1, 4, v2
	v_cmp_eq_u32_e32 vcc, 19, v1
	s_and_saveexec_b64 s[2:3], vcc
	s_cbranch_execz .LBB83_97
; %bb.96:
	scratch_load_dwordx4 v[2:5], off, s19
	v_mov_b32_e32 v6, 0
	v_mov_b32_e32 v7, v6
	;; [unrolled: 1-line block ×4, first 2 shown]
	scratch_store_dwordx4 off, v[6:9], off offset:288
	s_waitcnt vmcnt(1)
	ds_write_b128 v48, v[2:5]
.LBB83_97:
	s_or_b64 exec, exec, s[2:3]
	s_waitcnt lgkmcnt(0)
	; wave barrier
	scratch_load_dwordx4 v[4:7], off, off offset:304
	scratch_load_dwordx4 v[8:11], off, off offset:288
	v_mov_b32_e32 v2, 0
	ds_read_b128 v[12:15], v2 offset:624
	v_cmp_lt_u32_e32 vcc, 17, v1
	s_waitcnt vmcnt(1) lgkmcnt(0)
	v_mul_f64 v[16:17], v[12:13], v[6:7]
	v_mul_f64 v[6:7], v[14:15], v[6:7]
	v_fmac_f64_e32 v[16:17], v[14:15], v[4:5]
	v_fma_f64 v[4:5], v[12:13], v[4:5], -v[6:7]
	v_add_f64 v[6:7], v[16:17], 0
	v_add_f64 v[4:5], v[4:5], 0
	s_waitcnt vmcnt(0)
	v_add_f64 v[4:5], v[8:9], -v[4:5]
	v_add_f64 v[6:7], v[10:11], -v[6:7]
	scratch_store_dwordx4 off, v[4:7], off offset:288
	s_and_saveexec_b64 s[2:3], vcc
	s_cbranch_execz .LBB83_99
; %bb.98:
	scratch_load_dwordx4 v[6:9], off, s20
	v_mov_b32_e32 v3, v2
	v_mov_b32_e32 v4, v2
	;; [unrolled: 1-line block ×3, first 2 shown]
	scratch_store_dwordx4 off, v[2:5], off offset:272
	s_waitcnt vmcnt(1)
	ds_write_b128 v48, v[6:9]
.LBB83_99:
	s_or_b64 exec, exec, s[2:3]
	s_waitcnt lgkmcnt(0)
	; wave barrier
	scratch_load_dwordx4 v[4:7], off, off offset:288
	scratch_load_dwordx4 v[8:11], off, off offset:304
	;; [unrolled: 1-line block ×3, first 2 shown]
	ds_read_b128 v[16:19], v2 offset:608
	ds_read_b128 v[20:23], v2 offset:624
	v_cmp_lt_u32_e32 vcc, 16, v1
	s_waitcnt vmcnt(2) lgkmcnt(1)
	v_mul_f64 v[2:3], v[16:17], v[6:7]
	v_mul_f64 v[6:7], v[18:19], v[6:7]
	s_waitcnt vmcnt(1) lgkmcnt(0)
	v_mul_f64 v[24:25], v[20:21], v[10:11]
	v_mul_f64 v[10:11], v[22:23], v[10:11]
	v_fmac_f64_e32 v[2:3], v[18:19], v[4:5]
	v_fma_f64 v[4:5], v[16:17], v[4:5], -v[6:7]
	v_fmac_f64_e32 v[24:25], v[22:23], v[8:9]
	v_fma_f64 v[6:7], v[20:21], v[8:9], -v[10:11]
	v_add_f64 v[2:3], v[2:3], 0
	v_add_f64 v[4:5], v[4:5], 0
	;; [unrolled: 1-line block ×4, first 2 shown]
	s_waitcnt vmcnt(0)
	v_add_f64 v[2:3], v[12:13], -v[2:3]
	v_add_f64 v[4:5], v[14:15], -v[8:9]
	scratch_store_dwordx4 off, v[2:5], off offset:272
	s_and_saveexec_b64 s[2:3], vcc
	s_cbranch_execz .LBB83_101
; %bb.100:
	scratch_load_dwordx4 v[2:5], off, s21
	v_mov_b32_e32 v6, 0
	v_mov_b32_e32 v7, v6
	;; [unrolled: 1-line block ×4, first 2 shown]
	scratch_store_dwordx4 off, v[6:9], off offset:256
	s_waitcnt vmcnt(1)
	ds_write_b128 v48, v[2:5]
.LBB83_101:
	s_or_b64 exec, exec, s[2:3]
	s_waitcnt lgkmcnt(0)
	; wave barrier
	scratch_load_dwordx4 v[4:7], off, off offset:272
	scratch_load_dwordx4 v[8:11], off, off offset:288
	;; [unrolled: 1-line block ×4, first 2 shown]
	v_mov_b32_e32 v2, 0
	ds_read_b128 v[20:23], v2 offset:592
	ds_read_b128 v[24:27], v2 offset:608
	ds_read_b128 v[28:31], v2 offset:624
	v_cmp_lt_u32_e32 vcc, 15, v1
	s_waitcnt vmcnt(3) lgkmcnt(2)
	v_mul_f64 v[32:33], v[20:21], v[6:7]
	v_mul_f64 v[6:7], v[22:23], v[6:7]
	s_waitcnt vmcnt(2) lgkmcnt(1)
	v_mul_f64 v[34:35], v[24:25], v[10:11]
	v_mul_f64 v[10:11], v[26:27], v[10:11]
	v_fmac_f64_e32 v[32:33], v[22:23], v[4:5]
	v_fma_f64 v[4:5], v[20:21], v[4:5], -v[6:7]
	s_waitcnt vmcnt(1) lgkmcnt(0)
	v_mul_f64 v[36:37], v[28:29], v[14:15]
	v_mul_f64 v[14:15], v[30:31], v[14:15]
	v_fmac_f64_e32 v[34:35], v[26:27], v[8:9]
	v_fma_f64 v[6:7], v[24:25], v[8:9], -v[10:11]
	v_add_f64 v[10:11], v[32:33], 0
	v_add_f64 v[4:5], v[4:5], 0
	v_fmac_f64_e32 v[36:37], v[30:31], v[12:13]
	v_fma_f64 v[8:9], v[28:29], v[12:13], -v[14:15]
	v_add_f64 v[10:11], v[10:11], v[34:35]
	v_add_f64 v[4:5], v[4:5], v[6:7]
	;; [unrolled: 1-line block ×4, first 2 shown]
	s_waitcnt vmcnt(0)
	v_add_f64 v[4:5], v[16:17], -v[4:5]
	v_add_f64 v[6:7], v[18:19], -v[6:7]
	scratch_store_dwordx4 off, v[4:7], off offset:256
	s_and_saveexec_b64 s[2:3], vcc
	s_cbranch_execz .LBB83_103
; %bb.102:
	scratch_load_dwordx4 v[6:9], off, s22
	v_mov_b32_e32 v3, v2
	v_mov_b32_e32 v4, v2
	;; [unrolled: 1-line block ×3, first 2 shown]
	scratch_store_dwordx4 off, v[2:5], off offset:240
	s_waitcnt vmcnt(1)
	ds_write_b128 v48, v[6:9]
.LBB83_103:
	s_or_b64 exec, exec, s[2:3]
	s_waitcnt lgkmcnt(0)
	; wave barrier
	scratch_load_dwordx4 v[4:7], off, off offset:256
	scratch_load_dwordx4 v[8:11], off, off offset:272
	;; [unrolled: 1-line block ×5, first 2 shown]
	ds_read_b128 v[24:27], v2 offset:576
	ds_read_b128 v[28:31], v2 offset:592
	;; [unrolled: 1-line block ×4, first 2 shown]
	v_cmp_lt_u32_e32 vcc, 14, v1
	s_waitcnt vmcnt(4) lgkmcnt(3)
	v_mul_f64 v[2:3], v[24:25], v[6:7]
	v_mul_f64 v[6:7], v[26:27], v[6:7]
	s_waitcnt vmcnt(3) lgkmcnt(2)
	v_mul_f64 v[40:41], v[28:29], v[10:11]
	v_mul_f64 v[10:11], v[30:31], v[10:11]
	v_fmac_f64_e32 v[2:3], v[26:27], v[4:5]
	v_fma_f64 v[4:5], v[24:25], v[4:5], -v[6:7]
	s_waitcnt vmcnt(2) lgkmcnt(1)
	v_mul_f64 v[42:43], v[32:33], v[14:15]
	v_mul_f64 v[14:15], v[34:35], v[14:15]
	v_fmac_f64_e32 v[40:41], v[30:31], v[8:9]
	v_fma_f64 v[6:7], v[28:29], v[8:9], -v[10:11]
	v_add_f64 v[2:3], v[2:3], 0
	v_add_f64 v[4:5], v[4:5], 0
	s_waitcnt vmcnt(1) lgkmcnt(0)
	v_mul_f64 v[44:45], v[36:37], v[18:19]
	v_mul_f64 v[18:19], v[38:39], v[18:19]
	v_fmac_f64_e32 v[42:43], v[34:35], v[12:13]
	v_fma_f64 v[8:9], v[32:33], v[12:13], -v[14:15]
	v_add_f64 v[2:3], v[2:3], v[40:41]
	v_add_f64 v[4:5], v[4:5], v[6:7]
	v_fmac_f64_e32 v[44:45], v[38:39], v[16:17]
	v_fma_f64 v[10:11], v[36:37], v[16:17], -v[18:19]
	v_add_f64 v[2:3], v[2:3], v[42:43]
	v_add_f64 v[4:5], v[4:5], v[8:9]
	v_add_f64 v[6:7], v[2:3], v[44:45]
	v_add_f64 v[2:3], v[4:5], v[10:11]
	s_waitcnt vmcnt(0)
	v_add_f64 v[2:3], v[20:21], -v[2:3]
	v_add_f64 v[4:5], v[22:23], -v[6:7]
	scratch_store_dwordx4 off, v[2:5], off offset:240
	s_and_saveexec_b64 s[2:3], vcc
	s_cbranch_execz .LBB83_105
; %bb.104:
	scratch_load_dwordx4 v[2:5], off, s23
	v_mov_b32_e32 v6, 0
	v_mov_b32_e32 v7, v6
	;; [unrolled: 1-line block ×4, first 2 shown]
	scratch_store_dwordx4 off, v[6:9], off offset:224
	s_waitcnt vmcnt(1)
	ds_write_b128 v48, v[2:5]
.LBB83_105:
	s_or_b64 exec, exec, s[2:3]
	s_waitcnt lgkmcnt(0)
	; wave barrier
	scratch_load_dwordx4 v[4:7], off, off offset:240
	scratch_load_dwordx4 v[8:11], off, off offset:256
	;; [unrolled: 1-line block ×6, first 2 shown]
	v_mov_b32_e32 v2, 0
	ds_read_b128 v[28:31], v2 offset:560
	ds_read_b128 v[32:35], v2 offset:576
	;; [unrolled: 1-line block ×5, first 2 shown]
	v_cmp_lt_u32_e32 vcc, 13, v1
	s_waitcnt vmcnt(5) lgkmcnt(4)
	v_mul_f64 v[50:51], v[28:29], v[6:7]
	v_mul_f64 v[6:7], v[30:31], v[6:7]
	s_waitcnt vmcnt(4) lgkmcnt(3)
	v_mul_f64 v[52:53], v[32:33], v[10:11]
	s_waitcnt vmcnt(3) lgkmcnt(2)
	v_mul_f64 v[94:95], v[36:37], v[14:15]
	v_mul_f64 v[10:11], v[34:35], v[10:11]
	;; [unrolled: 1-line block ×3, first 2 shown]
	v_fmac_f64_e32 v[50:51], v[30:31], v[4:5]
	v_fma_f64 v[4:5], v[28:29], v[4:5], -v[6:7]
	v_fmac_f64_e32 v[52:53], v[34:35], v[8:9]
	v_fma_f64 v[6:7], v[32:33], v[8:9], -v[10:11]
	v_fma_f64 v[8:9], v[36:37], v[12:13], -v[14:15]
	v_add_f64 v[14:15], v[50:51], 0
	v_add_f64 v[4:5], v[4:5], 0
	s_waitcnt vmcnt(2) lgkmcnt(1)
	v_mul_f64 v[96:97], v[40:41], v[18:19]
	v_mul_f64 v[18:19], v[42:43], v[18:19]
	v_fmac_f64_e32 v[94:95], v[38:39], v[12:13]
	v_add_f64 v[14:15], v[14:15], v[52:53]
	v_add_f64 v[4:5], v[4:5], v[6:7]
	s_waitcnt vmcnt(1) lgkmcnt(0)
	v_mul_f64 v[98:99], v[44:45], v[22:23]
	v_mul_f64 v[22:23], v[46:47], v[22:23]
	v_fmac_f64_e32 v[96:97], v[42:43], v[16:17]
	v_fma_f64 v[10:11], v[40:41], v[16:17], -v[18:19]
	v_add_f64 v[6:7], v[14:15], v[94:95]
	v_add_f64 v[4:5], v[4:5], v[8:9]
	v_fmac_f64_e32 v[98:99], v[46:47], v[20:21]
	v_fma_f64 v[12:13], v[44:45], v[20:21], -v[22:23]
	v_add_f64 v[6:7], v[6:7], v[96:97]
	v_add_f64 v[4:5], v[4:5], v[10:11]
	;; [unrolled: 1-line block ×4, first 2 shown]
	s_waitcnt vmcnt(0)
	v_add_f64 v[4:5], v[24:25], -v[4:5]
	v_add_f64 v[6:7], v[26:27], -v[6:7]
	scratch_store_dwordx4 off, v[4:7], off offset:224
	s_and_saveexec_b64 s[2:3], vcc
	s_cbranch_execz .LBB83_107
; %bb.106:
	scratch_load_dwordx4 v[6:9], off, s24
	v_mov_b32_e32 v3, v2
	v_mov_b32_e32 v4, v2
	;; [unrolled: 1-line block ×3, first 2 shown]
	scratch_store_dwordx4 off, v[2:5], off offset:208
	s_waitcnt vmcnt(1)
	ds_write_b128 v48, v[6:9]
.LBB83_107:
	s_or_b64 exec, exec, s[2:3]
	s_waitcnt lgkmcnt(0)
	; wave barrier
	scratch_load_dwordx4 v[4:7], off, off offset:224
	scratch_load_dwordx4 v[8:11], off, off offset:240
	;; [unrolled: 1-line block ×7, first 2 shown]
	ds_read_b128 v[32:35], v2 offset:544
	ds_read_b128 v[36:39], v2 offset:560
	;; [unrolled: 1-line block ×6, first 2 shown]
	v_cmp_lt_u32_e32 vcc, 12, v1
	s_waitcnt vmcnt(6) lgkmcnt(5)
	v_mul_f64 v[2:3], v[32:33], v[6:7]
	v_mul_f64 v[6:7], v[34:35], v[6:7]
	s_waitcnt vmcnt(5) lgkmcnt(4)
	v_mul_f64 v[98:99], v[36:37], v[10:11]
	v_mul_f64 v[10:11], v[38:39], v[10:11]
	v_fmac_f64_e32 v[2:3], v[34:35], v[4:5]
	v_fma_f64 v[4:5], v[32:33], v[4:5], -v[6:7]
	s_waitcnt vmcnt(4) lgkmcnt(3)
	v_mul_f64 v[100:101], v[40:41], v[14:15]
	v_mul_f64 v[14:15], v[42:43], v[14:15]
	v_fmac_f64_e32 v[98:99], v[38:39], v[8:9]
	v_fma_f64 v[6:7], v[36:37], v[8:9], -v[10:11]
	v_add_f64 v[2:3], v[2:3], 0
	v_add_f64 v[4:5], v[4:5], 0
	s_waitcnt vmcnt(3) lgkmcnt(2)
	v_mul_f64 v[102:103], v[44:45], v[18:19]
	v_mul_f64 v[18:19], v[46:47], v[18:19]
	v_fmac_f64_e32 v[100:101], v[42:43], v[12:13]
	v_fma_f64 v[8:9], v[40:41], v[12:13], -v[14:15]
	v_add_f64 v[2:3], v[2:3], v[98:99]
	v_add_f64 v[4:5], v[4:5], v[6:7]
	;; [unrolled: 7-line block ×4, first 2 shown]
	v_fmac_f64_e32 v[106:107], v[96:97], v[24:25]
	v_fma_f64 v[14:15], v[94:95], v[24:25], -v[26:27]
	v_add_f64 v[2:3], v[2:3], v[104:105]
	v_add_f64 v[4:5], v[4:5], v[12:13]
	;; [unrolled: 1-line block ×4, first 2 shown]
	s_waitcnt vmcnt(0)
	v_add_f64 v[2:3], v[28:29], -v[2:3]
	v_add_f64 v[4:5], v[30:31], -v[6:7]
	scratch_store_dwordx4 off, v[2:5], off offset:208
	s_and_saveexec_b64 s[2:3], vcc
	s_cbranch_execz .LBB83_109
; %bb.108:
	scratch_load_dwordx4 v[2:5], off, s25
	v_mov_b32_e32 v6, 0
	v_mov_b32_e32 v7, v6
	;; [unrolled: 1-line block ×4, first 2 shown]
	scratch_store_dwordx4 off, v[6:9], off offset:192
	s_waitcnt vmcnt(1)
	ds_write_b128 v48, v[2:5]
.LBB83_109:
	s_or_b64 exec, exec, s[2:3]
	s_waitcnt lgkmcnt(0)
	; wave barrier
	scratch_load_dwordx4 v[4:7], off, off offset:208
	scratch_load_dwordx4 v[8:11], off, off offset:224
	;; [unrolled: 1-line block ×8, first 2 shown]
	v_mov_b32_e32 v2, 0
	ds_read_b128 v[36:39], v2 offset:528
	ds_read_b128 v[40:43], v2 offset:544
	;; [unrolled: 1-line block ×7, first 2 shown]
	v_cmp_lt_u32_e32 vcc, 11, v1
	s_waitcnt vmcnt(7) lgkmcnt(6)
	v_mul_f64 v[106:107], v[36:37], v[6:7]
	v_mul_f64 v[6:7], v[38:39], v[6:7]
	s_waitcnt vmcnt(6) lgkmcnt(5)
	v_mul_f64 v[108:109], v[40:41], v[10:11]
	s_waitcnt vmcnt(4) lgkmcnt(3)
	v_mul_f64 v[112:113], v[50:51], v[18:19]
	v_mul_f64 v[10:11], v[42:43], v[10:11]
	;; [unrolled: 1-line block ×3, first 2 shown]
	v_fmac_f64_e32 v[106:107], v[38:39], v[4:5]
	v_fma_f64 v[4:5], v[36:37], v[4:5], -v[6:7]
	v_mul_f64 v[110:111], v[44:45], v[14:15]
	v_mul_f64 v[14:15], v[46:47], v[14:15]
	v_fmac_f64_e32 v[108:109], v[42:43], v[8:9]
	v_fma_f64 v[6:7], v[40:41], v[8:9], -v[10:11]
	v_fma_f64 v[10:11], v[50:51], v[16:17], -v[18:19]
	v_add_f64 v[18:19], v[106:107], 0
	v_add_f64 v[4:5], v[4:5], 0
	v_fmac_f64_e32 v[110:111], v[46:47], v[12:13]
	v_fma_f64 v[8:9], v[44:45], v[12:13], -v[14:15]
	v_add_f64 v[18:19], v[18:19], v[108:109]
	v_add_f64 v[4:5], v[4:5], v[6:7]
	s_waitcnt vmcnt(3) lgkmcnt(2)
	v_mul_f64 v[114:115], v[94:95], v[22:23]
	v_mul_f64 v[22:23], v[96:97], v[22:23]
	v_fmac_f64_e32 v[112:113], v[52:53], v[16:17]
	v_add_f64 v[6:7], v[18:19], v[110:111]
	v_add_f64 v[4:5], v[4:5], v[8:9]
	s_waitcnt vmcnt(2) lgkmcnt(1)
	v_mul_f64 v[116:117], v[98:99], v[26:27]
	v_mul_f64 v[26:27], v[100:101], v[26:27]
	v_fmac_f64_e32 v[114:115], v[96:97], v[20:21]
	v_fma_f64 v[12:13], v[94:95], v[20:21], -v[22:23]
	v_add_f64 v[6:7], v[6:7], v[112:113]
	v_add_f64 v[4:5], v[4:5], v[10:11]
	s_waitcnt vmcnt(1) lgkmcnt(0)
	v_mul_f64 v[118:119], v[102:103], v[30:31]
	v_mul_f64 v[30:31], v[104:105], v[30:31]
	v_fmac_f64_e32 v[116:117], v[100:101], v[24:25]
	v_fma_f64 v[14:15], v[98:99], v[24:25], -v[26:27]
	v_add_f64 v[6:7], v[6:7], v[114:115]
	v_add_f64 v[4:5], v[4:5], v[12:13]
	v_fmac_f64_e32 v[118:119], v[104:105], v[28:29]
	v_fma_f64 v[16:17], v[102:103], v[28:29], -v[30:31]
	v_add_f64 v[6:7], v[6:7], v[116:117]
	v_add_f64 v[4:5], v[4:5], v[14:15]
	;; [unrolled: 1-line block ×4, first 2 shown]
	s_waitcnt vmcnt(0)
	v_add_f64 v[4:5], v[32:33], -v[4:5]
	v_add_f64 v[6:7], v[34:35], -v[6:7]
	scratch_store_dwordx4 off, v[4:7], off offset:192
	s_and_saveexec_b64 s[2:3], vcc
	s_cbranch_execz .LBB83_111
; %bb.110:
	scratch_load_dwordx4 v[6:9], off, s26
	v_mov_b32_e32 v3, v2
	v_mov_b32_e32 v4, v2
	;; [unrolled: 1-line block ×3, first 2 shown]
	scratch_store_dwordx4 off, v[2:5], off offset:176
	s_waitcnt vmcnt(1)
	ds_write_b128 v48, v[6:9]
.LBB83_111:
	s_or_b64 exec, exec, s[2:3]
	s_waitcnt lgkmcnt(0)
	; wave barrier
	ds_read_b128 v[4:7], v2 offset:512
	ds_read_b128 v[8:11], v2 offset:528
	;; [unrolled: 1-line block ×4, first 2 shown]
	scratch_load_dwordx4 v[20:23], off, off offset:192
	scratch_load_dwordx4 v[40:43], off, off offset:256
	v_cmp_lt_u32_e32 vcc, 10, v1
	scratch_load_dwordx4 v[50:53], off, off offset:272
	scratch_load_dwordx4 v[98:101], off, off offset:288
	scratch_load_dwordx4 v[106:109], off, off offset:304
	s_waitcnt vmcnt(4) lgkmcnt(3)
	v_mul_f64 v[24:25], v[4:5], v[22:23]
	v_fmac_f64_e32 v[24:25], v[6:7], v[20:21]
	v_add_f64 v[28:29], v[24:25], 0
	scratch_load_dwordx4 v[24:27], off, off offset:208
	s_waitcnt vmcnt(0) lgkmcnt(2)
	v_mul_f64 v[30:31], v[8:9], v[26:27]
	v_fmac_f64_e32 v[30:31], v[10:11], v[24:25]
	v_add_f64 v[32:33], v[28:29], v[30:31]
	scratch_load_dwordx4 v[28:31], off, off offset:224
	;; [unrolled: 5-line block ×3, first 2 shown]
	s_waitcnt vmcnt(0) lgkmcnt(0)
	v_mul_f64 v[38:39], v[16:17], v[34:35]
	v_fmac_f64_e32 v[38:39], v[18:19], v[32:33]
	v_add_f64 v[44:45], v[36:37], v[38:39]
	ds_read_b128 v[36:39], v2 offset:576
	s_waitcnt lgkmcnt(0)
	v_mul_f64 v[46:47], v[36:37], v[42:43]
	v_fmac_f64_e32 v[46:47], v[38:39], v[40:41]
	v_add_f64 v[94:95], v[44:45], v[46:47]
	ds_read_b128 v[44:47], v2 offset:592
	s_waitcnt lgkmcnt(0)
	;; [unrolled: 5-line block ×4, first 2 shown]
	v_mul_f64 v[2:3], v[102:103], v[108:109]
	v_fmac_f64_e32 v[2:3], v[104:105], v[106:107]
	v_add_f64 v[110:111], v[110:111], v[2:3]
	v_mul_f64 v[2:3], v[6:7], v[22:23]
	v_fma_f64 v[2:3], v[4:5], v[20:21], -v[2:3]
	v_mul_f64 v[4:5], v[10:11], v[26:27]
	v_add_f64 v[2:3], v[2:3], 0
	v_fma_f64 v[4:5], v[8:9], v[24:25], -v[4:5]
	v_add_f64 v[2:3], v[2:3], v[4:5]
	v_mul_f64 v[4:5], v[14:15], v[30:31]
	v_fma_f64 v[4:5], v[12:13], v[28:29], -v[4:5]
	v_add_f64 v[2:3], v[2:3], v[4:5]
	v_mul_f64 v[4:5], v[18:19], v[34:35]
	;; [unrolled: 3-line block ×6, first 2 shown]
	v_fma_f64 v[4:5], v[102:103], v[106:107], -v[4:5]
	v_add_f64 v[6:7], v[2:3], v[4:5]
	scratch_load_dwordx4 v[2:5], off, off offset:176
	s_waitcnt vmcnt(0)
	v_add_f64 v[2:3], v[2:3], -v[6:7]
	v_add_f64 v[4:5], v[4:5], -v[110:111]
	scratch_store_dwordx4 off, v[2:5], off offset:176
	s_and_saveexec_b64 s[2:3], vcc
	s_cbranch_execz .LBB83_113
; %bb.112:
	scratch_load_dwordx4 v[2:5], off, s27
	v_mov_b32_e32 v6, 0
	v_mov_b32_e32 v7, v6
	;; [unrolled: 1-line block ×4, first 2 shown]
	scratch_store_dwordx4 off, v[6:9], off offset:160
	s_waitcnt vmcnt(1)
	ds_write_b128 v48, v[2:5]
.LBB83_113:
	s_or_b64 exec, exec, s[2:3]
	v_mov_b32_e32 v2, 0
	s_waitcnt lgkmcnt(0)
	; wave barrier
	ds_read_b128 v[4:7], v2 offset:496
	ds_read_b128 v[8:11], v2 offset:512
	;; [unrolled: 1-line block ×4, first 2 shown]
	scratch_load_dwordx4 v[20:23], off, off offset:176
	scratch_load_dwordx4 v[40:43], off, off offset:240
	scratch_load_dwordx4 v[114:117], off, off offset:304
	v_cmp_lt_u32_e32 vcc, 9, v1
	scratch_load_dwordx4 v[50:53], off, off offset:256
	scratch_load_dwordx4 v[98:101], off, off offset:272
	;; [unrolled: 1-line block ×3, first 2 shown]
	s_waitcnt vmcnt(5) lgkmcnt(3)
	v_mul_f64 v[24:25], v[4:5], v[22:23]
	v_fmac_f64_e32 v[24:25], v[6:7], v[20:21]
	v_add_f64 v[28:29], v[24:25], 0
	scratch_load_dwordx4 v[24:27], off, off offset:192
	v_mul_f64 v[6:7], v[6:7], v[22:23]
	v_fma_f64 v[4:5], v[4:5], v[20:21], -v[6:7]
	v_add_f64 v[4:5], v[4:5], 0
	s_waitcnt vmcnt(0) lgkmcnt(2)
	v_mul_f64 v[30:31], v[8:9], v[26:27]
	v_fmac_f64_e32 v[30:31], v[10:11], v[24:25]
	v_add_f64 v[32:33], v[28:29], v[30:31]
	scratch_load_dwordx4 v[28:31], off, off offset:208
	v_mul_f64 v[6:7], v[10:11], v[26:27]
	v_fma_f64 v[6:7], v[8:9], v[24:25], -v[6:7]
	v_add_f64 v[4:5], v[4:5], v[6:7]
	s_waitcnt vmcnt(0) lgkmcnt(1)
	v_mul_f64 v[34:35], v[12:13], v[30:31]
	v_fmac_f64_e32 v[34:35], v[14:15], v[28:29]
	v_add_f64 v[36:37], v[32:33], v[34:35]
	scratch_load_dwordx4 v[32:35], off, off offset:224
	v_mul_f64 v[6:7], v[14:15], v[30:31]
	v_fma_f64 v[6:7], v[12:13], v[28:29], -v[6:7]
	v_add_f64 v[4:5], v[4:5], v[6:7]
	s_waitcnt vmcnt(0) lgkmcnt(0)
	v_mul_f64 v[38:39], v[16:17], v[34:35]
	v_fmac_f64_e32 v[38:39], v[18:19], v[32:33]
	v_add_f64 v[44:45], v[36:37], v[38:39]
	ds_read_b128 v[36:39], v2 offset:560
	v_mul_f64 v[6:7], v[18:19], v[34:35]
	v_fma_f64 v[6:7], v[16:17], v[32:33], -v[6:7]
	v_add_f64 v[4:5], v[4:5], v[6:7]
	s_waitcnt lgkmcnt(0)
	v_mul_f64 v[46:47], v[36:37], v[42:43]
	v_fmac_f64_e32 v[46:47], v[38:39], v[40:41]
	v_add_f64 v[94:95], v[44:45], v[46:47]
	ds_read_b128 v[44:47], v2 offset:576
	v_mul_f64 v[6:7], v[38:39], v[42:43]
	v_fma_f64 v[6:7], v[36:37], v[40:41], -v[6:7]
	v_add_f64 v[4:5], v[4:5], v[6:7]
	s_waitcnt lgkmcnt(0)
	;; [unrolled: 8-line block ×5, first 2 shown]
	v_mul_f64 v[6:7], v[112:113], v[116:117]
	v_fma_f64 v[6:7], v[110:111], v[114:115], -v[6:7]
	v_add_f64 v[8:9], v[4:5], v[6:7]
	scratch_load_dwordx4 v[4:7], off, off offset:160
	v_mul_f64 v[120:121], v[110:111], v[116:117]
	v_fmac_f64_e32 v[120:121], v[112:113], v[114:115]
	v_add_f64 v[118:119], v[118:119], v[120:121]
	s_waitcnt vmcnt(0)
	v_add_f64 v[4:5], v[4:5], -v[8:9]
	v_add_f64 v[6:7], v[6:7], -v[118:119]
	scratch_store_dwordx4 off, v[4:7], off offset:160
	s_and_saveexec_b64 s[2:3], vcc
	s_cbranch_execz .LBB83_115
; %bb.114:
	scratch_load_dwordx4 v[6:9], off, s28
	v_mov_b32_e32 v3, v2
	v_mov_b32_e32 v4, v2
	;; [unrolled: 1-line block ×3, first 2 shown]
	scratch_store_dwordx4 off, v[2:5], off offset:144
	s_waitcnt vmcnt(1)
	ds_write_b128 v48, v[6:9]
.LBB83_115:
	s_or_b64 exec, exec, s[2:3]
	s_waitcnt lgkmcnt(0)
	; wave barrier
	scratch_load_dwordx4 v[4:7], off, off offset:160
	scratch_load_dwordx4 v[8:11], off, off offset:176
	;; [unrolled: 1-line block ×11, first 2 shown]
	ds_read_b128 v[50:53], v2 offset:480
	ds_read_b128 v[94:97], v2 offset:496
	;; [unrolled: 1-line block ×10, first 2 shown]
	v_cmp_lt_u32_e32 vcc, 8, v1
	s_waitcnt vmcnt(10) lgkmcnt(9)
	v_mul_f64 v[2:3], v[50:51], v[6:7]
	v_mul_f64 v[6:7], v[52:53], v[6:7]
	s_waitcnt vmcnt(9) lgkmcnt(8)
	v_mul_f64 v[130:131], v[94:95], v[10:11]
	v_mul_f64 v[10:11], v[96:97], v[10:11]
	v_fmac_f64_e32 v[2:3], v[52:53], v[4:5]
	v_fma_f64 v[4:5], v[50:51], v[4:5], -v[6:7]
	s_waitcnt vmcnt(8) lgkmcnt(7)
	v_mul_f64 v[132:133], v[98:99], v[14:15]
	v_mul_f64 v[14:15], v[100:101], v[14:15]
	v_fmac_f64_e32 v[130:131], v[96:97], v[8:9]
	v_fma_f64 v[6:7], v[94:95], v[8:9], -v[10:11]
	v_add_f64 v[2:3], v[2:3], 0
	v_add_f64 v[4:5], v[4:5], 0
	s_waitcnt vmcnt(7) lgkmcnt(6)
	v_mul_f64 v[134:135], v[102:103], v[18:19]
	v_mul_f64 v[18:19], v[104:105], v[18:19]
	v_fmac_f64_e32 v[132:133], v[100:101], v[12:13]
	v_fma_f64 v[8:9], v[98:99], v[12:13], -v[14:15]
	v_add_f64 v[2:3], v[2:3], v[130:131]
	v_add_f64 v[4:5], v[4:5], v[6:7]
	;; [unrolled: 7-line block ×8, first 2 shown]
	v_fmac_f64_e32 v[146:147], v[128:129], v[40:41]
	v_fma_f64 v[22:23], v[126:127], v[40:41], -v[42:43]
	v_add_f64 v[2:3], v[2:3], v[144:145]
	v_add_f64 v[4:5], v[4:5], v[20:21]
	;; [unrolled: 1-line block ×4, first 2 shown]
	s_waitcnt vmcnt(0)
	v_add_f64 v[2:3], v[44:45], -v[2:3]
	v_add_f64 v[4:5], v[46:47], -v[6:7]
	scratch_store_dwordx4 off, v[2:5], off offset:144
	s_and_saveexec_b64 s[2:3], vcc
	s_cbranch_execz .LBB83_117
; %bb.116:
	scratch_load_dwordx4 v[2:5], off, s29
	v_mov_b32_e32 v6, 0
	v_mov_b32_e32 v7, v6
	;; [unrolled: 1-line block ×4, first 2 shown]
	scratch_store_dwordx4 off, v[6:9], off offset:128
	s_waitcnt vmcnt(1)
	ds_write_b128 v48, v[2:5]
.LBB83_117:
	s_or_b64 exec, exec, s[2:3]
	s_waitcnt lgkmcnt(0)
	; wave barrier
	scratch_load_dwordx4 v[4:7], off, off offset:144
	scratch_load_dwordx4 v[8:11], off, off offset:160
	;; [unrolled: 1-line block ×12, first 2 shown]
	v_mov_b32_e32 v2, 0
	ds_read_b128 v[94:97], v2 offset:464
	ds_read_b128 v[98:101], v2 offset:480
	;; [unrolled: 1-line block ×11, first 2 shown]
	v_cmp_lt_u32_e32 vcc, 7, v1
	s_waitcnt vmcnt(11) lgkmcnt(10)
	v_mul_f64 v[138:139], v[94:95], v[6:7]
	v_mul_f64 v[6:7], v[96:97], v[6:7]
	s_waitcnt vmcnt(10) lgkmcnt(9)
	v_mul_f64 v[140:141], v[98:99], v[10:11]
	s_waitcnt vmcnt(9) lgkmcnt(8)
	v_mul_f64 v[142:143], v[102:103], v[14:15]
	v_mul_f64 v[10:11], v[100:101], v[10:11]
	s_waitcnt vmcnt(6) lgkmcnt(5)
	v_mul_f64 v[148:149], v[114:115], v[26:27]
	v_mul_f64 v[14:15], v[104:105], v[14:15]
	;; [unrolled: 1-line block ×3, first 2 shown]
	v_fmac_f64_e32 v[138:139], v[96:97], v[4:5]
	v_fma_f64 v[4:5], v[94:95], v[4:5], -v[6:7]
	v_fmac_f64_e32 v[140:141], v[100:101], v[8:9]
	v_fma_f64 v[6:7], v[98:99], v[8:9], -v[10:11]
	v_fma_f64 v[8:9], v[102:103], v[12:13], -v[14:15]
	;; [unrolled: 1-line block ×3, first 2 shown]
	v_add_f64 v[26:27], v[138:139], 0
	v_add_f64 v[4:5], v[4:5], 0
	v_mul_f64 v[144:145], v[106:107], v[18:19]
	v_mul_f64 v[18:19], v[108:109], v[18:19]
	v_fmac_f64_e32 v[142:143], v[104:105], v[12:13]
	v_add_f64 v[26:27], v[26:27], v[140:141]
	v_add_f64 v[4:5], v[4:5], v[6:7]
	v_mul_f64 v[146:147], v[110:111], v[22:23]
	v_mul_f64 v[22:23], v[112:113], v[22:23]
	v_fmac_f64_e32 v[144:145], v[108:109], v[16:17]
	v_fma_f64 v[10:11], v[106:107], v[16:17], -v[18:19]
	v_add_f64 v[6:7], v[26:27], v[142:143]
	v_add_f64 v[4:5], v[4:5], v[8:9]
	v_fmac_f64_e32 v[146:147], v[112:113], v[20:21]
	v_fma_f64 v[12:13], v[110:111], v[20:21], -v[22:23]
	v_add_f64 v[6:7], v[6:7], v[144:145]
	v_add_f64 v[4:5], v[4:5], v[10:11]
	s_waitcnt vmcnt(5) lgkmcnt(4)
	v_mul_f64 v[150:151], v[118:119], v[30:31]
	v_mul_f64 v[30:31], v[120:121], v[30:31]
	v_fmac_f64_e32 v[148:149], v[116:117], v[24:25]
	v_add_f64 v[6:7], v[6:7], v[146:147]
	v_add_f64 v[4:5], v[4:5], v[12:13]
	s_waitcnt vmcnt(4) lgkmcnt(3)
	v_mul_f64 v[152:153], v[122:123], v[34:35]
	v_mul_f64 v[34:35], v[124:125], v[34:35]
	v_fmac_f64_e32 v[150:151], v[120:121], v[28:29]
	v_fma_f64 v[16:17], v[118:119], v[28:29], -v[30:31]
	v_add_f64 v[6:7], v[6:7], v[148:149]
	v_add_f64 v[4:5], v[4:5], v[14:15]
	s_waitcnt vmcnt(3) lgkmcnt(2)
	v_mul_f64 v[154:155], v[126:127], v[38:39]
	v_mul_f64 v[38:39], v[128:129], v[38:39]
	v_fmac_f64_e32 v[152:153], v[124:125], v[32:33]
	v_fma_f64 v[18:19], v[122:123], v[32:33], -v[34:35]
	;; [unrolled: 7-line block ×4, first 2 shown]
	v_add_f64 v[6:7], v[6:7], v[154:155]
	v_add_f64 v[4:5], v[4:5], v[20:21]
	v_fmac_f64_e32 v[158:159], v[136:137], v[44:45]
	v_fma_f64 v[24:25], v[134:135], v[44:45], -v[46:47]
	v_add_f64 v[6:7], v[6:7], v[156:157]
	v_add_f64 v[4:5], v[4:5], v[22:23]
	v_add_f64 v[6:7], v[6:7], v[158:159]
	v_add_f64 v[4:5], v[4:5], v[24:25]
	s_waitcnt vmcnt(0)
	v_add_f64 v[4:5], v[50:51], -v[4:5]
	v_add_f64 v[6:7], v[52:53], -v[6:7]
	scratch_store_dwordx4 off, v[4:7], off offset:128
	s_and_saveexec_b64 s[2:3], vcc
	s_cbranch_execz .LBB83_119
; %bb.118:
	scratch_load_dwordx4 v[6:9], off, s30
	v_mov_b32_e32 v3, v2
	v_mov_b32_e32 v4, v2
	;; [unrolled: 1-line block ×3, first 2 shown]
	scratch_store_dwordx4 off, v[2:5], off offset:112
	s_waitcnt vmcnt(1)
	ds_write_b128 v48, v[6:9]
.LBB83_119:
	s_or_b64 exec, exec, s[2:3]
	s_waitcnt lgkmcnt(0)
	; wave barrier
	ds_read_b128 v[4:7], v2 offset:448
	ds_read_b128 v[8:11], v2 offset:464
	;; [unrolled: 1-line block ×4, first 2 shown]
	scratch_load_dwordx4 v[20:23], off, off offset:128
	scratch_load_dwordx4 v[40:43], off, off offset:192
	;; [unrolled: 1-line block ×6, first 2 shown]
	v_cmp_lt_u32_e32 vcc, 6, v1
	scratch_load_dwordx4 v[50:53], off, off offset:208
	scratch_load_dwordx4 v[98:101], off, off offset:224
	;; [unrolled: 1-line block ×3, first 2 shown]
	s_waitcnt vmcnt(8) lgkmcnt(3)
	v_mul_f64 v[24:25], v[4:5], v[22:23]
	v_fmac_f64_e32 v[24:25], v[6:7], v[20:21]
	v_add_f64 v[28:29], v[24:25], 0
	scratch_load_dwordx4 v[24:27], off, off offset:144
	s_waitcnt vmcnt(0) lgkmcnt(2)
	v_mul_f64 v[30:31], v[8:9], v[26:27]
	v_fmac_f64_e32 v[30:31], v[10:11], v[24:25]
	v_add_f64 v[32:33], v[28:29], v[30:31]
	scratch_load_dwordx4 v[28:31], off, off offset:160
	;; [unrolled: 5-line block ×3, first 2 shown]
	s_waitcnt vmcnt(0) lgkmcnt(0)
	v_mul_f64 v[38:39], v[16:17], v[34:35]
	v_fmac_f64_e32 v[38:39], v[18:19], v[32:33]
	v_add_f64 v[44:45], v[36:37], v[38:39]
	ds_read_b128 v[36:39], v2 offset:512
	s_waitcnt lgkmcnt(0)
	v_mul_f64 v[46:47], v[36:37], v[42:43]
	v_fmac_f64_e32 v[46:47], v[38:39], v[40:41]
	v_add_f64 v[94:95], v[44:45], v[46:47]
	ds_read_b128 v[44:47], v2 offset:528
	s_waitcnt lgkmcnt(0)
	;; [unrolled: 5-line block ×8, first 2 shown]
	v_mul_f64 v[2:3], v[134:135], v[140:141]
	v_fmac_f64_e32 v[2:3], v[136:137], v[138:139]
	v_add_f64 v[142:143], v[142:143], v[2:3]
	v_mul_f64 v[2:3], v[6:7], v[22:23]
	v_fma_f64 v[2:3], v[4:5], v[20:21], -v[2:3]
	v_mul_f64 v[4:5], v[10:11], v[26:27]
	v_add_f64 v[2:3], v[2:3], 0
	v_fma_f64 v[4:5], v[8:9], v[24:25], -v[4:5]
	v_add_f64 v[2:3], v[2:3], v[4:5]
	v_mul_f64 v[4:5], v[14:15], v[30:31]
	v_fma_f64 v[4:5], v[12:13], v[28:29], -v[4:5]
	v_add_f64 v[2:3], v[2:3], v[4:5]
	v_mul_f64 v[4:5], v[18:19], v[34:35]
	;; [unrolled: 3-line block ×10, first 2 shown]
	v_fma_f64 v[4:5], v[134:135], v[138:139], -v[4:5]
	v_add_f64 v[6:7], v[2:3], v[4:5]
	scratch_load_dwordx4 v[2:5], off, off offset:112
	s_waitcnt vmcnt(0)
	v_add_f64 v[2:3], v[2:3], -v[6:7]
	v_add_f64 v[4:5], v[4:5], -v[142:143]
	scratch_store_dwordx4 off, v[2:5], off offset:112
	s_and_saveexec_b64 s[2:3], vcc
	s_cbranch_execz .LBB83_121
; %bb.120:
	scratch_load_dwordx4 v[2:5], off, s31
	v_mov_b32_e32 v6, 0
	v_mov_b32_e32 v7, v6
	v_mov_b32_e32 v8, v6
	v_mov_b32_e32 v9, v6
	scratch_store_dwordx4 off, v[6:9], off offset:96
	s_waitcnt vmcnt(1)
	ds_write_b128 v48, v[2:5]
.LBB83_121:
	s_or_b64 exec, exec, s[2:3]
	v_mov_b32_e32 v2, 0
	s_waitcnt lgkmcnt(0)
	; wave barrier
	ds_read_b128 v[4:7], v2 offset:432
	ds_read_b128 v[8:11], v2 offset:448
	;; [unrolled: 1-line block ×4, first 2 shown]
	scratch_load_dwordx4 v[20:23], off, off offset:112
	scratch_load_dwordx4 v[40:43], off, off offset:176
	;; [unrolled: 1-line block ×7, first 2 shown]
	v_cmp_lt_u32_e32 vcc, 5, v1
	scratch_load_dwordx4 v[50:53], off, off offset:192
	scratch_load_dwordx4 v[98:101], off, off offset:208
	;; [unrolled: 1-line block ×3, first 2 shown]
	s_waitcnt vmcnt(9) lgkmcnt(3)
	v_mul_f64 v[24:25], v[4:5], v[22:23]
	v_fmac_f64_e32 v[24:25], v[6:7], v[20:21]
	v_add_f64 v[28:29], v[24:25], 0
	scratch_load_dwordx4 v[24:27], off, off offset:128
	v_mul_f64 v[6:7], v[6:7], v[22:23]
	v_fma_f64 v[4:5], v[4:5], v[20:21], -v[6:7]
	v_add_f64 v[4:5], v[4:5], 0
	s_waitcnt vmcnt(0) lgkmcnt(2)
	v_mul_f64 v[30:31], v[8:9], v[26:27]
	v_fmac_f64_e32 v[30:31], v[10:11], v[24:25]
	v_add_f64 v[32:33], v[28:29], v[30:31]
	scratch_load_dwordx4 v[28:31], off, off offset:144
	v_mul_f64 v[6:7], v[10:11], v[26:27]
	v_fma_f64 v[6:7], v[8:9], v[24:25], -v[6:7]
	v_add_f64 v[4:5], v[4:5], v[6:7]
	;; [unrolled: 8-line block ×3, first 2 shown]
	s_waitcnt vmcnt(0) lgkmcnt(0)
	v_mul_f64 v[38:39], v[16:17], v[34:35]
	v_fmac_f64_e32 v[38:39], v[18:19], v[32:33]
	v_add_f64 v[44:45], v[36:37], v[38:39]
	ds_read_b128 v[36:39], v2 offset:496
	v_mul_f64 v[6:7], v[18:19], v[34:35]
	v_fma_f64 v[6:7], v[16:17], v[32:33], -v[6:7]
	v_add_f64 v[4:5], v[4:5], v[6:7]
	s_waitcnt lgkmcnt(0)
	v_mul_f64 v[46:47], v[36:37], v[42:43]
	v_fmac_f64_e32 v[46:47], v[38:39], v[40:41]
	v_add_f64 v[94:95], v[44:45], v[46:47]
	ds_read_b128 v[44:47], v2 offset:512
	v_mul_f64 v[6:7], v[38:39], v[42:43]
	v_fma_f64 v[6:7], v[36:37], v[40:41], -v[6:7]
	v_add_f64 v[4:5], v[4:5], v[6:7]
	s_waitcnt lgkmcnt(0)
	;; [unrolled: 8-line block ×9, first 2 shown]
	v_mul_f64 v[6:7], v[144:145], v[148:149]
	v_fma_f64 v[6:7], v[142:143], v[146:147], -v[6:7]
	v_add_f64 v[8:9], v[4:5], v[6:7]
	scratch_load_dwordx4 v[4:7], off, off offset:96
	v_mul_f64 v[152:153], v[142:143], v[148:149]
	v_fmac_f64_e32 v[152:153], v[144:145], v[146:147]
	v_add_f64 v[150:151], v[150:151], v[152:153]
	s_waitcnt vmcnt(0)
	v_add_f64 v[4:5], v[4:5], -v[8:9]
	v_add_f64 v[6:7], v[6:7], -v[150:151]
	scratch_store_dwordx4 off, v[4:7], off offset:96
	s_and_saveexec_b64 s[2:3], vcc
	s_cbranch_execz .LBB83_123
; %bb.122:
	scratch_load_dwordx4 v[6:9], off, s33
	v_mov_b32_e32 v3, v2
	v_mov_b32_e32 v4, v2
	;; [unrolled: 1-line block ×3, first 2 shown]
	scratch_store_dwordx4 off, v[2:5], off offset:80
	s_waitcnt vmcnt(1)
	ds_write_b128 v48, v[6:9]
.LBB83_123:
	s_or_b64 exec, exec, s[2:3]
	s_waitcnt lgkmcnt(0)
	; wave barrier
	ds_read_b128 v[4:7], v2 offset:416
	ds_read_b128 v[8:11], v2 offset:432
	;; [unrolled: 1-line block ×4, first 2 shown]
	scratch_load_dwordx4 v[20:23], off, off offset:96
	scratch_load_dwordx4 v[40:43], off, off offset:160
	;; [unrolled: 1-line block ×8, first 2 shown]
	v_cmp_lt_u32_e32 vcc, 4, v1
	scratch_load_dwordx4 v[50:53], off, off offset:176
	scratch_load_dwordx4 v[98:101], off, off offset:192
	;; [unrolled: 1-line block ×3, first 2 shown]
	s_waitcnt vmcnt(10) lgkmcnt(3)
	v_mul_f64 v[24:25], v[4:5], v[22:23]
	v_fmac_f64_e32 v[24:25], v[6:7], v[20:21]
	v_add_f64 v[28:29], v[24:25], 0
	scratch_load_dwordx4 v[24:27], off, off offset:112
	s_waitcnt vmcnt(0) lgkmcnt(2)
	v_mul_f64 v[30:31], v[8:9], v[26:27]
	v_fmac_f64_e32 v[30:31], v[10:11], v[24:25]
	v_add_f64 v[32:33], v[28:29], v[30:31]
	scratch_load_dwordx4 v[28:31], off, off offset:128
	;; [unrolled: 5-line block ×3, first 2 shown]
	s_waitcnt vmcnt(0) lgkmcnt(0)
	v_mul_f64 v[38:39], v[16:17], v[34:35]
	v_fmac_f64_e32 v[38:39], v[18:19], v[32:33]
	v_add_f64 v[44:45], v[36:37], v[38:39]
	ds_read_b128 v[36:39], v2 offset:480
	s_waitcnt lgkmcnt(0)
	v_mul_f64 v[46:47], v[36:37], v[42:43]
	v_fmac_f64_e32 v[46:47], v[38:39], v[40:41]
	v_add_f64 v[94:95], v[44:45], v[46:47]
	ds_read_b128 v[44:47], v2 offset:496
	s_waitcnt lgkmcnt(0)
	;; [unrolled: 5-line block ×10, first 2 shown]
	v_mul_f64 v[2:3], v[150:151], v[156:157]
	v_fmac_f64_e32 v[2:3], v[152:153], v[154:155]
	v_add_f64 v[158:159], v[158:159], v[2:3]
	v_mul_f64 v[2:3], v[6:7], v[22:23]
	v_fma_f64 v[2:3], v[4:5], v[20:21], -v[2:3]
	v_mul_f64 v[4:5], v[10:11], v[26:27]
	v_add_f64 v[2:3], v[2:3], 0
	v_fma_f64 v[4:5], v[8:9], v[24:25], -v[4:5]
	v_add_f64 v[2:3], v[2:3], v[4:5]
	v_mul_f64 v[4:5], v[14:15], v[30:31]
	v_fma_f64 v[4:5], v[12:13], v[28:29], -v[4:5]
	v_add_f64 v[2:3], v[2:3], v[4:5]
	v_mul_f64 v[4:5], v[18:19], v[34:35]
	;; [unrolled: 3-line block ×12, first 2 shown]
	v_fma_f64 v[4:5], v[150:151], v[154:155], -v[4:5]
	v_add_f64 v[6:7], v[2:3], v[4:5]
	scratch_load_dwordx4 v[2:5], off, off offset:80
	s_waitcnt vmcnt(0)
	v_add_f64 v[2:3], v[2:3], -v[6:7]
	v_add_f64 v[4:5], v[4:5], -v[158:159]
	scratch_store_dwordx4 off, v[2:5], off offset:80
	s_and_saveexec_b64 s[2:3], vcc
	s_cbranch_execz .LBB83_125
; %bb.124:
	scratch_load_dwordx4 v[2:5], off, s34
	v_mov_b32_e32 v6, 0
	v_mov_b32_e32 v7, v6
	v_mov_b32_e32 v8, v6
	v_mov_b32_e32 v9, v6
	scratch_store_dwordx4 off, v[6:9], off offset:64
	s_waitcnt vmcnt(1)
	ds_write_b128 v48, v[2:5]
.LBB83_125:
	s_or_b64 exec, exec, s[2:3]
	s_waitcnt lgkmcnt(0)
	; wave barrier
	scratch_load_dwordx4 v[4:7], off, off offset:80
	scratch_load_dwordx4 v[12:15], off, off offset:96
	scratch_load_dwordx4 v[8:11], off, off offset:112
	scratch_load_dwordx4 v[16:19], off, off offset:128
	scratch_load_dwordx4 v[20:23], off, off offset:144
	scratch_load_dwordx4 v[28:31], off, off offset:160
	scratch_load_dwordx4 v[24:27], off, off offset:176
	scratch_load_dwordx4 v[32:35], off, off offset:192
	scratch_load_dwordx4 v[36:39], off, off offset:208
	scratch_load_dwordx4 v[40:43], off, off offset:224
	scratch_load_dwordx4 v[44:47], off, off offset:240
	scratch_load_dwordx4 v[50:53], off, off offset:256
	scratch_load_dwordx4 v[94:97], off, off offset:272
	scratch_load_dwordx4 v[98:101], off, off offset:288
	scratch_load_dwordx4 v[102:105], off, off offset:304
	scratch_load_dwordx4 v[106:109], off, off offset:64
	v_mov_b32_e32 v2, 0
	ds_read_b128 v[110:113], v2 offset:400
	ds_read_b128 v[114:117], v2 offset:416
	;; [unrolled: 1-line block ×15, first 2 shown]
	v_cmp_lt_u32_e32 vcc, 3, v1
	s_waitcnt vmcnt(15) lgkmcnt(14)
	v_mul_f64 v[170:171], v[110:111], v[6:7]
	v_mul_f64 v[6:7], v[112:113], v[6:7]
	s_waitcnt vmcnt(14) lgkmcnt(13)
	v_mul_f64 v[172:173], v[114:115], v[14:15]
	v_mul_f64 v[14:15], v[116:117], v[14:15]
	v_fmac_f64_e32 v[170:171], v[112:113], v[4:5]
	v_fma_f64 v[4:5], v[110:111], v[4:5], -v[6:7]
	s_waitcnt vmcnt(13) lgkmcnt(12)
	v_mul_f64 v[174:175], v[118:119], v[10:11]
	v_mul_f64 v[10:11], v[120:121], v[10:11]
	v_fma_f64 v[6:7], v[114:115], v[12:13], -v[14:15]
	v_add_f64 v[4:5], v[4:5], 0
	s_waitcnt vmcnt(12) lgkmcnt(11)
	v_mul_f64 v[176:177], v[122:123], v[18:19]
	v_mul_f64 v[18:19], v[124:125], v[18:19]
	v_fmac_f64_e32 v[174:175], v[120:121], v[8:9]
	v_fma_f64 v[8:9], v[118:119], v[8:9], -v[10:11]
	v_add_f64 v[4:5], v[4:5], v[6:7]
	s_waitcnt vmcnt(11) lgkmcnt(10)
	v_mul_f64 v[178:179], v[126:127], v[22:23]
	v_mul_f64 v[22:23], v[128:129], v[22:23]
	v_fma_f64 v[10:11], v[122:123], v[16:17], -v[18:19]
	v_add_f64 v[4:5], v[4:5], v[8:9]
	s_waitcnt vmcnt(10) lgkmcnt(9)
	v_mul_f64 v[180:181], v[130:131], v[30:31]
	v_mul_f64 v[30:31], v[132:133], v[30:31]
	v_fmac_f64_e32 v[172:173], v[116:117], v[12:13]
	v_fma_f64 v[12:13], v[126:127], v[20:21], -v[22:23]
	v_add_f64 v[4:5], v[4:5], v[10:11]
	v_fma_f64 v[14:15], v[130:131], v[28:29], -v[30:31]
	v_add_f64 v[4:5], v[4:5], v[12:13]
	s_waitcnt vmcnt(9) lgkmcnt(8)
	v_mul_f64 v[8:9], v[136:137], v[26:27]
	v_add_f64 v[4:5], v[4:5], v[14:15]
	v_fma_f64 v[8:9], v[134:135], v[24:25], -v[8:9]
	v_add_f64 v[4:5], v[4:5], v[8:9]
	s_waitcnt vmcnt(8) lgkmcnt(7)
	v_mul_f64 v[8:9], v[140:141], v[34:35]
	v_fma_f64 v[8:9], v[138:139], v[32:33], -v[8:9]
	v_fmac_f64_e32 v[176:177], v[124:125], v[16:17]
	v_add_f64 v[16:17], v[170:171], 0
	v_add_f64 v[4:5], v[4:5], v[8:9]
	s_waitcnt vmcnt(7) lgkmcnt(6)
	v_mul_f64 v[8:9], v[144:145], v[38:39]
	v_add_f64 v[16:17], v[16:17], v[172:173]
	v_fma_f64 v[8:9], v[142:143], v[36:37], -v[8:9]
	v_add_f64 v[6:7], v[16:17], v[174:175]
	v_add_f64 v[4:5], v[4:5], v[8:9]
	s_waitcnt vmcnt(6) lgkmcnt(5)
	v_mul_f64 v[8:9], v[148:149], v[42:43]
	v_fmac_f64_e32 v[178:179], v[128:129], v[20:21]
	v_add_f64 v[6:7], v[6:7], v[176:177]
	v_fma_f64 v[8:9], v[146:147], v[40:41], -v[8:9]
	v_mul_f64 v[182:183], v[134:135], v[26:27]
	v_fmac_f64_e32 v[180:181], v[132:133], v[28:29]
	v_add_f64 v[6:7], v[6:7], v[178:179]
	v_add_f64 v[4:5], v[4:5], v[8:9]
	s_waitcnt vmcnt(5) lgkmcnt(4)
	v_mul_f64 v[8:9], v[152:153], v[46:47]
	v_mul_f64 v[184:185], v[138:139], v[34:35]
	v_fmac_f64_e32 v[182:183], v[136:137], v[24:25]
	v_add_f64 v[6:7], v[6:7], v[180:181]
	v_fma_f64 v[8:9], v[150:151], v[44:45], -v[8:9]
	v_mul_f64 v[186:187], v[142:143], v[38:39]
	v_fmac_f64_e32 v[184:185], v[140:141], v[32:33]
	v_add_f64 v[6:7], v[6:7], v[182:183]
	v_add_f64 v[4:5], v[4:5], v[8:9]
	s_waitcnt vmcnt(4) lgkmcnt(3)
	v_mul_f64 v[8:9], v[156:157], v[52:53]
	;; [unrolled: 10-line block ×4, first 2 shown]
	v_mul_f64 v[196:197], v[162:163], v[100:101]
	v_fmac_f64_e32 v[194:195], v[160:161], v[94:95]
	v_add_f64 v[6:7], v[6:7], v[192:193]
	v_fma_f64 v[8:9], v[162:163], v[98:99], -v[8:9]
	s_waitcnt vmcnt(1) lgkmcnt(0)
	v_mul_f64 v[198:199], v[166:167], v[104:105]
	v_fmac_f64_e32 v[196:197], v[164:165], v[98:99]
	v_add_f64 v[6:7], v[6:7], v[194:195]
	v_add_f64 v[4:5], v[4:5], v[8:9]
	v_mul_f64 v[8:9], v[168:169], v[104:105]
	v_fmac_f64_e32 v[198:199], v[168:169], v[102:103]
	v_add_f64 v[6:7], v[6:7], v[196:197]
	v_fma_f64 v[8:9], v[166:167], v[102:103], -v[8:9]
	v_add_f64 v[6:7], v[6:7], v[198:199]
	v_add_f64 v[4:5], v[4:5], v[8:9]
	s_waitcnt vmcnt(0)
	v_add_f64 v[4:5], v[106:107], -v[4:5]
	v_add_f64 v[6:7], v[108:109], -v[6:7]
	scratch_store_dwordx4 off, v[4:7], off offset:64
	s_and_saveexec_b64 s[2:3], vcc
	s_cbranch_execz .LBB83_127
; %bb.126:
	scratch_load_dwordx4 v[6:9], off, s35
	v_mov_b32_e32 v3, v2
	v_mov_b32_e32 v4, v2
	;; [unrolled: 1-line block ×3, first 2 shown]
	scratch_store_dwordx4 off, v[2:5], off offset:48
	s_waitcnt vmcnt(1)
	ds_write_b128 v48, v[6:9]
.LBB83_127:
	s_or_b64 exec, exec, s[2:3]
	s_waitcnt lgkmcnt(0)
	; wave barrier
	scratch_load_dwordx4 v[4:7], off, off offset:64
	scratch_load_dwordx4 v[8:11], off, off offset:80
	;; [unrolled: 1-line block ×16, first 2 shown]
	ds_read_b128 v[110:113], v2 offset:384
	ds_read_b128 v[114:117], v2 offset:400
	;; [unrolled: 1-line block ×16, first 2 shown]
	scratch_load_dwordx4 v[174:177], off, off offset:48
	v_cmp_lt_u32_e32 vcc, 2, v1
	s_waitcnt vmcnt(16) lgkmcnt(14)
	v_mul_f64 v[2:3], v[110:111], v[6:7]
	s_waitcnt vmcnt(15)
	v_mul_f64 v[178:179], v[114:115], v[10:11]
	v_fmac_f64_e32 v[2:3], v[112:113], v[4:5]
	s_waitcnt vmcnt(14) lgkmcnt(13)
	v_mul_f64 v[180:181], v[118:119], v[14:15]
	v_fmac_f64_e32 v[178:179], v[116:117], v[8:9]
	v_add_f64 v[2:3], v[2:3], 0
	s_waitcnt vmcnt(13) lgkmcnt(12)
	v_mul_f64 v[182:183], v[122:123], v[18:19]
	v_fmac_f64_e32 v[180:181], v[120:121], v[12:13]
	v_add_f64 v[2:3], v[2:3], v[178:179]
	;; [unrolled: 4-line block ×10, first 2 shown]
	s_waitcnt vmcnt(4) lgkmcnt(3)
	v_mul_f64 v[200:201], v[158:159], v[96:97]
	v_mul_f64 v[6:7], v[112:113], v[6:7]
	v_fmac_f64_e32 v[198:199], v[156:157], v[50:51]
	v_add_f64 v[2:3], v[2:3], v[196:197]
	s_waitcnt vmcnt(3) lgkmcnt(2)
	v_mul_f64 v[202:203], v[162:163], v[100:101]
	v_mul_f64 v[10:11], v[116:117], v[10:11]
	v_fmac_f64_e32 v[200:201], v[160:161], v[94:95]
	v_fma_f64 v[4:5], v[110:111], v[4:5], -v[6:7]
	v_add_f64 v[2:3], v[2:3], v[198:199]
	s_waitcnt vmcnt(2) lgkmcnt(1)
	v_mul_f64 v[204:205], v[166:167], v[104:105]
	v_mul_f64 v[14:15], v[120:121], v[14:15]
	v_fmac_f64_e32 v[202:203], v[164:165], v[98:99]
	v_fma_f64 v[6:7], v[114:115], v[8:9], -v[10:11]
	v_add_f64 v[4:5], v[4:5], 0
	v_add_f64 v[2:3], v[2:3], v[200:201]
	s_waitcnt vmcnt(1) lgkmcnt(0)
	v_mul_f64 v[206:207], v[170:171], v[108:109]
	v_mul_f64 v[18:19], v[124:125], v[18:19]
	v_fmac_f64_e32 v[204:205], v[168:169], v[102:103]
	v_fma_f64 v[8:9], v[118:119], v[12:13], -v[14:15]
	v_add_f64 v[4:5], v[4:5], v[6:7]
	v_add_f64 v[2:3], v[2:3], v[202:203]
	v_mul_f64 v[26:27], v[128:129], v[26:27]
	v_fmac_f64_e32 v[206:207], v[172:173], v[106:107]
	v_fma_f64 v[10:11], v[122:123], v[16:17], -v[18:19]
	v_add_f64 v[4:5], v[4:5], v[8:9]
	v_add_f64 v[2:3], v[2:3], v[204:205]
	v_fma_f64 v[12:13], v[126:127], v[24:25], -v[26:27]
	v_add_f64 v[4:5], v[4:5], v[10:11]
	v_add_f64 v[6:7], v[2:3], v[206:207]
	v_mul_f64 v[2:3], v[132:133], v[22:23]
	v_add_f64 v[4:5], v[4:5], v[12:13]
	v_fma_f64 v[2:3], v[130:131], v[20:21], -v[2:3]
	v_add_f64 v[2:3], v[4:5], v[2:3]
	v_mul_f64 v[4:5], v[136:137], v[30:31]
	v_fma_f64 v[4:5], v[134:135], v[28:29], -v[4:5]
	v_add_f64 v[2:3], v[2:3], v[4:5]
	v_mul_f64 v[4:5], v[140:141], v[34:35]
	;; [unrolled: 3-line block ×10, first 2 shown]
	v_fma_f64 v[4:5], v[170:171], v[106:107], -v[4:5]
	v_add_f64 v[2:3], v[2:3], v[4:5]
	s_waitcnt vmcnt(0)
	v_add_f64 v[2:3], v[174:175], -v[2:3]
	v_add_f64 v[4:5], v[176:177], -v[6:7]
	scratch_store_dwordx4 off, v[2:5], off offset:48
	s_and_saveexec_b64 s[2:3], vcc
	s_cbranch_execz .LBB83_129
; %bb.128:
	scratch_load_dwordx4 v[2:5], off, s36
	v_mov_b32_e32 v6, 0
	v_mov_b32_e32 v7, v6
	;; [unrolled: 1-line block ×4, first 2 shown]
	scratch_store_dwordx4 off, v[6:9], off offset:32
	s_waitcnt vmcnt(1)
	ds_write_b128 v48, v[2:5]
.LBB83_129:
	s_or_b64 exec, exec, s[2:3]
	s_waitcnt lgkmcnt(0)
	; wave barrier
	scratch_load_dwordx4 v[4:7], off, off offset:48
	scratch_load_dwordx4 v[8:11], off, off offset:64
	;; [unrolled: 1-line block ×18, first 2 shown]
	v_mov_b32_e32 v2, 0
	ds_read_b128 v[118:121], v2 offset:368
	ds_read_b128 v[122:125], v2 offset:384
	;; [unrolled: 1-line block ×17, first 2 shown]
	v_cmp_lt_u32_e32 vcc, 1, v1
	s_waitcnt vmcnt(17) lgkmcnt(14)
	v_mul_f64 v[186:187], v[118:119], v[6:7]
	v_mul_f64 v[6:7], v[120:121], v[6:7]
	s_waitcnt vmcnt(16)
	v_mul_f64 v[188:189], v[122:123], v[10:11]
	v_mul_f64 v[10:11], v[124:125], v[10:11]
	v_fmac_f64_e32 v[186:187], v[120:121], v[4:5]
	v_fma_f64 v[4:5], v[118:119], v[4:5], -v[6:7]
	s_waitcnt vmcnt(15)
	v_mul_f64 v[190:191], v[126:127], v[18:19]
	v_mul_f64 v[18:19], v[128:129], v[18:19]
	v_fma_f64 v[6:7], v[122:123], v[8:9], -v[10:11]
	v_add_f64 v[4:5], v[4:5], 0
	s_waitcnt vmcnt(14) lgkmcnt(13)
	v_mul_f64 v[192:193], v[130:131], v[14:15]
	v_mul_f64 v[14:15], v[132:133], v[14:15]
	v_fmac_f64_e32 v[188:189], v[124:125], v[8:9]
	v_fma_f64 v[8:9], v[126:127], v[16:17], -v[18:19]
	v_add_f64 v[4:5], v[4:5], v[6:7]
	v_add_f64 v[4:5], v[4:5], v[8:9]
	v_fma_f64 v[8:9], v[130:131], v[12:13], -v[14:15]
	v_add_f64 v[4:5], v[4:5], v[8:9]
	s_waitcnt vmcnt(13) lgkmcnt(12)
	v_mul_f64 v[8:9], v[136:137], v[22:23]
	v_fma_f64 v[8:9], v[134:135], v[20:21], -v[8:9]
	v_add_f64 v[4:5], v[4:5], v[8:9]
	s_waitcnt vmcnt(12) lgkmcnt(11)
	v_mul_f64 v[8:9], v[140:141], v[26:27]
	;; [unrolled: 4-line block ×5, first 2 shown]
	v_fma_f64 v[8:9], v[150:151], v[36:37], -v[8:9]
	v_add_f64 v[10:11], v[186:187], 0
	v_add_f64 v[4:5], v[4:5], v[8:9]
	s_waitcnt vmcnt(8) lgkmcnt(7)
	v_mul_f64 v[8:9], v[156:157], v[42:43]
	v_fmac_f64_e32 v[190:191], v[128:129], v[16:17]
	v_add_f64 v[10:11], v[10:11], v[188:189]
	v_fma_f64 v[8:9], v[154:155], v[40:41], -v[8:9]
	v_mul_f64 v[194:195], v[134:135], v[22:23]
	v_fmac_f64_e32 v[192:193], v[132:133], v[12:13]
	v_add_f64 v[6:7], v[10:11], v[190:191]
	v_add_f64 v[4:5], v[4:5], v[8:9]
	s_waitcnt vmcnt(7) lgkmcnt(6)
	v_mul_f64 v[8:9], v[160:161], v[46:47]
	v_mul_f64 v[196:197], v[138:139], v[26:27]
	v_fmac_f64_e32 v[194:195], v[136:137], v[20:21]
	v_add_f64 v[6:7], v[6:7], v[192:193]
	v_fma_f64 v[8:9], v[158:159], v[44:45], -v[8:9]
	v_mul_f64 v[198:199], v[142:143], v[30:31]
	v_fmac_f64_e32 v[196:197], v[140:141], v[24:25]
	v_add_f64 v[6:7], v[6:7], v[194:195]
	v_add_f64 v[4:5], v[4:5], v[8:9]
	s_waitcnt vmcnt(6) lgkmcnt(5)
	v_mul_f64 v[8:9], v[164:165], v[52:53]
	;; [unrolled: 10-line block ×6, first 2 shown]
	v_mul_f64 v[216:217], v[178:179], v[108:109]
	v_fmac_f64_e32 v[214:215], v[176:177], v[102:103]
	v_add_f64 v[6:7], v[6:7], v[212:213]
	v_fma_f64 v[8:9], v[178:179], v[106:107], -v[8:9]
	s_waitcnt vmcnt(1) lgkmcnt(0)
	v_mul_f64 v[218:219], v[182:183], v[112:113]
	v_fmac_f64_e32 v[216:217], v[180:181], v[106:107]
	v_add_f64 v[6:7], v[6:7], v[214:215]
	v_add_f64 v[4:5], v[4:5], v[8:9]
	v_mul_f64 v[8:9], v[184:185], v[112:113]
	v_fmac_f64_e32 v[218:219], v[184:185], v[110:111]
	v_add_f64 v[6:7], v[6:7], v[216:217]
	v_fma_f64 v[8:9], v[182:183], v[110:111], -v[8:9]
	v_add_f64 v[6:7], v[6:7], v[218:219]
	v_add_f64 v[4:5], v[4:5], v[8:9]
	s_waitcnt vmcnt(0)
	v_add_f64 v[4:5], v[114:115], -v[4:5]
	v_add_f64 v[6:7], v[116:117], -v[6:7]
	scratch_store_dwordx4 off, v[4:7], off offset:32
	s_and_saveexec_b64 s[2:3], vcc
	s_cbranch_execz .LBB83_131
; %bb.130:
	scratch_load_dwordx4 v[6:9], off, s37
	v_mov_b32_e32 v3, v2
	v_mov_b32_e32 v4, v2
	;; [unrolled: 1-line block ×3, first 2 shown]
	scratch_store_dwordx4 off, v[2:5], off offset:16
	s_waitcnt vmcnt(1)
	ds_write_b128 v48, v[6:9]
.LBB83_131:
	s_or_b64 exec, exec, s[2:3]
	s_waitcnt lgkmcnt(0)
	; wave barrier
	scratch_load_dwordx4 v[4:7], off, off offset:32
	scratch_load_dwordx4 v[12:15], off, off offset:48
	;; [unrolled: 1-line block ×18, first 2 shown]
	ds_read_b128 v[118:121], v2 offset:352
	ds_read_b128 v[122:125], v2 offset:368
	;; [unrolled: 1-line block ×18, first 2 shown]
	scratch_load_dwordx4 v[190:193], off, off offset:16
	v_cmp_ne_u32_e32 vcc, 0, v1
	s_waitcnt vmcnt(18) lgkmcnt(14)
	v_mul_f64 v[2:3], v[118:119], v[6:7]
	s_waitcnt vmcnt(17)
	v_mul_f64 v[194:195], v[122:123], v[14:15]
	v_fmac_f64_e32 v[2:3], v[120:121], v[4:5]
	s_waitcnt vmcnt(16)
	v_mul_f64 v[196:197], v[126:127], v[10:11]
	v_fmac_f64_e32 v[194:195], v[124:125], v[12:13]
	v_add_f64 v[2:3], v[2:3], 0
	s_waitcnt vmcnt(15)
	v_mul_f64 v[198:199], v[130:131], v[18:19]
	v_fmac_f64_e32 v[196:197], v[128:129], v[8:9]
	v_add_f64 v[2:3], v[2:3], v[194:195]
	s_waitcnt vmcnt(14) lgkmcnt(13)
	v_mul_f64 v[200:201], v[134:135], v[22:23]
	v_fmac_f64_e32 v[198:199], v[132:133], v[16:17]
	v_add_f64 v[2:3], v[2:3], v[196:197]
	s_waitcnt vmcnt(13) lgkmcnt(12)
	v_mul_f64 v[202:203], v[138:139], v[26:27]
	v_fmac_f64_e32 v[200:201], v[136:137], v[20:21]
	v_add_f64 v[2:3], v[2:3], v[198:199]
	s_waitcnt vmcnt(12) lgkmcnt(11)
	v_mul_f64 v[204:205], v[142:143], v[30:31]
	v_fmac_f64_e32 v[202:203], v[140:141], v[24:25]
	v_add_f64 v[2:3], v[2:3], v[200:201]
	s_waitcnt vmcnt(11) lgkmcnt(10)
	v_mul_f64 v[206:207], v[146:147], v[34:35]
	v_fmac_f64_e32 v[204:205], v[144:145], v[28:29]
	v_add_f64 v[2:3], v[2:3], v[202:203]
	s_waitcnt vmcnt(10) lgkmcnt(9)
	v_mul_f64 v[208:209], v[150:151], v[38:39]
	v_fmac_f64_e32 v[206:207], v[148:149], v[32:33]
	v_add_f64 v[2:3], v[2:3], v[204:205]
	s_waitcnt vmcnt(9) lgkmcnt(8)
	v_mul_f64 v[210:211], v[154:155], v[42:43]
	v_fmac_f64_e32 v[208:209], v[152:153], v[36:37]
	v_add_f64 v[2:3], v[2:3], v[206:207]
	s_waitcnt vmcnt(8) lgkmcnt(7)
	v_mul_f64 v[212:213], v[158:159], v[46:47]
	v_fmac_f64_e32 v[210:211], v[156:157], v[40:41]
	v_add_f64 v[2:3], v[2:3], v[208:209]
	s_waitcnt vmcnt(7) lgkmcnt(6)
	v_mul_f64 v[214:215], v[162:163], v[52:53]
	v_fmac_f64_e32 v[212:213], v[160:161], v[44:45]
	v_add_f64 v[2:3], v[2:3], v[210:211]
	s_waitcnt vmcnt(6) lgkmcnt(5)
	v_mul_f64 v[216:217], v[166:167], v[96:97]
	v_fmac_f64_e32 v[214:215], v[164:165], v[50:51]
	v_add_f64 v[2:3], v[2:3], v[212:213]
	s_waitcnt vmcnt(5) lgkmcnt(4)
	v_mul_f64 v[218:219], v[170:171], v[100:101]
	v_fmac_f64_e32 v[216:217], v[168:169], v[94:95]
	v_add_f64 v[2:3], v[2:3], v[214:215]
	s_waitcnt vmcnt(4) lgkmcnt(3)
	v_mul_f64 v[220:221], v[174:175], v[104:105]
	v_fmac_f64_e32 v[218:219], v[172:173], v[98:99]
	v_add_f64 v[2:3], v[2:3], v[216:217]
	s_waitcnt vmcnt(3) lgkmcnt(2)
	v_mul_f64 v[222:223], v[178:179], v[108:109]
	v_fmac_f64_e32 v[220:221], v[176:177], v[102:103]
	v_add_f64 v[2:3], v[2:3], v[218:219]
	s_waitcnt vmcnt(2) lgkmcnt(1)
	v_mul_f64 v[224:225], v[182:183], v[112:113]
	v_mul_f64 v[6:7], v[120:121], v[6:7]
	v_fmac_f64_e32 v[222:223], v[180:181], v[106:107]
	v_add_f64 v[2:3], v[2:3], v[220:221]
	s_waitcnt vmcnt(1) lgkmcnt(0)
	v_mul_f64 v[226:227], v[186:187], v[116:117]
	v_mul_f64 v[14:15], v[124:125], v[14:15]
	v_fmac_f64_e32 v[224:225], v[184:185], v[110:111]
	v_fma_f64 v[4:5], v[118:119], v[4:5], -v[6:7]
	v_add_f64 v[2:3], v[2:3], v[222:223]
	v_mul_f64 v[10:11], v[128:129], v[10:11]
	v_fmac_f64_e32 v[226:227], v[188:189], v[114:115]
	v_fma_f64 v[6:7], v[122:123], v[12:13], -v[14:15]
	v_add_f64 v[4:5], v[4:5], 0
	v_add_f64 v[2:3], v[2:3], v[224:225]
	;; [unrolled: 1-line block ×4, first 2 shown]
	v_fma_f64 v[2:3], v[126:127], v[8:9], -v[10:11]
	v_add_f64 v[2:3], v[4:5], v[2:3]
	v_mul_f64 v[4:5], v[132:133], v[18:19]
	v_fma_f64 v[4:5], v[130:131], v[16:17], -v[4:5]
	v_add_f64 v[2:3], v[2:3], v[4:5]
	v_mul_f64 v[4:5], v[136:137], v[22:23]
	v_fma_f64 v[4:5], v[134:135], v[20:21], -v[4:5]
	v_add_f64 v[2:3], v[2:3], v[4:5]
	v_mul_f64 v[4:5], v[140:141], v[26:27]
	v_fma_f64 v[4:5], v[138:139], v[24:25], -v[4:5]
	v_add_f64 v[2:3], v[2:3], v[4:5]
	v_mul_f64 v[4:5], v[144:145], v[30:31]
	v_fma_f64 v[4:5], v[142:143], v[28:29], -v[4:5]
	v_add_f64 v[2:3], v[2:3], v[4:5]
	v_mul_f64 v[4:5], v[148:149], v[34:35]
	v_fma_f64 v[4:5], v[146:147], v[32:33], -v[4:5]
	v_add_f64 v[2:3], v[2:3], v[4:5]
	v_mul_f64 v[4:5], v[152:153], v[38:39]
	v_fma_f64 v[4:5], v[150:151], v[36:37], -v[4:5]
	v_add_f64 v[2:3], v[2:3], v[4:5]
	v_mul_f64 v[4:5], v[156:157], v[42:43]
	v_fma_f64 v[4:5], v[154:155], v[40:41], -v[4:5]
	v_add_f64 v[2:3], v[2:3], v[4:5]
	v_mul_f64 v[4:5], v[160:161], v[46:47]
	v_fma_f64 v[4:5], v[158:159], v[44:45], -v[4:5]
	v_add_f64 v[2:3], v[2:3], v[4:5]
	v_mul_f64 v[4:5], v[164:165], v[52:53]
	v_fma_f64 v[4:5], v[162:163], v[50:51], -v[4:5]
	v_add_f64 v[2:3], v[2:3], v[4:5]
	v_mul_f64 v[4:5], v[168:169], v[96:97]
	v_fma_f64 v[4:5], v[166:167], v[94:95], -v[4:5]
	v_add_f64 v[2:3], v[2:3], v[4:5]
	v_mul_f64 v[4:5], v[172:173], v[100:101]
	v_fma_f64 v[4:5], v[170:171], v[98:99], -v[4:5]
	v_add_f64 v[2:3], v[2:3], v[4:5]
	v_mul_f64 v[4:5], v[176:177], v[104:105]
	v_fma_f64 v[4:5], v[174:175], v[102:103], -v[4:5]
	v_add_f64 v[2:3], v[2:3], v[4:5]
	v_mul_f64 v[4:5], v[180:181], v[108:109]
	v_fma_f64 v[4:5], v[178:179], v[106:107], -v[4:5]
	v_add_f64 v[2:3], v[2:3], v[4:5]
	v_mul_f64 v[4:5], v[184:185], v[112:113]
	v_fma_f64 v[4:5], v[182:183], v[110:111], -v[4:5]
	v_add_f64 v[2:3], v[2:3], v[4:5]
	v_mul_f64 v[4:5], v[188:189], v[116:117]
	v_fma_f64 v[4:5], v[186:187], v[114:115], -v[4:5]
	v_add_f64 v[2:3], v[2:3], v[4:5]
	s_waitcnt vmcnt(0)
	v_add_f64 v[2:3], v[190:191], -v[2:3]
	v_add_f64 v[4:5], v[192:193], -v[6:7]
	scratch_store_dwordx4 off, v[2:5], off offset:16
	s_and_saveexec_b64 s[2:3], vcc
	s_cbranch_execz .LBB83_133
; %bb.132:
	scratch_load_dwordx4 v[2:5], off, off
	v_mov_b32_e32 v6, 0
	v_mov_b32_e32 v7, v6
	;; [unrolled: 1-line block ×4, first 2 shown]
	scratch_store_dwordx4 off, v[6:9], off
	s_waitcnt vmcnt(1)
	ds_write_b128 v48, v[2:5]
.LBB83_133:
	s_or_b64 exec, exec, s[2:3]
	s_waitcnt lgkmcnt(0)
	; wave barrier
	scratch_load_dwordx4 v[6:9], off, off offset:16
	scratch_load_dwordx4 v[2:5], off, off offset:32
	;; [unrolled: 1-line block ×19, first 2 shown]
	scratch_load_dwordx4 v[120:123], off, off
	v_mov_b32_e32 v94, 0
	ds_read_b128 v[124:127], v94 offset:336
	ds_read_b128 v[128:131], v94 offset:352
	ds_read_b128 v[132:135], v94 offset:368
	ds_read_b128 v[136:139], v94 offset:384
	ds_read_b128 v[140:143], v94 offset:400
	ds_read_b128 v[144:147], v94 offset:416
	ds_read_b128 v[148:151], v94 offset:432
	ds_read_b128 v[152:155], v94 offset:448
	ds_read_b128 v[156:159], v94 offset:464
	ds_read_b128 v[160:163], v94 offset:480
	ds_read_b128 v[164:167], v94 offset:496
	ds_read_b128 v[168:171], v94 offset:512
	ds_read_b128 v[172:175], v94 offset:528
	ds_read_b128 v[176:179], v94 offset:544
	ds_read_b128 v[180:183], v94 offset:560
	ds_read_b128 v[184:187], v94 offset:576
	ds_read_b128 v[188:191], v94 offset:592
	ds_read_b128 v[192:195], v94 offset:608
	ds_read_b128 v[196:199], v94 offset:624
	s_and_b64 vcc, exec, s[14:15]
	s_waitcnt vmcnt(19) lgkmcnt(14)
	v_mul_f64 v[200:201], v[124:125], v[8:9]
	v_mul_f64 v[8:9], v[126:127], v[8:9]
	s_waitcnt vmcnt(18)
	v_mul_f64 v[202:203], v[128:129], v[4:5]
	v_fmac_f64_e32 v[200:201], v[126:127], v[6:7]
	v_fma_f64 v[6:7], v[124:125], v[6:7], -v[8:9]
	v_mul_f64 v[4:5], v[130:131], v[4:5]
	v_fmac_f64_e32 v[202:203], v[130:131], v[2:3]
	v_add_f64 v[6:7], v[6:7], 0
	v_fma_f64 v[2:3], v[128:129], v[2:3], -v[4:5]
	s_waitcnt vmcnt(17)
	v_mul_f64 v[4:5], v[134:135], v[12:13]
	v_add_f64 v[2:3], v[6:7], v[2:3]
	v_fma_f64 v[4:5], v[132:133], v[10:11], -v[4:5]
	v_add_f64 v[2:3], v[2:3], v[4:5]
	s_waitcnt vmcnt(16)
	v_mul_f64 v[4:5], v[138:139], v[16:17]
	v_fma_f64 v[4:5], v[136:137], v[14:15], -v[4:5]
	v_add_f64 v[2:3], v[2:3], v[4:5]
	s_waitcnt vmcnt(15)
	v_mul_f64 v[4:5], v[142:143], v[20:21]
	v_fma_f64 v[4:5], v[140:141], v[18:19], -v[4:5]
	v_add_f64 v[2:3], v[2:3], v[4:5]
	s_waitcnt vmcnt(14) lgkmcnt(13)
	v_mul_f64 v[4:5], v[146:147], v[24:25]
	v_fma_f64 v[4:5], v[144:145], v[22:23], -v[4:5]
	v_add_f64 v[2:3], v[2:3], v[4:5]
	s_waitcnt vmcnt(13) lgkmcnt(12)
	;; [unrolled: 4-line block ×5, first 2 shown]
	v_mul_f64 v[4:5], v[162:163], v[40:41]
	v_fma_f64 v[4:5], v[160:161], v[38:39], -v[4:5]
	v_mul_f64 v[204:205], v[132:133], v[12:13]
	v_add_f64 v[8:9], v[200:201], 0
	v_add_f64 v[2:3], v[2:3], v[4:5]
	s_waitcnt vmcnt(9) lgkmcnt(8)
	v_mul_f64 v[4:5], v[166:167], v[44:45]
	v_mul_f64 v[206:207], v[136:137], v[16:17]
	v_fmac_f64_e32 v[204:205], v[134:135], v[10:11]
	v_add_f64 v[8:9], v[8:9], v[202:203]
	v_fma_f64 v[4:5], v[164:165], v[42:43], -v[4:5]
	v_mul_f64 v[208:209], v[140:141], v[20:21]
	v_fmac_f64_e32 v[206:207], v[138:139], v[14:15]
	v_add_f64 v[8:9], v[8:9], v[204:205]
	v_add_f64 v[2:3], v[2:3], v[4:5]
	s_waitcnt vmcnt(8) lgkmcnt(7)
	v_mul_f64 v[4:5], v[170:171], v[48:49]
	v_mul_f64 v[210:211], v[144:145], v[24:25]
	v_fmac_f64_e32 v[208:209], v[142:143], v[18:19]
	v_add_f64 v[8:9], v[8:9], v[206:207]
	v_fma_f64 v[4:5], v[168:169], v[46:47], -v[4:5]
	v_mul_f64 v[212:213], v[148:149], v[28:29]
	v_fmac_f64_e32 v[210:211], v[146:147], v[22:23]
	;; [unrolled: 10-line block ×7, first 2 shown]
	v_add_f64 v[8:9], v[8:9], v[228:229]
	v_add_f64 v[2:3], v[2:3], v[4:5]
	s_waitcnt vmcnt(2) lgkmcnt(1)
	v_mul_f64 v[4:5], v[194:195], v[114:115]
	v_mul_f64 v[234:235], v[192:193], v[114:115]
	v_fmac_f64_e32 v[232:233], v[190:191], v[108:109]
	v_add_f64 v[8:9], v[8:9], v[230:231]
	v_fma_f64 v[4:5], v[192:193], v[112:113], -v[4:5]
	s_waitcnt vmcnt(1) lgkmcnt(0)
	v_mul_f64 v[236:237], v[196:197], v[118:119]
	v_fmac_f64_e32 v[234:235], v[194:195], v[112:113]
	v_add_f64 v[8:9], v[8:9], v[232:233]
	v_add_f64 v[2:3], v[2:3], v[4:5]
	v_mul_f64 v[4:5], v[198:199], v[118:119]
	v_fmac_f64_e32 v[236:237], v[198:199], v[116:117]
	v_add_f64 v[8:9], v[8:9], v[234:235]
	v_fma_f64 v[4:5], v[196:197], v[116:117], -v[4:5]
	v_add_f64 v[8:9], v[8:9], v[236:237]
	v_add_f64 v[2:3], v[2:3], v[4:5]
	s_waitcnt vmcnt(0)
	v_add_f64 v[2:3], v[120:121], -v[2:3]
	v_add_f64 v[4:5], v[122:123], -v[8:9]
	scratch_store_dwordx4 off, v[2:5], off
	s_cbranch_vccz .LBB83_172
; %bb.134:
	global_load_dword v2, v94, s[12:13] offset:72
	s_load_dwordx2 s[2:3], s[0:1], 0x4
	v_bfe_u32 v3, v0, 10, 10
	v_bfe_u32 v0, v0, 20, 10
	s_waitcnt lgkmcnt(0)
	s_lshr_b32 s0, s2, 16
	s_mul_i32 s0, s0, s3
	v_mul_u32_u24_e32 v1, s0, v1
	v_mul_u32_u24_e32 v3, s3, v3
	v_add3_u32 v0, v1, v3, v0
	v_mov_b32_e32 v1, 0x288
	v_lshl_add_u32 v0, v0, 4, v1
	s_waitcnt vmcnt(0)
	v_readfirstlane_b32 s0, v2
	s_add_i32 s0, s0, -1
	s_cmp_lg_u32 s0, 18
	s_cbranch_scc0 .LBB83_136
; %bb.135:
	s_lshl_b32 s0, s0, 4
	scratch_load_dwordx4 v[2:5], off, s19
	scratch_load_dwordx4 v[6:9], off, s0
	s_waitcnt vmcnt(1)
	ds_write2_b64 v0, v[2:3], v[4:5] offset1:1
	s_waitcnt vmcnt(0)
	scratch_store_dwordx4 off, v[6:9], s19
	scratch_store_dwordx4 off, v[2:5], s0
.LBB83_136:
	v_mov_b32_e32 v1, 0
	global_load_dword v2, v1, s[12:13] offset:68
	s_waitcnt vmcnt(0)
	v_readfirstlane_b32 s0, v2
	s_add_i32 s0, s0, -1
	s_cmp_eq_u32 s0, 17
	s_cbranch_scc1 .LBB83_138
; %bb.137:
	s_lshl_b32 s0, s0, 4
	scratch_load_dwordx4 v[2:5], off, s20
	scratch_load_dwordx4 v[6:9], off, s0
	s_waitcnt vmcnt(1)
	ds_write2_b64 v0, v[2:3], v[4:5] offset1:1
	s_waitcnt vmcnt(0)
	scratch_store_dwordx4 off, v[6:9], s20
	scratch_store_dwordx4 off, v[2:5], s0
.LBB83_138:
	global_load_dword v1, v1, s[12:13] offset:64
	s_waitcnt vmcnt(0)
	v_readfirstlane_b32 s0, v1
	s_add_i32 s0, s0, -1
	s_cmp_eq_u32 s0, 16
	s_cbranch_scc1 .LBB83_140
; %bb.139:
	s_lshl_b32 s0, s0, 4
	scratch_load_dwordx4 v[2:5], off, s21
	scratch_load_dwordx4 v[6:9], off, s0
	s_waitcnt vmcnt(1)
	ds_write2_b64 v0, v[2:3], v[4:5] offset1:1
	s_waitcnt vmcnt(0)
	scratch_store_dwordx4 off, v[6:9], s21
	scratch_store_dwordx4 off, v[2:5], s0
.LBB83_140:
	v_mov_b32_e32 v1, 0
	global_load_dword v2, v1, s[12:13] offset:60
	s_waitcnt vmcnt(0)
	v_readfirstlane_b32 s0, v2
	s_add_i32 s0, s0, -1
	s_cmp_eq_u32 s0, 15
	s_cbranch_scc1 .LBB83_142
; %bb.141:
	s_lshl_b32 s0, s0, 4
	scratch_load_dwordx4 v[2:5], off, s22
	scratch_load_dwordx4 v[6:9], off, s0
	s_waitcnt vmcnt(1)
	ds_write2_b64 v0, v[2:3], v[4:5] offset1:1
	s_waitcnt vmcnt(0)
	scratch_store_dwordx4 off, v[6:9], s22
	scratch_store_dwordx4 off, v[2:5], s0
.LBB83_142:
	global_load_dword v1, v1, s[12:13] offset:56
	s_waitcnt vmcnt(0)
	v_readfirstlane_b32 s0, v1
	s_add_i32 s0, s0, -1
	s_cmp_eq_u32 s0, 14
	s_cbranch_scc1 .LBB83_144
; %bb.143:
	s_lshl_b32 s0, s0, 4
	scratch_load_dwordx4 v[2:5], off, s23
	scratch_load_dwordx4 v[6:9], off, s0
	s_waitcnt vmcnt(1)
	ds_write2_b64 v0, v[2:3], v[4:5] offset1:1
	s_waitcnt vmcnt(0)
	scratch_store_dwordx4 off, v[6:9], s23
	scratch_store_dwordx4 off, v[2:5], s0
.LBB83_144:
	;; [unrolled: 33-line block ×8, first 2 shown]
	v_mov_b32_e32 v1, 0
	global_load_dword v2, v1, s[12:13] offset:4
	s_waitcnt vmcnt(0)
	v_readfirstlane_b32 s0, v2
	s_add_i32 s0, s0, -1
	s_cmp_eq_u32 s0, 1
	s_cbranch_scc1 .LBB83_170
; %bb.169:
	s_lshl_b32 s0, s0, 4
	scratch_load_dwordx4 v[2:5], off, s37
	scratch_load_dwordx4 v[6:9], off, s0
	s_waitcnt vmcnt(1)
	ds_write2_b64 v0, v[2:3], v[4:5] offset1:1
	s_waitcnt vmcnt(0)
	scratch_store_dwordx4 off, v[6:9], s37
	scratch_store_dwordx4 off, v[2:5], s0
.LBB83_170:
	global_load_dword v1, v1, s[12:13]
	s_waitcnt vmcnt(0)
	v_readfirstlane_b32 s0, v1
	s_add_i32 s0, s0, -1
	s_cmp_eq_u32 s0, 0
	s_cbranch_scc1 .LBB83_172
; %bb.171:
	s_lshl_b32 s0, s0, 4
	scratch_load_dwordx4 v[2:5], off, off
	scratch_load_dwordx4 v[6:9], off, s0
	s_waitcnt vmcnt(1)
	ds_write2_b64 v0, v[2:3], v[4:5] offset1:1
	s_waitcnt vmcnt(0)
	scratch_store_dwordx4 off, v[6:9], off
	scratch_store_dwordx4 off, v[2:5], s0
.LBB83_172:
	scratch_load_dwordx4 v[0:3], off, off
	s_waitcnt vmcnt(0)
	flat_store_dwordx4 v[54:55], v[0:3]
	scratch_load_dwordx4 v[0:3], off, s37
	s_waitcnt vmcnt(0)
	flat_store_dwordx4 v[56:57], v[0:3]
	scratch_load_dwordx4 v[0:3], off, s36
	;; [unrolled: 3-line block ×19, first 2 shown]
	s_waitcnt vmcnt(0)
	flat_store_dwordx4 v[92:93], v[0:3]
	s_endpgm
	.section	.rodata,"a",@progbits
	.p2align	6, 0x0
	.amdhsa_kernel _ZN9rocsolver6v33100L18getri_kernel_smallILi20E19rocblas_complex_numIdEPKPS3_EEvT1_iilPiilS8_bb
		.amdhsa_group_segment_fixed_size 1672
		.amdhsa_private_segment_fixed_size 336
		.amdhsa_kernarg_size 60
		.amdhsa_user_sgpr_count 4
		.amdhsa_user_sgpr_dispatch_ptr 1
		.amdhsa_user_sgpr_queue_ptr 0
		.amdhsa_user_sgpr_kernarg_segment_ptr 1
		.amdhsa_user_sgpr_dispatch_id 0
		.amdhsa_user_sgpr_kernarg_preload_length 0
		.amdhsa_user_sgpr_kernarg_preload_offset 0
		.amdhsa_user_sgpr_private_segment_size 0
		.amdhsa_uses_dynamic_stack 0
		.amdhsa_enable_private_segment 1
		.amdhsa_system_sgpr_workgroup_id_x 1
		.amdhsa_system_sgpr_workgroup_id_y 0
		.amdhsa_system_sgpr_workgroup_id_z 0
		.amdhsa_system_sgpr_workgroup_info 0
		.amdhsa_system_vgpr_workitem_id 2
		.amdhsa_next_free_vgpr 238
		.amdhsa_next_free_sgpr 42
		.amdhsa_accum_offset 240
		.amdhsa_reserve_vcc 1
		.amdhsa_float_round_mode_32 0
		.amdhsa_float_round_mode_16_64 0
		.amdhsa_float_denorm_mode_32 3
		.amdhsa_float_denorm_mode_16_64 3
		.amdhsa_dx10_clamp 1
		.amdhsa_ieee_mode 1
		.amdhsa_fp16_overflow 0
		.amdhsa_tg_split 0
		.amdhsa_exception_fp_ieee_invalid_op 0
		.amdhsa_exception_fp_denorm_src 0
		.amdhsa_exception_fp_ieee_div_zero 0
		.amdhsa_exception_fp_ieee_overflow 0
		.amdhsa_exception_fp_ieee_underflow 0
		.amdhsa_exception_fp_ieee_inexact 0
		.amdhsa_exception_int_div_zero 0
	.end_amdhsa_kernel
	.section	.text._ZN9rocsolver6v33100L18getri_kernel_smallILi20E19rocblas_complex_numIdEPKPS3_EEvT1_iilPiilS8_bb,"axG",@progbits,_ZN9rocsolver6v33100L18getri_kernel_smallILi20E19rocblas_complex_numIdEPKPS3_EEvT1_iilPiilS8_bb,comdat
.Lfunc_end83:
	.size	_ZN9rocsolver6v33100L18getri_kernel_smallILi20E19rocblas_complex_numIdEPKPS3_EEvT1_iilPiilS8_bb, .Lfunc_end83-_ZN9rocsolver6v33100L18getri_kernel_smallILi20E19rocblas_complex_numIdEPKPS3_EEvT1_iilPiilS8_bb
                                        ; -- End function
	.set _ZN9rocsolver6v33100L18getri_kernel_smallILi20E19rocblas_complex_numIdEPKPS3_EEvT1_iilPiilS8_bb.num_vgpr, 238
	.set _ZN9rocsolver6v33100L18getri_kernel_smallILi20E19rocblas_complex_numIdEPKPS3_EEvT1_iilPiilS8_bb.num_agpr, 0
	.set _ZN9rocsolver6v33100L18getri_kernel_smallILi20E19rocblas_complex_numIdEPKPS3_EEvT1_iilPiilS8_bb.numbered_sgpr, 42
	.set _ZN9rocsolver6v33100L18getri_kernel_smallILi20E19rocblas_complex_numIdEPKPS3_EEvT1_iilPiilS8_bb.num_named_barrier, 0
	.set _ZN9rocsolver6v33100L18getri_kernel_smallILi20E19rocblas_complex_numIdEPKPS3_EEvT1_iilPiilS8_bb.private_seg_size, 336
	.set _ZN9rocsolver6v33100L18getri_kernel_smallILi20E19rocblas_complex_numIdEPKPS3_EEvT1_iilPiilS8_bb.uses_vcc, 1
	.set _ZN9rocsolver6v33100L18getri_kernel_smallILi20E19rocblas_complex_numIdEPKPS3_EEvT1_iilPiilS8_bb.uses_flat_scratch, 0
	.set _ZN9rocsolver6v33100L18getri_kernel_smallILi20E19rocblas_complex_numIdEPKPS3_EEvT1_iilPiilS8_bb.has_dyn_sized_stack, 0
	.set _ZN9rocsolver6v33100L18getri_kernel_smallILi20E19rocblas_complex_numIdEPKPS3_EEvT1_iilPiilS8_bb.has_recursion, 0
	.set _ZN9rocsolver6v33100L18getri_kernel_smallILi20E19rocblas_complex_numIdEPKPS3_EEvT1_iilPiilS8_bb.has_indirect_call, 0
	.section	.AMDGPU.csdata,"",@progbits
; Kernel info:
; codeLenInByte = 21948
; TotalNumSgprs: 48
; NumVgprs: 238
; NumAgprs: 0
; TotalNumVgprs: 238
; ScratchSize: 336
; MemoryBound: 0
; FloatMode: 240
; IeeeMode: 1
; LDSByteSize: 1672 bytes/workgroup (compile time only)
; SGPRBlocks: 5
; VGPRBlocks: 29
; NumSGPRsForWavesPerEU: 48
; NumVGPRsForWavesPerEU: 238
; AccumOffset: 240
; Occupancy: 2
; WaveLimiterHint : 1
; COMPUTE_PGM_RSRC2:SCRATCH_EN: 1
; COMPUTE_PGM_RSRC2:USER_SGPR: 4
; COMPUTE_PGM_RSRC2:TRAP_HANDLER: 0
; COMPUTE_PGM_RSRC2:TGID_X_EN: 1
; COMPUTE_PGM_RSRC2:TGID_Y_EN: 0
; COMPUTE_PGM_RSRC2:TGID_Z_EN: 0
; COMPUTE_PGM_RSRC2:TIDIG_COMP_CNT: 2
; COMPUTE_PGM_RSRC3_GFX90A:ACCUM_OFFSET: 59
; COMPUTE_PGM_RSRC3_GFX90A:TG_SPLIT: 0
	.section	.text._ZN9rocsolver6v33100L18getri_kernel_smallILi21E19rocblas_complex_numIdEPKPS3_EEvT1_iilPiilS8_bb,"axG",@progbits,_ZN9rocsolver6v33100L18getri_kernel_smallILi21E19rocblas_complex_numIdEPKPS3_EEvT1_iilPiilS8_bb,comdat
	.globl	_ZN9rocsolver6v33100L18getri_kernel_smallILi21E19rocblas_complex_numIdEPKPS3_EEvT1_iilPiilS8_bb ; -- Begin function _ZN9rocsolver6v33100L18getri_kernel_smallILi21E19rocblas_complex_numIdEPKPS3_EEvT1_iilPiilS8_bb
	.p2align	8
	.type	_ZN9rocsolver6v33100L18getri_kernel_smallILi21E19rocblas_complex_numIdEPKPS3_EEvT1_iilPiilS8_bb,@function
_ZN9rocsolver6v33100L18getri_kernel_smallILi21E19rocblas_complex_numIdEPKPS3_EEvT1_iilPiilS8_bb: ; @_ZN9rocsolver6v33100L18getri_kernel_smallILi21E19rocblas_complex_numIdEPKPS3_EEvT1_iilPiilS8_bb
; %bb.0:
	v_and_b32_e32 v1, 0x3ff, v0
	v_cmp_gt_u32_e32 vcc, 21, v1
	s_and_saveexec_b64 s[6:7], vcc
	s_cbranch_execz .LBB84_98
; %bb.1:
	s_load_dword s18, s[2:3], 0x38
	s_load_dwordx2 s[6:7], s[2:3], 0x0
	s_load_dwordx4 s[8:11], s[2:3], 0x28
	s_waitcnt lgkmcnt(0)
	s_bitcmp1_b32 s18, 8
	s_cselect_b64 s[14:15], -1, 0
	s_ashr_i32 s5, s4, 31
	s_lshl_b64 s[12:13], s[4:5], 3
	s_add_u32 s6, s6, s12
	s_addc_u32 s7, s7, s13
	s_load_dwordx2 s[16:17], s[6:7], 0x0
	s_bfe_u32 s6, s18, 0x10008
	s_cmp_eq_u32 s6, 0
                                        ; implicit-def: $sgpr12_sgpr13
	s_cbranch_scc1 .LBB84_3
; %bb.2:
	s_load_dword s6, s[2:3], 0x20
	s_load_dwordx2 s[12:13], s[2:3], 0x18
	s_mul_i32 s7, s8, s5
	s_mul_hi_u32 s18, s8, s4
	s_add_i32 s18, s18, s7
	s_mul_i32 s9, s9, s4
	s_add_i32 s9, s18, s9
	s_mul_i32 s8, s8, s4
	s_waitcnt lgkmcnt(0)
	s_ashr_i32 s7, s6, 31
	s_lshl_b64 s[8:9], s[8:9], 2
	s_add_u32 s8, s12, s8
	s_addc_u32 s9, s13, s9
	s_lshl_b64 s[6:7], s[6:7], 2
	s_add_u32 s12, s8, s6
	s_addc_u32 s13, s9, s7
.LBB84_3:
	s_load_dwordx2 s[6:7], s[2:3], 0x8
	s_load_dword s8, s[2:3], 0x38
	v_lshlrev_b32_e32 v14, 4, v1
	v_mov_b32_e32 v15, 0
	s_movk_i32 s39, 0x110
	s_waitcnt lgkmcnt(0)
	s_ashr_i32 s3, s6, 31
	s_mov_b32 s2, s6
	s_lshl_b64 s[2:3], s[2:3], 4
	s_add_u32 s2, s16, s2
	s_addc_u32 s3, s17, s3
	v_lshl_add_u64 v[64:65], s[2:3], 0, v[14:15]
	flat_load_dwordx4 v[2:5], v[64:65]
	s_mov_b32 s16, s7
	s_ashr_i32 s17, s7, 31
	v_lshl_add_u64 v[66:67], s[16:17], 4, v[64:65]
	s_add_i32 s6, s7, s7
	v_add_u32_e32 v6, s6, v1
	v_ashrrev_i32_e32 v7, 31, v6
	v_lshl_add_u64 v[68:69], v[6:7], 4, s[2:3]
	v_add_u32_e32 v6, s7, v6
	v_ashrrev_i32_e32 v7, 31, v6
	v_lshl_add_u64 v[70:71], v[6:7], 4, s[2:3]
	;; [unrolled: 3-line block ×19, first 2 shown]
	s_movk_i32 s40, 0x120
	s_movk_i32 s41, 0x130
	;; [unrolled: 1-line block ×15, first 2 shown]
	s_mov_b32 s38, 16
	s_mov_b32 s37, 32
	;; [unrolled: 1-line block ×3, first 2 shown]
	s_waitcnt vmcnt(0) lgkmcnt(0)
	scratch_store_dwordx4 off, v[2:5], off
	flat_load_dwordx4 v[2:5], v[66:67]
	s_mov_b32 s35, 64
	s_mov_b32 s21, s39
	;; [unrolled: 1-line block ×5, first 2 shown]
	s_bitcmp0_b32 s8, 0
	s_mov_b64 s[6:7], -1
	s_waitcnt vmcnt(0) lgkmcnt(0)
	scratch_store_dwordx4 off, v[2:5], off offset:16
	flat_load_dwordx4 v[2:5], v[68:69]
	s_waitcnt vmcnt(0) lgkmcnt(0)
	scratch_store_dwordx4 off, v[2:5], off offset:32
	flat_load_dwordx4 v[2:5], v[70:71]
	;; [unrolled: 3-line block ×19, first 2 shown]
	s_waitcnt vmcnt(0) lgkmcnt(0)
	scratch_store_dwordx4 off, v[2:5], off offset:320
	s_cbranch_scc1 .LBB84_96
; %bb.4:
	v_cmp_eq_u32_e64 s[2:3], 0, v1
	s_and_saveexec_b64 s[6:7], s[2:3]
; %bb.5:
	v_mov_b32_e32 v2, 0
	ds_write_b32 v2, v2 offset:672
; %bb.6:
	s_or_b64 exec, exec, s[6:7]
	s_waitcnt lgkmcnt(0)
	; wave barrier
	scratch_load_dwordx4 v[2:5], v14, off
	s_waitcnt vmcnt(0)
	v_cmp_eq_f64_e32 vcc, 0, v[2:3]
	v_cmp_eq_f64_e64 s[6:7], 0, v[4:5]
	s_and_b64 s[6:7], vcc, s[6:7]
	s_and_saveexec_b64 s[8:9], s[6:7]
	s_cbranch_execz .LBB84_10
; %bb.7:
	v_mov_b32_e32 v2, 0
	ds_read_b32 v4, v2 offset:672
	v_add_u32_e32 v3, 1, v1
	s_waitcnt lgkmcnt(0)
	v_readfirstlane_b32 s6, v4
	s_cmp_eq_u32 s6, 0
	s_cselect_b64 s[16:17], -1, 0
	v_cmp_gt_i32_e32 vcc, s6, v3
	s_or_b64 s[16:17], s[16:17], vcc
	s_and_b64 exec, exec, s[16:17]
	s_cbranch_execz .LBB84_10
; %bb.8:
	s_mov_b64 s[16:17], 0
	v_mov_b32_e32 v4, s6
.LBB84_9:                               ; =>This Inner Loop Header: Depth=1
	ds_cmpst_rtn_b32 v4, v2, v4, v3 offset:672
	s_waitcnt lgkmcnt(0)
	v_cmp_ne_u32_e32 vcc, 0, v4
	v_cmp_le_i32_e64 s[6:7], v4, v3
	s_and_b64 s[6:7], vcc, s[6:7]
	s_and_b64 s[6:7], exec, s[6:7]
	s_or_b64 s[16:17], s[6:7], s[16:17]
	s_andn2_b64 exec, exec, s[16:17]
	s_cbranch_execnz .LBB84_9
.LBB84_10:
	s_or_b64 exec, exec, s[8:9]
	v_mov_b32_e32 v3, 0
	; wave barrier
	ds_read_b32 v2, v3 offset:672
	s_and_saveexec_b64 s[6:7], s[2:3]
	s_cbranch_execz .LBB84_12
; %bb.11:
	s_lshl_b64 s[8:9], s[4:5], 2
	s_add_u32 s8, s10, s8
	s_addc_u32 s9, s11, s9
	s_waitcnt lgkmcnt(0)
	global_store_dword v3, v2, s[8:9]
.LBB84_12:
	s_or_b64 exec, exec, s[6:7]
	s_waitcnt lgkmcnt(0)
	v_cmp_ne_u32_e32 vcc, 0, v2
	s_mov_b64 s[6:7], 0
	s_cbranch_vccnz .LBB84_96
; %bb.13:
	v_mov_b32_e32 v15, v14
	scratch_load_dwordx4 v[2:5], v15, off
                                        ; implicit-def: $vgpr6_vgpr7
                                        ; implicit-def: $vgpr10_vgpr11
	s_waitcnt vmcnt(0)
	v_cmp_ngt_f64_e64 s[6:7], |v[2:3]|, |v[4:5]|
	s_and_saveexec_b64 s[8:9], s[6:7]
	s_xor_b64 s[6:7], exec, s[8:9]
	s_cbranch_execz .LBB84_15
; %bb.14:
	v_div_scale_f64 v[6:7], s[8:9], v[4:5], v[4:5], v[2:3]
	v_rcp_f64_e32 v[8:9], v[6:7]
	v_div_scale_f64 v[10:11], vcc, v[2:3], v[4:5], v[2:3]
	v_fma_f64 v[12:13], -v[6:7], v[8:9], 1.0
	v_fmac_f64_e32 v[8:9], v[8:9], v[12:13]
	v_fma_f64 v[12:13], -v[6:7], v[8:9], 1.0
	v_fmac_f64_e32 v[8:9], v[8:9], v[12:13]
	v_mul_f64 v[12:13], v[10:11], v[8:9]
	v_fma_f64 v[6:7], -v[6:7], v[12:13], v[10:11]
	v_div_fmas_f64 v[6:7], v[6:7], v[8:9], v[12:13]
	v_div_fixup_f64 v[6:7], v[6:7], v[4:5], v[2:3]
	v_fmac_f64_e32 v[4:5], v[2:3], v[6:7]
	v_div_scale_f64 v[2:3], s[8:9], v[4:5], v[4:5], 1.0
	v_rcp_f64_e32 v[8:9], v[2:3]
	s_nop 0
	v_fma_f64 v[10:11], -v[2:3], v[8:9], 1.0
	v_fmac_f64_e32 v[8:9], v[8:9], v[10:11]
	v_fma_f64 v[10:11], -v[2:3], v[8:9], 1.0
	v_fmac_f64_e32 v[8:9], v[8:9], v[10:11]
	v_div_scale_f64 v[10:11], vcc, 1.0, v[4:5], 1.0
	v_mul_f64 v[12:13], v[10:11], v[8:9]
	v_fma_f64 v[2:3], -v[2:3], v[12:13], v[10:11]
	s_nop 1
	v_div_fmas_f64 v[2:3], v[2:3], v[8:9], v[12:13]
	v_div_fixup_f64 v[8:9], v[2:3], v[4:5], 1.0
	v_mul_f64 v[6:7], v[6:7], v[8:9]
	v_xor_b32_e32 v9, 0x80000000, v9
	v_xor_b32_e32 v11, 0x80000000, v7
	v_mov_b32_e32 v10, v6
                                        ; implicit-def: $vgpr2_vgpr3
.LBB84_15:
	s_andn2_saveexec_b64 s[6:7], s[6:7]
	s_cbranch_execz .LBB84_17
; %bb.16:
	v_div_scale_f64 v[6:7], s[8:9], v[2:3], v[2:3], v[4:5]
	v_rcp_f64_e32 v[8:9], v[6:7]
	v_div_scale_f64 v[10:11], vcc, v[4:5], v[2:3], v[4:5]
	v_fma_f64 v[12:13], -v[6:7], v[8:9], 1.0
	v_fmac_f64_e32 v[8:9], v[8:9], v[12:13]
	v_fma_f64 v[12:13], -v[6:7], v[8:9], 1.0
	v_fmac_f64_e32 v[8:9], v[8:9], v[12:13]
	v_mul_f64 v[12:13], v[10:11], v[8:9]
	v_fma_f64 v[6:7], -v[6:7], v[12:13], v[10:11]
	v_div_fmas_f64 v[6:7], v[6:7], v[8:9], v[12:13]
	v_div_fixup_f64 v[8:9], v[6:7], v[2:3], v[4:5]
	v_fmac_f64_e32 v[2:3], v[4:5], v[8:9]
	v_div_scale_f64 v[4:5], s[8:9], v[2:3], v[2:3], 1.0
	v_rcp_f64_e32 v[6:7], v[4:5]
	s_nop 0
	v_fma_f64 v[10:11], -v[4:5], v[6:7], 1.0
	v_fmac_f64_e32 v[6:7], v[6:7], v[10:11]
	v_fma_f64 v[10:11], -v[4:5], v[6:7], 1.0
	v_fmac_f64_e32 v[6:7], v[6:7], v[10:11]
	v_div_scale_f64 v[10:11], vcc, 1.0, v[2:3], 1.0
	v_mul_f64 v[12:13], v[10:11], v[6:7]
	v_fma_f64 v[4:5], -v[4:5], v[12:13], v[10:11]
	s_nop 1
	v_div_fmas_f64 v[4:5], v[4:5], v[6:7], v[12:13]
	v_div_fixup_f64 v[6:7], v[4:5], v[2:3], 1.0
	v_xor_b32_e32 v11, 0x80000000, v7
	v_mov_b32_e32 v10, v6
	v_mul_f64 v[8:9], v[8:9], -v[6:7]
.LBB84_17:
	s_or_b64 exec, exec, s[6:7]
	scratch_store_dwordx4 v15, v[6:9], off
	scratch_load_dwordx4 v[2:5], off, s38
	v_xor_b32_e32 v13, 0x80000000, v9
	v_mov_b32_e32 v12, v8
	v_add_u32_e32 v6, 0x150, v14
	ds_write_b128 v14, v[10:13]
	s_waitcnt vmcnt(0)
	ds_write_b128 v14, v[2:5] offset:336
	s_waitcnt lgkmcnt(0)
	; wave barrier
	s_and_saveexec_b64 s[6:7], s[2:3]
	s_cbranch_execz .LBB84_19
; %bb.18:
	scratch_load_dwordx4 v[2:5], v15, off
	ds_read_b128 v[8:11], v6
	v_mov_b32_e32 v7, 0
	ds_read_b128 v[16:19], v7 offset:16
	s_waitcnt vmcnt(0) lgkmcnt(1)
	v_mul_f64 v[12:13], v[10:11], v[4:5]
	v_mul_f64 v[4:5], v[8:9], v[4:5]
	v_fma_f64 v[8:9], v[8:9], v[2:3], -v[12:13]
	v_fmac_f64_e32 v[4:5], v[10:11], v[2:3]
	v_add_f64 v[2:3], v[8:9], 0
	v_add_f64 v[8:9], v[4:5], 0
	s_waitcnt lgkmcnt(0)
	v_mul_f64 v[10:11], v[8:9], v[18:19]
	v_mul_f64 v[4:5], v[2:3], v[18:19]
	v_fma_f64 v[2:3], v[2:3], v[16:17], -v[10:11]
	v_fmac_f64_e32 v[4:5], v[8:9], v[16:17]
	scratch_store_dwordx4 off, v[2:5], off offset:16
.LBB84_19:
	s_or_b64 exec, exec, s[6:7]
	; wave barrier
	scratch_load_dwordx4 v[2:5], off, s37
	v_cmp_gt_u32_e32 vcc, 2, v1
	s_waitcnt vmcnt(0)
	ds_write_b128 v6, v[2:5]
	s_waitcnt lgkmcnt(0)
	; wave barrier
	s_and_saveexec_b64 s[6:7], vcc
	s_cbranch_execz .LBB84_23
; %bb.20:
	scratch_load_dwordx4 v[2:5], v15, off
	ds_read_b128 v[8:11], v6
	s_waitcnt vmcnt(0) lgkmcnt(0)
	v_mul_f64 v[12:13], v[10:11], v[4:5]
	v_mul_f64 v[16:17], v[8:9], v[4:5]
	v_fma_f64 v[4:5], v[8:9], v[2:3], -v[12:13]
	v_fmac_f64_e32 v[16:17], v[10:11], v[2:3]
	v_add_f64 v[4:5], v[4:5], 0
	v_add_f64 v[2:3], v[16:17], 0
	s_and_saveexec_b64 s[8:9], s[2:3]
	s_cbranch_execz .LBB84_22
; %bb.21:
	scratch_load_dwordx4 v[8:11], off, off offset:16
	v_mov_b32_e32 v7, 0
	ds_read_b128 v[16:19], v7 offset:352
	s_waitcnt vmcnt(0) lgkmcnt(0)
	v_mul_f64 v[12:13], v[16:17], v[10:11]
	v_mul_f64 v[10:11], v[18:19], v[10:11]
	v_fmac_f64_e32 v[12:13], v[18:19], v[8:9]
	v_fma_f64 v[8:9], v[16:17], v[8:9], -v[10:11]
	v_add_f64 v[2:3], v[2:3], v[12:13]
	v_add_f64 v[4:5], v[4:5], v[8:9]
.LBB84_22:
	s_or_b64 exec, exec, s[8:9]
	v_mov_b32_e32 v7, 0
	ds_read_b128 v[8:11], v7 offset:32
	s_waitcnt lgkmcnt(0)
	v_mul_f64 v[16:17], v[2:3], v[10:11]
	v_mul_f64 v[12:13], v[4:5], v[10:11]
	v_fma_f64 v[10:11], v[4:5], v[8:9], -v[16:17]
	v_fmac_f64_e32 v[12:13], v[2:3], v[8:9]
	scratch_store_dwordx4 off, v[10:13], off offset:32
.LBB84_23:
	s_or_b64 exec, exec, s[6:7]
	; wave barrier
	scratch_load_dwordx4 v[2:5], off, s36
	v_cmp_gt_u32_e32 vcc, 3, v1
	v_add_u32_e32 v7, -1, v1
	s_waitcnt vmcnt(0)
	ds_write_b128 v6, v[2:5]
	s_waitcnt lgkmcnt(0)
	; wave barrier
	s_and_saveexec_b64 s[2:3], vcc
	s_cbranch_execz .LBB84_27
; %bb.24:
	v_add_u32_e32 v8, -1, v1
	v_add_u32_e32 v9, 0x150, v14
	v_mov_b32_e32 v10, v14
	v_mov_b64_e32 v[2:3], 0
	s_mov_b64 s[6:7], 0
	v_mov_b64_e32 v[4:5], 0
.LBB84_25:                              ; =>This Inner Loop Header: Depth=1
	scratch_load_dwordx4 v[16:19], v10, off
	ds_read_b128 v[20:23], v9
	v_add_u32_e32 v8, 1, v8
	v_cmp_lt_u32_e32 vcc, 1, v8
	v_add_u32_e32 v9, 16, v9
	v_add_u32_e32 v10, 16, v10
	s_or_b64 s[6:7], vcc, s[6:7]
	s_waitcnt vmcnt(0) lgkmcnt(0)
	v_mul_f64 v[12:13], v[22:23], v[18:19]
	v_mul_f64 v[18:19], v[20:21], v[18:19]
	v_fma_f64 v[12:13], v[20:21], v[16:17], -v[12:13]
	v_fmac_f64_e32 v[18:19], v[22:23], v[16:17]
	v_add_f64 v[4:5], v[4:5], v[12:13]
	v_add_f64 v[2:3], v[2:3], v[18:19]
	s_andn2_b64 exec, exec, s[6:7]
	s_cbranch_execnz .LBB84_25
; %bb.26:
	s_or_b64 exec, exec, s[6:7]
	v_mov_b32_e32 v8, 0
	ds_read_b128 v[8:11], v8 offset:48
	s_waitcnt lgkmcnt(0)
	v_mul_f64 v[16:17], v[2:3], v[10:11]
	v_mul_f64 v[12:13], v[4:5], v[10:11]
	v_fma_f64 v[10:11], v[4:5], v[8:9], -v[16:17]
	v_fmac_f64_e32 v[12:13], v[2:3], v[8:9]
	scratch_store_dwordx4 off, v[10:13], off offset:48
.LBB84_27:
	s_or_b64 exec, exec, s[2:3]
	; wave barrier
	scratch_load_dwordx4 v[2:5], off, s35
	v_cmp_gt_u32_e32 vcc, 4, v1
	s_waitcnt vmcnt(0)
	ds_write_b128 v6, v[2:5]
	s_waitcnt lgkmcnt(0)
	; wave barrier
	s_and_saveexec_b64 s[2:3], vcc
	s_cbranch_execz .LBB84_31
; %bb.28:
	v_add_u32_e32 v8, -1, v1
	v_add_u32_e32 v9, 0x150, v14
	v_mov_b32_e32 v10, v14
	v_mov_b64_e32 v[2:3], 0
	s_mov_b64 s[6:7], 0
	v_mov_b64_e32 v[4:5], 0
.LBB84_29:                              ; =>This Inner Loop Header: Depth=1
	scratch_load_dwordx4 v[16:19], v10, off
	ds_read_b128 v[20:23], v9
	v_add_u32_e32 v8, 1, v8
	v_cmp_lt_u32_e32 vcc, 2, v8
	v_add_u32_e32 v9, 16, v9
	v_add_u32_e32 v10, 16, v10
	s_or_b64 s[6:7], vcc, s[6:7]
	s_waitcnt vmcnt(0) lgkmcnt(0)
	v_mul_f64 v[12:13], v[22:23], v[18:19]
	v_mul_f64 v[18:19], v[20:21], v[18:19]
	v_fma_f64 v[12:13], v[20:21], v[16:17], -v[12:13]
	v_fmac_f64_e32 v[18:19], v[22:23], v[16:17]
	v_add_f64 v[4:5], v[4:5], v[12:13]
	v_add_f64 v[2:3], v[2:3], v[18:19]
	s_andn2_b64 exec, exec, s[6:7]
	s_cbranch_execnz .LBB84_29
; %bb.30:
	s_or_b64 exec, exec, s[6:7]
	v_mov_b32_e32 v8, 0
	ds_read_b128 v[8:11], v8 offset:64
	s_waitcnt lgkmcnt(0)
	v_mul_f64 v[16:17], v[2:3], v[10:11]
	v_mul_f64 v[12:13], v[4:5], v[10:11]
	v_fma_f64 v[10:11], v[4:5], v[8:9], -v[16:17]
	v_fmac_f64_e32 v[12:13], v[2:3], v[8:9]
	scratch_store_dwordx4 off, v[10:13], off offset:64
.LBB84_31:
	s_or_b64 exec, exec, s[2:3]
	; wave barrier
	scratch_load_dwordx4 v[2:5], off, s34
	v_cmp_gt_u32_e32 vcc, 5, v1
	;; [unrolled: 45-line block ×16, first 2 shown]
	s_waitcnt vmcnt(0)
	ds_write_b128 v6, v[2:5]
	s_waitcnt lgkmcnt(0)
	; wave barrier
	s_and_saveexec_b64 s[2:3], vcc
	s_cbranch_execz .LBB84_91
; %bb.88:
	v_add_u32_e32 v8, -1, v1
	v_add_u32_e32 v9, 0x150, v14
	v_mov_b32_e32 v10, v14
	v_mov_b64_e32 v[2:3], 0
	s_mov_b64 s[6:7], 0
	v_mov_b64_e32 v[4:5], 0
.LBB84_89:                              ; =>This Inner Loop Header: Depth=1
	scratch_load_dwordx4 v[16:19], v10, off
	ds_read_b128 v[20:23], v9
	v_add_u32_e32 v8, 1, v8
	v_cmp_lt_u32_e32 vcc, 17, v8
	v_add_u32_e32 v9, 16, v9
	v_add_u32_e32 v10, 16, v10
	s_or_b64 s[6:7], vcc, s[6:7]
	s_waitcnt vmcnt(0) lgkmcnt(0)
	v_mul_f64 v[12:13], v[22:23], v[18:19]
	v_mul_f64 v[18:19], v[20:21], v[18:19]
	v_fma_f64 v[12:13], v[20:21], v[16:17], -v[12:13]
	v_fmac_f64_e32 v[18:19], v[22:23], v[16:17]
	v_add_f64 v[4:5], v[4:5], v[12:13]
	v_add_f64 v[2:3], v[2:3], v[18:19]
	s_andn2_b64 exec, exec, s[6:7]
	s_cbranch_execnz .LBB84_89
; %bb.90:
	s_or_b64 exec, exec, s[6:7]
	v_mov_b32_e32 v8, 0
	ds_read_b128 v[8:11], v8 offset:304
	s_waitcnt lgkmcnt(0)
	v_mul_f64 v[16:17], v[2:3], v[10:11]
	v_mul_f64 v[12:13], v[4:5], v[10:11]
	v_fma_f64 v[10:11], v[4:5], v[8:9], -v[16:17]
	v_fmac_f64_e32 v[12:13], v[2:3], v[8:9]
	scratch_store_dwordx4 off, v[10:13], off offset:304
.LBB84_91:
	s_or_b64 exec, exec, s[2:3]
	; wave barrier
	scratch_load_dwordx4 v[2:5], off, s18
	v_cmp_ne_u32_e32 vcc, 20, v1
	s_waitcnt vmcnt(0)
	ds_write_b128 v6, v[2:5]
	s_waitcnt lgkmcnt(0)
	; wave barrier
	s_and_saveexec_b64 s[2:3], vcc
	s_cbranch_execz .LBB84_95
; %bb.92:
	v_add_u32_e32 v6, 0x150, v14
	v_mov_b32_e32 v8, v14
	v_mov_b64_e32 v[2:3], 0
	s_mov_b64 s[6:7], 0
	v_mov_b64_e32 v[4:5], 0
.LBB84_93:                              ; =>This Inner Loop Header: Depth=1
	scratch_load_dwordx4 v[10:13], v8, off
	ds_read_b128 v[14:17], v6
	v_add_u32_e32 v7, 1, v7
	v_cmp_lt_u32_e32 vcc, 18, v7
	v_add_u32_e32 v6, 16, v6
	v_add_u32_e32 v8, 16, v8
	s_or_b64 s[6:7], vcc, s[6:7]
	s_waitcnt vmcnt(0) lgkmcnt(0)
	v_mul_f64 v[18:19], v[16:17], v[12:13]
	v_mul_f64 v[12:13], v[14:15], v[12:13]
	v_fma_f64 v[14:15], v[14:15], v[10:11], -v[18:19]
	v_fmac_f64_e32 v[12:13], v[16:17], v[10:11]
	v_add_f64 v[4:5], v[4:5], v[14:15]
	v_add_f64 v[2:3], v[2:3], v[12:13]
	s_andn2_b64 exec, exec, s[6:7]
	s_cbranch_execnz .LBB84_93
; %bb.94:
	s_or_b64 exec, exec, s[6:7]
	v_mov_b32_e32 v6, 0
	ds_read_b128 v[6:9], v6 offset:320
	s_waitcnt lgkmcnt(0)
	v_mul_f64 v[12:13], v[2:3], v[8:9]
	v_mul_f64 v[10:11], v[4:5], v[8:9]
	v_fma_f64 v[8:9], v[4:5], v[6:7], -v[12:13]
	v_fmac_f64_e32 v[10:11], v[2:3], v[6:7]
	scratch_store_dwordx4 off, v[8:11], off offset:320
.LBB84_95:
	s_or_b64 exec, exec, s[2:3]
	s_mov_b64 s[6:7], -1
	; wave barrier
.LBB84_96:
	s_and_b64 vcc, exec, s[6:7]
	s_cbranch_vccz .LBB84_98
; %bb.97:
	s_lshl_b64 s[2:3], s[4:5], 2
	s_add_u32 s2, s10, s2
	s_addc_u32 s3, s11, s3
	v_mov_b32_e32 v2, 0
	global_load_dword v2, v2, s[2:3]
	s_waitcnt vmcnt(0)
	v_cmp_ne_u32_e32 vcc, 0, v2
	s_cbranch_vccz .LBB84_99
.LBB84_98:
	s_endpgm
.LBB84_99:
	v_mov_b32_e32 v2, 0x150
	v_lshl_add_u32 v56, v1, 4, v2
	v_cmp_eq_u32_e32 vcc, 20, v1
	s_and_saveexec_b64 s[2:3], vcc
	s_cbranch_execz .LBB84_101
; %bb.100:
	scratch_load_dwordx4 v[2:5], off, s19
	v_mov_b32_e32 v6, 0
	v_mov_b32_e32 v7, v6
	;; [unrolled: 1-line block ×4, first 2 shown]
	scratch_store_dwordx4 off, v[6:9], off offset:304
	s_waitcnt vmcnt(1)
	ds_write_b128 v56, v[2:5]
.LBB84_101:
	s_or_b64 exec, exec, s[2:3]
	s_waitcnt lgkmcnt(0)
	; wave barrier
	scratch_load_dwordx4 v[4:7], off, off offset:320
	scratch_load_dwordx4 v[8:11], off, off offset:304
	v_mov_b32_e32 v2, 0
	ds_read_b128 v[12:15], v2 offset:656
	v_cmp_lt_u32_e32 vcc, 18, v1
	s_waitcnt vmcnt(1) lgkmcnt(0)
	v_mul_f64 v[16:17], v[12:13], v[6:7]
	v_mul_f64 v[6:7], v[14:15], v[6:7]
	v_fmac_f64_e32 v[16:17], v[14:15], v[4:5]
	v_fma_f64 v[4:5], v[12:13], v[4:5], -v[6:7]
	v_add_f64 v[6:7], v[16:17], 0
	v_add_f64 v[4:5], v[4:5], 0
	s_waitcnt vmcnt(0)
	v_add_f64 v[4:5], v[8:9], -v[4:5]
	v_add_f64 v[6:7], v[10:11], -v[6:7]
	scratch_store_dwordx4 off, v[4:7], off offset:304
	s_and_saveexec_b64 s[2:3], vcc
	s_cbranch_execz .LBB84_103
; %bb.102:
	scratch_load_dwordx4 v[6:9], off, s20
	v_mov_b32_e32 v3, v2
	v_mov_b32_e32 v4, v2
	;; [unrolled: 1-line block ×3, first 2 shown]
	scratch_store_dwordx4 off, v[2:5], off offset:288
	s_waitcnt vmcnt(1)
	ds_write_b128 v56, v[6:9]
.LBB84_103:
	s_or_b64 exec, exec, s[2:3]
	s_waitcnt lgkmcnt(0)
	; wave barrier
	scratch_load_dwordx4 v[4:7], off, off offset:304
	scratch_load_dwordx4 v[8:11], off, off offset:320
	;; [unrolled: 1-line block ×3, first 2 shown]
	ds_read_b128 v[16:19], v2 offset:640
	ds_read_b128 v[20:23], v2 offset:656
	v_cmp_lt_u32_e32 vcc, 17, v1
	s_waitcnt vmcnt(2) lgkmcnt(1)
	v_mul_f64 v[2:3], v[16:17], v[6:7]
	v_mul_f64 v[6:7], v[18:19], v[6:7]
	s_waitcnt vmcnt(1) lgkmcnt(0)
	v_mul_f64 v[24:25], v[20:21], v[10:11]
	v_mul_f64 v[10:11], v[22:23], v[10:11]
	v_fmac_f64_e32 v[2:3], v[18:19], v[4:5]
	v_fma_f64 v[4:5], v[16:17], v[4:5], -v[6:7]
	v_fmac_f64_e32 v[24:25], v[22:23], v[8:9]
	v_fma_f64 v[6:7], v[20:21], v[8:9], -v[10:11]
	v_add_f64 v[2:3], v[2:3], 0
	v_add_f64 v[4:5], v[4:5], 0
	;; [unrolled: 1-line block ×4, first 2 shown]
	s_waitcnt vmcnt(0)
	v_add_f64 v[2:3], v[12:13], -v[2:3]
	v_add_f64 v[4:5], v[14:15], -v[8:9]
	scratch_store_dwordx4 off, v[2:5], off offset:288
	s_and_saveexec_b64 s[2:3], vcc
	s_cbranch_execz .LBB84_105
; %bb.104:
	scratch_load_dwordx4 v[2:5], off, s21
	v_mov_b32_e32 v6, 0
	v_mov_b32_e32 v7, v6
	;; [unrolled: 1-line block ×4, first 2 shown]
	scratch_store_dwordx4 off, v[6:9], off offset:272
	s_waitcnt vmcnt(1)
	ds_write_b128 v56, v[2:5]
.LBB84_105:
	s_or_b64 exec, exec, s[2:3]
	s_waitcnt lgkmcnt(0)
	; wave barrier
	scratch_load_dwordx4 v[4:7], off, off offset:288
	scratch_load_dwordx4 v[8:11], off, off offset:304
	;; [unrolled: 1-line block ×4, first 2 shown]
	v_mov_b32_e32 v2, 0
	ds_read_b128 v[20:23], v2 offset:624
	ds_read_b128 v[24:27], v2 offset:640
	;; [unrolled: 1-line block ×3, first 2 shown]
	v_cmp_lt_u32_e32 vcc, 16, v1
	s_waitcnt vmcnt(3) lgkmcnt(2)
	v_mul_f64 v[32:33], v[20:21], v[6:7]
	v_mul_f64 v[6:7], v[22:23], v[6:7]
	s_waitcnt vmcnt(2) lgkmcnt(1)
	v_mul_f64 v[34:35], v[24:25], v[10:11]
	v_mul_f64 v[10:11], v[26:27], v[10:11]
	v_fmac_f64_e32 v[32:33], v[22:23], v[4:5]
	v_fma_f64 v[4:5], v[20:21], v[4:5], -v[6:7]
	s_waitcnt vmcnt(1) lgkmcnt(0)
	v_mul_f64 v[36:37], v[28:29], v[14:15]
	v_mul_f64 v[14:15], v[30:31], v[14:15]
	v_fmac_f64_e32 v[34:35], v[26:27], v[8:9]
	v_fma_f64 v[6:7], v[24:25], v[8:9], -v[10:11]
	v_add_f64 v[10:11], v[32:33], 0
	v_add_f64 v[4:5], v[4:5], 0
	v_fmac_f64_e32 v[36:37], v[30:31], v[12:13]
	v_fma_f64 v[8:9], v[28:29], v[12:13], -v[14:15]
	v_add_f64 v[10:11], v[10:11], v[34:35]
	v_add_f64 v[4:5], v[4:5], v[6:7]
	;; [unrolled: 1-line block ×4, first 2 shown]
	s_waitcnt vmcnt(0)
	v_add_f64 v[4:5], v[16:17], -v[4:5]
	v_add_f64 v[6:7], v[18:19], -v[6:7]
	scratch_store_dwordx4 off, v[4:7], off offset:272
	s_and_saveexec_b64 s[2:3], vcc
	s_cbranch_execz .LBB84_107
; %bb.106:
	scratch_load_dwordx4 v[6:9], off, s22
	v_mov_b32_e32 v3, v2
	v_mov_b32_e32 v4, v2
	;; [unrolled: 1-line block ×3, first 2 shown]
	scratch_store_dwordx4 off, v[2:5], off offset:256
	s_waitcnt vmcnt(1)
	ds_write_b128 v56, v[6:9]
.LBB84_107:
	s_or_b64 exec, exec, s[2:3]
	s_waitcnt lgkmcnt(0)
	; wave barrier
	scratch_load_dwordx4 v[4:7], off, off offset:272
	scratch_load_dwordx4 v[8:11], off, off offset:288
	scratch_load_dwordx4 v[12:15], off, off offset:304
	scratch_load_dwordx4 v[16:19], off, off offset:320
	scratch_load_dwordx4 v[20:23], off, off offset:256
	ds_read_b128 v[24:27], v2 offset:608
	ds_read_b128 v[28:31], v2 offset:624
	;; [unrolled: 1-line block ×4, first 2 shown]
	v_cmp_lt_u32_e32 vcc, 15, v1
	s_waitcnt vmcnt(4) lgkmcnt(3)
	v_mul_f64 v[2:3], v[24:25], v[6:7]
	v_mul_f64 v[6:7], v[26:27], v[6:7]
	s_waitcnt vmcnt(3) lgkmcnt(2)
	v_mul_f64 v[40:41], v[28:29], v[10:11]
	v_mul_f64 v[10:11], v[30:31], v[10:11]
	v_fmac_f64_e32 v[2:3], v[26:27], v[4:5]
	v_fma_f64 v[4:5], v[24:25], v[4:5], -v[6:7]
	s_waitcnt vmcnt(2) lgkmcnt(1)
	v_mul_f64 v[42:43], v[32:33], v[14:15]
	v_mul_f64 v[14:15], v[34:35], v[14:15]
	v_fmac_f64_e32 v[40:41], v[30:31], v[8:9]
	v_fma_f64 v[6:7], v[28:29], v[8:9], -v[10:11]
	v_add_f64 v[2:3], v[2:3], 0
	v_add_f64 v[4:5], v[4:5], 0
	s_waitcnt vmcnt(1) lgkmcnt(0)
	v_mul_f64 v[44:45], v[36:37], v[18:19]
	v_mul_f64 v[18:19], v[38:39], v[18:19]
	v_fmac_f64_e32 v[42:43], v[34:35], v[12:13]
	v_fma_f64 v[8:9], v[32:33], v[12:13], -v[14:15]
	v_add_f64 v[2:3], v[2:3], v[40:41]
	v_add_f64 v[4:5], v[4:5], v[6:7]
	v_fmac_f64_e32 v[44:45], v[38:39], v[16:17]
	v_fma_f64 v[10:11], v[36:37], v[16:17], -v[18:19]
	v_add_f64 v[2:3], v[2:3], v[42:43]
	v_add_f64 v[4:5], v[4:5], v[8:9]
	;; [unrolled: 1-line block ×4, first 2 shown]
	s_waitcnt vmcnt(0)
	v_add_f64 v[2:3], v[20:21], -v[2:3]
	v_add_f64 v[4:5], v[22:23], -v[6:7]
	scratch_store_dwordx4 off, v[2:5], off offset:256
	s_and_saveexec_b64 s[2:3], vcc
	s_cbranch_execz .LBB84_109
; %bb.108:
	scratch_load_dwordx4 v[2:5], off, s23
	v_mov_b32_e32 v6, 0
	v_mov_b32_e32 v7, v6
	;; [unrolled: 1-line block ×4, first 2 shown]
	scratch_store_dwordx4 off, v[6:9], off offset:240
	s_waitcnt vmcnt(1)
	ds_write_b128 v56, v[2:5]
.LBB84_109:
	s_or_b64 exec, exec, s[2:3]
	s_waitcnt lgkmcnt(0)
	; wave barrier
	scratch_load_dwordx4 v[4:7], off, off offset:256
	scratch_load_dwordx4 v[8:11], off, off offset:272
	;; [unrolled: 1-line block ×6, first 2 shown]
	v_mov_b32_e32 v2, 0
	ds_read_b128 v[28:31], v2 offset:592
	ds_read_b128 v[32:35], v2 offset:608
	ds_read_b128 v[36:39], v2 offset:624
	ds_read_b128 v[40:43], v2 offset:640
	ds_read_b128 v[44:47], v2 offset:656
	v_cmp_lt_u32_e32 vcc, 14, v1
	s_waitcnt vmcnt(5) lgkmcnt(4)
	v_mul_f64 v[48:49], v[28:29], v[6:7]
	v_mul_f64 v[6:7], v[30:31], v[6:7]
	s_waitcnt vmcnt(4) lgkmcnt(3)
	v_mul_f64 v[50:51], v[32:33], v[10:11]
	s_waitcnt vmcnt(3) lgkmcnt(2)
	v_mul_f64 v[52:53], v[36:37], v[14:15]
	v_mul_f64 v[10:11], v[34:35], v[10:11]
	;; [unrolled: 1-line block ×3, first 2 shown]
	v_fmac_f64_e32 v[48:49], v[30:31], v[4:5]
	v_fma_f64 v[4:5], v[28:29], v[4:5], -v[6:7]
	v_fmac_f64_e32 v[50:51], v[34:35], v[8:9]
	v_fma_f64 v[6:7], v[32:33], v[8:9], -v[10:11]
	v_fma_f64 v[8:9], v[36:37], v[12:13], -v[14:15]
	v_add_f64 v[14:15], v[48:49], 0
	v_add_f64 v[4:5], v[4:5], 0
	s_waitcnt vmcnt(2) lgkmcnt(1)
	v_mul_f64 v[54:55], v[40:41], v[18:19]
	v_mul_f64 v[18:19], v[42:43], v[18:19]
	v_fmac_f64_e32 v[52:53], v[38:39], v[12:13]
	v_add_f64 v[14:15], v[14:15], v[50:51]
	v_add_f64 v[4:5], v[4:5], v[6:7]
	s_waitcnt vmcnt(1) lgkmcnt(0)
	v_mul_f64 v[58:59], v[44:45], v[22:23]
	v_mul_f64 v[22:23], v[46:47], v[22:23]
	v_fmac_f64_e32 v[54:55], v[42:43], v[16:17]
	v_fma_f64 v[10:11], v[40:41], v[16:17], -v[18:19]
	v_add_f64 v[6:7], v[14:15], v[52:53]
	v_add_f64 v[4:5], v[4:5], v[8:9]
	v_fmac_f64_e32 v[58:59], v[46:47], v[20:21]
	v_fma_f64 v[12:13], v[44:45], v[20:21], -v[22:23]
	v_add_f64 v[6:7], v[6:7], v[54:55]
	v_add_f64 v[4:5], v[4:5], v[10:11]
	;; [unrolled: 1-line block ×4, first 2 shown]
	s_waitcnt vmcnt(0)
	v_add_f64 v[4:5], v[24:25], -v[4:5]
	v_add_f64 v[6:7], v[26:27], -v[6:7]
	scratch_store_dwordx4 off, v[4:7], off offset:240
	s_and_saveexec_b64 s[2:3], vcc
	s_cbranch_execz .LBB84_111
; %bb.110:
	scratch_load_dwordx4 v[6:9], off, s24
	v_mov_b32_e32 v3, v2
	v_mov_b32_e32 v4, v2
	v_mov_b32_e32 v5, v2
	scratch_store_dwordx4 off, v[2:5], off offset:224
	s_waitcnt vmcnt(1)
	ds_write_b128 v56, v[6:9]
.LBB84_111:
	s_or_b64 exec, exec, s[2:3]
	s_waitcnt lgkmcnt(0)
	; wave barrier
	scratch_load_dwordx4 v[4:7], off, off offset:240
	scratch_load_dwordx4 v[8:11], off, off offset:256
	;; [unrolled: 1-line block ×7, first 2 shown]
	ds_read_b128 v[32:35], v2 offset:576
	ds_read_b128 v[36:39], v2 offset:592
	;; [unrolled: 1-line block ×6, first 2 shown]
	v_cmp_lt_u32_e32 vcc, 13, v1
	s_waitcnt vmcnt(6) lgkmcnt(5)
	v_mul_f64 v[2:3], v[32:33], v[6:7]
	v_mul_f64 v[6:7], v[34:35], v[6:7]
	s_waitcnt vmcnt(5) lgkmcnt(4)
	v_mul_f64 v[58:59], v[36:37], v[10:11]
	v_mul_f64 v[10:11], v[38:39], v[10:11]
	v_fmac_f64_e32 v[2:3], v[34:35], v[4:5]
	v_fma_f64 v[4:5], v[32:33], v[4:5], -v[6:7]
	s_waitcnt vmcnt(4) lgkmcnt(3)
	v_mul_f64 v[60:61], v[40:41], v[14:15]
	v_mul_f64 v[14:15], v[42:43], v[14:15]
	v_fmac_f64_e32 v[58:59], v[38:39], v[8:9]
	v_fma_f64 v[6:7], v[36:37], v[8:9], -v[10:11]
	v_add_f64 v[2:3], v[2:3], 0
	v_add_f64 v[4:5], v[4:5], 0
	s_waitcnt vmcnt(3) lgkmcnt(2)
	v_mul_f64 v[62:63], v[44:45], v[18:19]
	v_mul_f64 v[18:19], v[46:47], v[18:19]
	v_fmac_f64_e32 v[60:61], v[42:43], v[12:13]
	v_fma_f64 v[8:9], v[40:41], v[12:13], -v[14:15]
	v_add_f64 v[2:3], v[2:3], v[58:59]
	v_add_f64 v[4:5], v[4:5], v[6:7]
	;; [unrolled: 7-line block ×4, first 2 shown]
	v_fmac_f64_e32 v[108:109], v[54:55], v[24:25]
	v_fma_f64 v[14:15], v[52:53], v[24:25], -v[26:27]
	v_add_f64 v[2:3], v[2:3], v[106:107]
	v_add_f64 v[4:5], v[4:5], v[12:13]
	;; [unrolled: 1-line block ×4, first 2 shown]
	s_waitcnt vmcnt(0)
	v_add_f64 v[2:3], v[28:29], -v[2:3]
	v_add_f64 v[4:5], v[30:31], -v[6:7]
	scratch_store_dwordx4 off, v[2:5], off offset:224
	s_and_saveexec_b64 s[2:3], vcc
	s_cbranch_execz .LBB84_113
; %bb.112:
	scratch_load_dwordx4 v[2:5], off, s25
	v_mov_b32_e32 v6, 0
	v_mov_b32_e32 v7, v6
	;; [unrolled: 1-line block ×4, first 2 shown]
	scratch_store_dwordx4 off, v[6:9], off offset:208
	s_waitcnt vmcnt(1)
	ds_write_b128 v56, v[2:5]
.LBB84_113:
	s_or_b64 exec, exec, s[2:3]
	s_waitcnt lgkmcnt(0)
	; wave barrier
	scratch_load_dwordx4 v[4:7], off, off offset:224
	scratch_load_dwordx4 v[8:11], off, off offset:240
	scratch_load_dwordx4 v[12:15], off, off offset:256
	scratch_load_dwordx4 v[16:19], off, off offset:272
	scratch_load_dwordx4 v[20:23], off, off offset:288
	scratch_load_dwordx4 v[24:27], off, off offset:304
	scratch_load_dwordx4 v[28:31], off, off offset:320
	scratch_load_dwordx4 v[32:35], off, off offset:208
	v_mov_b32_e32 v2, 0
	ds_read_b128 v[36:39], v2 offset:560
	ds_read_b128 v[40:43], v2 offset:576
	;; [unrolled: 1-line block ×7, first 2 shown]
	v_cmp_lt_u32_e32 vcc, 12, v1
	s_waitcnt vmcnt(7) lgkmcnt(6)
	v_mul_f64 v[62:63], v[36:37], v[6:7]
	v_mul_f64 v[6:7], v[38:39], v[6:7]
	s_waitcnt vmcnt(6) lgkmcnt(5)
	v_mul_f64 v[110:111], v[40:41], v[10:11]
	s_waitcnt vmcnt(4) lgkmcnt(3)
	v_mul_f64 v[114:115], v[48:49], v[18:19]
	v_mul_f64 v[10:11], v[42:43], v[10:11]
	;; [unrolled: 1-line block ×3, first 2 shown]
	v_fmac_f64_e32 v[62:63], v[38:39], v[4:5]
	v_fma_f64 v[4:5], v[36:37], v[4:5], -v[6:7]
	v_mul_f64 v[112:113], v[44:45], v[14:15]
	v_mul_f64 v[14:15], v[46:47], v[14:15]
	v_fmac_f64_e32 v[110:111], v[42:43], v[8:9]
	v_fma_f64 v[6:7], v[40:41], v[8:9], -v[10:11]
	v_fma_f64 v[10:11], v[48:49], v[16:17], -v[18:19]
	v_add_f64 v[18:19], v[62:63], 0
	v_add_f64 v[4:5], v[4:5], 0
	v_fmac_f64_e32 v[112:113], v[46:47], v[12:13]
	v_fma_f64 v[8:9], v[44:45], v[12:13], -v[14:15]
	v_add_f64 v[18:19], v[18:19], v[110:111]
	v_add_f64 v[4:5], v[4:5], v[6:7]
	s_waitcnt vmcnt(3) lgkmcnt(2)
	v_mul_f64 v[116:117], v[52:53], v[22:23]
	v_mul_f64 v[22:23], v[54:55], v[22:23]
	v_fmac_f64_e32 v[114:115], v[50:51], v[16:17]
	v_add_f64 v[6:7], v[18:19], v[112:113]
	v_add_f64 v[4:5], v[4:5], v[8:9]
	s_waitcnt vmcnt(2) lgkmcnt(1)
	v_mul_f64 v[118:119], v[58:59], v[26:27]
	v_mul_f64 v[26:27], v[60:61], v[26:27]
	v_fmac_f64_e32 v[116:117], v[54:55], v[20:21]
	v_fma_f64 v[12:13], v[52:53], v[20:21], -v[22:23]
	v_add_f64 v[6:7], v[6:7], v[114:115]
	v_add_f64 v[4:5], v[4:5], v[10:11]
	s_waitcnt vmcnt(1) lgkmcnt(0)
	v_mul_f64 v[120:121], v[106:107], v[30:31]
	v_mul_f64 v[30:31], v[108:109], v[30:31]
	v_fmac_f64_e32 v[118:119], v[60:61], v[24:25]
	v_fma_f64 v[14:15], v[58:59], v[24:25], -v[26:27]
	v_add_f64 v[6:7], v[6:7], v[116:117]
	v_add_f64 v[4:5], v[4:5], v[12:13]
	v_fmac_f64_e32 v[120:121], v[108:109], v[28:29]
	v_fma_f64 v[16:17], v[106:107], v[28:29], -v[30:31]
	v_add_f64 v[6:7], v[6:7], v[118:119]
	v_add_f64 v[4:5], v[4:5], v[14:15]
	;; [unrolled: 1-line block ×4, first 2 shown]
	s_waitcnt vmcnt(0)
	v_add_f64 v[4:5], v[32:33], -v[4:5]
	v_add_f64 v[6:7], v[34:35], -v[6:7]
	scratch_store_dwordx4 off, v[4:7], off offset:208
	s_and_saveexec_b64 s[2:3], vcc
	s_cbranch_execz .LBB84_115
; %bb.114:
	scratch_load_dwordx4 v[6:9], off, s26
	v_mov_b32_e32 v3, v2
	v_mov_b32_e32 v4, v2
	;; [unrolled: 1-line block ×3, first 2 shown]
	scratch_store_dwordx4 off, v[2:5], off offset:192
	s_waitcnt vmcnt(1)
	ds_write_b128 v56, v[6:9]
.LBB84_115:
	s_or_b64 exec, exec, s[2:3]
	s_waitcnt lgkmcnt(0)
	; wave barrier
	ds_read_b128 v[4:7], v2 offset:544
	ds_read_b128 v[8:11], v2 offset:560
	;; [unrolled: 1-line block ×4, first 2 shown]
	scratch_load_dwordx4 v[20:23], off, off offset:208
	scratch_load_dwordx4 v[40:43], off, off offset:272
	v_cmp_lt_u32_e32 vcc, 11, v1
	scratch_load_dwordx4 v[48:51], off, off offset:288
	scratch_load_dwordx4 v[58:61], off, off offset:304
	;; [unrolled: 1-line block ×3, first 2 shown]
	s_waitcnt vmcnt(4) lgkmcnt(3)
	v_mul_f64 v[24:25], v[4:5], v[22:23]
	v_fmac_f64_e32 v[24:25], v[6:7], v[20:21]
	v_add_f64 v[28:29], v[24:25], 0
	scratch_load_dwordx4 v[24:27], off, off offset:224
	s_waitcnt vmcnt(0) lgkmcnt(2)
	v_mul_f64 v[30:31], v[8:9], v[26:27]
	v_fmac_f64_e32 v[30:31], v[10:11], v[24:25]
	v_add_f64 v[32:33], v[28:29], v[30:31]
	scratch_load_dwordx4 v[28:31], off, off offset:240
	s_waitcnt vmcnt(0) lgkmcnt(1)
	v_mul_f64 v[34:35], v[12:13], v[30:31]
	v_fmac_f64_e32 v[34:35], v[14:15], v[28:29]
	v_add_f64 v[36:37], v[32:33], v[34:35]
	scratch_load_dwordx4 v[32:35], off, off offset:256
	s_waitcnt vmcnt(0) lgkmcnt(0)
	v_mul_f64 v[38:39], v[16:17], v[34:35]
	v_fmac_f64_e32 v[38:39], v[18:19], v[32:33]
	v_add_f64 v[44:45], v[36:37], v[38:39]
	ds_read_b128 v[36:39], v2 offset:608
	s_waitcnt lgkmcnt(0)
	v_mul_f64 v[46:47], v[36:37], v[42:43]
	v_fmac_f64_e32 v[46:47], v[38:39], v[40:41]
	v_add_f64 v[52:53], v[44:45], v[46:47]
	ds_read_b128 v[44:47], v2 offset:624
	s_waitcnt lgkmcnt(0)
	;; [unrolled: 5-line block ×4, first 2 shown]
	v_mul_f64 v[2:3], v[106:107], v[112:113]
	v_fmac_f64_e32 v[2:3], v[108:109], v[110:111]
	v_add_f64 v[62:63], v[62:63], v[2:3]
	v_mul_f64 v[2:3], v[6:7], v[22:23]
	v_fma_f64 v[2:3], v[4:5], v[20:21], -v[2:3]
	v_mul_f64 v[4:5], v[10:11], v[26:27]
	v_add_f64 v[2:3], v[2:3], 0
	v_fma_f64 v[4:5], v[8:9], v[24:25], -v[4:5]
	v_add_f64 v[2:3], v[2:3], v[4:5]
	v_mul_f64 v[4:5], v[14:15], v[30:31]
	v_fma_f64 v[4:5], v[12:13], v[28:29], -v[4:5]
	v_add_f64 v[2:3], v[2:3], v[4:5]
	v_mul_f64 v[4:5], v[18:19], v[34:35]
	;; [unrolled: 3-line block ×6, first 2 shown]
	v_fma_f64 v[4:5], v[106:107], v[110:111], -v[4:5]
	v_add_f64 v[6:7], v[2:3], v[4:5]
	scratch_load_dwordx4 v[2:5], off, off offset:192
	s_waitcnt vmcnt(0)
	v_add_f64 v[2:3], v[2:3], -v[6:7]
	v_add_f64 v[4:5], v[4:5], -v[62:63]
	scratch_store_dwordx4 off, v[2:5], off offset:192
	s_and_saveexec_b64 s[2:3], vcc
	s_cbranch_execz .LBB84_117
; %bb.116:
	scratch_load_dwordx4 v[2:5], off, s27
	v_mov_b32_e32 v6, 0
	v_mov_b32_e32 v7, v6
	;; [unrolled: 1-line block ×4, first 2 shown]
	scratch_store_dwordx4 off, v[6:9], off offset:176
	s_waitcnt vmcnt(1)
	ds_write_b128 v56, v[2:5]
.LBB84_117:
	s_or_b64 exec, exec, s[2:3]
	v_mov_b32_e32 v2, 0
	s_waitcnt lgkmcnt(0)
	; wave barrier
	ds_read_b128 v[4:7], v2 offset:528
	ds_read_b128 v[8:11], v2 offset:544
	;; [unrolled: 1-line block ×4, first 2 shown]
	scratch_load_dwordx4 v[20:23], off, off offset:192
	scratch_load_dwordx4 v[40:43], off, off offset:256
	;; [unrolled: 1-line block ×3, first 2 shown]
	v_cmp_lt_u32_e32 vcc, 10, v1
	scratch_load_dwordx4 v[48:51], off, off offset:272
	scratch_load_dwordx4 v[58:61], off, off offset:288
	;; [unrolled: 1-line block ×3, first 2 shown]
	s_waitcnt vmcnt(5) lgkmcnt(3)
	v_mul_f64 v[24:25], v[4:5], v[22:23]
	v_fmac_f64_e32 v[24:25], v[6:7], v[20:21]
	v_add_f64 v[28:29], v[24:25], 0
	scratch_load_dwordx4 v[24:27], off, off offset:208
	v_mul_f64 v[6:7], v[6:7], v[22:23]
	v_fma_f64 v[4:5], v[4:5], v[20:21], -v[6:7]
	v_add_f64 v[4:5], v[4:5], 0
	s_waitcnt vmcnt(0) lgkmcnt(2)
	v_mul_f64 v[30:31], v[8:9], v[26:27]
	v_fmac_f64_e32 v[30:31], v[10:11], v[24:25]
	v_add_f64 v[32:33], v[28:29], v[30:31]
	scratch_load_dwordx4 v[28:31], off, off offset:224
	v_mul_f64 v[6:7], v[10:11], v[26:27]
	v_fma_f64 v[6:7], v[8:9], v[24:25], -v[6:7]
	v_add_f64 v[4:5], v[4:5], v[6:7]
	;; [unrolled: 8-line block ×3, first 2 shown]
	s_waitcnt vmcnt(0) lgkmcnt(0)
	v_mul_f64 v[38:39], v[16:17], v[34:35]
	v_fmac_f64_e32 v[38:39], v[18:19], v[32:33]
	v_add_f64 v[44:45], v[36:37], v[38:39]
	ds_read_b128 v[36:39], v2 offset:592
	v_mul_f64 v[6:7], v[18:19], v[34:35]
	v_fma_f64 v[6:7], v[16:17], v[32:33], -v[6:7]
	v_add_f64 v[4:5], v[4:5], v[6:7]
	s_waitcnt lgkmcnt(0)
	v_mul_f64 v[46:47], v[36:37], v[42:43]
	v_fmac_f64_e32 v[46:47], v[38:39], v[40:41]
	v_add_f64 v[52:53], v[44:45], v[46:47]
	ds_read_b128 v[44:47], v2 offset:608
	v_mul_f64 v[6:7], v[38:39], v[42:43]
	v_fma_f64 v[6:7], v[36:37], v[40:41], -v[6:7]
	v_add_f64 v[4:5], v[4:5], v[6:7]
	s_waitcnt lgkmcnt(0)
	;; [unrolled: 8-line block ×5, first 2 shown]
	v_mul_f64 v[6:7], v[116:117], v[120:121]
	v_fma_f64 v[6:7], v[114:115], v[118:119], -v[6:7]
	v_add_f64 v[8:9], v[4:5], v[6:7]
	scratch_load_dwordx4 v[4:7], off, off offset:176
	v_mul_f64 v[122:123], v[114:115], v[120:121]
	v_fmac_f64_e32 v[122:123], v[116:117], v[118:119]
	v_add_f64 v[62:63], v[62:63], v[122:123]
	s_waitcnt vmcnt(0)
	v_add_f64 v[4:5], v[4:5], -v[8:9]
	v_add_f64 v[6:7], v[6:7], -v[62:63]
	scratch_store_dwordx4 off, v[4:7], off offset:176
	s_and_saveexec_b64 s[2:3], vcc
	s_cbranch_execz .LBB84_119
; %bb.118:
	scratch_load_dwordx4 v[6:9], off, s28
	v_mov_b32_e32 v3, v2
	v_mov_b32_e32 v4, v2
	;; [unrolled: 1-line block ×3, first 2 shown]
	scratch_store_dwordx4 off, v[2:5], off offset:160
	s_waitcnt vmcnt(1)
	ds_write_b128 v56, v[6:9]
.LBB84_119:
	s_or_b64 exec, exec, s[2:3]
	s_waitcnt lgkmcnt(0)
	; wave barrier
	scratch_load_dwordx4 v[4:7], off, off offset:176
	scratch_load_dwordx4 v[8:11], off, off offset:192
	;; [unrolled: 1-line block ×11, first 2 shown]
	ds_read_b128 v[48:51], v2 offset:512
	ds_read_b128 v[52:55], v2 offset:528
	;; [unrolled: 1-line block ×10, first 2 shown]
	v_cmp_lt_u32_e32 vcc, 9, v1
	s_waitcnt vmcnt(10) lgkmcnt(9)
	v_mul_f64 v[2:3], v[48:49], v[6:7]
	v_mul_f64 v[6:7], v[50:51], v[6:7]
	s_waitcnt vmcnt(9) lgkmcnt(8)
	v_mul_f64 v[62:63], v[52:53], v[10:11]
	v_mul_f64 v[10:11], v[54:55], v[10:11]
	v_fmac_f64_e32 v[2:3], v[50:51], v[4:5]
	v_fma_f64 v[4:5], v[48:49], v[4:5], -v[6:7]
	s_waitcnt vmcnt(8) lgkmcnt(7)
	v_mul_f64 v[134:135], v[58:59], v[14:15]
	v_mul_f64 v[14:15], v[60:61], v[14:15]
	v_fmac_f64_e32 v[62:63], v[54:55], v[8:9]
	v_fma_f64 v[6:7], v[52:53], v[8:9], -v[10:11]
	v_add_f64 v[2:3], v[2:3], 0
	v_add_f64 v[4:5], v[4:5], 0
	s_waitcnt vmcnt(7) lgkmcnt(6)
	v_mul_f64 v[136:137], v[106:107], v[18:19]
	v_mul_f64 v[18:19], v[108:109], v[18:19]
	v_fmac_f64_e32 v[134:135], v[60:61], v[12:13]
	v_fma_f64 v[8:9], v[58:59], v[12:13], -v[14:15]
	v_add_f64 v[2:3], v[2:3], v[62:63]
	v_add_f64 v[4:5], v[4:5], v[6:7]
	;; [unrolled: 7-line block ×8, first 2 shown]
	v_fmac_f64_e32 v[148:149], v[132:133], v[40:41]
	v_fma_f64 v[22:23], v[130:131], v[40:41], -v[42:43]
	v_add_f64 v[2:3], v[2:3], v[146:147]
	v_add_f64 v[4:5], v[4:5], v[20:21]
	v_add_f64 v[6:7], v[2:3], v[148:149]
	v_add_f64 v[2:3], v[4:5], v[22:23]
	s_waitcnt vmcnt(0)
	v_add_f64 v[2:3], v[44:45], -v[2:3]
	v_add_f64 v[4:5], v[46:47], -v[6:7]
	scratch_store_dwordx4 off, v[2:5], off offset:160
	s_and_saveexec_b64 s[2:3], vcc
	s_cbranch_execz .LBB84_121
; %bb.120:
	scratch_load_dwordx4 v[2:5], off, s29
	v_mov_b32_e32 v6, 0
	v_mov_b32_e32 v7, v6
	;; [unrolled: 1-line block ×4, first 2 shown]
	scratch_store_dwordx4 off, v[6:9], off offset:144
	s_waitcnt vmcnt(1)
	ds_write_b128 v56, v[2:5]
.LBB84_121:
	s_or_b64 exec, exec, s[2:3]
	s_waitcnt lgkmcnt(0)
	; wave barrier
	scratch_load_dwordx4 v[4:7], off, off offset:160
	scratch_load_dwordx4 v[8:11], off, off offset:176
	;; [unrolled: 1-line block ×12, first 2 shown]
	v_mov_b32_e32 v2, 0
	ds_read_b128 v[52:55], v2 offset:496
	ds_read_b128 v[58:61], v2 offset:512
	;; [unrolled: 1-line block ×11, first 2 shown]
	v_cmp_lt_u32_e32 vcc, 8, v1
	s_waitcnt vmcnt(11) lgkmcnt(10)
	v_mul_f64 v[62:63], v[52:53], v[6:7]
	v_mul_f64 v[6:7], v[54:55], v[6:7]
	s_waitcnt vmcnt(10) lgkmcnt(9)
	v_mul_f64 v[142:143], v[58:59], v[10:11]
	s_waitcnt vmcnt(9) lgkmcnt(8)
	v_mul_f64 v[144:145], v[106:107], v[14:15]
	v_mul_f64 v[10:11], v[60:61], v[10:11]
	s_waitcnt vmcnt(6) lgkmcnt(5)
	v_mul_f64 v[150:151], v[118:119], v[26:27]
	v_mul_f64 v[14:15], v[108:109], v[14:15]
	v_mul_f64 v[26:27], v[120:121], v[26:27]
	v_fmac_f64_e32 v[62:63], v[54:55], v[4:5]
	v_fma_f64 v[4:5], v[52:53], v[4:5], -v[6:7]
	v_fmac_f64_e32 v[142:143], v[60:61], v[8:9]
	v_fma_f64 v[6:7], v[58:59], v[8:9], -v[10:11]
	v_fma_f64 v[8:9], v[106:107], v[12:13], -v[14:15]
	;; [unrolled: 1-line block ×3, first 2 shown]
	v_add_f64 v[26:27], v[62:63], 0
	v_add_f64 v[4:5], v[4:5], 0
	v_mul_f64 v[146:147], v[110:111], v[18:19]
	v_mul_f64 v[18:19], v[112:113], v[18:19]
	v_fmac_f64_e32 v[144:145], v[108:109], v[12:13]
	v_add_f64 v[26:27], v[26:27], v[142:143]
	v_add_f64 v[4:5], v[4:5], v[6:7]
	v_mul_f64 v[148:149], v[114:115], v[22:23]
	v_mul_f64 v[22:23], v[116:117], v[22:23]
	v_fmac_f64_e32 v[146:147], v[112:113], v[16:17]
	v_fma_f64 v[10:11], v[110:111], v[16:17], -v[18:19]
	v_add_f64 v[6:7], v[26:27], v[144:145]
	v_add_f64 v[4:5], v[4:5], v[8:9]
	v_fmac_f64_e32 v[148:149], v[116:117], v[20:21]
	v_fma_f64 v[12:13], v[114:115], v[20:21], -v[22:23]
	v_add_f64 v[6:7], v[6:7], v[146:147]
	v_add_f64 v[4:5], v[4:5], v[10:11]
	s_waitcnt vmcnt(5) lgkmcnt(4)
	v_mul_f64 v[152:153], v[122:123], v[30:31]
	v_mul_f64 v[30:31], v[124:125], v[30:31]
	v_fmac_f64_e32 v[150:151], v[120:121], v[24:25]
	v_add_f64 v[6:7], v[6:7], v[148:149]
	v_add_f64 v[4:5], v[4:5], v[12:13]
	s_waitcnt vmcnt(4) lgkmcnt(3)
	v_mul_f64 v[154:155], v[126:127], v[34:35]
	v_mul_f64 v[34:35], v[128:129], v[34:35]
	v_fmac_f64_e32 v[152:153], v[124:125], v[28:29]
	v_fma_f64 v[16:17], v[122:123], v[28:29], -v[30:31]
	v_add_f64 v[6:7], v[6:7], v[150:151]
	v_add_f64 v[4:5], v[4:5], v[14:15]
	s_waitcnt vmcnt(3) lgkmcnt(2)
	v_mul_f64 v[156:157], v[130:131], v[38:39]
	v_mul_f64 v[38:39], v[132:133], v[38:39]
	v_fmac_f64_e32 v[154:155], v[128:129], v[32:33]
	v_fma_f64 v[18:19], v[126:127], v[32:33], -v[34:35]
	;; [unrolled: 7-line block ×4, first 2 shown]
	v_add_f64 v[6:7], v[6:7], v[156:157]
	v_add_f64 v[4:5], v[4:5], v[20:21]
	v_fmac_f64_e32 v[160:161], v[140:141], v[44:45]
	v_fma_f64 v[24:25], v[138:139], v[44:45], -v[46:47]
	v_add_f64 v[6:7], v[6:7], v[158:159]
	v_add_f64 v[4:5], v[4:5], v[22:23]
	;; [unrolled: 1-line block ×4, first 2 shown]
	s_waitcnt vmcnt(0)
	v_add_f64 v[4:5], v[48:49], -v[4:5]
	v_add_f64 v[6:7], v[50:51], -v[6:7]
	scratch_store_dwordx4 off, v[4:7], off offset:144
	s_and_saveexec_b64 s[2:3], vcc
	s_cbranch_execz .LBB84_123
; %bb.122:
	scratch_load_dwordx4 v[6:9], off, s30
	v_mov_b32_e32 v3, v2
	v_mov_b32_e32 v4, v2
	;; [unrolled: 1-line block ×3, first 2 shown]
	scratch_store_dwordx4 off, v[2:5], off offset:128
	s_waitcnt vmcnt(1)
	ds_write_b128 v56, v[6:9]
.LBB84_123:
	s_or_b64 exec, exec, s[2:3]
	s_waitcnt lgkmcnt(0)
	; wave barrier
	ds_read_b128 v[4:7], v2 offset:480
	ds_read_b128 v[8:11], v2 offset:496
	;; [unrolled: 1-line block ×4, first 2 shown]
	scratch_load_dwordx4 v[20:23], off, off offset:144
	scratch_load_dwordx4 v[40:43], off, off offset:208
	;; [unrolled: 1-line block ×6, first 2 shown]
	v_cmp_lt_u32_e32 vcc, 7, v1
	scratch_load_dwordx4 v[48:51], off, off offset:224
	scratch_load_dwordx4 v[58:61], off, off offset:240
	;; [unrolled: 1-line block ×3, first 2 shown]
	s_waitcnt vmcnt(8) lgkmcnt(3)
	v_mul_f64 v[24:25], v[4:5], v[22:23]
	v_fmac_f64_e32 v[24:25], v[6:7], v[20:21]
	v_add_f64 v[28:29], v[24:25], 0
	scratch_load_dwordx4 v[24:27], off, off offset:160
	s_waitcnt vmcnt(0) lgkmcnt(2)
	v_mul_f64 v[30:31], v[8:9], v[26:27]
	v_fmac_f64_e32 v[30:31], v[10:11], v[24:25]
	v_add_f64 v[32:33], v[28:29], v[30:31]
	scratch_load_dwordx4 v[28:31], off, off offset:176
	;; [unrolled: 5-line block ×3, first 2 shown]
	s_waitcnt vmcnt(0) lgkmcnt(0)
	v_mul_f64 v[38:39], v[16:17], v[34:35]
	v_fmac_f64_e32 v[38:39], v[18:19], v[32:33]
	v_add_f64 v[44:45], v[36:37], v[38:39]
	ds_read_b128 v[36:39], v2 offset:544
	s_waitcnt lgkmcnt(0)
	v_mul_f64 v[46:47], v[36:37], v[42:43]
	v_fmac_f64_e32 v[46:47], v[38:39], v[40:41]
	v_add_f64 v[52:53], v[44:45], v[46:47]
	ds_read_b128 v[44:47], v2 offset:560
	s_waitcnt lgkmcnt(0)
	;; [unrolled: 5-line block ×8, first 2 shown]
	v_mul_f64 v[2:3], v[138:139], v[144:145]
	v_fmac_f64_e32 v[2:3], v[140:141], v[142:143]
	v_add_f64 v[62:63], v[62:63], v[2:3]
	v_mul_f64 v[2:3], v[6:7], v[22:23]
	v_fma_f64 v[2:3], v[4:5], v[20:21], -v[2:3]
	v_mul_f64 v[4:5], v[10:11], v[26:27]
	v_add_f64 v[2:3], v[2:3], 0
	v_fma_f64 v[4:5], v[8:9], v[24:25], -v[4:5]
	v_add_f64 v[2:3], v[2:3], v[4:5]
	v_mul_f64 v[4:5], v[14:15], v[30:31]
	v_fma_f64 v[4:5], v[12:13], v[28:29], -v[4:5]
	v_add_f64 v[2:3], v[2:3], v[4:5]
	v_mul_f64 v[4:5], v[18:19], v[34:35]
	;; [unrolled: 3-line block ×10, first 2 shown]
	v_fma_f64 v[4:5], v[138:139], v[142:143], -v[4:5]
	v_add_f64 v[6:7], v[2:3], v[4:5]
	scratch_load_dwordx4 v[2:5], off, off offset:128
	s_waitcnt vmcnt(0)
	v_add_f64 v[2:3], v[2:3], -v[6:7]
	v_add_f64 v[4:5], v[4:5], -v[62:63]
	scratch_store_dwordx4 off, v[2:5], off offset:128
	s_and_saveexec_b64 s[2:3], vcc
	s_cbranch_execz .LBB84_125
; %bb.124:
	scratch_load_dwordx4 v[2:5], off, s31
	v_mov_b32_e32 v6, 0
	v_mov_b32_e32 v7, v6
	;; [unrolled: 1-line block ×4, first 2 shown]
	scratch_store_dwordx4 off, v[6:9], off offset:112
	s_waitcnt vmcnt(1)
	ds_write_b128 v56, v[2:5]
.LBB84_125:
	s_or_b64 exec, exec, s[2:3]
	v_mov_b32_e32 v2, 0
	s_waitcnt lgkmcnt(0)
	; wave barrier
	ds_read_b128 v[4:7], v2 offset:464
	ds_read_b128 v[8:11], v2 offset:480
	;; [unrolled: 1-line block ×4, first 2 shown]
	scratch_load_dwordx4 v[20:23], off, off offset:128
	scratch_load_dwordx4 v[40:43], off, off offset:192
	scratch_load_dwordx4 v[118:121], off, off offset:256
	scratch_load_dwordx4 v[126:129], off, off offset:272
	scratch_load_dwordx4 v[134:137], off, off offset:288
	scratch_load_dwordx4 v[142:145], off, off offset:304
	scratch_load_dwordx4 v[150:153], off, off offset:320
	v_cmp_lt_u32_e32 vcc, 6, v1
	scratch_load_dwordx4 v[48:51], off, off offset:208
	scratch_load_dwordx4 v[58:61], off, off offset:224
	;; [unrolled: 1-line block ×3, first 2 shown]
	s_waitcnt vmcnt(9) lgkmcnt(3)
	v_mul_f64 v[24:25], v[4:5], v[22:23]
	v_fmac_f64_e32 v[24:25], v[6:7], v[20:21]
	v_add_f64 v[28:29], v[24:25], 0
	scratch_load_dwordx4 v[24:27], off, off offset:144
	v_mul_f64 v[6:7], v[6:7], v[22:23]
	v_fma_f64 v[4:5], v[4:5], v[20:21], -v[6:7]
	v_add_f64 v[4:5], v[4:5], 0
	s_waitcnt vmcnt(0) lgkmcnt(2)
	v_mul_f64 v[30:31], v[8:9], v[26:27]
	v_fmac_f64_e32 v[30:31], v[10:11], v[24:25]
	v_add_f64 v[32:33], v[28:29], v[30:31]
	scratch_load_dwordx4 v[28:31], off, off offset:160
	v_mul_f64 v[6:7], v[10:11], v[26:27]
	v_fma_f64 v[6:7], v[8:9], v[24:25], -v[6:7]
	v_add_f64 v[4:5], v[4:5], v[6:7]
	;; [unrolled: 8-line block ×3, first 2 shown]
	s_waitcnt vmcnt(0) lgkmcnt(0)
	v_mul_f64 v[38:39], v[16:17], v[34:35]
	v_fmac_f64_e32 v[38:39], v[18:19], v[32:33]
	v_add_f64 v[44:45], v[36:37], v[38:39]
	ds_read_b128 v[36:39], v2 offset:528
	v_mul_f64 v[6:7], v[18:19], v[34:35]
	v_fma_f64 v[6:7], v[16:17], v[32:33], -v[6:7]
	v_add_f64 v[4:5], v[4:5], v[6:7]
	s_waitcnt lgkmcnt(0)
	v_mul_f64 v[46:47], v[36:37], v[42:43]
	v_fmac_f64_e32 v[46:47], v[38:39], v[40:41]
	v_add_f64 v[52:53], v[44:45], v[46:47]
	ds_read_b128 v[44:47], v2 offset:544
	v_mul_f64 v[6:7], v[38:39], v[42:43]
	v_fma_f64 v[6:7], v[36:37], v[40:41], -v[6:7]
	v_add_f64 v[4:5], v[4:5], v[6:7]
	s_waitcnt lgkmcnt(0)
	v_mul_f64 v[54:55], v[44:45], v[50:51]
	v_fmac_f64_e32 v[54:55], v[46:47], v[48:49]
	v_add_f64 v[62:63], v[52:53], v[54:55]
	ds_read_b128 v[52:55], v2 offset:560
	v_mul_f64 v[6:7], v[46:47], v[50:51]
	v_fma_f64 v[6:7], v[44:45], v[48:49], -v[6:7]
	v_add_f64 v[4:5], v[4:5], v[6:7]
	s_waitcnt lgkmcnt(0)
	v_mul_f64 v[106:107], v[52:53], v[60:61]
	v_fmac_f64_e32 v[106:107], v[54:55], v[58:59]
	v_add_f64 v[62:63], v[62:63], v[106:107]
	ds_read_b128 v[106:109], v2 offset:576
	v_mul_f64 v[6:7], v[54:55], v[60:61]
	v_fma_f64 v[6:7], v[52:53], v[58:59], -v[6:7]
	v_add_f64 v[4:5], v[4:5], v[6:7]
	s_waitcnt lgkmcnt(0)
	v_mul_f64 v[114:115], v[106:107], v[112:113]
	v_fmac_f64_e32 v[114:115], v[108:109], v[110:111]
	v_add_f64 v[62:63], v[62:63], v[114:115]
	ds_read_b128 v[114:117], v2 offset:592
	v_mul_f64 v[6:7], v[108:109], v[112:113]
	v_fma_f64 v[6:7], v[106:107], v[110:111], -v[6:7]
	v_add_f64 v[4:5], v[4:5], v[6:7]
	s_waitcnt lgkmcnt(0)
	v_mul_f64 v[122:123], v[114:115], v[120:121]
	v_fmac_f64_e32 v[122:123], v[116:117], v[118:119]
	v_add_f64 v[62:63], v[62:63], v[122:123]
	ds_read_b128 v[122:125], v2 offset:608
	v_mul_f64 v[6:7], v[116:117], v[120:121]
	v_fma_f64 v[6:7], v[114:115], v[118:119], -v[6:7]
	v_add_f64 v[4:5], v[4:5], v[6:7]
	s_waitcnt lgkmcnt(0)
	v_mul_f64 v[130:131], v[122:123], v[128:129]
	v_fmac_f64_e32 v[130:131], v[124:125], v[126:127]
	v_add_f64 v[62:63], v[62:63], v[130:131]
	ds_read_b128 v[130:133], v2 offset:624
	v_mul_f64 v[6:7], v[124:125], v[128:129]
	v_fma_f64 v[6:7], v[122:123], v[126:127], -v[6:7]
	v_add_f64 v[4:5], v[4:5], v[6:7]
	s_waitcnt lgkmcnt(0)
	v_mul_f64 v[138:139], v[130:131], v[136:137]
	v_fmac_f64_e32 v[138:139], v[132:133], v[134:135]
	v_add_f64 v[62:63], v[62:63], v[138:139]
	ds_read_b128 v[138:141], v2 offset:640
	v_mul_f64 v[6:7], v[132:133], v[136:137]
	v_fma_f64 v[6:7], v[130:131], v[134:135], -v[6:7]
	v_add_f64 v[4:5], v[4:5], v[6:7]
	s_waitcnt lgkmcnt(0)
	v_mul_f64 v[146:147], v[138:139], v[144:145]
	v_fmac_f64_e32 v[146:147], v[140:141], v[142:143]
	v_add_f64 v[62:63], v[62:63], v[146:147]
	ds_read_b128 v[146:149], v2 offset:656
	v_mul_f64 v[6:7], v[140:141], v[144:145]
	v_fma_f64 v[6:7], v[138:139], v[142:143], -v[6:7]
	v_add_f64 v[4:5], v[4:5], v[6:7]
	s_waitcnt lgkmcnt(0)
	v_mul_f64 v[6:7], v[148:149], v[152:153]
	v_fma_f64 v[6:7], v[146:147], v[150:151], -v[6:7]
	v_add_f64 v[8:9], v[4:5], v[6:7]
	scratch_load_dwordx4 v[4:7], off, off offset:112
	v_mul_f64 v[154:155], v[146:147], v[152:153]
	v_fmac_f64_e32 v[154:155], v[148:149], v[150:151]
	v_add_f64 v[62:63], v[62:63], v[154:155]
	s_waitcnt vmcnt(0)
	v_add_f64 v[4:5], v[4:5], -v[8:9]
	v_add_f64 v[6:7], v[6:7], -v[62:63]
	scratch_store_dwordx4 off, v[4:7], off offset:112
	s_and_saveexec_b64 s[2:3], vcc
	s_cbranch_execz .LBB84_127
; %bb.126:
	scratch_load_dwordx4 v[6:9], off, s33
	v_mov_b32_e32 v3, v2
	v_mov_b32_e32 v4, v2
	;; [unrolled: 1-line block ×3, first 2 shown]
	scratch_store_dwordx4 off, v[2:5], off offset:96
	s_waitcnt vmcnt(1)
	ds_write_b128 v56, v[6:9]
.LBB84_127:
	s_or_b64 exec, exec, s[2:3]
	s_waitcnt lgkmcnt(0)
	; wave barrier
	ds_read_b128 v[4:7], v2 offset:448
	ds_read_b128 v[8:11], v2 offset:464
	;; [unrolled: 1-line block ×4, first 2 shown]
	scratch_load_dwordx4 v[20:23], off, off offset:112
	scratch_load_dwordx4 v[40:43], off, off offset:176
	scratch_load_dwordx4 v[118:121], off, off offset:240
	scratch_load_dwordx4 v[126:129], off, off offset:256
	scratch_load_dwordx4 v[134:137], off, off offset:272
	scratch_load_dwordx4 v[142:145], off, off offset:288
	scratch_load_dwordx4 v[150:153], off, off offset:304
	scratch_load_dwordx4 v[158:161], off, off offset:320
	v_cmp_lt_u32_e32 vcc, 5, v1
	scratch_load_dwordx4 v[48:51], off, off offset:192
	scratch_load_dwordx4 v[58:61], off, off offset:208
	;; [unrolled: 1-line block ×3, first 2 shown]
	s_waitcnt vmcnt(10) lgkmcnt(3)
	v_mul_f64 v[24:25], v[4:5], v[22:23]
	v_fmac_f64_e32 v[24:25], v[6:7], v[20:21]
	v_add_f64 v[28:29], v[24:25], 0
	scratch_load_dwordx4 v[24:27], off, off offset:128
	s_waitcnt vmcnt(0) lgkmcnt(2)
	v_mul_f64 v[30:31], v[8:9], v[26:27]
	v_fmac_f64_e32 v[30:31], v[10:11], v[24:25]
	v_add_f64 v[32:33], v[28:29], v[30:31]
	scratch_load_dwordx4 v[28:31], off, off offset:144
	;; [unrolled: 5-line block ×3, first 2 shown]
	s_waitcnt vmcnt(0) lgkmcnt(0)
	v_mul_f64 v[38:39], v[16:17], v[34:35]
	v_fmac_f64_e32 v[38:39], v[18:19], v[32:33]
	v_add_f64 v[44:45], v[36:37], v[38:39]
	ds_read_b128 v[36:39], v2 offset:512
	s_waitcnt lgkmcnt(0)
	v_mul_f64 v[46:47], v[36:37], v[42:43]
	v_fmac_f64_e32 v[46:47], v[38:39], v[40:41]
	v_add_f64 v[52:53], v[44:45], v[46:47]
	ds_read_b128 v[44:47], v2 offset:528
	s_waitcnt lgkmcnt(0)
	;; [unrolled: 5-line block ×10, first 2 shown]
	v_mul_f64 v[2:3], v[154:155], v[160:161]
	v_fmac_f64_e32 v[2:3], v[156:157], v[158:159]
	v_add_f64 v[62:63], v[62:63], v[2:3]
	v_mul_f64 v[2:3], v[6:7], v[22:23]
	v_fma_f64 v[2:3], v[4:5], v[20:21], -v[2:3]
	v_mul_f64 v[4:5], v[10:11], v[26:27]
	v_add_f64 v[2:3], v[2:3], 0
	v_fma_f64 v[4:5], v[8:9], v[24:25], -v[4:5]
	v_add_f64 v[2:3], v[2:3], v[4:5]
	v_mul_f64 v[4:5], v[14:15], v[30:31]
	v_fma_f64 v[4:5], v[12:13], v[28:29], -v[4:5]
	v_add_f64 v[2:3], v[2:3], v[4:5]
	v_mul_f64 v[4:5], v[18:19], v[34:35]
	;; [unrolled: 3-line block ×12, first 2 shown]
	v_fma_f64 v[4:5], v[154:155], v[158:159], -v[4:5]
	v_add_f64 v[6:7], v[2:3], v[4:5]
	scratch_load_dwordx4 v[2:5], off, off offset:96
	s_waitcnt vmcnt(0)
	v_add_f64 v[2:3], v[2:3], -v[6:7]
	v_add_f64 v[4:5], v[4:5], -v[62:63]
	scratch_store_dwordx4 off, v[2:5], off offset:96
	s_and_saveexec_b64 s[2:3], vcc
	s_cbranch_execz .LBB84_129
; %bb.128:
	scratch_load_dwordx4 v[2:5], off, s34
	v_mov_b32_e32 v6, 0
	v_mov_b32_e32 v7, v6
	;; [unrolled: 1-line block ×4, first 2 shown]
	scratch_store_dwordx4 off, v[6:9], off offset:80
	s_waitcnt vmcnt(1)
	ds_write_b128 v56, v[2:5]
.LBB84_129:
	s_or_b64 exec, exec, s[2:3]
	s_waitcnt lgkmcnt(0)
	; wave barrier
	scratch_load_dwordx4 v[4:7], off, off offset:96
	scratch_load_dwordx4 v[12:15], off, off offset:112
	;; [unrolled: 1-line block ×16, first 2 shown]
	v_mov_b32_e32 v2, 0
	ds_read_b128 v[114:117], v2 offset:432
	ds_read_b128 v[118:121], v2 offset:448
	;; [unrolled: 1-line block ×15, first 2 shown]
	v_cmp_lt_u32_e32 vcc, 4, v1
	s_waitcnt vmcnt(15) lgkmcnt(14)
	v_mul_f64 v[62:63], v[114:115], v[6:7]
	v_mul_f64 v[6:7], v[116:117], v[6:7]
	s_waitcnt vmcnt(14) lgkmcnt(13)
	v_mul_f64 v[174:175], v[118:119], v[14:15]
	v_mul_f64 v[14:15], v[120:121], v[14:15]
	v_fmac_f64_e32 v[62:63], v[116:117], v[4:5]
	v_fma_f64 v[4:5], v[114:115], v[4:5], -v[6:7]
	s_waitcnt vmcnt(13) lgkmcnt(12)
	v_mul_f64 v[176:177], v[122:123], v[10:11]
	v_mul_f64 v[10:11], v[124:125], v[10:11]
	v_fma_f64 v[6:7], v[118:119], v[12:13], -v[14:15]
	v_add_f64 v[4:5], v[4:5], 0
	s_waitcnt vmcnt(12) lgkmcnt(11)
	v_mul_f64 v[178:179], v[126:127], v[18:19]
	v_mul_f64 v[18:19], v[128:129], v[18:19]
	v_fmac_f64_e32 v[176:177], v[124:125], v[8:9]
	v_fma_f64 v[8:9], v[122:123], v[8:9], -v[10:11]
	v_add_f64 v[4:5], v[4:5], v[6:7]
	s_waitcnt vmcnt(11) lgkmcnt(10)
	v_mul_f64 v[180:181], v[130:131], v[22:23]
	v_mul_f64 v[22:23], v[132:133], v[22:23]
	v_fma_f64 v[10:11], v[126:127], v[16:17], -v[18:19]
	v_add_f64 v[4:5], v[4:5], v[8:9]
	s_waitcnt vmcnt(10) lgkmcnt(9)
	v_mul_f64 v[182:183], v[134:135], v[30:31]
	v_mul_f64 v[30:31], v[136:137], v[30:31]
	v_fmac_f64_e32 v[174:175], v[120:121], v[12:13]
	v_fma_f64 v[12:13], v[130:131], v[20:21], -v[22:23]
	v_add_f64 v[4:5], v[4:5], v[10:11]
	v_fma_f64 v[14:15], v[134:135], v[28:29], -v[30:31]
	v_add_f64 v[4:5], v[4:5], v[12:13]
	s_waitcnt vmcnt(9) lgkmcnt(8)
	v_mul_f64 v[8:9], v[140:141], v[26:27]
	v_add_f64 v[4:5], v[4:5], v[14:15]
	v_fma_f64 v[8:9], v[138:139], v[24:25], -v[8:9]
	v_add_f64 v[4:5], v[4:5], v[8:9]
	s_waitcnt vmcnt(8) lgkmcnt(7)
	v_mul_f64 v[8:9], v[144:145], v[34:35]
	v_fma_f64 v[8:9], v[142:143], v[32:33], -v[8:9]
	v_fmac_f64_e32 v[178:179], v[128:129], v[16:17]
	v_add_f64 v[16:17], v[62:63], 0
	v_add_f64 v[4:5], v[4:5], v[8:9]
	s_waitcnt vmcnt(7) lgkmcnt(6)
	v_mul_f64 v[8:9], v[148:149], v[38:39]
	v_add_f64 v[16:17], v[16:17], v[174:175]
	v_fma_f64 v[8:9], v[146:147], v[36:37], -v[8:9]
	v_add_f64 v[6:7], v[16:17], v[176:177]
	v_add_f64 v[4:5], v[4:5], v[8:9]
	s_waitcnt vmcnt(6) lgkmcnt(5)
	v_mul_f64 v[8:9], v[152:153], v[42:43]
	v_fmac_f64_e32 v[180:181], v[132:133], v[20:21]
	v_add_f64 v[6:7], v[6:7], v[178:179]
	v_fma_f64 v[8:9], v[150:151], v[40:41], -v[8:9]
	v_mul_f64 v[184:185], v[138:139], v[26:27]
	v_fmac_f64_e32 v[182:183], v[136:137], v[28:29]
	v_add_f64 v[6:7], v[6:7], v[180:181]
	v_add_f64 v[4:5], v[4:5], v[8:9]
	s_waitcnt vmcnt(5) lgkmcnt(4)
	v_mul_f64 v[8:9], v[156:157], v[46:47]
	v_mul_f64 v[186:187], v[142:143], v[34:35]
	v_fmac_f64_e32 v[184:185], v[140:141], v[24:25]
	v_add_f64 v[6:7], v[6:7], v[182:183]
	v_fma_f64 v[8:9], v[154:155], v[44:45], -v[8:9]
	v_mul_f64 v[188:189], v[146:147], v[38:39]
	v_fmac_f64_e32 v[186:187], v[144:145], v[32:33]
	v_add_f64 v[6:7], v[6:7], v[184:185]
	v_add_f64 v[4:5], v[4:5], v[8:9]
	s_waitcnt vmcnt(4) lgkmcnt(3)
	v_mul_f64 v[8:9], v[160:161], v[50:51]
	;; [unrolled: 10-line block ×4, first 2 shown]
	v_mul_f64 v[198:199], v[166:167], v[60:61]
	v_fmac_f64_e32 v[196:197], v[164:165], v[52:53]
	v_add_f64 v[6:7], v[6:7], v[194:195]
	v_fma_f64 v[8:9], v[166:167], v[58:59], -v[8:9]
	s_waitcnt vmcnt(1) lgkmcnt(0)
	v_mul_f64 v[200:201], v[170:171], v[108:109]
	v_fmac_f64_e32 v[198:199], v[168:169], v[58:59]
	v_add_f64 v[6:7], v[6:7], v[196:197]
	v_add_f64 v[4:5], v[4:5], v[8:9]
	v_mul_f64 v[8:9], v[172:173], v[108:109]
	v_fmac_f64_e32 v[200:201], v[172:173], v[106:107]
	v_add_f64 v[6:7], v[6:7], v[198:199]
	v_fma_f64 v[8:9], v[170:171], v[106:107], -v[8:9]
	v_add_f64 v[6:7], v[6:7], v[200:201]
	v_add_f64 v[4:5], v[4:5], v[8:9]
	s_waitcnt vmcnt(0)
	v_add_f64 v[4:5], v[110:111], -v[4:5]
	v_add_f64 v[6:7], v[112:113], -v[6:7]
	scratch_store_dwordx4 off, v[4:7], off offset:80
	s_and_saveexec_b64 s[2:3], vcc
	s_cbranch_execz .LBB84_131
; %bb.130:
	scratch_load_dwordx4 v[6:9], off, s35
	v_mov_b32_e32 v3, v2
	v_mov_b32_e32 v4, v2
	;; [unrolled: 1-line block ×3, first 2 shown]
	scratch_store_dwordx4 off, v[2:5], off offset:64
	s_waitcnt vmcnt(1)
	ds_write_b128 v56, v[6:9]
.LBB84_131:
	s_or_b64 exec, exec, s[2:3]
	s_waitcnt lgkmcnt(0)
	; wave barrier
	scratch_load_dwordx4 v[4:7], off, off offset:80
	scratch_load_dwordx4 v[8:11], off, off offset:96
	;; [unrolled: 1-line block ×16, first 2 shown]
	ds_read_b128 v[114:117], v2 offset:416
	ds_read_b128 v[118:121], v2 offset:432
	;; [unrolled: 1-line block ×16, first 2 shown]
	scratch_load_dwordx4 v[178:181], off, off offset:64
	v_cmp_lt_u32_e32 vcc, 3, v1
	s_waitcnt vmcnt(16) lgkmcnt(14)
	v_mul_f64 v[2:3], v[114:115], v[6:7]
	s_waitcnt vmcnt(15)
	v_mul_f64 v[62:63], v[118:119], v[10:11]
	v_fmac_f64_e32 v[2:3], v[116:117], v[4:5]
	s_waitcnt vmcnt(14) lgkmcnt(13)
	v_mul_f64 v[182:183], v[122:123], v[14:15]
	v_fmac_f64_e32 v[62:63], v[120:121], v[8:9]
	v_add_f64 v[2:3], v[2:3], 0
	s_waitcnt vmcnt(13) lgkmcnt(12)
	v_mul_f64 v[184:185], v[126:127], v[18:19]
	v_fmac_f64_e32 v[182:183], v[124:125], v[12:13]
	v_add_f64 v[2:3], v[2:3], v[62:63]
	;; [unrolled: 4-line block ×10, first 2 shown]
	s_waitcnt vmcnt(4) lgkmcnt(3)
	v_mul_f64 v[202:203], v[162:163], v[54:55]
	v_mul_f64 v[6:7], v[116:117], v[6:7]
	v_fmac_f64_e32 v[200:201], v[160:161], v[48:49]
	v_add_f64 v[2:3], v[2:3], v[198:199]
	s_waitcnt vmcnt(3) lgkmcnt(2)
	v_mul_f64 v[204:205], v[166:167], v[60:61]
	v_mul_f64 v[10:11], v[120:121], v[10:11]
	v_fmac_f64_e32 v[202:203], v[164:165], v[52:53]
	v_fma_f64 v[4:5], v[114:115], v[4:5], -v[6:7]
	v_add_f64 v[2:3], v[2:3], v[200:201]
	s_waitcnt vmcnt(2) lgkmcnt(1)
	v_mul_f64 v[206:207], v[170:171], v[108:109]
	v_mul_f64 v[14:15], v[124:125], v[14:15]
	v_fmac_f64_e32 v[204:205], v[168:169], v[58:59]
	v_fma_f64 v[6:7], v[118:119], v[8:9], -v[10:11]
	v_add_f64 v[4:5], v[4:5], 0
	v_add_f64 v[2:3], v[2:3], v[202:203]
	s_waitcnt vmcnt(1) lgkmcnt(0)
	v_mul_f64 v[208:209], v[174:175], v[112:113]
	v_mul_f64 v[18:19], v[128:129], v[18:19]
	v_fmac_f64_e32 v[206:207], v[172:173], v[106:107]
	v_fma_f64 v[8:9], v[122:123], v[12:13], -v[14:15]
	v_add_f64 v[4:5], v[4:5], v[6:7]
	v_add_f64 v[2:3], v[2:3], v[204:205]
	v_mul_f64 v[26:27], v[132:133], v[26:27]
	v_fmac_f64_e32 v[208:209], v[176:177], v[110:111]
	v_fma_f64 v[10:11], v[126:127], v[16:17], -v[18:19]
	v_add_f64 v[4:5], v[4:5], v[8:9]
	v_add_f64 v[2:3], v[2:3], v[206:207]
	v_fma_f64 v[12:13], v[130:131], v[24:25], -v[26:27]
	v_add_f64 v[4:5], v[4:5], v[10:11]
	v_add_f64 v[6:7], v[2:3], v[208:209]
	v_mul_f64 v[2:3], v[136:137], v[22:23]
	v_add_f64 v[4:5], v[4:5], v[12:13]
	v_fma_f64 v[2:3], v[134:135], v[20:21], -v[2:3]
	v_add_f64 v[2:3], v[4:5], v[2:3]
	v_mul_f64 v[4:5], v[140:141], v[30:31]
	v_fma_f64 v[4:5], v[138:139], v[28:29], -v[4:5]
	v_add_f64 v[2:3], v[2:3], v[4:5]
	v_mul_f64 v[4:5], v[144:145], v[34:35]
	;; [unrolled: 3-line block ×10, first 2 shown]
	v_fma_f64 v[4:5], v[174:175], v[110:111], -v[4:5]
	v_add_f64 v[2:3], v[2:3], v[4:5]
	s_waitcnt vmcnt(0)
	v_add_f64 v[2:3], v[178:179], -v[2:3]
	v_add_f64 v[4:5], v[180:181], -v[6:7]
	scratch_store_dwordx4 off, v[2:5], off offset:64
	s_and_saveexec_b64 s[2:3], vcc
	s_cbranch_execz .LBB84_133
; %bb.132:
	scratch_load_dwordx4 v[2:5], off, s36
	v_mov_b32_e32 v6, 0
	v_mov_b32_e32 v7, v6
	v_mov_b32_e32 v8, v6
	v_mov_b32_e32 v9, v6
	scratch_store_dwordx4 off, v[6:9], off offset:48
	s_waitcnt vmcnt(1)
	ds_write_b128 v56, v[2:5]
.LBB84_133:
	s_or_b64 exec, exec, s[2:3]
	s_waitcnt lgkmcnt(0)
	; wave barrier
	scratch_load_dwordx4 v[4:7], off, off offset:64
	scratch_load_dwordx4 v[8:11], off, off offset:80
	;; [unrolled: 1-line block ×18, first 2 shown]
	v_mov_b32_e32 v2, 0
	ds_read_b128 v[122:125], v2 offset:400
	ds_read_b128 v[126:129], v2 offset:416
	;; [unrolled: 1-line block ×17, first 2 shown]
	v_cmp_lt_u32_e32 vcc, 2, v1
	s_waitcnt vmcnt(17) lgkmcnt(14)
	v_mul_f64 v[62:63], v[122:123], v[6:7]
	v_mul_f64 v[6:7], v[124:125], v[6:7]
	s_waitcnt vmcnt(16)
	v_mul_f64 v[190:191], v[126:127], v[10:11]
	v_mul_f64 v[10:11], v[128:129], v[10:11]
	v_fmac_f64_e32 v[62:63], v[124:125], v[4:5]
	v_fma_f64 v[4:5], v[122:123], v[4:5], -v[6:7]
	s_waitcnt vmcnt(15)
	v_mul_f64 v[192:193], v[130:131], v[18:19]
	v_mul_f64 v[18:19], v[132:133], v[18:19]
	v_fma_f64 v[6:7], v[126:127], v[8:9], -v[10:11]
	v_add_f64 v[4:5], v[4:5], 0
	s_waitcnt vmcnt(14) lgkmcnt(13)
	v_mul_f64 v[194:195], v[134:135], v[14:15]
	v_mul_f64 v[14:15], v[136:137], v[14:15]
	v_fmac_f64_e32 v[190:191], v[128:129], v[8:9]
	v_fma_f64 v[8:9], v[130:131], v[16:17], -v[18:19]
	v_add_f64 v[4:5], v[4:5], v[6:7]
	v_add_f64 v[4:5], v[4:5], v[8:9]
	v_fma_f64 v[8:9], v[134:135], v[12:13], -v[14:15]
	v_add_f64 v[4:5], v[4:5], v[8:9]
	s_waitcnt vmcnt(13) lgkmcnt(12)
	v_mul_f64 v[8:9], v[140:141], v[22:23]
	v_fma_f64 v[8:9], v[138:139], v[20:21], -v[8:9]
	v_add_f64 v[4:5], v[4:5], v[8:9]
	s_waitcnt vmcnt(12) lgkmcnt(11)
	v_mul_f64 v[8:9], v[144:145], v[26:27]
	;; [unrolled: 4-line block ×5, first 2 shown]
	v_fma_f64 v[8:9], v[154:155], v[36:37], -v[8:9]
	v_add_f64 v[10:11], v[62:63], 0
	v_add_f64 v[4:5], v[4:5], v[8:9]
	s_waitcnt vmcnt(8) lgkmcnt(7)
	v_mul_f64 v[8:9], v[160:161], v[42:43]
	v_fmac_f64_e32 v[192:193], v[132:133], v[16:17]
	v_add_f64 v[10:11], v[10:11], v[190:191]
	v_fma_f64 v[8:9], v[158:159], v[40:41], -v[8:9]
	v_mul_f64 v[196:197], v[138:139], v[22:23]
	v_fmac_f64_e32 v[194:195], v[136:137], v[12:13]
	v_add_f64 v[6:7], v[10:11], v[192:193]
	v_add_f64 v[4:5], v[4:5], v[8:9]
	s_waitcnt vmcnt(7) lgkmcnt(6)
	v_mul_f64 v[8:9], v[164:165], v[46:47]
	v_mul_f64 v[198:199], v[142:143], v[26:27]
	v_fmac_f64_e32 v[196:197], v[140:141], v[20:21]
	v_add_f64 v[6:7], v[6:7], v[194:195]
	v_fma_f64 v[8:9], v[162:163], v[44:45], -v[8:9]
	v_mul_f64 v[200:201], v[146:147], v[30:31]
	v_fmac_f64_e32 v[198:199], v[144:145], v[24:25]
	v_add_f64 v[6:7], v[6:7], v[196:197]
	v_add_f64 v[4:5], v[4:5], v[8:9]
	s_waitcnt vmcnt(6) lgkmcnt(5)
	v_mul_f64 v[8:9], v[168:169], v[50:51]
	;; [unrolled: 10-line block ×6, first 2 shown]
	v_mul_f64 v[218:219], v[182:183], v[112:113]
	v_fmac_f64_e32 v[216:217], v[180:181], v[106:107]
	v_add_f64 v[6:7], v[6:7], v[214:215]
	v_fma_f64 v[8:9], v[182:183], v[110:111], -v[8:9]
	s_waitcnt vmcnt(1) lgkmcnt(0)
	v_mul_f64 v[220:221], v[186:187], v[116:117]
	v_fmac_f64_e32 v[218:219], v[184:185], v[110:111]
	v_add_f64 v[6:7], v[6:7], v[216:217]
	v_add_f64 v[4:5], v[4:5], v[8:9]
	v_mul_f64 v[8:9], v[188:189], v[116:117]
	v_fmac_f64_e32 v[220:221], v[188:189], v[114:115]
	v_add_f64 v[6:7], v[6:7], v[218:219]
	v_fma_f64 v[8:9], v[186:187], v[114:115], -v[8:9]
	v_add_f64 v[6:7], v[6:7], v[220:221]
	v_add_f64 v[4:5], v[4:5], v[8:9]
	s_waitcnt vmcnt(0)
	v_add_f64 v[4:5], v[118:119], -v[4:5]
	v_add_f64 v[6:7], v[120:121], -v[6:7]
	scratch_store_dwordx4 off, v[4:7], off offset:48
	s_and_saveexec_b64 s[2:3], vcc
	s_cbranch_execz .LBB84_135
; %bb.134:
	scratch_load_dwordx4 v[6:9], off, s37
	v_mov_b32_e32 v3, v2
	v_mov_b32_e32 v4, v2
	;; [unrolled: 1-line block ×3, first 2 shown]
	scratch_store_dwordx4 off, v[2:5], off offset:32
	s_waitcnt vmcnt(1)
	ds_write_b128 v56, v[6:9]
.LBB84_135:
	s_or_b64 exec, exec, s[2:3]
	s_waitcnt lgkmcnt(0)
	; wave barrier
	scratch_load_dwordx4 v[4:7], off, off offset:48
	scratch_load_dwordx4 v[12:15], off, off offset:64
	;; [unrolled: 1-line block ×18, first 2 shown]
	ds_read_b128 v[122:125], v2 offset:384
	ds_read_b128 v[126:129], v2 offset:400
	;; [unrolled: 1-line block ×18, first 2 shown]
	scratch_load_dwordx4 v[194:197], off, off offset:32
	v_cmp_lt_u32_e32 vcc, 1, v1
	s_waitcnt vmcnt(18) lgkmcnt(14)
	v_mul_f64 v[2:3], v[122:123], v[6:7]
	s_waitcnt vmcnt(17)
	v_mul_f64 v[62:63], v[126:127], v[14:15]
	v_fmac_f64_e32 v[2:3], v[124:125], v[4:5]
	s_waitcnt vmcnt(16)
	v_mul_f64 v[198:199], v[130:131], v[10:11]
	v_fmac_f64_e32 v[62:63], v[128:129], v[12:13]
	v_add_f64 v[2:3], v[2:3], 0
	s_waitcnt vmcnt(15)
	v_mul_f64 v[200:201], v[134:135], v[18:19]
	v_fmac_f64_e32 v[198:199], v[132:133], v[8:9]
	v_add_f64 v[2:3], v[2:3], v[62:63]
	s_waitcnt vmcnt(14) lgkmcnt(13)
	v_mul_f64 v[202:203], v[138:139], v[22:23]
	v_fmac_f64_e32 v[200:201], v[136:137], v[16:17]
	v_add_f64 v[2:3], v[2:3], v[198:199]
	s_waitcnt vmcnt(13) lgkmcnt(12)
	;; [unrolled: 4-line block ×13, first 2 shown]
	v_mul_f64 v[226:227], v[186:187], v[116:117]
	v_mul_f64 v[6:7], v[124:125], v[6:7]
	v_fmac_f64_e32 v[224:225], v[184:185], v[110:111]
	v_add_f64 v[2:3], v[2:3], v[222:223]
	s_waitcnt vmcnt(1) lgkmcnt(0)
	v_mul_f64 v[228:229], v[190:191], v[120:121]
	v_mul_f64 v[14:15], v[128:129], v[14:15]
	v_fmac_f64_e32 v[226:227], v[188:189], v[114:115]
	v_fma_f64 v[4:5], v[122:123], v[4:5], -v[6:7]
	v_add_f64 v[2:3], v[2:3], v[224:225]
	v_mul_f64 v[10:11], v[132:133], v[10:11]
	v_fmac_f64_e32 v[228:229], v[192:193], v[118:119]
	v_fma_f64 v[6:7], v[126:127], v[12:13], -v[14:15]
	v_add_f64 v[4:5], v[4:5], 0
	v_add_f64 v[2:3], v[2:3], v[226:227]
	;; [unrolled: 1-line block ×4, first 2 shown]
	v_fma_f64 v[2:3], v[130:131], v[8:9], -v[10:11]
	v_add_f64 v[2:3], v[4:5], v[2:3]
	v_mul_f64 v[4:5], v[136:137], v[18:19]
	v_fma_f64 v[4:5], v[134:135], v[16:17], -v[4:5]
	v_add_f64 v[2:3], v[2:3], v[4:5]
	v_mul_f64 v[4:5], v[140:141], v[22:23]
	;; [unrolled: 3-line block ×15, first 2 shown]
	v_fma_f64 v[4:5], v[190:191], v[118:119], -v[4:5]
	v_add_f64 v[2:3], v[2:3], v[4:5]
	s_waitcnt vmcnt(0)
	v_add_f64 v[2:3], v[194:195], -v[2:3]
	v_add_f64 v[4:5], v[196:197], -v[6:7]
	scratch_store_dwordx4 off, v[2:5], off offset:32
	s_and_saveexec_b64 s[2:3], vcc
	s_cbranch_execz .LBB84_137
; %bb.136:
	scratch_load_dwordx4 v[2:5], off, s38
	v_mov_b32_e32 v6, 0
	v_mov_b32_e32 v7, v6
	v_mov_b32_e32 v8, v6
	v_mov_b32_e32 v9, v6
	scratch_store_dwordx4 off, v[6:9], off offset:16
	s_waitcnt vmcnt(1)
	ds_write_b128 v56, v[2:5]
.LBB84_137:
	s_or_b64 exec, exec, s[2:3]
	s_waitcnt lgkmcnt(0)
	; wave barrier
	scratch_load_dwordx4 v[8:11], off, off offset:32
	scratch_load_dwordx4 v[4:7], off, off offset:48
	scratch_load_dwordx4 v[12:15], off, off offset:64
	scratch_load_dwordx4 v[16:19], off, off offset:80
	scratch_load_dwordx4 v[20:23], off, off offset:96
	scratch_load_dwordx4 v[24:27], off, off offset:112
	scratch_load_dwordx4 v[28:31], off, off offset:128
	scratch_load_dwordx4 v[32:35], off, off offset:144
	scratch_load_dwordx4 v[36:39], off, off offset:160
	scratch_load_dwordx4 v[40:43], off, off offset:176
	scratch_load_dwordx4 v[44:47], off, off offset:192
	scratch_load_dwordx4 v[48:51], off, off offset:208
	scratch_load_dwordx4 v[52:55], off, off offset:224
	scratch_load_dwordx4 v[58:61], off, off offset:240
	scratch_load_dwordx4 v[106:109], off, off offset:256
	scratch_load_dwordx4 v[110:113], off, off offset:272
	scratch_load_dwordx4 v[114:117], off, off offset:288
	scratch_load_dwordx4 v[118:121], off, off offset:304
	scratch_load_dwordx4 v[122:125], off, off offset:320
	scratch_load_dwordx4 v[126:129], off, off offset:16
	v_mov_b32_e32 v2, 0
	ds_read_b128 v[130:133], v2 offset:368
	ds_read_b128 v[134:137], v2 offset:384
	;; [unrolled: 1-line block ×19, first 2 shown]
	v_cmp_ne_u32_e32 vcc, 0, v1
	s_waitcnt vmcnt(19) lgkmcnt(14)
	v_mul_f64 v[62:63], v[130:131], v[10:11]
	v_mul_f64 v[10:11], v[132:133], v[10:11]
	s_waitcnt vmcnt(18)
	v_mul_f64 v[206:207], v[134:135], v[6:7]
	v_fmac_f64_e32 v[62:63], v[132:133], v[8:9]
	v_fma_f64 v[8:9], v[130:131], v[8:9], -v[10:11]
	v_mul_f64 v[6:7], v[136:137], v[6:7]
	v_fmac_f64_e32 v[206:207], v[136:137], v[4:5]
	v_add_f64 v[8:9], v[8:9], 0
	v_fma_f64 v[4:5], v[134:135], v[4:5], -v[6:7]
	s_waitcnt vmcnt(17)
	v_mul_f64 v[6:7], v[140:141], v[14:15]
	v_add_f64 v[4:5], v[8:9], v[4:5]
	v_fma_f64 v[6:7], v[138:139], v[12:13], -v[6:7]
	v_add_f64 v[4:5], v[4:5], v[6:7]
	s_waitcnt vmcnt(16)
	v_mul_f64 v[6:7], v[144:145], v[18:19]
	v_fma_f64 v[6:7], v[142:143], v[16:17], -v[6:7]
	v_add_f64 v[4:5], v[4:5], v[6:7]
	s_waitcnt vmcnt(15)
	v_mul_f64 v[6:7], v[148:149], v[22:23]
	v_fma_f64 v[6:7], v[146:147], v[20:21], -v[6:7]
	v_add_f64 v[4:5], v[4:5], v[6:7]
	s_waitcnt vmcnt(14) lgkmcnt(13)
	v_mul_f64 v[6:7], v[152:153], v[26:27]
	v_fma_f64 v[6:7], v[150:151], v[24:25], -v[6:7]
	v_add_f64 v[4:5], v[4:5], v[6:7]
	s_waitcnt vmcnt(13) lgkmcnt(12)
	;; [unrolled: 4-line block ×5, first 2 shown]
	v_mul_f64 v[6:7], v[168:169], v[42:43]
	v_fma_f64 v[6:7], v[166:167], v[40:41], -v[6:7]
	v_mul_f64 v[208:209], v[138:139], v[14:15]
	v_add_f64 v[10:11], v[62:63], 0
	v_add_f64 v[4:5], v[4:5], v[6:7]
	s_waitcnt vmcnt(9) lgkmcnt(8)
	v_mul_f64 v[6:7], v[172:173], v[46:47]
	v_mul_f64 v[210:211], v[142:143], v[18:19]
	v_fmac_f64_e32 v[208:209], v[140:141], v[12:13]
	v_add_f64 v[10:11], v[10:11], v[206:207]
	v_fma_f64 v[6:7], v[170:171], v[44:45], -v[6:7]
	v_mul_f64 v[212:213], v[146:147], v[22:23]
	v_fmac_f64_e32 v[210:211], v[144:145], v[16:17]
	v_add_f64 v[10:11], v[10:11], v[208:209]
	v_add_f64 v[4:5], v[4:5], v[6:7]
	s_waitcnt vmcnt(8) lgkmcnt(7)
	v_mul_f64 v[6:7], v[176:177], v[50:51]
	v_mul_f64 v[214:215], v[150:151], v[26:27]
	v_fmac_f64_e32 v[212:213], v[148:149], v[20:21]
	v_add_f64 v[10:11], v[10:11], v[210:211]
	v_fma_f64 v[6:7], v[174:175], v[48:49], -v[6:7]
	v_mul_f64 v[216:217], v[154:155], v[30:31]
	v_fmac_f64_e32 v[214:215], v[152:153], v[24:25]
	;; [unrolled: 10-line block ×7, first 2 shown]
	v_add_f64 v[10:11], v[10:11], v[232:233]
	v_add_f64 v[4:5], v[4:5], v[6:7]
	s_waitcnt vmcnt(2) lgkmcnt(1)
	v_mul_f64 v[6:7], v[200:201], v[120:121]
	v_mul_f64 v[238:239], v[198:199], v[120:121]
	v_fmac_f64_e32 v[236:237], v[196:197], v[114:115]
	v_add_f64 v[10:11], v[10:11], v[234:235]
	v_fma_f64 v[6:7], v[198:199], v[118:119], -v[6:7]
	s_waitcnt vmcnt(1) lgkmcnt(0)
	v_mul_f64 v[240:241], v[202:203], v[124:125]
	v_fmac_f64_e32 v[238:239], v[200:201], v[118:119]
	v_add_f64 v[10:11], v[10:11], v[236:237]
	v_add_f64 v[4:5], v[4:5], v[6:7]
	v_mul_f64 v[6:7], v[204:205], v[124:125]
	v_fmac_f64_e32 v[240:241], v[204:205], v[122:123]
	v_add_f64 v[10:11], v[10:11], v[238:239]
	v_fma_f64 v[6:7], v[202:203], v[122:123], -v[6:7]
	v_add_f64 v[10:11], v[10:11], v[240:241]
	v_add_f64 v[4:5], v[4:5], v[6:7]
	s_waitcnt vmcnt(0)
	v_add_f64 v[4:5], v[126:127], -v[4:5]
	v_add_f64 v[6:7], v[128:129], -v[10:11]
	scratch_store_dwordx4 off, v[4:7], off offset:16
	s_and_saveexec_b64 s[2:3], vcc
	s_cbranch_execz .LBB84_139
; %bb.138:
	scratch_load_dwordx4 v[6:9], off, off
	v_mov_b32_e32 v3, v2
	v_mov_b32_e32 v4, v2
	;; [unrolled: 1-line block ×3, first 2 shown]
	scratch_store_dwordx4 off, v[2:5], off
	s_waitcnt vmcnt(1)
	ds_write_b128 v56, v[6:9]
.LBB84_139:
	s_or_b64 exec, exec, s[2:3]
	s_waitcnt lgkmcnt(0)
	; wave barrier
	scratch_load_dwordx4 v[4:7], off, off offset:16
	scratch_load_dwordx4 v[8:11], off, off offset:32
	scratch_load_dwordx4 v[12:15], off, off offset:48
	scratch_load_dwordx4 v[16:19], off, off offset:64
	scratch_load_dwordx4 v[20:23], off, off offset:80
	scratch_load_dwordx4 v[24:27], off, off offset:96
	scratch_load_dwordx4 v[28:31], off, off offset:112
	scratch_load_dwordx4 v[32:35], off, off offset:128
	scratch_load_dwordx4 v[36:39], off, off offset:144
	scratch_load_dwordx4 v[40:43], off, off offset:160
	scratch_load_dwordx4 v[44:47], off, off offset:176
	scratch_load_dwordx4 v[48:51], off, off offset:192
	scratch_load_dwordx4 v[52:55], off, off offset:208
	scratch_load_dwordx4 v[56:59], off, off offset:224
	scratch_load_dwordx4 v[60:63], off, off offset:240
	scratch_load_dwordx4 v[106:109], off, off offset:256
	scratch_load_dwordx4 v[110:113], off, off offset:272
	scratch_load_dwordx4 v[114:117], off, off offset:288
	scratch_load_dwordx4 v[118:121], off, off offset:304
	scratch_load_dwordx4 v[122:125], off, off offset:320
	ds_read_b128 v[126:129], v2 offset:352
	ds_read_b128 v[130:133], v2 offset:368
	;; [unrolled: 1-line block ×20, first 2 shown]
	scratch_load_dwordx4 v[206:209], off, off
	s_and_b64 vcc, exec, s[14:15]
	s_waitcnt vmcnt(20) lgkmcnt(14)
	v_mul_f64 v[2:3], v[126:127], v[6:7]
	s_waitcnt vmcnt(19)
	v_mul_f64 v[210:211], v[130:131], v[10:11]
	v_fmac_f64_e32 v[2:3], v[128:129], v[4:5]
	s_waitcnt vmcnt(18)
	v_mul_f64 v[212:213], v[134:135], v[14:15]
	v_fmac_f64_e32 v[210:211], v[132:133], v[8:9]
	v_add_f64 v[2:3], v[2:3], 0
	s_waitcnt vmcnt(17)
	v_mul_f64 v[214:215], v[138:139], v[18:19]
	v_fmac_f64_e32 v[212:213], v[136:137], v[12:13]
	v_add_f64 v[2:3], v[2:3], v[210:211]
	;; [unrolled: 4-line block ×4, first 2 shown]
	s_waitcnt vmcnt(14) lgkmcnt(13)
	v_mul_f64 v[220:221], v[150:151], v[30:31]
	v_fmac_f64_e32 v[218:219], v[148:149], v[24:25]
	v_add_f64 v[2:3], v[2:3], v[216:217]
	s_waitcnt vmcnt(13) lgkmcnt(12)
	v_mul_f64 v[222:223], v[154:155], v[34:35]
	v_fmac_f64_e32 v[220:221], v[152:153], v[28:29]
	v_add_f64 v[2:3], v[2:3], v[218:219]
	;; [unrolled: 4-line block ×14, first 2 shown]
	v_add_f64 v[2:3], v[2:3], v[244:245]
	v_fmac_f64_e32 v[246:247], v[204:205], v[122:123]
	v_add_f64 v[210:211], v[2:3], v[246:247]
	v_mul_f64 v[2:3], v[128:129], v[6:7]
	v_fma_f64 v[2:3], v[126:127], v[4:5], -v[2:3]
	v_mul_f64 v[4:5], v[132:133], v[10:11]
	v_add_f64 v[2:3], v[2:3], 0
	v_fma_f64 v[4:5], v[130:131], v[8:9], -v[4:5]
	v_add_f64 v[2:3], v[2:3], v[4:5]
	v_mul_f64 v[4:5], v[136:137], v[14:15]
	v_fma_f64 v[4:5], v[134:135], v[12:13], -v[4:5]
	v_add_f64 v[2:3], v[2:3], v[4:5]
	v_mul_f64 v[4:5], v[140:141], v[18:19]
	v_fma_f64 v[4:5], v[138:139], v[16:17], -v[4:5]
	v_add_f64 v[2:3], v[2:3], v[4:5]
	v_mul_f64 v[4:5], v[144:145], v[22:23]
	v_fma_f64 v[4:5], v[142:143], v[20:21], -v[4:5]
	v_add_f64 v[2:3], v[2:3], v[4:5]
	v_mul_f64 v[4:5], v[148:149], v[26:27]
	v_fma_f64 v[4:5], v[146:147], v[24:25], -v[4:5]
	v_add_f64 v[2:3], v[2:3], v[4:5]
	v_mul_f64 v[4:5], v[152:153], v[30:31]
	v_fma_f64 v[4:5], v[150:151], v[28:29], -v[4:5]
	v_add_f64 v[2:3], v[2:3], v[4:5]
	v_mul_f64 v[4:5], v[156:157], v[34:35]
	v_fma_f64 v[4:5], v[154:155], v[32:33], -v[4:5]
	v_add_f64 v[2:3], v[2:3], v[4:5]
	v_mul_f64 v[4:5], v[160:161], v[38:39]
	v_fma_f64 v[4:5], v[158:159], v[36:37], -v[4:5]
	v_add_f64 v[2:3], v[2:3], v[4:5]
	v_mul_f64 v[4:5], v[164:165], v[42:43]
	v_fma_f64 v[4:5], v[162:163], v[40:41], -v[4:5]
	v_add_f64 v[2:3], v[2:3], v[4:5]
	v_mul_f64 v[4:5], v[168:169], v[46:47]
	v_fma_f64 v[4:5], v[166:167], v[44:45], -v[4:5]
	v_add_f64 v[2:3], v[2:3], v[4:5]
	v_mul_f64 v[4:5], v[172:173], v[50:51]
	v_fma_f64 v[4:5], v[170:171], v[48:49], -v[4:5]
	v_add_f64 v[2:3], v[2:3], v[4:5]
	v_mul_f64 v[4:5], v[176:177], v[54:55]
	v_fma_f64 v[4:5], v[174:175], v[52:53], -v[4:5]
	v_add_f64 v[2:3], v[2:3], v[4:5]
	v_mul_f64 v[4:5], v[180:181], v[58:59]
	v_fma_f64 v[4:5], v[178:179], v[56:57], -v[4:5]
	v_add_f64 v[2:3], v[2:3], v[4:5]
	v_mul_f64 v[4:5], v[184:185], v[62:63]
	v_fma_f64 v[4:5], v[182:183], v[60:61], -v[4:5]
	v_add_f64 v[2:3], v[2:3], v[4:5]
	v_mul_f64 v[4:5], v[188:189], v[108:109]
	v_fma_f64 v[4:5], v[186:187], v[106:107], -v[4:5]
	v_add_f64 v[2:3], v[2:3], v[4:5]
	v_mul_f64 v[4:5], v[192:193], v[112:113]
	v_fma_f64 v[4:5], v[190:191], v[110:111], -v[4:5]
	v_add_f64 v[2:3], v[2:3], v[4:5]
	v_mul_f64 v[4:5], v[196:197], v[116:117]
	v_fma_f64 v[4:5], v[194:195], v[114:115], -v[4:5]
	v_add_f64 v[2:3], v[2:3], v[4:5]
	v_mul_f64 v[4:5], v[200:201], v[120:121]
	v_fma_f64 v[4:5], v[198:199], v[118:119], -v[4:5]
	v_add_f64 v[2:3], v[2:3], v[4:5]
	v_mul_f64 v[4:5], v[204:205], v[124:125]
	v_fma_f64 v[4:5], v[202:203], v[122:123], -v[4:5]
	v_add_f64 v[2:3], v[2:3], v[4:5]
	s_waitcnt vmcnt(0)
	v_add_f64 v[2:3], v[206:207], -v[2:3]
	v_add_f64 v[4:5], v[208:209], -v[210:211]
	scratch_store_dwordx4 off, v[2:5], off
	s_cbranch_vccz .LBB84_180
; %bb.140:
	s_nop 0
	v_mov_b32_e32 v2, 0
	global_load_dword v3, v2, s[12:13] offset:76
	s_load_dwordx2 s[2:3], s[0:1], 0x4
	v_bfe_u32 v4, v0, 10, 10
	v_bfe_u32 v0, v0, 20, 10
	s_waitcnt lgkmcnt(0)
	s_lshr_b32 s0, s2, 16
	s_mul_i32 s0, s0, s3
	v_mul_u32_u24_e32 v1, s0, v1
	v_mul_u32_u24_e32 v4, s3, v4
	v_add3_u32 v0, v1, v4, v0
	v_mov_b32_e32 v1, 0x2a8
	v_lshl_add_u32 v0, v0, 4, v1
	s_waitcnt vmcnt(0)
	v_readfirstlane_b32 s0, v3
	s_add_i32 s0, s0, -1
	s_cmp_lg_u32 s0, 19
	s_cbranch_scc0 .LBB84_142
; %bb.141:
	s_lshl_b32 s0, s0, 4
	scratch_load_dwordx4 v[4:7], off, s19
	scratch_load_dwordx4 v[8:11], off, s0
	s_waitcnt vmcnt(1)
	ds_write2_b64 v0, v[4:5], v[6:7] offset1:1
	s_waitcnt vmcnt(0)
	scratch_store_dwordx4 off, v[8:11], s19
	scratch_store_dwordx4 off, v[4:7], s0
.LBB84_142:
	global_load_dword v1, v2, s[12:13] offset:72
	s_waitcnt vmcnt(0)
	v_readfirstlane_b32 s0, v1
	s_add_i32 s0, s0, -1
	s_cmp_eq_u32 s0, 18
	s_cbranch_scc1 .LBB84_144
; %bb.143:
	s_lshl_b32 s0, s0, 4
	scratch_load_dwordx4 v[2:5], off, s20
	scratch_load_dwordx4 v[6:9], off, s0
	s_waitcnt vmcnt(1)
	ds_write2_b64 v0, v[2:3], v[4:5] offset1:1
	s_waitcnt vmcnt(0)
	scratch_store_dwordx4 off, v[6:9], s20
	scratch_store_dwordx4 off, v[2:5], s0
.LBB84_144:
	v_mov_b32_e32 v1, 0
	global_load_dword v2, v1, s[12:13] offset:68
	s_waitcnt vmcnt(0)
	v_readfirstlane_b32 s0, v2
	s_add_i32 s0, s0, -1
	s_cmp_eq_u32 s0, 17
	s_cbranch_scc1 .LBB84_146
; %bb.145:
	s_lshl_b32 s0, s0, 4
	scratch_load_dwordx4 v[2:5], off, s21
	scratch_load_dwordx4 v[6:9], off, s0
	s_waitcnt vmcnt(1)
	ds_write2_b64 v0, v[2:3], v[4:5] offset1:1
	s_waitcnt vmcnt(0)
	scratch_store_dwordx4 off, v[6:9], s21
	scratch_store_dwordx4 off, v[2:5], s0
.LBB84_146:
	global_load_dword v1, v1, s[12:13] offset:64
	s_waitcnt vmcnt(0)
	v_readfirstlane_b32 s0, v1
	s_add_i32 s0, s0, -1
	s_cmp_eq_u32 s0, 16
	s_cbranch_scc1 .LBB84_148
; %bb.147:
	s_lshl_b32 s0, s0, 4
	scratch_load_dwordx4 v[2:5], off, s22
	scratch_load_dwordx4 v[6:9], off, s0
	s_waitcnt vmcnt(1)
	ds_write2_b64 v0, v[2:3], v[4:5] offset1:1
	s_waitcnt vmcnt(0)
	scratch_store_dwordx4 off, v[6:9], s22
	scratch_store_dwordx4 off, v[2:5], s0
.LBB84_148:
	v_mov_b32_e32 v1, 0
	global_load_dword v2, v1, s[12:13] offset:60
	s_waitcnt vmcnt(0)
	v_readfirstlane_b32 s0, v2
	s_add_i32 s0, s0, -1
	s_cmp_eq_u32 s0, 15
	s_cbranch_scc1 .LBB84_150
; %bb.149:
	s_lshl_b32 s0, s0, 4
	scratch_load_dwordx4 v[2:5], off, s23
	scratch_load_dwordx4 v[6:9], off, s0
	s_waitcnt vmcnt(1)
	ds_write2_b64 v0, v[2:3], v[4:5] offset1:1
	s_waitcnt vmcnt(0)
	scratch_store_dwordx4 off, v[6:9], s23
	scratch_store_dwordx4 off, v[2:5], s0
.LBB84_150:
	;; [unrolled: 33-line block ×9, first 2 shown]
	global_load_dword v1, v1, s[12:13]
	s_waitcnt vmcnt(0)
	v_readfirstlane_b32 s0, v1
	s_add_i32 s0, s0, -1
	s_cmp_eq_u32 s0, 0
	s_cbranch_scc1 .LBB84_180
; %bb.179:
	s_lshl_b32 s0, s0, 4
	scratch_load_dwordx4 v[2:5], off, off
	scratch_load_dwordx4 v[6:9], off, s0
	s_waitcnt vmcnt(1)
	ds_write2_b64 v0, v[2:3], v[4:5] offset1:1
	s_waitcnt vmcnt(0)
	scratch_store_dwordx4 off, v[6:9], off
	scratch_store_dwordx4 off, v[2:5], s0
.LBB84_180:
	scratch_load_dwordx4 v[0:3], off, off
	s_waitcnt vmcnt(0)
	flat_store_dwordx4 v[64:65], v[0:3]
	scratch_load_dwordx4 v[0:3], off, s38
	s_waitcnt vmcnt(0)
	flat_store_dwordx4 v[66:67], v[0:3]
	scratch_load_dwordx4 v[0:3], off, s37
	;; [unrolled: 3-line block ×20, first 2 shown]
	s_waitcnt vmcnt(0)
	flat_store_dwordx4 v[104:105], v[0:3]
	s_endpgm
	.section	.rodata,"a",@progbits
	.p2align	6, 0x0
	.amdhsa_kernel _ZN9rocsolver6v33100L18getri_kernel_smallILi21E19rocblas_complex_numIdEPKPS3_EEvT1_iilPiilS8_bb
		.amdhsa_group_segment_fixed_size 1704
		.amdhsa_private_segment_fixed_size 352
		.amdhsa_kernarg_size 60
		.amdhsa_user_sgpr_count 4
		.amdhsa_user_sgpr_dispatch_ptr 1
		.amdhsa_user_sgpr_queue_ptr 0
		.amdhsa_user_sgpr_kernarg_segment_ptr 1
		.amdhsa_user_sgpr_dispatch_id 0
		.amdhsa_user_sgpr_kernarg_preload_length 0
		.amdhsa_user_sgpr_kernarg_preload_offset 0
		.amdhsa_user_sgpr_private_segment_size 0
		.amdhsa_uses_dynamic_stack 0
		.amdhsa_enable_private_segment 1
		.amdhsa_system_sgpr_workgroup_id_x 1
		.amdhsa_system_sgpr_workgroup_id_y 0
		.amdhsa_system_sgpr_workgroup_id_z 0
		.amdhsa_system_sgpr_workgroup_info 0
		.amdhsa_system_vgpr_workitem_id 2
		.amdhsa_next_free_vgpr 248
		.amdhsa_next_free_sgpr 43
		.amdhsa_accum_offset 248
		.amdhsa_reserve_vcc 1
		.amdhsa_float_round_mode_32 0
		.amdhsa_float_round_mode_16_64 0
		.amdhsa_float_denorm_mode_32 3
		.amdhsa_float_denorm_mode_16_64 3
		.amdhsa_dx10_clamp 1
		.amdhsa_ieee_mode 1
		.amdhsa_fp16_overflow 0
		.amdhsa_tg_split 0
		.amdhsa_exception_fp_ieee_invalid_op 0
		.amdhsa_exception_fp_denorm_src 0
		.amdhsa_exception_fp_ieee_div_zero 0
		.amdhsa_exception_fp_ieee_overflow 0
		.amdhsa_exception_fp_ieee_underflow 0
		.amdhsa_exception_fp_ieee_inexact 0
		.amdhsa_exception_int_div_zero 0
	.end_amdhsa_kernel
	.section	.text._ZN9rocsolver6v33100L18getri_kernel_smallILi21E19rocblas_complex_numIdEPKPS3_EEvT1_iilPiilS8_bb,"axG",@progbits,_ZN9rocsolver6v33100L18getri_kernel_smallILi21E19rocblas_complex_numIdEPKPS3_EEvT1_iilPiilS8_bb,comdat
.Lfunc_end84:
	.size	_ZN9rocsolver6v33100L18getri_kernel_smallILi21E19rocblas_complex_numIdEPKPS3_EEvT1_iilPiilS8_bb, .Lfunc_end84-_ZN9rocsolver6v33100L18getri_kernel_smallILi21E19rocblas_complex_numIdEPKPS3_EEvT1_iilPiilS8_bb
                                        ; -- End function
	.set _ZN9rocsolver6v33100L18getri_kernel_smallILi21E19rocblas_complex_numIdEPKPS3_EEvT1_iilPiilS8_bb.num_vgpr, 248
	.set _ZN9rocsolver6v33100L18getri_kernel_smallILi21E19rocblas_complex_numIdEPKPS3_EEvT1_iilPiilS8_bb.num_agpr, 0
	.set _ZN9rocsolver6v33100L18getri_kernel_smallILi21E19rocblas_complex_numIdEPKPS3_EEvT1_iilPiilS8_bb.numbered_sgpr, 43
	.set _ZN9rocsolver6v33100L18getri_kernel_smallILi21E19rocblas_complex_numIdEPKPS3_EEvT1_iilPiilS8_bb.num_named_barrier, 0
	.set _ZN9rocsolver6v33100L18getri_kernel_smallILi21E19rocblas_complex_numIdEPKPS3_EEvT1_iilPiilS8_bb.private_seg_size, 352
	.set _ZN9rocsolver6v33100L18getri_kernel_smallILi21E19rocblas_complex_numIdEPKPS3_EEvT1_iilPiilS8_bb.uses_vcc, 1
	.set _ZN9rocsolver6v33100L18getri_kernel_smallILi21E19rocblas_complex_numIdEPKPS3_EEvT1_iilPiilS8_bb.uses_flat_scratch, 0
	.set _ZN9rocsolver6v33100L18getri_kernel_smallILi21E19rocblas_complex_numIdEPKPS3_EEvT1_iilPiilS8_bb.has_dyn_sized_stack, 0
	.set _ZN9rocsolver6v33100L18getri_kernel_smallILi21E19rocblas_complex_numIdEPKPS3_EEvT1_iilPiilS8_bb.has_recursion, 0
	.set _ZN9rocsolver6v33100L18getri_kernel_smallILi21E19rocblas_complex_numIdEPKPS3_EEvT1_iilPiilS8_bb.has_indirect_call, 0
	.section	.AMDGPU.csdata,"",@progbits
; Kernel info:
; codeLenInByte = 23688
; TotalNumSgprs: 49
; NumVgprs: 248
; NumAgprs: 0
; TotalNumVgprs: 248
; ScratchSize: 352
; MemoryBound: 0
; FloatMode: 240
; IeeeMode: 1
; LDSByteSize: 1704 bytes/workgroup (compile time only)
; SGPRBlocks: 6
; VGPRBlocks: 30
; NumSGPRsForWavesPerEU: 49
; NumVGPRsForWavesPerEU: 248
; AccumOffset: 248
; Occupancy: 2
; WaveLimiterHint : 1
; COMPUTE_PGM_RSRC2:SCRATCH_EN: 1
; COMPUTE_PGM_RSRC2:USER_SGPR: 4
; COMPUTE_PGM_RSRC2:TRAP_HANDLER: 0
; COMPUTE_PGM_RSRC2:TGID_X_EN: 1
; COMPUTE_PGM_RSRC2:TGID_Y_EN: 0
; COMPUTE_PGM_RSRC2:TGID_Z_EN: 0
; COMPUTE_PGM_RSRC2:TIDIG_COMP_CNT: 2
; COMPUTE_PGM_RSRC3_GFX90A:ACCUM_OFFSET: 61
; COMPUTE_PGM_RSRC3_GFX90A:TG_SPLIT: 0
	.section	.text._ZN9rocsolver6v33100L18getri_kernel_smallILi22E19rocblas_complex_numIdEPKPS3_EEvT1_iilPiilS8_bb,"axG",@progbits,_ZN9rocsolver6v33100L18getri_kernel_smallILi22E19rocblas_complex_numIdEPKPS3_EEvT1_iilPiilS8_bb,comdat
	.globl	_ZN9rocsolver6v33100L18getri_kernel_smallILi22E19rocblas_complex_numIdEPKPS3_EEvT1_iilPiilS8_bb ; -- Begin function _ZN9rocsolver6v33100L18getri_kernel_smallILi22E19rocblas_complex_numIdEPKPS3_EEvT1_iilPiilS8_bb
	.p2align	8
	.type	_ZN9rocsolver6v33100L18getri_kernel_smallILi22E19rocblas_complex_numIdEPKPS3_EEvT1_iilPiilS8_bb,@function
_ZN9rocsolver6v33100L18getri_kernel_smallILi22E19rocblas_complex_numIdEPKPS3_EEvT1_iilPiilS8_bb: ; @_ZN9rocsolver6v33100L18getri_kernel_smallILi22E19rocblas_complex_numIdEPKPS3_EEvT1_iilPiilS8_bb
; %bb.0:
	v_and_b32_e32 v1, 0x3ff, v0
	v_cmp_gt_u32_e32 vcc, 22, v1
	s_and_saveexec_b64 s[6:7], vcc
	s_cbranch_execz .LBB85_102
; %bb.1:
	s_load_dword s18, s[2:3], 0x38
	s_load_dwordx2 s[6:7], s[2:3], 0x0
	s_load_dwordx4 s[8:11], s[2:3], 0x28
	s_waitcnt lgkmcnt(0)
	s_bitcmp1_b32 s18, 8
	s_cselect_b64 s[14:15], -1, 0
	s_ashr_i32 s5, s4, 31
	s_lshl_b64 s[12:13], s[4:5], 3
	s_add_u32 s6, s6, s12
	s_addc_u32 s7, s7, s13
	s_load_dwordx2 s[16:17], s[6:7], 0x0
	s_bfe_u32 s6, s18, 0x10008
	s_cmp_eq_u32 s6, 0
                                        ; implicit-def: $sgpr12_sgpr13
	s_cbranch_scc1 .LBB85_3
; %bb.2:
	s_load_dword s6, s[2:3], 0x20
	s_load_dwordx2 s[12:13], s[2:3], 0x18
	s_mul_i32 s7, s8, s5
	s_mul_hi_u32 s18, s8, s4
	s_add_i32 s18, s18, s7
	s_mul_i32 s9, s9, s4
	s_add_i32 s9, s18, s9
	s_mul_i32 s8, s8, s4
	s_waitcnt lgkmcnt(0)
	s_ashr_i32 s7, s6, 31
	s_lshl_b64 s[8:9], s[8:9], 2
	s_add_u32 s8, s12, s8
	s_addc_u32 s9, s13, s9
	s_lshl_b64 s[6:7], s[6:7], 2
	s_add_u32 s12, s8, s6
	s_addc_u32 s13, s9, s7
.LBB85_3:
	s_load_dwordx2 s[6:7], s[2:3], 0x8
	s_load_dword s8, s[2:3], 0x38
	v_lshlrev_b32_e32 v14, 4, v1
	v_mov_b32_e32 v15, 0
	s_movk_i32 s40, 0x110
	s_waitcnt lgkmcnt(0)
	s_ashr_i32 s3, s6, 31
	s_mov_b32 s2, s6
	s_lshl_b64 s[2:3], s[2:3], 4
	s_add_u32 s2, s16, s2
	s_addc_u32 s3, s17, s3
	v_lshl_add_u64 v[70:71], s[2:3], 0, v[14:15]
	flat_load_dwordx4 v[2:5], v[70:71]
	s_mov_b32 s16, s7
	s_ashr_i32 s17, s7, 31
	v_lshl_add_u64 v[72:73], s[16:17], 4, v[70:71]
	s_add_i32 s6, s7, s7
	v_add_u32_e32 v6, s6, v1
	v_ashrrev_i32_e32 v7, 31, v6
	v_lshl_add_u64 v[74:75], v[6:7], 4, s[2:3]
	v_add_u32_e32 v6, s7, v6
	v_ashrrev_i32_e32 v7, 31, v6
	v_lshl_add_u64 v[76:77], v[6:7], 4, s[2:3]
	;; [unrolled: 3-line block ×20, first 2 shown]
	s_movk_i32 s41, 0x120
	s_movk_i32 s42, 0x130
	;; [unrolled: 1-line block ×15, first 2 shown]
	s_waitcnt vmcnt(0) lgkmcnt(0)
	scratch_store_dwordx4 off, v[2:5], off
	flat_load_dwordx4 v[2:5], v[72:73]
	s_movk_i32 s23, 0x100
	s_mov_b32 s39, 16
	s_mov_b32 s38, 32
	;; [unrolled: 1-line block ×9, first 2 shown]
	s_bitcmp0_b32 s8, 0
	s_mov_b64 s[6:7], -1
	s_waitcnt vmcnt(0) lgkmcnt(0)
	scratch_store_dwordx4 off, v[2:5], off offset:16
	flat_load_dwordx4 v[2:5], v[74:75]
	s_waitcnt vmcnt(0) lgkmcnt(0)
	scratch_store_dwordx4 off, v[2:5], off offset:32
	flat_load_dwordx4 v[2:5], v[76:77]
	;; [unrolled: 3-line block ×20, first 2 shown]
	s_waitcnt vmcnt(0) lgkmcnt(0)
	scratch_store_dwordx4 off, v[2:5], off offset:336
	s_cbranch_scc1 .LBB85_100
; %bb.4:
	v_cmp_eq_u32_e64 s[2:3], 0, v1
	s_and_saveexec_b64 s[6:7], s[2:3]
; %bb.5:
	v_mov_b32_e32 v2, 0
	ds_write_b32 v2, v2 offset:704
; %bb.6:
	s_or_b64 exec, exec, s[6:7]
	s_waitcnt lgkmcnt(0)
	; wave barrier
	scratch_load_dwordx4 v[2:5], v14, off
	s_waitcnt vmcnt(0)
	v_cmp_eq_f64_e32 vcc, 0, v[2:3]
	v_cmp_eq_f64_e64 s[6:7], 0, v[4:5]
	s_and_b64 s[6:7], vcc, s[6:7]
	s_and_saveexec_b64 s[8:9], s[6:7]
	s_cbranch_execz .LBB85_10
; %bb.7:
	v_mov_b32_e32 v2, 0
	ds_read_b32 v4, v2 offset:704
	v_add_u32_e32 v3, 1, v1
	s_waitcnt lgkmcnt(0)
	v_readfirstlane_b32 s6, v4
	s_cmp_eq_u32 s6, 0
	s_cselect_b64 s[16:17], -1, 0
	v_cmp_gt_i32_e32 vcc, s6, v3
	s_or_b64 s[16:17], s[16:17], vcc
	s_and_b64 exec, exec, s[16:17]
	s_cbranch_execz .LBB85_10
; %bb.8:
	s_mov_b64 s[16:17], 0
	v_mov_b32_e32 v4, s6
.LBB85_9:                               ; =>This Inner Loop Header: Depth=1
	ds_cmpst_rtn_b32 v4, v2, v4, v3 offset:704
	s_waitcnt lgkmcnt(0)
	v_cmp_ne_u32_e32 vcc, 0, v4
	v_cmp_le_i32_e64 s[6:7], v4, v3
	s_and_b64 s[6:7], vcc, s[6:7]
	s_and_b64 s[6:7], exec, s[6:7]
	s_or_b64 s[16:17], s[6:7], s[16:17]
	s_andn2_b64 exec, exec, s[16:17]
	s_cbranch_execnz .LBB85_9
.LBB85_10:
	s_or_b64 exec, exec, s[8:9]
	v_mov_b32_e32 v3, 0
	; wave barrier
	ds_read_b32 v2, v3 offset:704
	s_and_saveexec_b64 s[6:7], s[2:3]
	s_cbranch_execz .LBB85_12
; %bb.11:
	s_lshl_b64 s[8:9], s[4:5], 2
	s_add_u32 s8, s10, s8
	s_addc_u32 s9, s11, s9
	s_waitcnt lgkmcnt(0)
	global_store_dword v3, v2, s[8:9]
.LBB85_12:
	s_or_b64 exec, exec, s[6:7]
	s_waitcnt lgkmcnt(0)
	v_cmp_ne_u32_e32 vcc, 0, v2
	s_mov_b64 s[6:7], 0
	s_cbranch_vccnz .LBB85_100
; %bb.13:
	v_mov_b32_e32 v15, v14
	scratch_load_dwordx4 v[2:5], v15, off
                                        ; implicit-def: $vgpr6_vgpr7
                                        ; implicit-def: $vgpr10_vgpr11
	s_waitcnt vmcnt(0)
	v_cmp_ngt_f64_e64 s[6:7], |v[2:3]|, |v[4:5]|
	s_and_saveexec_b64 s[8:9], s[6:7]
	s_xor_b64 s[6:7], exec, s[8:9]
	s_cbranch_execz .LBB85_15
; %bb.14:
	v_div_scale_f64 v[6:7], s[8:9], v[4:5], v[4:5], v[2:3]
	v_rcp_f64_e32 v[8:9], v[6:7]
	v_div_scale_f64 v[10:11], vcc, v[2:3], v[4:5], v[2:3]
	v_fma_f64 v[12:13], -v[6:7], v[8:9], 1.0
	v_fmac_f64_e32 v[8:9], v[8:9], v[12:13]
	v_fma_f64 v[12:13], -v[6:7], v[8:9], 1.0
	v_fmac_f64_e32 v[8:9], v[8:9], v[12:13]
	v_mul_f64 v[12:13], v[10:11], v[8:9]
	v_fma_f64 v[6:7], -v[6:7], v[12:13], v[10:11]
	v_div_fmas_f64 v[6:7], v[6:7], v[8:9], v[12:13]
	v_div_fixup_f64 v[6:7], v[6:7], v[4:5], v[2:3]
	v_fmac_f64_e32 v[4:5], v[2:3], v[6:7]
	v_div_scale_f64 v[2:3], s[8:9], v[4:5], v[4:5], 1.0
	v_rcp_f64_e32 v[8:9], v[2:3]
	s_nop 0
	v_fma_f64 v[10:11], -v[2:3], v[8:9], 1.0
	v_fmac_f64_e32 v[8:9], v[8:9], v[10:11]
	v_fma_f64 v[10:11], -v[2:3], v[8:9], 1.0
	v_fmac_f64_e32 v[8:9], v[8:9], v[10:11]
	v_div_scale_f64 v[10:11], vcc, 1.0, v[4:5], 1.0
	v_mul_f64 v[12:13], v[10:11], v[8:9]
	v_fma_f64 v[2:3], -v[2:3], v[12:13], v[10:11]
	s_nop 1
	v_div_fmas_f64 v[2:3], v[2:3], v[8:9], v[12:13]
	v_div_fixup_f64 v[8:9], v[2:3], v[4:5], 1.0
	v_mul_f64 v[6:7], v[6:7], v[8:9]
	v_xor_b32_e32 v9, 0x80000000, v9
	v_xor_b32_e32 v11, 0x80000000, v7
	v_mov_b32_e32 v10, v6
                                        ; implicit-def: $vgpr2_vgpr3
.LBB85_15:
	s_andn2_saveexec_b64 s[6:7], s[6:7]
	s_cbranch_execz .LBB85_17
; %bb.16:
	v_div_scale_f64 v[6:7], s[8:9], v[2:3], v[2:3], v[4:5]
	v_rcp_f64_e32 v[8:9], v[6:7]
	v_div_scale_f64 v[10:11], vcc, v[4:5], v[2:3], v[4:5]
	v_fma_f64 v[12:13], -v[6:7], v[8:9], 1.0
	v_fmac_f64_e32 v[8:9], v[8:9], v[12:13]
	v_fma_f64 v[12:13], -v[6:7], v[8:9], 1.0
	v_fmac_f64_e32 v[8:9], v[8:9], v[12:13]
	v_mul_f64 v[12:13], v[10:11], v[8:9]
	v_fma_f64 v[6:7], -v[6:7], v[12:13], v[10:11]
	v_div_fmas_f64 v[6:7], v[6:7], v[8:9], v[12:13]
	v_div_fixup_f64 v[8:9], v[6:7], v[2:3], v[4:5]
	v_fmac_f64_e32 v[2:3], v[4:5], v[8:9]
	v_div_scale_f64 v[4:5], s[8:9], v[2:3], v[2:3], 1.0
	v_rcp_f64_e32 v[6:7], v[4:5]
	s_nop 0
	v_fma_f64 v[10:11], -v[4:5], v[6:7], 1.0
	v_fmac_f64_e32 v[6:7], v[6:7], v[10:11]
	v_fma_f64 v[10:11], -v[4:5], v[6:7], 1.0
	v_fmac_f64_e32 v[6:7], v[6:7], v[10:11]
	v_div_scale_f64 v[10:11], vcc, 1.0, v[2:3], 1.0
	v_mul_f64 v[12:13], v[10:11], v[6:7]
	v_fma_f64 v[4:5], -v[4:5], v[12:13], v[10:11]
	s_nop 1
	v_div_fmas_f64 v[4:5], v[4:5], v[6:7], v[12:13]
	v_div_fixup_f64 v[6:7], v[4:5], v[2:3], 1.0
	v_xor_b32_e32 v11, 0x80000000, v7
	v_mov_b32_e32 v10, v6
	v_mul_f64 v[8:9], v[8:9], -v[6:7]
.LBB85_17:
	s_or_b64 exec, exec, s[6:7]
	scratch_store_dwordx4 v15, v[6:9], off
	scratch_load_dwordx4 v[2:5], off, s39
	v_xor_b32_e32 v13, 0x80000000, v9
	v_mov_b32_e32 v12, v8
	v_add_u32_e32 v6, 0x160, v14
	ds_write_b128 v14, v[10:13]
	s_waitcnt vmcnt(0)
	ds_write_b128 v14, v[2:5] offset:352
	s_waitcnt lgkmcnt(0)
	; wave barrier
	s_and_saveexec_b64 s[6:7], s[2:3]
	s_cbranch_execz .LBB85_19
; %bb.18:
	scratch_load_dwordx4 v[2:5], v15, off
	ds_read_b128 v[8:11], v6
	v_mov_b32_e32 v7, 0
	ds_read_b128 v[16:19], v7 offset:16
	s_waitcnt vmcnt(0) lgkmcnt(1)
	v_mul_f64 v[12:13], v[10:11], v[4:5]
	v_mul_f64 v[4:5], v[8:9], v[4:5]
	v_fma_f64 v[8:9], v[8:9], v[2:3], -v[12:13]
	v_fmac_f64_e32 v[4:5], v[10:11], v[2:3]
	v_add_f64 v[2:3], v[8:9], 0
	v_add_f64 v[8:9], v[4:5], 0
	s_waitcnt lgkmcnt(0)
	v_mul_f64 v[10:11], v[8:9], v[18:19]
	v_mul_f64 v[4:5], v[2:3], v[18:19]
	v_fma_f64 v[2:3], v[2:3], v[16:17], -v[10:11]
	v_fmac_f64_e32 v[4:5], v[8:9], v[16:17]
	scratch_store_dwordx4 off, v[2:5], off offset:16
.LBB85_19:
	s_or_b64 exec, exec, s[6:7]
	; wave barrier
	scratch_load_dwordx4 v[2:5], off, s38
	v_cmp_gt_u32_e32 vcc, 2, v1
	s_waitcnt vmcnt(0)
	ds_write_b128 v6, v[2:5]
	s_waitcnt lgkmcnt(0)
	; wave barrier
	s_and_saveexec_b64 s[6:7], vcc
	s_cbranch_execz .LBB85_23
; %bb.20:
	scratch_load_dwordx4 v[2:5], v15, off
	ds_read_b128 v[8:11], v6
	s_waitcnt vmcnt(0) lgkmcnt(0)
	v_mul_f64 v[12:13], v[10:11], v[4:5]
	v_mul_f64 v[16:17], v[8:9], v[4:5]
	v_fma_f64 v[4:5], v[8:9], v[2:3], -v[12:13]
	v_fmac_f64_e32 v[16:17], v[10:11], v[2:3]
	v_add_f64 v[4:5], v[4:5], 0
	v_add_f64 v[2:3], v[16:17], 0
	s_and_saveexec_b64 s[8:9], s[2:3]
	s_cbranch_execz .LBB85_22
; %bb.21:
	scratch_load_dwordx4 v[8:11], off, off offset:16
	v_mov_b32_e32 v7, 0
	ds_read_b128 v[16:19], v7 offset:368
	s_waitcnt vmcnt(0) lgkmcnt(0)
	v_mul_f64 v[12:13], v[16:17], v[10:11]
	v_mul_f64 v[10:11], v[18:19], v[10:11]
	v_fmac_f64_e32 v[12:13], v[18:19], v[8:9]
	v_fma_f64 v[8:9], v[16:17], v[8:9], -v[10:11]
	v_add_f64 v[2:3], v[2:3], v[12:13]
	v_add_f64 v[4:5], v[4:5], v[8:9]
.LBB85_22:
	s_or_b64 exec, exec, s[8:9]
	v_mov_b32_e32 v7, 0
	ds_read_b128 v[8:11], v7 offset:32
	s_waitcnt lgkmcnt(0)
	v_mul_f64 v[16:17], v[2:3], v[10:11]
	v_mul_f64 v[12:13], v[4:5], v[10:11]
	v_fma_f64 v[10:11], v[4:5], v[8:9], -v[16:17]
	v_fmac_f64_e32 v[12:13], v[2:3], v[8:9]
	scratch_store_dwordx4 off, v[10:13], off offset:32
.LBB85_23:
	s_or_b64 exec, exec, s[6:7]
	; wave barrier
	scratch_load_dwordx4 v[2:5], off, s37
	v_cmp_gt_u32_e32 vcc, 3, v1
	v_add_u32_e32 v7, -1, v1
	s_waitcnt vmcnt(0)
	ds_write_b128 v6, v[2:5]
	s_waitcnt lgkmcnt(0)
	; wave barrier
	s_and_saveexec_b64 s[2:3], vcc
	s_cbranch_execz .LBB85_27
; %bb.24:
	v_add_u32_e32 v8, -1, v1
	v_add_u32_e32 v9, 0x160, v14
	v_mov_b32_e32 v10, v14
	v_mov_b64_e32 v[2:3], 0
	s_mov_b64 s[6:7], 0
	v_mov_b64_e32 v[4:5], 0
.LBB85_25:                              ; =>This Inner Loop Header: Depth=1
	scratch_load_dwordx4 v[16:19], v10, off
	ds_read_b128 v[20:23], v9
	v_add_u32_e32 v8, 1, v8
	v_cmp_lt_u32_e32 vcc, 1, v8
	v_add_u32_e32 v9, 16, v9
	v_add_u32_e32 v10, 16, v10
	s_or_b64 s[6:7], vcc, s[6:7]
	s_waitcnt vmcnt(0) lgkmcnt(0)
	v_mul_f64 v[12:13], v[22:23], v[18:19]
	v_mul_f64 v[18:19], v[20:21], v[18:19]
	v_fma_f64 v[12:13], v[20:21], v[16:17], -v[12:13]
	v_fmac_f64_e32 v[18:19], v[22:23], v[16:17]
	v_add_f64 v[4:5], v[4:5], v[12:13]
	v_add_f64 v[2:3], v[2:3], v[18:19]
	s_andn2_b64 exec, exec, s[6:7]
	s_cbranch_execnz .LBB85_25
; %bb.26:
	s_or_b64 exec, exec, s[6:7]
	v_mov_b32_e32 v8, 0
	ds_read_b128 v[8:11], v8 offset:48
	s_waitcnt lgkmcnt(0)
	v_mul_f64 v[16:17], v[2:3], v[10:11]
	v_mul_f64 v[12:13], v[4:5], v[10:11]
	v_fma_f64 v[10:11], v[4:5], v[8:9], -v[16:17]
	v_fmac_f64_e32 v[12:13], v[2:3], v[8:9]
	scratch_store_dwordx4 off, v[10:13], off offset:48
.LBB85_27:
	s_or_b64 exec, exec, s[2:3]
	; wave barrier
	scratch_load_dwordx4 v[2:5], off, s36
	v_cmp_gt_u32_e32 vcc, 4, v1
	s_waitcnt vmcnt(0)
	ds_write_b128 v6, v[2:5]
	s_waitcnt lgkmcnt(0)
	; wave barrier
	s_and_saveexec_b64 s[2:3], vcc
	s_cbranch_execz .LBB85_31
; %bb.28:
	v_add_u32_e32 v8, -1, v1
	v_add_u32_e32 v9, 0x160, v14
	v_mov_b32_e32 v10, v14
	v_mov_b64_e32 v[2:3], 0
	s_mov_b64 s[6:7], 0
	v_mov_b64_e32 v[4:5], 0
.LBB85_29:                              ; =>This Inner Loop Header: Depth=1
	scratch_load_dwordx4 v[16:19], v10, off
	ds_read_b128 v[20:23], v9
	v_add_u32_e32 v8, 1, v8
	v_cmp_lt_u32_e32 vcc, 2, v8
	v_add_u32_e32 v9, 16, v9
	v_add_u32_e32 v10, 16, v10
	s_or_b64 s[6:7], vcc, s[6:7]
	s_waitcnt vmcnt(0) lgkmcnt(0)
	v_mul_f64 v[12:13], v[22:23], v[18:19]
	v_mul_f64 v[18:19], v[20:21], v[18:19]
	v_fma_f64 v[12:13], v[20:21], v[16:17], -v[12:13]
	v_fmac_f64_e32 v[18:19], v[22:23], v[16:17]
	v_add_f64 v[4:5], v[4:5], v[12:13]
	v_add_f64 v[2:3], v[2:3], v[18:19]
	s_andn2_b64 exec, exec, s[6:7]
	s_cbranch_execnz .LBB85_29
; %bb.30:
	s_or_b64 exec, exec, s[6:7]
	v_mov_b32_e32 v8, 0
	ds_read_b128 v[8:11], v8 offset:64
	s_waitcnt lgkmcnt(0)
	v_mul_f64 v[16:17], v[2:3], v[10:11]
	v_mul_f64 v[12:13], v[4:5], v[10:11]
	v_fma_f64 v[10:11], v[4:5], v[8:9], -v[16:17]
	v_fmac_f64_e32 v[12:13], v[2:3], v[8:9]
	scratch_store_dwordx4 off, v[10:13], off offset:64
.LBB85_31:
	s_or_b64 exec, exec, s[2:3]
	; wave barrier
	scratch_load_dwordx4 v[2:5], off, s35
	v_cmp_gt_u32_e32 vcc, 5, v1
	;; [unrolled: 45-line block ×17, first 2 shown]
	s_waitcnt vmcnt(0)
	ds_write_b128 v6, v[2:5]
	s_waitcnt lgkmcnt(0)
	; wave barrier
	s_and_saveexec_b64 s[2:3], vcc
	s_cbranch_execz .LBB85_95
; %bb.92:
	v_add_u32_e32 v8, -1, v1
	v_add_u32_e32 v9, 0x160, v14
	v_mov_b32_e32 v10, v14
	v_mov_b64_e32 v[2:3], 0
	s_mov_b64 s[6:7], 0
	v_mov_b64_e32 v[4:5], 0
.LBB85_93:                              ; =>This Inner Loop Header: Depth=1
	scratch_load_dwordx4 v[16:19], v10, off
	ds_read_b128 v[20:23], v9
	v_add_u32_e32 v8, 1, v8
	v_cmp_lt_u32_e32 vcc, 18, v8
	v_add_u32_e32 v9, 16, v9
	v_add_u32_e32 v10, 16, v10
	s_or_b64 s[6:7], vcc, s[6:7]
	s_waitcnt vmcnt(0) lgkmcnt(0)
	v_mul_f64 v[12:13], v[22:23], v[18:19]
	v_mul_f64 v[18:19], v[20:21], v[18:19]
	v_fma_f64 v[12:13], v[20:21], v[16:17], -v[12:13]
	v_fmac_f64_e32 v[18:19], v[22:23], v[16:17]
	v_add_f64 v[4:5], v[4:5], v[12:13]
	v_add_f64 v[2:3], v[2:3], v[18:19]
	s_andn2_b64 exec, exec, s[6:7]
	s_cbranch_execnz .LBB85_93
; %bb.94:
	s_or_b64 exec, exec, s[6:7]
	v_mov_b32_e32 v8, 0
	ds_read_b128 v[8:11], v8 offset:320
	s_waitcnt lgkmcnt(0)
	v_mul_f64 v[16:17], v[2:3], v[10:11]
	v_mul_f64 v[12:13], v[4:5], v[10:11]
	v_fma_f64 v[10:11], v[4:5], v[8:9], -v[16:17]
	v_fmac_f64_e32 v[12:13], v[2:3], v[8:9]
	scratch_store_dwordx4 off, v[10:13], off offset:320
.LBB85_95:
	s_or_b64 exec, exec, s[2:3]
	; wave barrier
	scratch_load_dwordx4 v[2:5], off, s18
	v_cmp_ne_u32_e32 vcc, 21, v1
	s_waitcnt vmcnt(0)
	ds_write_b128 v6, v[2:5]
	s_waitcnt lgkmcnt(0)
	; wave barrier
	s_and_saveexec_b64 s[2:3], vcc
	s_cbranch_execz .LBB85_99
; %bb.96:
	v_add_u32_e32 v6, 0x160, v14
	v_mov_b32_e32 v8, v14
	v_mov_b64_e32 v[2:3], 0
	s_mov_b64 s[6:7], 0
	v_mov_b64_e32 v[4:5], 0
.LBB85_97:                              ; =>This Inner Loop Header: Depth=1
	scratch_load_dwordx4 v[10:13], v8, off
	ds_read_b128 v[14:17], v6
	v_add_u32_e32 v7, 1, v7
	v_cmp_lt_u32_e32 vcc, 19, v7
	v_add_u32_e32 v6, 16, v6
	v_add_u32_e32 v8, 16, v8
	s_or_b64 s[6:7], vcc, s[6:7]
	s_waitcnt vmcnt(0) lgkmcnt(0)
	v_mul_f64 v[18:19], v[16:17], v[12:13]
	v_mul_f64 v[12:13], v[14:15], v[12:13]
	v_fma_f64 v[14:15], v[14:15], v[10:11], -v[18:19]
	v_fmac_f64_e32 v[12:13], v[16:17], v[10:11]
	v_add_f64 v[4:5], v[4:5], v[14:15]
	v_add_f64 v[2:3], v[2:3], v[12:13]
	s_andn2_b64 exec, exec, s[6:7]
	s_cbranch_execnz .LBB85_97
; %bb.98:
	s_or_b64 exec, exec, s[6:7]
	v_mov_b32_e32 v6, 0
	ds_read_b128 v[6:9], v6 offset:336
	s_waitcnt lgkmcnt(0)
	v_mul_f64 v[12:13], v[2:3], v[8:9]
	v_mul_f64 v[10:11], v[4:5], v[8:9]
	v_fma_f64 v[8:9], v[4:5], v[6:7], -v[12:13]
	v_fmac_f64_e32 v[10:11], v[2:3], v[6:7]
	scratch_store_dwordx4 off, v[8:11], off offset:336
.LBB85_99:
	s_or_b64 exec, exec, s[2:3]
	s_mov_b64 s[6:7], -1
	; wave barrier
.LBB85_100:
	s_and_b64 vcc, exec, s[6:7]
	s_cbranch_vccz .LBB85_102
; %bb.101:
	s_lshl_b64 s[2:3], s[4:5], 2
	s_add_u32 s2, s10, s2
	s_addc_u32 s3, s11, s3
	v_mov_b32_e32 v2, 0
	global_load_dword v2, v2, s[2:3]
	s_waitcnt vmcnt(0)
	v_cmp_ne_u32_e32 vcc, 0, v2
	s_cbranch_vccz .LBB85_103
.LBB85_102:
	s_endpgm
.LBB85_103:
	v_mov_b32_e32 v2, 0x160
	v_lshl_add_u32 v64, v1, 4, v2
	v_cmp_eq_u32_e32 vcc, 21, v1
	s_and_saveexec_b64 s[2:3], vcc
	s_cbranch_execz .LBB85_105
; %bb.104:
	scratch_load_dwordx4 v[2:5], off, s19
	v_mov_b32_e32 v6, 0
	v_mov_b32_e32 v7, v6
	;; [unrolled: 1-line block ×4, first 2 shown]
	scratch_store_dwordx4 off, v[6:9], off offset:320
	s_waitcnt vmcnt(1)
	ds_write_b128 v64, v[2:5]
.LBB85_105:
	s_or_b64 exec, exec, s[2:3]
	s_waitcnt lgkmcnt(0)
	; wave barrier
	scratch_load_dwordx4 v[4:7], off, off offset:336
	scratch_load_dwordx4 v[8:11], off, off offset:320
	v_mov_b32_e32 v2, 0
	ds_read_b128 v[12:15], v2 offset:688
	v_cmp_lt_u32_e32 vcc, 19, v1
	s_waitcnt vmcnt(1) lgkmcnt(0)
	v_mul_f64 v[16:17], v[12:13], v[6:7]
	v_mul_f64 v[6:7], v[14:15], v[6:7]
	v_fmac_f64_e32 v[16:17], v[14:15], v[4:5]
	v_fma_f64 v[4:5], v[12:13], v[4:5], -v[6:7]
	v_add_f64 v[6:7], v[16:17], 0
	v_add_f64 v[4:5], v[4:5], 0
	s_waitcnt vmcnt(0)
	v_add_f64 v[4:5], v[8:9], -v[4:5]
	v_add_f64 v[6:7], v[10:11], -v[6:7]
	scratch_store_dwordx4 off, v[4:7], off offset:320
	s_and_saveexec_b64 s[2:3], vcc
	s_cbranch_execz .LBB85_107
; %bb.106:
	scratch_load_dwordx4 v[6:9], off, s20
	v_mov_b32_e32 v3, v2
	v_mov_b32_e32 v4, v2
	;; [unrolled: 1-line block ×3, first 2 shown]
	scratch_store_dwordx4 off, v[2:5], off offset:304
	s_waitcnt vmcnt(1)
	ds_write_b128 v64, v[6:9]
.LBB85_107:
	s_or_b64 exec, exec, s[2:3]
	s_waitcnt lgkmcnt(0)
	; wave barrier
	scratch_load_dwordx4 v[4:7], off, off offset:320
	scratch_load_dwordx4 v[8:11], off, off offset:336
	;; [unrolled: 1-line block ×3, first 2 shown]
	ds_read_b128 v[16:19], v2 offset:672
	ds_read_b128 v[20:23], v2 offset:688
	v_cmp_lt_u32_e32 vcc, 18, v1
	s_waitcnt vmcnt(2) lgkmcnt(1)
	v_mul_f64 v[2:3], v[16:17], v[6:7]
	v_mul_f64 v[6:7], v[18:19], v[6:7]
	s_waitcnt vmcnt(1) lgkmcnt(0)
	v_mul_f64 v[24:25], v[20:21], v[10:11]
	v_mul_f64 v[10:11], v[22:23], v[10:11]
	v_fmac_f64_e32 v[2:3], v[18:19], v[4:5]
	v_fma_f64 v[4:5], v[16:17], v[4:5], -v[6:7]
	v_fmac_f64_e32 v[24:25], v[22:23], v[8:9]
	v_fma_f64 v[6:7], v[20:21], v[8:9], -v[10:11]
	v_add_f64 v[2:3], v[2:3], 0
	v_add_f64 v[4:5], v[4:5], 0
	;; [unrolled: 1-line block ×4, first 2 shown]
	s_waitcnt vmcnt(0)
	v_add_f64 v[2:3], v[12:13], -v[2:3]
	v_add_f64 v[4:5], v[14:15], -v[8:9]
	scratch_store_dwordx4 off, v[2:5], off offset:304
	s_and_saveexec_b64 s[2:3], vcc
	s_cbranch_execz .LBB85_109
; %bb.108:
	scratch_load_dwordx4 v[2:5], off, s21
	v_mov_b32_e32 v6, 0
	v_mov_b32_e32 v7, v6
	;; [unrolled: 1-line block ×4, first 2 shown]
	scratch_store_dwordx4 off, v[6:9], off offset:288
	s_waitcnt vmcnt(1)
	ds_write_b128 v64, v[2:5]
.LBB85_109:
	s_or_b64 exec, exec, s[2:3]
	s_waitcnt lgkmcnt(0)
	; wave barrier
	scratch_load_dwordx4 v[4:7], off, off offset:304
	scratch_load_dwordx4 v[8:11], off, off offset:320
	;; [unrolled: 1-line block ×4, first 2 shown]
	v_mov_b32_e32 v2, 0
	ds_read_b128 v[20:23], v2 offset:656
	ds_read_b128 v[24:27], v2 offset:672
	;; [unrolled: 1-line block ×3, first 2 shown]
	v_cmp_lt_u32_e32 vcc, 17, v1
	s_waitcnt vmcnt(3) lgkmcnt(2)
	v_mul_f64 v[32:33], v[20:21], v[6:7]
	v_mul_f64 v[6:7], v[22:23], v[6:7]
	s_waitcnt vmcnt(2) lgkmcnt(1)
	v_mul_f64 v[34:35], v[24:25], v[10:11]
	v_mul_f64 v[10:11], v[26:27], v[10:11]
	v_fmac_f64_e32 v[32:33], v[22:23], v[4:5]
	v_fma_f64 v[4:5], v[20:21], v[4:5], -v[6:7]
	s_waitcnt vmcnt(1) lgkmcnt(0)
	v_mul_f64 v[36:37], v[28:29], v[14:15]
	v_mul_f64 v[14:15], v[30:31], v[14:15]
	v_fmac_f64_e32 v[34:35], v[26:27], v[8:9]
	v_fma_f64 v[6:7], v[24:25], v[8:9], -v[10:11]
	v_add_f64 v[10:11], v[32:33], 0
	v_add_f64 v[4:5], v[4:5], 0
	v_fmac_f64_e32 v[36:37], v[30:31], v[12:13]
	v_fma_f64 v[8:9], v[28:29], v[12:13], -v[14:15]
	v_add_f64 v[10:11], v[10:11], v[34:35]
	v_add_f64 v[4:5], v[4:5], v[6:7]
	;; [unrolled: 1-line block ×4, first 2 shown]
	s_waitcnt vmcnt(0)
	v_add_f64 v[4:5], v[16:17], -v[4:5]
	v_add_f64 v[6:7], v[18:19], -v[6:7]
	scratch_store_dwordx4 off, v[4:7], off offset:288
	s_and_saveexec_b64 s[2:3], vcc
	s_cbranch_execz .LBB85_111
; %bb.110:
	scratch_load_dwordx4 v[6:9], off, s22
	v_mov_b32_e32 v3, v2
	v_mov_b32_e32 v4, v2
	;; [unrolled: 1-line block ×3, first 2 shown]
	scratch_store_dwordx4 off, v[2:5], off offset:272
	s_waitcnt vmcnt(1)
	ds_write_b128 v64, v[6:9]
.LBB85_111:
	s_or_b64 exec, exec, s[2:3]
	s_waitcnt lgkmcnt(0)
	; wave barrier
	scratch_load_dwordx4 v[4:7], off, off offset:288
	scratch_load_dwordx4 v[8:11], off, off offset:304
	;; [unrolled: 1-line block ×5, first 2 shown]
	ds_read_b128 v[24:27], v2 offset:640
	ds_read_b128 v[28:31], v2 offset:656
	;; [unrolled: 1-line block ×4, first 2 shown]
	v_cmp_lt_u32_e32 vcc, 16, v1
	s_waitcnt vmcnt(4) lgkmcnt(3)
	v_mul_f64 v[2:3], v[24:25], v[6:7]
	v_mul_f64 v[6:7], v[26:27], v[6:7]
	s_waitcnt vmcnt(3) lgkmcnt(2)
	v_mul_f64 v[40:41], v[28:29], v[10:11]
	v_mul_f64 v[10:11], v[30:31], v[10:11]
	v_fmac_f64_e32 v[2:3], v[26:27], v[4:5]
	v_fma_f64 v[4:5], v[24:25], v[4:5], -v[6:7]
	s_waitcnt vmcnt(2) lgkmcnt(1)
	v_mul_f64 v[42:43], v[32:33], v[14:15]
	v_mul_f64 v[14:15], v[34:35], v[14:15]
	v_fmac_f64_e32 v[40:41], v[30:31], v[8:9]
	v_fma_f64 v[6:7], v[28:29], v[8:9], -v[10:11]
	v_add_f64 v[2:3], v[2:3], 0
	v_add_f64 v[4:5], v[4:5], 0
	s_waitcnt vmcnt(1) lgkmcnt(0)
	v_mul_f64 v[44:45], v[36:37], v[18:19]
	v_mul_f64 v[18:19], v[38:39], v[18:19]
	v_fmac_f64_e32 v[42:43], v[34:35], v[12:13]
	v_fma_f64 v[8:9], v[32:33], v[12:13], -v[14:15]
	v_add_f64 v[2:3], v[2:3], v[40:41]
	v_add_f64 v[4:5], v[4:5], v[6:7]
	v_fmac_f64_e32 v[44:45], v[38:39], v[16:17]
	v_fma_f64 v[10:11], v[36:37], v[16:17], -v[18:19]
	v_add_f64 v[2:3], v[2:3], v[42:43]
	v_add_f64 v[4:5], v[4:5], v[8:9]
	;; [unrolled: 1-line block ×4, first 2 shown]
	s_waitcnt vmcnt(0)
	v_add_f64 v[2:3], v[20:21], -v[2:3]
	v_add_f64 v[4:5], v[22:23], -v[6:7]
	scratch_store_dwordx4 off, v[2:5], off offset:272
	s_and_saveexec_b64 s[2:3], vcc
	s_cbranch_execz .LBB85_113
; %bb.112:
	scratch_load_dwordx4 v[2:5], off, s23
	v_mov_b32_e32 v6, 0
	v_mov_b32_e32 v7, v6
	;; [unrolled: 1-line block ×4, first 2 shown]
	scratch_store_dwordx4 off, v[6:9], off offset:256
	s_waitcnt vmcnt(1)
	ds_write_b128 v64, v[2:5]
.LBB85_113:
	s_or_b64 exec, exec, s[2:3]
	s_waitcnt lgkmcnt(0)
	; wave barrier
	scratch_load_dwordx4 v[4:7], off, off offset:272
	scratch_load_dwordx4 v[8:11], off, off offset:288
	;; [unrolled: 1-line block ×6, first 2 shown]
	v_mov_b32_e32 v2, 0
	ds_read_b128 v[28:31], v2 offset:624
	ds_read_b128 v[32:35], v2 offset:640
	;; [unrolled: 1-line block ×5, first 2 shown]
	v_cmp_lt_u32_e32 vcc, 15, v1
	s_waitcnt vmcnt(5) lgkmcnt(4)
	v_mul_f64 v[48:49], v[28:29], v[6:7]
	v_mul_f64 v[6:7], v[30:31], v[6:7]
	s_waitcnt vmcnt(4) lgkmcnt(3)
	v_mul_f64 v[50:51], v[32:33], v[10:11]
	s_waitcnt vmcnt(3) lgkmcnt(2)
	v_mul_f64 v[52:53], v[36:37], v[14:15]
	v_mul_f64 v[10:11], v[34:35], v[10:11]
	;; [unrolled: 1-line block ×3, first 2 shown]
	v_fmac_f64_e32 v[48:49], v[30:31], v[4:5]
	v_fma_f64 v[4:5], v[28:29], v[4:5], -v[6:7]
	v_fmac_f64_e32 v[50:51], v[34:35], v[8:9]
	v_fma_f64 v[6:7], v[32:33], v[8:9], -v[10:11]
	v_fma_f64 v[8:9], v[36:37], v[12:13], -v[14:15]
	v_add_f64 v[14:15], v[48:49], 0
	v_add_f64 v[4:5], v[4:5], 0
	s_waitcnt vmcnt(2) lgkmcnt(1)
	v_mul_f64 v[54:55], v[40:41], v[18:19]
	v_mul_f64 v[18:19], v[42:43], v[18:19]
	v_fmac_f64_e32 v[52:53], v[38:39], v[12:13]
	v_add_f64 v[14:15], v[14:15], v[50:51]
	v_add_f64 v[4:5], v[4:5], v[6:7]
	s_waitcnt vmcnt(1) lgkmcnt(0)
	v_mul_f64 v[56:57], v[44:45], v[22:23]
	v_mul_f64 v[22:23], v[46:47], v[22:23]
	v_fmac_f64_e32 v[54:55], v[42:43], v[16:17]
	v_fma_f64 v[10:11], v[40:41], v[16:17], -v[18:19]
	v_add_f64 v[6:7], v[14:15], v[52:53]
	v_add_f64 v[4:5], v[4:5], v[8:9]
	v_fmac_f64_e32 v[56:57], v[46:47], v[20:21]
	v_fma_f64 v[12:13], v[44:45], v[20:21], -v[22:23]
	v_add_f64 v[6:7], v[6:7], v[54:55]
	v_add_f64 v[4:5], v[4:5], v[10:11]
	;; [unrolled: 1-line block ×4, first 2 shown]
	s_waitcnt vmcnt(0)
	v_add_f64 v[4:5], v[24:25], -v[4:5]
	v_add_f64 v[6:7], v[26:27], -v[6:7]
	scratch_store_dwordx4 off, v[4:7], off offset:256
	s_and_saveexec_b64 s[2:3], vcc
	s_cbranch_execz .LBB85_115
; %bb.114:
	scratch_load_dwordx4 v[6:9], off, s24
	v_mov_b32_e32 v3, v2
	v_mov_b32_e32 v4, v2
	;; [unrolled: 1-line block ×3, first 2 shown]
	scratch_store_dwordx4 off, v[2:5], off offset:240
	s_waitcnt vmcnt(1)
	ds_write_b128 v64, v[6:9]
.LBB85_115:
	s_or_b64 exec, exec, s[2:3]
	s_waitcnt lgkmcnt(0)
	; wave barrier
	scratch_load_dwordx4 v[4:7], off, off offset:256
	scratch_load_dwordx4 v[8:11], off, off offset:272
	;; [unrolled: 1-line block ×7, first 2 shown]
	ds_read_b128 v[32:35], v2 offset:608
	ds_read_b128 v[36:39], v2 offset:624
	;; [unrolled: 1-line block ×6, first 2 shown]
	v_cmp_lt_u32_e32 vcc, 14, v1
	s_waitcnt vmcnt(6) lgkmcnt(5)
	v_mul_f64 v[2:3], v[32:33], v[6:7]
	v_mul_f64 v[6:7], v[34:35], v[6:7]
	s_waitcnt vmcnt(5) lgkmcnt(4)
	v_mul_f64 v[56:57], v[36:37], v[10:11]
	v_mul_f64 v[10:11], v[38:39], v[10:11]
	v_fmac_f64_e32 v[2:3], v[34:35], v[4:5]
	v_fma_f64 v[4:5], v[32:33], v[4:5], -v[6:7]
	s_waitcnt vmcnt(4) lgkmcnt(3)
	v_mul_f64 v[58:59], v[40:41], v[14:15]
	v_mul_f64 v[14:15], v[42:43], v[14:15]
	v_fmac_f64_e32 v[56:57], v[38:39], v[8:9]
	v_fma_f64 v[6:7], v[36:37], v[8:9], -v[10:11]
	v_add_f64 v[2:3], v[2:3], 0
	v_add_f64 v[4:5], v[4:5], 0
	s_waitcnt vmcnt(3) lgkmcnt(2)
	v_mul_f64 v[60:61], v[44:45], v[18:19]
	v_mul_f64 v[18:19], v[46:47], v[18:19]
	v_fmac_f64_e32 v[58:59], v[42:43], v[12:13]
	v_fma_f64 v[8:9], v[40:41], v[12:13], -v[14:15]
	v_add_f64 v[2:3], v[2:3], v[56:57]
	v_add_f64 v[4:5], v[4:5], v[6:7]
	;; [unrolled: 7-line block ×4, first 2 shown]
	v_fmac_f64_e32 v[66:67], v[54:55], v[24:25]
	v_fma_f64 v[14:15], v[52:53], v[24:25], -v[26:27]
	v_add_f64 v[2:3], v[2:3], v[62:63]
	v_add_f64 v[4:5], v[4:5], v[12:13]
	v_add_f64 v[6:7], v[2:3], v[66:67]
	v_add_f64 v[2:3], v[4:5], v[14:15]
	s_waitcnt vmcnt(0)
	v_add_f64 v[2:3], v[28:29], -v[2:3]
	v_add_f64 v[4:5], v[30:31], -v[6:7]
	scratch_store_dwordx4 off, v[2:5], off offset:240
	s_and_saveexec_b64 s[2:3], vcc
	s_cbranch_execz .LBB85_117
; %bb.116:
	scratch_load_dwordx4 v[2:5], off, s25
	v_mov_b32_e32 v6, 0
	v_mov_b32_e32 v7, v6
	;; [unrolled: 1-line block ×4, first 2 shown]
	scratch_store_dwordx4 off, v[6:9], off offset:224
	s_waitcnt vmcnt(1)
	ds_write_b128 v64, v[2:5]
.LBB85_117:
	s_or_b64 exec, exec, s[2:3]
	s_waitcnt lgkmcnt(0)
	; wave barrier
	scratch_load_dwordx4 v[4:7], off, off offset:240
	scratch_load_dwordx4 v[8:11], off, off offset:256
	;; [unrolled: 1-line block ×8, first 2 shown]
	v_mov_b32_e32 v2, 0
	ds_read_b128 v[36:39], v2 offset:592
	ds_read_b128 v[40:43], v2 offset:608
	;; [unrolled: 1-line block ×7, first 2 shown]
	v_cmp_lt_u32_e32 vcc, 13, v1
	s_waitcnt vmcnt(7) lgkmcnt(6)
	v_mul_f64 v[66:67], v[36:37], v[6:7]
	v_mul_f64 v[6:7], v[38:39], v[6:7]
	s_waitcnt vmcnt(6) lgkmcnt(5)
	v_mul_f64 v[68:69], v[40:41], v[10:11]
	s_waitcnt vmcnt(4) lgkmcnt(3)
	v_mul_f64 v[116:117], v[48:49], v[18:19]
	v_mul_f64 v[10:11], v[42:43], v[10:11]
	;; [unrolled: 1-line block ×3, first 2 shown]
	v_fmac_f64_e32 v[66:67], v[38:39], v[4:5]
	v_fma_f64 v[4:5], v[36:37], v[4:5], -v[6:7]
	v_mul_f64 v[114:115], v[44:45], v[14:15]
	v_mul_f64 v[14:15], v[46:47], v[14:15]
	v_fmac_f64_e32 v[68:69], v[42:43], v[8:9]
	v_fma_f64 v[6:7], v[40:41], v[8:9], -v[10:11]
	v_fma_f64 v[10:11], v[48:49], v[16:17], -v[18:19]
	v_add_f64 v[18:19], v[66:67], 0
	v_add_f64 v[4:5], v[4:5], 0
	v_fmac_f64_e32 v[114:115], v[46:47], v[12:13]
	v_fma_f64 v[8:9], v[44:45], v[12:13], -v[14:15]
	v_add_f64 v[18:19], v[18:19], v[68:69]
	v_add_f64 v[4:5], v[4:5], v[6:7]
	s_waitcnt vmcnt(3) lgkmcnt(2)
	v_mul_f64 v[118:119], v[52:53], v[22:23]
	v_mul_f64 v[22:23], v[54:55], v[22:23]
	v_fmac_f64_e32 v[116:117], v[50:51], v[16:17]
	v_add_f64 v[6:7], v[18:19], v[114:115]
	v_add_f64 v[4:5], v[4:5], v[8:9]
	s_waitcnt vmcnt(2) lgkmcnt(1)
	v_mul_f64 v[120:121], v[56:57], v[26:27]
	v_mul_f64 v[26:27], v[58:59], v[26:27]
	v_fmac_f64_e32 v[118:119], v[54:55], v[20:21]
	v_fma_f64 v[12:13], v[52:53], v[20:21], -v[22:23]
	v_add_f64 v[6:7], v[6:7], v[116:117]
	v_add_f64 v[4:5], v[4:5], v[10:11]
	s_waitcnt vmcnt(1) lgkmcnt(0)
	v_mul_f64 v[122:123], v[60:61], v[30:31]
	v_mul_f64 v[30:31], v[62:63], v[30:31]
	v_fmac_f64_e32 v[120:121], v[58:59], v[24:25]
	v_fma_f64 v[14:15], v[56:57], v[24:25], -v[26:27]
	v_add_f64 v[6:7], v[6:7], v[118:119]
	v_add_f64 v[4:5], v[4:5], v[12:13]
	v_fmac_f64_e32 v[122:123], v[62:63], v[28:29]
	v_fma_f64 v[16:17], v[60:61], v[28:29], -v[30:31]
	v_add_f64 v[6:7], v[6:7], v[120:121]
	v_add_f64 v[4:5], v[4:5], v[14:15]
	;; [unrolled: 1-line block ×4, first 2 shown]
	s_waitcnt vmcnt(0)
	v_add_f64 v[4:5], v[32:33], -v[4:5]
	v_add_f64 v[6:7], v[34:35], -v[6:7]
	scratch_store_dwordx4 off, v[4:7], off offset:224
	s_and_saveexec_b64 s[2:3], vcc
	s_cbranch_execz .LBB85_119
; %bb.118:
	scratch_load_dwordx4 v[6:9], off, s26
	v_mov_b32_e32 v3, v2
	v_mov_b32_e32 v4, v2
	;; [unrolled: 1-line block ×3, first 2 shown]
	scratch_store_dwordx4 off, v[2:5], off offset:208
	s_waitcnt vmcnt(1)
	ds_write_b128 v64, v[6:9]
.LBB85_119:
	s_or_b64 exec, exec, s[2:3]
	s_waitcnt lgkmcnt(0)
	; wave barrier
	ds_read_b128 v[4:7], v2 offset:576
	ds_read_b128 v[8:11], v2 offset:592
	;; [unrolled: 1-line block ×4, first 2 shown]
	scratch_load_dwordx4 v[20:23], off, off offset:224
	scratch_load_dwordx4 v[40:43], off, off offset:288
	v_cmp_lt_u32_e32 vcc, 12, v1
	scratch_load_dwordx4 v[48:51], off, off offset:304
	scratch_load_dwordx4 v[56:59], off, off offset:320
	;; [unrolled: 1-line block ×3, first 2 shown]
	s_waitcnt vmcnt(4) lgkmcnt(3)
	v_mul_f64 v[24:25], v[4:5], v[22:23]
	v_fmac_f64_e32 v[24:25], v[6:7], v[20:21]
	v_add_f64 v[28:29], v[24:25], 0
	scratch_load_dwordx4 v[24:27], off, off offset:240
	s_waitcnt vmcnt(0) lgkmcnt(2)
	v_mul_f64 v[30:31], v[8:9], v[26:27]
	v_fmac_f64_e32 v[30:31], v[10:11], v[24:25]
	v_add_f64 v[32:33], v[28:29], v[30:31]
	scratch_load_dwordx4 v[28:31], off, off offset:256
	;; [unrolled: 5-line block ×3, first 2 shown]
	s_waitcnt vmcnt(0) lgkmcnt(0)
	v_mul_f64 v[38:39], v[16:17], v[34:35]
	v_fmac_f64_e32 v[38:39], v[18:19], v[32:33]
	v_add_f64 v[44:45], v[36:37], v[38:39]
	ds_read_b128 v[36:39], v2 offset:640
	s_waitcnt lgkmcnt(0)
	v_mul_f64 v[46:47], v[36:37], v[42:43]
	v_fmac_f64_e32 v[46:47], v[38:39], v[40:41]
	v_add_f64 v[52:53], v[44:45], v[46:47]
	ds_read_b128 v[44:47], v2 offset:656
	s_waitcnt lgkmcnt(0)
	;; [unrolled: 5-line block ×4, first 2 shown]
	v_mul_f64 v[2:3], v[60:61], v[68:69]
	v_fmac_f64_e32 v[2:3], v[62:63], v[66:67]
	v_add_f64 v[114:115], v[114:115], v[2:3]
	v_mul_f64 v[2:3], v[6:7], v[22:23]
	v_fma_f64 v[2:3], v[4:5], v[20:21], -v[2:3]
	v_mul_f64 v[4:5], v[10:11], v[26:27]
	v_add_f64 v[2:3], v[2:3], 0
	v_fma_f64 v[4:5], v[8:9], v[24:25], -v[4:5]
	v_add_f64 v[2:3], v[2:3], v[4:5]
	v_mul_f64 v[4:5], v[14:15], v[30:31]
	v_fma_f64 v[4:5], v[12:13], v[28:29], -v[4:5]
	v_add_f64 v[2:3], v[2:3], v[4:5]
	v_mul_f64 v[4:5], v[18:19], v[34:35]
	;; [unrolled: 3-line block ×6, first 2 shown]
	v_fma_f64 v[4:5], v[60:61], v[66:67], -v[4:5]
	v_add_f64 v[6:7], v[2:3], v[4:5]
	scratch_load_dwordx4 v[2:5], off, off offset:208
	s_waitcnt vmcnt(0)
	v_add_f64 v[2:3], v[2:3], -v[6:7]
	v_add_f64 v[4:5], v[4:5], -v[114:115]
	scratch_store_dwordx4 off, v[2:5], off offset:208
	s_and_saveexec_b64 s[2:3], vcc
	s_cbranch_execz .LBB85_121
; %bb.120:
	scratch_load_dwordx4 v[2:5], off, s27
	v_mov_b32_e32 v6, 0
	v_mov_b32_e32 v7, v6
	;; [unrolled: 1-line block ×4, first 2 shown]
	scratch_store_dwordx4 off, v[6:9], off offset:192
	s_waitcnt vmcnt(1)
	ds_write_b128 v64, v[2:5]
.LBB85_121:
	s_or_b64 exec, exec, s[2:3]
	v_mov_b32_e32 v2, 0
	s_waitcnt lgkmcnt(0)
	; wave barrier
	ds_read_b128 v[4:7], v2 offset:560
	ds_read_b128 v[8:11], v2 offset:576
	;; [unrolled: 1-line block ×4, first 2 shown]
	scratch_load_dwordx4 v[20:23], off, off offset:208
	scratch_load_dwordx4 v[40:43], off, off offset:272
	;; [unrolled: 1-line block ×3, first 2 shown]
	v_cmp_lt_u32_e32 vcc, 11, v1
	scratch_load_dwordx4 v[48:51], off, off offset:288
	scratch_load_dwordx4 v[56:59], off, off offset:304
	;; [unrolled: 1-line block ×3, first 2 shown]
	s_waitcnt vmcnt(5) lgkmcnt(3)
	v_mul_f64 v[24:25], v[4:5], v[22:23]
	v_fmac_f64_e32 v[24:25], v[6:7], v[20:21]
	v_add_f64 v[28:29], v[24:25], 0
	scratch_load_dwordx4 v[24:27], off, off offset:224
	v_mul_f64 v[6:7], v[6:7], v[22:23]
	v_fma_f64 v[4:5], v[4:5], v[20:21], -v[6:7]
	v_add_f64 v[4:5], v[4:5], 0
	s_waitcnt vmcnt(0) lgkmcnt(2)
	v_mul_f64 v[30:31], v[8:9], v[26:27]
	v_fmac_f64_e32 v[30:31], v[10:11], v[24:25]
	v_add_f64 v[32:33], v[28:29], v[30:31]
	scratch_load_dwordx4 v[28:31], off, off offset:240
	v_mul_f64 v[6:7], v[10:11], v[26:27]
	v_fma_f64 v[6:7], v[8:9], v[24:25], -v[6:7]
	v_add_f64 v[4:5], v[4:5], v[6:7]
	;; [unrolled: 8-line block ×3, first 2 shown]
	s_waitcnt vmcnt(0) lgkmcnt(0)
	v_mul_f64 v[38:39], v[16:17], v[34:35]
	v_fmac_f64_e32 v[38:39], v[18:19], v[32:33]
	v_add_f64 v[44:45], v[36:37], v[38:39]
	ds_read_b128 v[36:39], v2 offset:624
	v_mul_f64 v[6:7], v[18:19], v[34:35]
	v_fma_f64 v[6:7], v[16:17], v[32:33], -v[6:7]
	v_add_f64 v[4:5], v[4:5], v[6:7]
	s_waitcnt lgkmcnt(0)
	v_mul_f64 v[46:47], v[36:37], v[42:43]
	v_fmac_f64_e32 v[46:47], v[38:39], v[40:41]
	v_add_f64 v[52:53], v[44:45], v[46:47]
	ds_read_b128 v[44:47], v2 offset:640
	v_mul_f64 v[6:7], v[38:39], v[42:43]
	v_fma_f64 v[6:7], v[36:37], v[40:41], -v[6:7]
	v_add_f64 v[4:5], v[4:5], v[6:7]
	s_waitcnt lgkmcnt(0)
	;; [unrolled: 8-line block ×5, first 2 shown]
	v_mul_f64 v[6:7], v[116:117], v[120:121]
	v_fma_f64 v[6:7], v[114:115], v[118:119], -v[6:7]
	v_add_f64 v[8:9], v[4:5], v[6:7]
	scratch_load_dwordx4 v[4:7], off, off offset:192
	v_mul_f64 v[124:125], v[114:115], v[120:121]
	v_fmac_f64_e32 v[124:125], v[116:117], v[118:119]
	v_add_f64 v[122:123], v[122:123], v[124:125]
	s_waitcnt vmcnt(0)
	v_add_f64 v[4:5], v[4:5], -v[8:9]
	v_add_f64 v[6:7], v[6:7], -v[122:123]
	scratch_store_dwordx4 off, v[4:7], off offset:192
	s_and_saveexec_b64 s[2:3], vcc
	s_cbranch_execz .LBB85_123
; %bb.122:
	scratch_load_dwordx4 v[6:9], off, s28
	v_mov_b32_e32 v3, v2
	v_mov_b32_e32 v4, v2
	;; [unrolled: 1-line block ×3, first 2 shown]
	scratch_store_dwordx4 off, v[2:5], off offset:176
	s_waitcnt vmcnt(1)
	ds_write_b128 v64, v[6:9]
.LBB85_123:
	s_or_b64 exec, exec, s[2:3]
	s_waitcnt lgkmcnt(0)
	; wave barrier
	scratch_load_dwordx4 v[4:7], off, off offset:192
	scratch_load_dwordx4 v[8:11], off, off offset:208
	;; [unrolled: 1-line block ×11, first 2 shown]
	ds_read_b128 v[48:51], v2 offset:544
	ds_read_b128 v[52:55], v2 offset:560
	;; [unrolled: 1-line block ×10, first 2 shown]
	v_cmp_lt_u32_e32 vcc, 10, v1
	s_waitcnt vmcnt(10) lgkmcnt(9)
	v_mul_f64 v[2:3], v[48:49], v[6:7]
	v_mul_f64 v[6:7], v[50:51], v[6:7]
	s_waitcnt vmcnt(9) lgkmcnt(8)
	v_mul_f64 v[134:135], v[52:53], v[10:11]
	v_mul_f64 v[10:11], v[54:55], v[10:11]
	v_fmac_f64_e32 v[2:3], v[50:51], v[4:5]
	v_fma_f64 v[4:5], v[48:49], v[4:5], -v[6:7]
	s_waitcnt vmcnt(8) lgkmcnt(7)
	v_mul_f64 v[136:137], v[56:57], v[14:15]
	v_mul_f64 v[14:15], v[58:59], v[14:15]
	v_fmac_f64_e32 v[134:135], v[54:55], v[8:9]
	v_fma_f64 v[6:7], v[52:53], v[8:9], -v[10:11]
	v_add_f64 v[2:3], v[2:3], 0
	v_add_f64 v[4:5], v[4:5], 0
	s_waitcnt vmcnt(7) lgkmcnt(6)
	v_mul_f64 v[138:139], v[60:61], v[18:19]
	v_mul_f64 v[18:19], v[62:63], v[18:19]
	v_fmac_f64_e32 v[136:137], v[58:59], v[12:13]
	v_fma_f64 v[8:9], v[56:57], v[12:13], -v[14:15]
	v_add_f64 v[2:3], v[2:3], v[134:135]
	v_add_f64 v[4:5], v[4:5], v[6:7]
	;; [unrolled: 7-line block ×8, first 2 shown]
	v_fmac_f64_e32 v[150:151], v[132:133], v[40:41]
	v_fma_f64 v[22:23], v[130:131], v[40:41], -v[42:43]
	v_add_f64 v[2:3], v[2:3], v[148:149]
	v_add_f64 v[4:5], v[4:5], v[20:21]
	v_add_f64 v[6:7], v[2:3], v[150:151]
	v_add_f64 v[2:3], v[4:5], v[22:23]
	s_waitcnt vmcnt(0)
	v_add_f64 v[2:3], v[44:45], -v[2:3]
	v_add_f64 v[4:5], v[46:47], -v[6:7]
	scratch_store_dwordx4 off, v[2:5], off offset:176
	s_and_saveexec_b64 s[2:3], vcc
	s_cbranch_execz .LBB85_125
; %bb.124:
	scratch_load_dwordx4 v[2:5], off, s29
	v_mov_b32_e32 v6, 0
	v_mov_b32_e32 v7, v6
	;; [unrolled: 1-line block ×4, first 2 shown]
	scratch_store_dwordx4 off, v[6:9], off offset:160
	s_waitcnt vmcnt(1)
	ds_write_b128 v64, v[2:5]
.LBB85_125:
	s_or_b64 exec, exec, s[2:3]
	s_waitcnt lgkmcnt(0)
	; wave barrier
	scratch_load_dwordx4 v[4:7], off, off offset:176
	scratch_load_dwordx4 v[8:11], off, off offset:192
	;; [unrolled: 1-line block ×12, first 2 shown]
	v_mov_b32_e32 v2, 0
	ds_read_b128 v[52:55], v2 offset:528
	ds_read_b128 v[56:59], v2 offset:544
	;; [unrolled: 1-line block ×11, first 2 shown]
	v_cmp_lt_u32_e32 vcc, 9, v1
	s_waitcnt vmcnt(11) lgkmcnt(10)
	v_mul_f64 v[142:143], v[52:53], v[6:7]
	v_mul_f64 v[6:7], v[54:55], v[6:7]
	s_waitcnt vmcnt(10) lgkmcnt(9)
	v_mul_f64 v[144:145], v[56:57], v[10:11]
	s_waitcnt vmcnt(9) lgkmcnt(8)
	v_mul_f64 v[146:147], v[60:61], v[14:15]
	v_mul_f64 v[10:11], v[58:59], v[10:11]
	s_waitcnt vmcnt(6) lgkmcnt(5)
	v_mul_f64 v[152:153], v[118:119], v[26:27]
	v_mul_f64 v[14:15], v[62:63], v[14:15]
	;; [unrolled: 1-line block ×3, first 2 shown]
	v_fmac_f64_e32 v[142:143], v[54:55], v[4:5]
	v_fma_f64 v[4:5], v[52:53], v[4:5], -v[6:7]
	v_fmac_f64_e32 v[144:145], v[58:59], v[8:9]
	v_fma_f64 v[6:7], v[56:57], v[8:9], -v[10:11]
	v_fma_f64 v[8:9], v[60:61], v[12:13], -v[14:15]
	;; [unrolled: 1-line block ×3, first 2 shown]
	v_add_f64 v[26:27], v[142:143], 0
	v_add_f64 v[4:5], v[4:5], 0
	v_mul_f64 v[148:149], v[66:67], v[18:19]
	v_mul_f64 v[18:19], v[68:69], v[18:19]
	v_fmac_f64_e32 v[146:147], v[62:63], v[12:13]
	v_add_f64 v[26:27], v[26:27], v[144:145]
	v_add_f64 v[4:5], v[4:5], v[6:7]
	v_mul_f64 v[150:151], v[114:115], v[22:23]
	v_mul_f64 v[22:23], v[116:117], v[22:23]
	v_fmac_f64_e32 v[148:149], v[68:69], v[16:17]
	v_fma_f64 v[10:11], v[66:67], v[16:17], -v[18:19]
	v_add_f64 v[6:7], v[26:27], v[146:147]
	v_add_f64 v[4:5], v[4:5], v[8:9]
	v_fmac_f64_e32 v[150:151], v[116:117], v[20:21]
	v_fma_f64 v[12:13], v[114:115], v[20:21], -v[22:23]
	v_add_f64 v[6:7], v[6:7], v[148:149]
	v_add_f64 v[4:5], v[4:5], v[10:11]
	s_waitcnt vmcnt(5) lgkmcnt(4)
	v_mul_f64 v[154:155], v[122:123], v[30:31]
	v_mul_f64 v[30:31], v[124:125], v[30:31]
	v_fmac_f64_e32 v[152:153], v[120:121], v[24:25]
	v_add_f64 v[6:7], v[6:7], v[150:151]
	v_add_f64 v[4:5], v[4:5], v[12:13]
	s_waitcnt vmcnt(4) lgkmcnt(3)
	v_mul_f64 v[156:157], v[126:127], v[34:35]
	v_mul_f64 v[34:35], v[128:129], v[34:35]
	v_fmac_f64_e32 v[154:155], v[124:125], v[28:29]
	v_fma_f64 v[16:17], v[122:123], v[28:29], -v[30:31]
	v_add_f64 v[6:7], v[6:7], v[152:153]
	v_add_f64 v[4:5], v[4:5], v[14:15]
	s_waitcnt vmcnt(3) lgkmcnt(2)
	v_mul_f64 v[158:159], v[130:131], v[38:39]
	v_mul_f64 v[38:39], v[132:133], v[38:39]
	v_fmac_f64_e32 v[156:157], v[128:129], v[32:33]
	v_fma_f64 v[18:19], v[126:127], v[32:33], -v[34:35]
	;; [unrolled: 7-line block ×4, first 2 shown]
	v_add_f64 v[6:7], v[6:7], v[158:159]
	v_add_f64 v[4:5], v[4:5], v[20:21]
	v_fmac_f64_e32 v[162:163], v[140:141], v[44:45]
	v_fma_f64 v[24:25], v[138:139], v[44:45], -v[46:47]
	v_add_f64 v[6:7], v[6:7], v[160:161]
	v_add_f64 v[4:5], v[4:5], v[22:23]
	;; [unrolled: 1-line block ×4, first 2 shown]
	s_waitcnt vmcnt(0)
	v_add_f64 v[4:5], v[48:49], -v[4:5]
	v_add_f64 v[6:7], v[50:51], -v[6:7]
	scratch_store_dwordx4 off, v[4:7], off offset:160
	s_and_saveexec_b64 s[2:3], vcc
	s_cbranch_execz .LBB85_127
; %bb.126:
	scratch_load_dwordx4 v[6:9], off, s30
	v_mov_b32_e32 v3, v2
	v_mov_b32_e32 v4, v2
	;; [unrolled: 1-line block ×3, first 2 shown]
	scratch_store_dwordx4 off, v[2:5], off offset:144
	s_waitcnt vmcnt(1)
	ds_write_b128 v64, v[6:9]
.LBB85_127:
	s_or_b64 exec, exec, s[2:3]
	s_waitcnt lgkmcnt(0)
	; wave barrier
	ds_read_b128 v[4:7], v2 offset:512
	ds_read_b128 v[8:11], v2 offset:528
	;; [unrolled: 1-line block ×4, first 2 shown]
	scratch_load_dwordx4 v[20:23], off, off offset:160
	scratch_load_dwordx4 v[40:43], off, off offset:224
	;; [unrolled: 1-line block ×6, first 2 shown]
	v_cmp_lt_u32_e32 vcc, 8, v1
	scratch_load_dwordx4 v[48:51], off, off offset:240
	scratch_load_dwordx4 v[56:59], off, off offset:256
	scratch_load_dwordx4 v[66:69], off, off offset:272
	s_waitcnt vmcnt(8) lgkmcnt(3)
	v_mul_f64 v[24:25], v[4:5], v[22:23]
	v_fmac_f64_e32 v[24:25], v[6:7], v[20:21]
	v_add_f64 v[28:29], v[24:25], 0
	scratch_load_dwordx4 v[24:27], off, off offset:176
	s_waitcnt vmcnt(0) lgkmcnt(2)
	v_mul_f64 v[30:31], v[8:9], v[26:27]
	v_fmac_f64_e32 v[30:31], v[10:11], v[24:25]
	v_add_f64 v[32:33], v[28:29], v[30:31]
	scratch_load_dwordx4 v[28:31], off, off offset:192
	s_waitcnt vmcnt(0) lgkmcnt(1)
	v_mul_f64 v[34:35], v[12:13], v[30:31]
	v_fmac_f64_e32 v[34:35], v[14:15], v[28:29]
	v_add_f64 v[36:37], v[32:33], v[34:35]
	scratch_load_dwordx4 v[32:35], off, off offset:208
	s_waitcnt vmcnt(0) lgkmcnt(0)
	v_mul_f64 v[38:39], v[16:17], v[34:35]
	v_fmac_f64_e32 v[38:39], v[18:19], v[32:33]
	v_add_f64 v[44:45], v[36:37], v[38:39]
	ds_read_b128 v[36:39], v2 offset:576
	s_waitcnt lgkmcnt(0)
	v_mul_f64 v[46:47], v[36:37], v[42:43]
	v_fmac_f64_e32 v[46:47], v[38:39], v[40:41]
	v_add_f64 v[52:53], v[44:45], v[46:47]
	ds_read_b128 v[44:47], v2 offset:592
	s_waitcnt lgkmcnt(0)
	;; [unrolled: 5-line block ×8, first 2 shown]
	v_mul_f64 v[2:3], v[138:139], v[144:145]
	v_fmac_f64_e32 v[2:3], v[140:141], v[142:143]
	v_add_f64 v[146:147], v[146:147], v[2:3]
	v_mul_f64 v[2:3], v[6:7], v[22:23]
	v_fma_f64 v[2:3], v[4:5], v[20:21], -v[2:3]
	v_mul_f64 v[4:5], v[10:11], v[26:27]
	v_add_f64 v[2:3], v[2:3], 0
	v_fma_f64 v[4:5], v[8:9], v[24:25], -v[4:5]
	v_add_f64 v[2:3], v[2:3], v[4:5]
	v_mul_f64 v[4:5], v[14:15], v[30:31]
	v_fma_f64 v[4:5], v[12:13], v[28:29], -v[4:5]
	v_add_f64 v[2:3], v[2:3], v[4:5]
	v_mul_f64 v[4:5], v[18:19], v[34:35]
	;; [unrolled: 3-line block ×10, first 2 shown]
	v_fma_f64 v[4:5], v[138:139], v[142:143], -v[4:5]
	v_add_f64 v[6:7], v[2:3], v[4:5]
	scratch_load_dwordx4 v[2:5], off, off offset:144
	s_waitcnt vmcnt(0)
	v_add_f64 v[2:3], v[2:3], -v[6:7]
	v_add_f64 v[4:5], v[4:5], -v[146:147]
	scratch_store_dwordx4 off, v[2:5], off offset:144
	s_and_saveexec_b64 s[2:3], vcc
	s_cbranch_execz .LBB85_129
; %bb.128:
	scratch_load_dwordx4 v[2:5], off, s31
	v_mov_b32_e32 v6, 0
	v_mov_b32_e32 v7, v6
	;; [unrolled: 1-line block ×4, first 2 shown]
	scratch_store_dwordx4 off, v[6:9], off offset:128
	s_waitcnt vmcnt(1)
	ds_write_b128 v64, v[2:5]
.LBB85_129:
	s_or_b64 exec, exec, s[2:3]
	v_mov_b32_e32 v2, 0
	s_waitcnt lgkmcnt(0)
	; wave barrier
	ds_read_b128 v[4:7], v2 offset:496
	ds_read_b128 v[8:11], v2 offset:512
	;; [unrolled: 1-line block ×4, first 2 shown]
	scratch_load_dwordx4 v[20:23], off, off offset:144
	scratch_load_dwordx4 v[40:43], off, off offset:208
	;; [unrolled: 1-line block ×7, first 2 shown]
	v_cmp_lt_u32_e32 vcc, 7, v1
	scratch_load_dwordx4 v[48:51], off, off offset:224
	scratch_load_dwordx4 v[56:59], off, off offset:240
	;; [unrolled: 1-line block ×3, first 2 shown]
	s_waitcnt vmcnt(9) lgkmcnt(3)
	v_mul_f64 v[24:25], v[4:5], v[22:23]
	v_fmac_f64_e32 v[24:25], v[6:7], v[20:21]
	v_add_f64 v[28:29], v[24:25], 0
	scratch_load_dwordx4 v[24:27], off, off offset:160
	v_mul_f64 v[6:7], v[6:7], v[22:23]
	v_fma_f64 v[4:5], v[4:5], v[20:21], -v[6:7]
	v_add_f64 v[4:5], v[4:5], 0
	s_waitcnt vmcnt(0) lgkmcnt(2)
	v_mul_f64 v[30:31], v[8:9], v[26:27]
	v_fmac_f64_e32 v[30:31], v[10:11], v[24:25]
	v_add_f64 v[32:33], v[28:29], v[30:31]
	scratch_load_dwordx4 v[28:31], off, off offset:176
	v_mul_f64 v[6:7], v[10:11], v[26:27]
	v_fma_f64 v[6:7], v[8:9], v[24:25], -v[6:7]
	v_add_f64 v[4:5], v[4:5], v[6:7]
	;; [unrolled: 8-line block ×3, first 2 shown]
	s_waitcnt vmcnt(0) lgkmcnt(0)
	v_mul_f64 v[38:39], v[16:17], v[34:35]
	v_fmac_f64_e32 v[38:39], v[18:19], v[32:33]
	v_add_f64 v[44:45], v[36:37], v[38:39]
	ds_read_b128 v[36:39], v2 offset:560
	v_mul_f64 v[6:7], v[18:19], v[34:35]
	v_fma_f64 v[6:7], v[16:17], v[32:33], -v[6:7]
	v_add_f64 v[4:5], v[4:5], v[6:7]
	s_waitcnt lgkmcnt(0)
	v_mul_f64 v[46:47], v[36:37], v[42:43]
	v_fmac_f64_e32 v[46:47], v[38:39], v[40:41]
	v_add_f64 v[52:53], v[44:45], v[46:47]
	ds_read_b128 v[44:47], v2 offset:576
	v_mul_f64 v[6:7], v[38:39], v[42:43]
	v_fma_f64 v[6:7], v[36:37], v[40:41], -v[6:7]
	v_add_f64 v[4:5], v[4:5], v[6:7]
	s_waitcnt lgkmcnt(0)
	;; [unrolled: 8-line block ×9, first 2 shown]
	v_mul_f64 v[6:7], v[148:149], v[152:153]
	v_fma_f64 v[6:7], v[146:147], v[150:151], -v[6:7]
	v_add_f64 v[8:9], v[4:5], v[6:7]
	scratch_load_dwordx4 v[4:7], off, off offset:128
	v_mul_f64 v[156:157], v[146:147], v[152:153]
	v_fmac_f64_e32 v[156:157], v[148:149], v[150:151]
	v_add_f64 v[154:155], v[154:155], v[156:157]
	s_waitcnt vmcnt(0)
	v_add_f64 v[4:5], v[4:5], -v[8:9]
	v_add_f64 v[6:7], v[6:7], -v[154:155]
	scratch_store_dwordx4 off, v[4:7], off offset:128
	s_and_saveexec_b64 s[2:3], vcc
	s_cbranch_execz .LBB85_131
; %bb.130:
	scratch_load_dwordx4 v[6:9], off, s33
	v_mov_b32_e32 v3, v2
	v_mov_b32_e32 v4, v2
	;; [unrolled: 1-line block ×3, first 2 shown]
	scratch_store_dwordx4 off, v[2:5], off offset:112
	s_waitcnt vmcnt(1)
	ds_write_b128 v64, v[6:9]
.LBB85_131:
	s_or_b64 exec, exec, s[2:3]
	s_waitcnt lgkmcnt(0)
	; wave barrier
	ds_read_b128 v[4:7], v2 offset:480
	ds_read_b128 v[8:11], v2 offset:496
	;; [unrolled: 1-line block ×4, first 2 shown]
	scratch_load_dwordx4 v[20:23], off, off offset:128
	scratch_load_dwordx4 v[40:43], off, off offset:192
	;; [unrolled: 1-line block ×8, first 2 shown]
	v_cmp_lt_u32_e32 vcc, 6, v1
	scratch_load_dwordx4 v[48:51], off, off offset:208
	scratch_load_dwordx4 v[56:59], off, off offset:224
	;; [unrolled: 1-line block ×3, first 2 shown]
	s_waitcnt vmcnt(10) lgkmcnt(3)
	v_mul_f64 v[24:25], v[4:5], v[22:23]
	v_fmac_f64_e32 v[24:25], v[6:7], v[20:21]
	v_add_f64 v[28:29], v[24:25], 0
	scratch_load_dwordx4 v[24:27], off, off offset:144
	s_waitcnt vmcnt(0) lgkmcnt(2)
	v_mul_f64 v[30:31], v[8:9], v[26:27]
	v_fmac_f64_e32 v[30:31], v[10:11], v[24:25]
	v_add_f64 v[32:33], v[28:29], v[30:31]
	scratch_load_dwordx4 v[28:31], off, off offset:160
	;; [unrolled: 5-line block ×3, first 2 shown]
	s_waitcnt vmcnt(0) lgkmcnt(0)
	v_mul_f64 v[38:39], v[16:17], v[34:35]
	v_fmac_f64_e32 v[38:39], v[18:19], v[32:33]
	v_add_f64 v[44:45], v[36:37], v[38:39]
	ds_read_b128 v[36:39], v2 offset:544
	s_waitcnt lgkmcnt(0)
	v_mul_f64 v[46:47], v[36:37], v[42:43]
	v_fmac_f64_e32 v[46:47], v[38:39], v[40:41]
	v_add_f64 v[52:53], v[44:45], v[46:47]
	ds_read_b128 v[44:47], v2 offset:560
	s_waitcnt lgkmcnt(0)
	v_mul_f64 v[54:55], v[44:45], v[50:51]
	v_fmac_f64_e32 v[54:55], v[46:47], v[48:49]
	v_add_f64 v[60:61], v[52:53], v[54:55]
	ds_read_b128 v[52:55], v2 offset:576
	s_waitcnt lgkmcnt(0)
	v_mul_f64 v[62:63], v[52:53], v[58:59]
	v_fmac_f64_e32 v[62:63], v[54:55], v[56:57]
	v_add_f64 v[114:115], v[60:61], v[62:63]
	ds_read_b128 v[60:63], v2 offset:592
	s_waitcnt lgkmcnt(0)
	v_mul_f64 v[116:117], v[60:61], v[68:69]
	v_fmac_f64_e32 v[116:117], v[62:63], v[66:67]
	v_add_f64 v[122:123], v[114:115], v[116:117]
	ds_read_b128 v[114:117], v2 offset:608
	s_waitcnt lgkmcnt(0)
	v_mul_f64 v[124:125], v[114:115], v[120:121]
	v_fmac_f64_e32 v[124:125], v[116:117], v[118:119]
	v_add_f64 v[130:131], v[122:123], v[124:125]
	ds_read_b128 v[122:125], v2 offset:624
	s_waitcnt lgkmcnt(0)
	v_mul_f64 v[132:133], v[122:123], v[128:129]
	v_fmac_f64_e32 v[132:133], v[124:125], v[126:127]
	v_add_f64 v[138:139], v[130:131], v[132:133]
	ds_read_b128 v[130:133], v2 offset:640
	s_waitcnt lgkmcnt(0)
	v_mul_f64 v[140:141], v[130:131], v[136:137]
	v_fmac_f64_e32 v[140:141], v[132:133], v[134:135]
	v_add_f64 v[146:147], v[138:139], v[140:141]
	ds_read_b128 v[138:141], v2 offset:656
	s_waitcnt lgkmcnt(0)
	v_mul_f64 v[148:149], v[138:139], v[144:145]
	v_fmac_f64_e32 v[148:149], v[140:141], v[142:143]
	v_add_f64 v[154:155], v[146:147], v[148:149]
	ds_read_b128 v[146:149], v2 offset:672
	s_waitcnt lgkmcnt(0)
	v_mul_f64 v[156:157], v[146:147], v[152:153]
	v_fmac_f64_e32 v[156:157], v[148:149], v[150:151]
	v_add_f64 v[162:163], v[154:155], v[156:157]
	ds_read_b128 v[154:157], v2 offset:688
	s_waitcnt lgkmcnt(0)
	v_mul_f64 v[2:3], v[154:155], v[160:161]
	v_fmac_f64_e32 v[2:3], v[156:157], v[158:159]
	v_add_f64 v[162:163], v[162:163], v[2:3]
	v_mul_f64 v[2:3], v[6:7], v[22:23]
	v_fma_f64 v[2:3], v[4:5], v[20:21], -v[2:3]
	v_mul_f64 v[4:5], v[10:11], v[26:27]
	v_add_f64 v[2:3], v[2:3], 0
	v_fma_f64 v[4:5], v[8:9], v[24:25], -v[4:5]
	v_add_f64 v[2:3], v[2:3], v[4:5]
	v_mul_f64 v[4:5], v[14:15], v[30:31]
	v_fma_f64 v[4:5], v[12:13], v[28:29], -v[4:5]
	v_add_f64 v[2:3], v[2:3], v[4:5]
	v_mul_f64 v[4:5], v[18:19], v[34:35]
	;; [unrolled: 3-line block ×12, first 2 shown]
	v_fma_f64 v[4:5], v[154:155], v[158:159], -v[4:5]
	v_add_f64 v[6:7], v[2:3], v[4:5]
	scratch_load_dwordx4 v[2:5], off, off offset:112
	s_waitcnt vmcnt(0)
	v_add_f64 v[2:3], v[2:3], -v[6:7]
	v_add_f64 v[4:5], v[4:5], -v[162:163]
	scratch_store_dwordx4 off, v[2:5], off offset:112
	s_and_saveexec_b64 s[2:3], vcc
	s_cbranch_execz .LBB85_133
; %bb.132:
	scratch_load_dwordx4 v[2:5], off, s34
	v_mov_b32_e32 v6, 0
	v_mov_b32_e32 v7, v6
	;; [unrolled: 1-line block ×4, first 2 shown]
	scratch_store_dwordx4 off, v[6:9], off offset:96
	s_waitcnt vmcnt(1)
	ds_write_b128 v64, v[2:5]
.LBB85_133:
	s_or_b64 exec, exec, s[2:3]
	s_waitcnt lgkmcnt(0)
	; wave barrier
	scratch_load_dwordx4 v[4:7], off, off offset:112
	scratch_load_dwordx4 v[12:15], off, off offset:128
	;; [unrolled: 1-line block ×16, first 2 shown]
	v_mov_b32_e32 v2, 0
	ds_read_b128 v[114:117], v2 offset:464
	ds_read_b128 v[118:121], v2 offset:480
	;; [unrolled: 1-line block ×15, first 2 shown]
	v_cmp_lt_u32_e32 vcc, 5, v1
	s_waitcnt vmcnt(15) lgkmcnt(14)
	v_mul_f64 v[174:175], v[114:115], v[6:7]
	v_mul_f64 v[6:7], v[116:117], v[6:7]
	s_waitcnt vmcnt(14) lgkmcnt(13)
	v_mul_f64 v[176:177], v[118:119], v[14:15]
	v_mul_f64 v[14:15], v[120:121], v[14:15]
	v_fmac_f64_e32 v[174:175], v[116:117], v[4:5]
	v_fma_f64 v[4:5], v[114:115], v[4:5], -v[6:7]
	s_waitcnt vmcnt(13) lgkmcnt(12)
	v_mul_f64 v[178:179], v[122:123], v[10:11]
	v_mul_f64 v[10:11], v[124:125], v[10:11]
	v_fma_f64 v[6:7], v[118:119], v[12:13], -v[14:15]
	v_add_f64 v[4:5], v[4:5], 0
	s_waitcnt vmcnt(12) lgkmcnt(11)
	v_mul_f64 v[180:181], v[126:127], v[18:19]
	v_mul_f64 v[18:19], v[128:129], v[18:19]
	v_fmac_f64_e32 v[178:179], v[124:125], v[8:9]
	v_fma_f64 v[8:9], v[122:123], v[8:9], -v[10:11]
	v_add_f64 v[4:5], v[4:5], v[6:7]
	s_waitcnt vmcnt(11) lgkmcnt(10)
	v_mul_f64 v[182:183], v[130:131], v[22:23]
	v_mul_f64 v[22:23], v[132:133], v[22:23]
	v_fma_f64 v[10:11], v[126:127], v[16:17], -v[18:19]
	v_add_f64 v[4:5], v[4:5], v[8:9]
	s_waitcnt vmcnt(10) lgkmcnt(9)
	v_mul_f64 v[184:185], v[134:135], v[30:31]
	v_mul_f64 v[30:31], v[136:137], v[30:31]
	v_fmac_f64_e32 v[176:177], v[120:121], v[12:13]
	v_fma_f64 v[12:13], v[130:131], v[20:21], -v[22:23]
	v_add_f64 v[4:5], v[4:5], v[10:11]
	v_fma_f64 v[14:15], v[134:135], v[28:29], -v[30:31]
	v_add_f64 v[4:5], v[4:5], v[12:13]
	s_waitcnt vmcnt(9) lgkmcnt(8)
	v_mul_f64 v[8:9], v[140:141], v[26:27]
	v_add_f64 v[4:5], v[4:5], v[14:15]
	v_fma_f64 v[8:9], v[138:139], v[24:25], -v[8:9]
	v_add_f64 v[4:5], v[4:5], v[8:9]
	s_waitcnt vmcnt(8) lgkmcnt(7)
	v_mul_f64 v[8:9], v[144:145], v[34:35]
	v_fma_f64 v[8:9], v[142:143], v[32:33], -v[8:9]
	v_fmac_f64_e32 v[180:181], v[128:129], v[16:17]
	v_add_f64 v[16:17], v[174:175], 0
	v_add_f64 v[4:5], v[4:5], v[8:9]
	s_waitcnt vmcnt(7) lgkmcnt(6)
	v_mul_f64 v[8:9], v[148:149], v[38:39]
	v_add_f64 v[16:17], v[16:17], v[176:177]
	v_fma_f64 v[8:9], v[146:147], v[36:37], -v[8:9]
	v_add_f64 v[6:7], v[16:17], v[178:179]
	v_add_f64 v[4:5], v[4:5], v[8:9]
	s_waitcnt vmcnt(6) lgkmcnt(5)
	v_mul_f64 v[8:9], v[152:153], v[42:43]
	v_fmac_f64_e32 v[182:183], v[132:133], v[20:21]
	v_add_f64 v[6:7], v[6:7], v[180:181]
	v_fma_f64 v[8:9], v[150:151], v[40:41], -v[8:9]
	v_mul_f64 v[186:187], v[138:139], v[26:27]
	v_fmac_f64_e32 v[184:185], v[136:137], v[28:29]
	v_add_f64 v[6:7], v[6:7], v[182:183]
	v_add_f64 v[4:5], v[4:5], v[8:9]
	s_waitcnt vmcnt(5) lgkmcnt(4)
	v_mul_f64 v[8:9], v[156:157], v[46:47]
	v_mul_f64 v[188:189], v[142:143], v[34:35]
	v_fmac_f64_e32 v[186:187], v[140:141], v[24:25]
	v_add_f64 v[6:7], v[6:7], v[184:185]
	v_fma_f64 v[8:9], v[154:155], v[44:45], -v[8:9]
	v_mul_f64 v[190:191], v[146:147], v[38:39]
	v_fmac_f64_e32 v[188:189], v[144:145], v[32:33]
	v_add_f64 v[6:7], v[6:7], v[186:187]
	v_add_f64 v[4:5], v[4:5], v[8:9]
	s_waitcnt vmcnt(4) lgkmcnt(3)
	v_mul_f64 v[8:9], v[160:161], v[50:51]
	;; [unrolled: 10-line block ×4, first 2 shown]
	v_mul_f64 v[200:201], v[166:167], v[58:59]
	v_fmac_f64_e32 v[198:199], v[164:165], v[52:53]
	v_add_f64 v[6:7], v[6:7], v[196:197]
	v_fma_f64 v[8:9], v[166:167], v[56:57], -v[8:9]
	s_waitcnt vmcnt(1) lgkmcnt(0)
	v_mul_f64 v[202:203], v[170:171], v[62:63]
	v_fmac_f64_e32 v[200:201], v[168:169], v[56:57]
	v_add_f64 v[6:7], v[6:7], v[198:199]
	v_add_f64 v[4:5], v[4:5], v[8:9]
	v_mul_f64 v[8:9], v[172:173], v[62:63]
	v_fmac_f64_e32 v[202:203], v[172:173], v[60:61]
	v_add_f64 v[6:7], v[6:7], v[200:201]
	v_fma_f64 v[8:9], v[170:171], v[60:61], -v[8:9]
	v_add_f64 v[6:7], v[6:7], v[202:203]
	v_add_f64 v[4:5], v[4:5], v[8:9]
	s_waitcnt vmcnt(0)
	v_add_f64 v[4:5], v[66:67], -v[4:5]
	v_add_f64 v[6:7], v[68:69], -v[6:7]
	scratch_store_dwordx4 off, v[4:7], off offset:96
	s_and_saveexec_b64 s[2:3], vcc
	s_cbranch_execz .LBB85_135
; %bb.134:
	scratch_load_dwordx4 v[6:9], off, s35
	v_mov_b32_e32 v3, v2
	v_mov_b32_e32 v4, v2
	v_mov_b32_e32 v5, v2
	scratch_store_dwordx4 off, v[2:5], off offset:80
	s_waitcnt vmcnt(1)
	ds_write_b128 v64, v[6:9]
.LBB85_135:
	s_or_b64 exec, exec, s[2:3]
	s_waitcnt lgkmcnt(0)
	; wave barrier
	scratch_load_dwordx4 v[4:7], off, off offset:96
	scratch_load_dwordx4 v[8:11], off, off offset:112
	;; [unrolled: 1-line block ×16, first 2 shown]
	ds_read_b128 v[114:117], v2 offset:448
	ds_read_b128 v[118:121], v2 offset:464
	;; [unrolled: 1-line block ×16, first 2 shown]
	scratch_load_dwordx4 v[178:181], off, off offset:80
	v_cmp_lt_u32_e32 vcc, 4, v1
	s_waitcnt vmcnt(16) lgkmcnt(14)
	v_mul_f64 v[2:3], v[114:115], v[6:7]
	s_waitcnt vmcnt(15)
	v_mul_f64 v[182:183], v[118:119], v[10:11]
	v_fmac_f64_e32 v[2:3], v[116:117], v[4:5]
	s_waitcnt vmcnt(14) lgkmcnt(13)
	v_mul_f64 v[184:185], v[122:123], v[14:15]
	v_fmac_f64_e32 v[182:183], v[120:121], v[8:9]
	v_add_f64 v[2:3], v[2:3], 0
	s_waitcnt vmcnt(13) lgkmcnt(12)
	v_mul_f64 v[186:187], v[126:127], v[18:19]
	v_fmac_f64_e32 v[184:185], v[124:125], v[12:13]
	v_add_f64 v[2:3], v[2:3], v[182:183]
	;; [unrolled: 4-line block ×10, first 2 shown]
	s_waitcnt vmcnt(4) lgkmcnt(3)
	v_mul_f64 v[204:205], v[162:163], v[54:55]
	v_mul_f64 v[6:7], v[116:117], v[6:7]
	v_fmac_f64_e32 v[202:203], v[160:161], v[48:49]
	v_add_f64 v[2:3], v[2:3], v[200:201]
	s_waitcnt vmcnt(3) lgkmcnt(2)
	v_mul_f64 v[206:207], v[166:167], v[58:59]
	v_mul_f64 v[10:11], v[120:121], v[10:11]
	v_fmac_f64_e32 v[204:205], v[164:165], v[52:53]
	v_fma_f64 v[4:5], v[114:115], v[4:5], -v[6:7]
	v_add_f64 v[2:3], v[2:3], v[202:203]
	s_waitcnt vmcnt(2) lgkmcnt(1)
	v_mul_f64 v[208:209], v[170:171], v[62:63]
	v_mul_f64 v[14:15], v[124:125], v[14:15]
	v_fmac_f64_e32 v[206:207], v[168:169], v[56:57]
	v_fma_f64 v[6:7], v[118:119], v[8:9], -v[10:11]
	v_add_f64 v[4:5], v[4:5], 0
	v_add_f64 v[2:3], v[2:3], v[204:205]
	s_waitcnt vmcnt(1) lgkmcnt(0)
	v_mul_f64 v[210:211], v[174:175], v[68:69]
	v_mul_f64 v[18:19], v[128:129], v[18:19]
	v_fmac_f64_e32 v[208:209], v[172:173], v[60:61]
	v_fma_f64 v[8:9], v[122:123], v[12:13], -v[14:15]
	v_add_f64 v[4:5], v[4:5], v[6:7]
	v_add_f64 v[2:3], v[2:3], v[206:207]
	v_mul_f64 v[26:27], v[132:133], v[26:27]
	v_fmac_f64_e32 v[210:211], v[176:177], v[66:67]
	v_fma_f64 v[10:11], v[126:127], v[16:17], -v[18:19]
	v_add_f64 v[4:5], v[4:5], v[8:9]
	v_add_f64 v[2:3], v[2:3], v[208:209]
	v_fma_f64 v[12:13], v[130:131], v[24:25], -v[26:27]
	v_add_f64 v[4:5], v[4:5], v[10:11]
	v_add_f64 v[6:7], v[2:3], v[210:211]
	v_mul_f64 v[2:3], v[136:137], v[22:23]
	v_add_f64 v[4:5], v[4:5], v[12:13]
	v_fma_f64 v[2:3], v[134:135], v[20:21], -v[2:3]
	v_add_f64 v[2:3], v[4:5], v[2:3]
	v_mul_f64 v[4:5], v[140:141], v[30:31]
	v_fma_f64 v[4:5], v[138:139], v[28:29], -v[4:5]
	v_add_f64 v[2:3], v[2:3], v[4:5]
	v_mul_f64 v[4:5], v[144:145], v[34:35]
	v_fma_f64 v[4:5], v[142:143], v[32:33], -v[4:5]
	v_add_f64 v[2:3], v[2:3], v[4:5]
	v_mul_f64 v[4:5], v[148:149], v[38:39]
	v_fma_f64 v[4:5], v[146:147], v[36:37], -v[4:5]
	v_add_f64 v[2:3], v[2:3], v[4:5]
	v_mul_f64 v[4:5], v[152:153], v[42:43]
	v_fma_f64 v[4:5], v[150:151], v[40:41], -v[4:5]
	v_add_f64 v[2:3], v[2:3], v[4:5]
	v_mul_f64 v[4:5], v[156:157], v[46:47]
	v_fma_f64 v[4:5], v[154:155], v[44:45], -v[4:5]
	v_add_f64 v[2:3], v[2:3], v[4:5]
	v_mul_f64 v[4:5], v[160:161], v[50:51]
	v_fma_f64 v[4:5], v[158:159], v[48:49], -v[4:5]
	v_add_f64 v[2:3], v[2:3], v[4:5]
	v_mul_f64 v[4:5], v[164:165], v[54:55]
	v_fma_f64 v[4:5], v[162:163], v[52:53], -v[4:5]
	v_add_f64 v[2:3], v[2:3], v[4:5]
	v_mul_f64 v[4:5], v[168:169], v[58:59]
	v_fma_f64 v[4:5], v[166:167], v[56:57], -v[4:5]
	v_add_f64 v[2:3], v[2:3], v[4:5]
	v_mul_f64 v[4:5], v[172:173], v[62:63]
	v_fma_f64 v[4:5], v[170:171], v[60:61], -v[4:5]
	v_add_f64 v[2:3], v[2:3], v[4:5]
	v_mul_f64 v[4:5], v[176:177], v[68:69]
	v_fma_f64 v[4:5], v[174:175], v[66:67], -v[4:5]
	v_add_f64 v[2:3], v[2:3], v[4:5]
	s_waitcnt vmcnt(0)
	v_add_f64 v[2:3], v[178:179], -v[2:3]
	v_add_f64 v[4:5], v[180:181], -v[6:7]
	scratch_store_dwordx4 off, v[2:5], off offset:80
	s_and_saveexec_b64 s[2:3], vcc
	s_cbranch_execz .LBB85_137
; %bb.136:
	scratch_load_dwordx4 v[2:5], off, s36
	v_mov_b32_e32 v6, 0
	v_mov_b32_e32 v7, v6
	;; [unrolled: 1-line block ×4, first 2 shown]
	scratch_store_dwordx4 off, v[6:9], off offset:64
	s_waitcnt vmcnt(1)
	ds_write_b128 v64, v[2:5]
.LBB85_137:
	s_or_b64 exec, exec, s[2:3]
	s_waitcnt lgkmcnt(0)
	; wave barrier
	scratch_load_dwordx4 v[4:7], off, off offset:80
	scratch_load_dwordx4 v[8:11], off, off offset:96
	;; [unrolled: 1-line block ×18, first 2 shown]
	v_mov_b32_e32 v2, 0
	ds_read_b128 v[122:125], v2 offset:432
	ds_read_b128 v[126:129], v2 offset:448
	;; [unrolled: 1-line block ×17, first 2 shown]
	v_cmp_lt_u32_e32 vcc, 3, v1
	s_waitcnt vmcnt(17) lgkmcnt(14)
	v_mul_f64 v[190:191], v[122:123], v[6:7]
	v_mul_f64 v[6:7], v[124:125], v[6:7]
	s_waitcnt vmcnt(16)
	v_mul_f64 v[192:193], v[126:127], v[10:11]
	v_mul_f64 v[10:11], v[128:129], v[10:11]
	v_fmac_f64_e32 v[190:191], v[124:125], v[4:5]
	v_fma_f64 v[4:5], v[122:123], v[4:5], -v[6:7]
	s_waitcnt vmcnt(15)
	v_mul_f64 v[194:195], v[130:131], v[18:19]
	v_mul_f64 v[18:19], v[132:133], v[18:19]
	v_fma_f64 v[6:7], v[126:127], v[8:9], -v[10:11]
	v_add_f64 v[4:5], v[4:5], 0
	s_waitcnt vmcnt(14) lgkmcnt(13)
	v_mul_f64 v[196:197], v[134:135], v[14:15]
	v_mul_f64 v[14:15], v[136:137], v[14:15]
	v_fmac_f64_e32 v[192:193], v[128:129], v[8:9]
	v_fma_f64 v[8:9], v[130:131], v[16:17], -v[18:19]
	v_add_f64 v[4:5], v[4:5], v[6:7]
	v_add_f64 v[4:5], v[4:5], v[8:9]
	v_fma_f64 v[8:9], v[134:135], v[12:13], -v[14:15]
	v_add_f64 v[4:5], v[4:5], v[8:9]
	s_waitcnt vmcnt(13) lgkmcnt(12)
	v_mul_f64 v[8:9], v[140:141], v[22:23]
	v_fma_f64 v[8:9], v[138:139], v[20:21], -v[8:9]
	v_add_f64 v[4:5], v[4:5], v[8:9]
	s_waitcnt vmcnt(12) lgkmcnt(11)
	v_mul_f64 v[8:9], v[144:145], v[26:27]
	;; [unrolled: 4-line block ×5, first 2 shown]
	v_fma_f64 v[8:9], v[154:155], v[36:37], -v[8:9]
	v_add_f64 v[10:11], v[190:191], 0
	v_add_f64 v[4:5], v[4:5], v[8:9]
	s_waitcnt vmcnt(8) lgkmcnt(7)
	v_mul_f64 v[8:9], v[160:161], v[42:43]
	v_fmac_f64_e32 v[194:195], v[132:133], v[16:17]
	v_add_f64 v[10:11], v[10:11], v[192:193]
	v_fma_f64 v[8:9], v[158:159], v[40:41], -v[8:9]
	v_mul_f64 v[198:199], v[138:139], v[22:23]
	v_fmac_f64_e32 v[196:197], v[136:137], v[12:13]
	v_add_f64 v[6:7], v[10:11], v[194:195]
	v_add_f64 v[4:5], v[4:5], v[8:9]
	s_waitcnt vmcnt(7) lgkmcnt(6)
	v_mul_f64 v[8:9], v[164:165], v[46:47]
	v_mul_f64 v[200:201], v[142:143], v[26:27]
	v_fmac_f64_e32 v[198:199], v[140:141], v[20:21]
	v_add_f64 v[6:7], v[6:7], v[196:197]
	v_fma_f64 v[8:9], v[162:163], v[44:45], -v[8:9]
	v_mul_f64 v[202:203], v[146:147], v[30:31]
	v_fmac_f64_e32 v[200:201], v[144:145], v[24:25]
	v_add_f64 v[6:7], v[6:7], v[198:199]
	v_add_f64 v[4:5], v[4:5], v[8:9]
	s_waitcnt vmcnt(6) lgkmcnt(5)
	v_mul_f64 v[8:9], v[168:169], v[50:51]
	;; [unrolled: 10-line block ×6, first 2 shown]
	v_mul_f64 v[220:221], v[182:183], v[68:69]
	v_fmac_f64_e32 v[218:219], v[180:181], v[60:61]
	v_add_f64 v[6:7], v[6:7], v[216:217]
	v_fma_f64 v[8:9], v[182:183], v[66:67], -v[8:9]
	s_waitcnt vmcnt(1) lgkmcnt(0)
	v_mul_f64 v[222:223], v[186:187], v[116:117]
	v_fmac_f64_e32 v[220:221], v[184:185], v[66:67]
	v_add_f64 v[6:7], v[6:7], v[218:219]
	v_add_f64 v[4:5], v[4:5], v[8:9]
	v_mul_f64 v[8:9], v[188:189], v[116:117]
	v_fmac_f64_e32 v[222:223], v[188:189], v[114:115]
	v_add_f64 v[6:7], v[6:7], v[220:221]
	v_fma_f64 v[8:9], v[186:187], v[114:115], -v[8:9]
	v_add_f64 v[6:7], v[6:7], v[222:223]
	v_add_f64 v[4:5], v[4:5], v[8:9]
	s_waitcnt vmcnt(0)
	v_add_f64 v[4:5], v[118:119], -v[4:5]
	v_add_f64 v[6:7], v[120:121], -v[6:7]
	scratch_store_dwordx4 off, v[4:7], off offset:64
	s_and_saveexec_b64 s[2:3], vcc
	s_cbranch_execz .LBB85_139
; %bb.138:
	scratch_load_dwordx4 v[6:9], off, s37
	v_mov_b32_e32 v3, v2
	v_mov_b32_e32 v4, v2
	;; [unrolled: 1-line block ×3, first 2 shown]
	scratch_store_dwordx4 off, v[2:5], off offset:48
	s_waitcnt vmcnt(1)
	ds_write_b128 v64, v[6:9]
.LBB85_139:
	s_or_b64 exec, exec, s[2:3]
	s_waitcnt lgkmcnt(0)
	; wave barrier
	scratch_load_dwordx4 v[4:7], off, off offset:64
	scratch_load_dwordx4 v[12:15], off, off offset:80
	;; [unrolled: 1-line block ×18, first 2 shown]
	ds_read_b128 v[122:125], v2 offset:416
	ds_read_b128 v[126:129], v2 offset:432
	;; [unrolled: 1-line block ×18, first 2 shown]
	scratch_load_dwordx4 v[194:197], off, off offset:48
	v_cmp_lt_u32_e32 vcc, 2, v1
	s_waitcnt vmcnt(18) lgkmcnt(14)
	v_mul_f64 v[2:3], v[122:123], v[6:7]
	s_waitcnt vmcnt(17)
	v_mul_f64 v[198:199], v[126:127], v[14:15]
	v_fmac_f64_e32 v[2:3], v[124:125], v[4:5]
	s_waitcnt vmcnt(16)
	v_mul_f64 v[200:201], v[130:131], v[10:11]
	v_fmac_f64_e32 v[198:199], v[128:129], v[12:13]
	v_add_f64 v[2:3], v[2:3], 0
	s_waitcnt vmcnt(15)
	v_mul_f64 v[202:203], v[134:135], v[18:19]
	v_fmac_f64_e32 v[200:201], v[132:133], v[8:9]
	v_add_f64 v[2:3], v[2:3], v[198:199]
	s_waitcnt vmcnt(14) lgkmcnt(13)
	v_mul_f64 v[204:205], v[138:139], v[22:23]
	v_fmac_f64_e32 v[202:203], v[136:137], v[16:17]
	v_add_f64 v[2:3], v[2:3], v[200:201]
	s_waitcnt vmcnt(13) lgkmcnt(12)
	;; [unrolled: 4-line block ×13, first 2 shown]
	v_mul_f64 v[228:229], v[186:187], v[116:117]
	v_mul_f64 v[6:7], v[124:125], v[6:7]
	v_fmac_f64_e32 v[226:227], v[184:185], v[66:67]
	v_add_f64 v[2:3], v[2:3], v[224:225]
	s_waitcnt vmcnt(1) lgkmcnt(0)
	v_mul_f64 v[230:231], v[190:191], v[120:121]
	v_mul_f64 v[14:15], v[128:129], v[14:15]
	v_fmac_f64_e32 v[228:229], v[188:189], v[114:115]
	v_fma_f64 v[4:5], v[122:123], v[4:5], -v[6:7]
	v_add_f64 v[2:3], v[2:3], v[226:227]
	v_mul_f64 v[10:11], v[132:133], v[10:11]
	v_fmac_f64_e32 v[230:231], v[192:193], v[118:119]
	v_fma_f64 v[6:7], v[126:127], v[12:13], -v[14:15]
	v_add_f64 v[4:5], v[4:5], 0
	v_add_f64 v[2:3], v[2:3], v[228:229]
	;; [unrolled: 1-line block ×4, first 2 shown]
	v_fma_f64 v[2:3], v[130:131], v[8:9], -v[10:11]
	v_add_f64 v[2:3], v[4:5], v[2:3]
	v_mul_f64 v[4:5], v[136:137], v[18:19]
	v_fma_f64 v[4:5], v[134:135], v[16:17], -v[4:5]
	v_add_f64 v[2:3], v[2:3], v[4:5]
	v_mul_f64 v[4:5], v[140:141], v[22:23]
	;; [unrolled: 3-line block ×15, first 2 shown]
	v_fma_f64 v[4:5], v[190:191], v[118:119], -v[4:5]
	v_add_f64 v[2:3], v[2:3], v[4:5]
	s_waitcnt vmcnt(0)
	v_add_f64 v[2:3], v[194:195], -v[2:3]
	v_add_f64 v[4:5], v[196:197], -v[6:7]
	scratch_store_dwordx4 off, v[2:5], off offset:48
	s_and_saveexec_b64 s[2:3], vcc
	s_cbranch_execz .LBB85_141
; %bb.140:
	scratch_load_dwordx4 v[2:5], off, s38
	v_mov_b32_e32 v6, 0
	v_mov_b32_e32 v7, v6
	;; [unrolled: 1-line block ×4, first 2 shown]
	scratch_store_dwordx4 off, v[6:9], off offset:32
	s_waitcnt vmcnt(1)
	ds_write_b128 v64, v[2:5]
.LBB85_141:
	s_or_b64 exec, exec, s[2:3]
	s_waitcnt lgkmcnt(0)
	; wave barrier
	scratch_load_dwordx4 v[8:11], off, off offset:48
	scratch_load_dwordx4 v[4:7], off, off offset:64
	;; [unrolled: 1-line block ×20, first 2 shown]
	v_mov_b32_e32 v2, 0
	ds_read_b128 v[130:133], v2 offset:400
	ds_read_b128 v[134:137], v2 offset:416
	;; [unrolled: 1-line block ×19, first 2 shown]
	v_cmp_lt_u32_e32 vcc, 1, v1
	s_waitcnt vmcnt(19) lgkmcnt(14)
	v_mul_f64 v[206:207], v[130:131], v[10:11]
	v_mul_f64 v[10:11], v[132:133], v[10:11]
	s_waitcnt vmcnt(18)
	v_mul_f64 v[208:209], v[134:135], v[6:7]
	v_fmac_f64_e32 v[206:207], v[132:133], v[8:9]
	v_fma_f64 v[8:9], v[130:131], v[8:9], -v[10:11]
	v_mul_f64 v[6:7], v[136:137], v[6:7]
	v_fmac_f64_e32 v[208:209], v[136:137], v[4:5]
	v_add_f64 v[8:9], v[8:9], 0
	v_fma_f64 v[4:5], v[134:135], v[4:5], -v[6:7]
	s_waitcnt vmcnt(17)
	v_mul_f64 v[6:7], v[140:141], v[14:15]
	v_add_f64 v[4:5], v[8:9], v[4:5]
	v_fma_f64 v[6:7], v[138:139], v[12:13], -v[6:7]
	v_add_f64 v[4:5], v[4:5], v[6:7]
	s_waitcnt vmcnt(16)
	v_mul_f64 v[6:7], v[144:145], v[18:19]
	v_fma_f64 v[6:7], v[142:143], v[16:17], -v[6:7]
	v_add_f64 v[4:5], v[4:5], v[6:7]
	s_waitcnt vmcnt(15)
	v_mul_f64 v[6:7], v[148:149], v[22:23]
	v_fma_f64 v[6:7], v[146:147], v[20:21], -v[6:7]
	v_add_f64 v[4:5], v[4:5], v[6:7]
	s_waitcnt vmcnt(14) lgkmcnt(13)
	v_mul_f64 v[6:7], v[152:153], v[26:27]
	v_fma_f64 v[6:7], v[150:151], v[24:25], -v[6:7]
	v_add_f64 v[4:5], v[4:5], v[6:7]
	s_waitcnt vmcnt(13) lgkmcnt(12)
	;; [unrolled: 4-line block ×5, first 2 shown]
	v_mul_f64 v[6:7], v[168:169], v[42:43]
	v_fma_f64 v[6:7], v[166:167], v[40:41], -v[6:7]
	v_mul_f64 v[210:211], v[138:139], v[14:15]
	v_add_f64 v[10:11], v[206:207], 0
	v_add_f64 v[4:5], v[4:5], v[6:7]
	s_waitcnt vmcnt(9) lgkmcnt(8)
	v_mul_f64 v[6:7], v[172:173], v[46:47]
	v_mul_f64 v[212:213], v[142:143], v[18:19]
	v_fmac_f64_e32 v[210:211], v[140:141], v[12:13]
	v_add_f64 v[10:11], v[10:11], v[208:209]
	v_fma_f64 v[6:7], v[170:171], v[44:45], -v[6:7]
	v_mul_f64 v[214:215], v[146:147], v[22:23]
	v_fmac_f64_e32 v[212:213], v[144:145], v[16:17]
	v_add_f64 v[10:11], v[10:11], v[210:211]
	v_add_f64 v[4:5], v[4:5], v[6:7]
	s_waitcnt vmcnt(8) lgkmcnt(7)
	v_mul_f64 v[6:7], v[176:177], v[50:51]
	v_mul_f64 v[216:217], v[150:151], v[26:27]
	v_fmac_f64_e32 v[214:215], v[148:149], v[20:21]
	v_add_f64 v[10:11], v[10:11], v[212:213]
	v_fma_f64 v[6:7], v[174:175], v[48:49], -v[6:7]
	v_mul_f64 v[218:219], v[154:155], v[30:31]
	v_fmac_f64_e32 v[216:217], v[152:153], v[24:25]
	;; [unrolled: 10-line block ×7, first 2 shown]
	v_add_f64 v[10:11], v[10:11], v[234:235]
	v_add_f64 v[4:5], v[4:5], v[6:7]
	s_waitcnt vmcnt(2) lgkmcnt(1)
	v_mul_f64 v[6:7], v[200:201], v[120:121]
	v_mul_f64 v[240:241], v[198:199], v[120:121]
	v_fmac_f64_e32 v[238:239], v[196:197], v[114:115]
	v_add_f64 v[10:11], v[10:11], v[236:237]
	v_fma_f64 v[6:7], v[198:199], v[118:119], -v[6:7]
	s_waitcnt vmcnt(1) lgkmcnt(0)
	v_mul_f64 v[242:243], v[202:203], v[124:125]
	v_fmac_f64_e32 v[240:241], v[200:201], v[118:119]
	v_add_f64 v[10:11], v[10:11], v[238:239]
	v_add_f64 v[4:5], v[4:5], v[6:7]
	v_mul_f64 v[6:7], v[204:205], v[124:125]
	v_fmac_f64_e32 v[242:243], v[204:205], v[122:123]
	v_add_f64 v[10:11], v[10:11], v[240:241]
	v_fma_f64 v[6:7], v[202:203], v[122:123], -v[6:7]
	v_add_f64 v[10:11], v[10:11], v[242:243]
	v_add_f64 v[4:5], v[4:5], v[6:7]
	s_waitcnt vmcnt(0)
	v_add_f64 v[4:5], v[126:127], -v[4:5]
	v_add_f64 v[6:7], v[128:129], -v[10:11]
	scratch_store_dwordx4 off, v[4:7], off offset:32
	s_and_saveexec_b64 s[2:3], vcc
	s_cbranch_execz .LBB85_143
; %bb.142:
	scratch_load_dwordx4 v[6:9], off, s39
	v_mov_b32_e32 v3, v2
	v_mov_b32_e32 v4, v2
	;; [unrolled: 1-line block ×3, first 2 shown]
	scratch_store_dwordx4 off, v[2:5], off offset:16
	s_waitcnt vmcnt(1)
	ds_write_b128 v64, v[6:9]
.LBB85_143:
	s_or_b64 exec, exec, s[2:3]
	s_waitcnt lgkmcnt(0)
	; wave barrier
	scratch_load_dwordx4 v[4:7], off, off offset:32
	scratch_load_dwordx4 v[8:11], off, off offset:48
	;; [unrolled: 1-line block ×20, first 2 shown]
	ds_read_b128 v[130:133], v2 offset:384
	ds_read_b128 v[134:137], v2 offset:400
	;; [unrolled: 1-line block ×20, first 2 shown]
	scratch_load_dwordx4 v[210:213], off, off offset:16
	v_cmp_ne_u32_e32 vcc, 0, v1
	s_waitcnt vmcnt(20) lgkmcnt(14)
	v_mul_f64 v[2:3], v[130:131], v[6:7]
	s_waitcnt vmcnt(19)
	v_mul_f64 v[214:215], v[134:135], v[10:11]
	v_fmac_f64_e32 v[2:3], v[132:133], v[4:5]
	s_waitcnt vmcnt(18)
	v_mul_f64 v[216:217], v[138:139], v[14:15]
	v_fmac_f64_e32 v[214:215], v[136:137], v[8:9]
	v_add_f64 v[2:3], v[2:3], 0
	s_waitcnt vmcnt(17)
	v_mul_f64 v[218:219], v[142:143], v[18:19]
	v_fmac_f64_e32 v[216:217], v[140:141], v[12:13]
	v_add_f64 v[2:3], v[2:3], v[214:215]
	;; [unrolled: 4-line block ×4, first 2 shown]
	s_waitcnt vmcnt(14) lgkmcnt(13)
	v_mul_f64 v[224:225], v[154:155], v[30:31]
	v_fmac_f64_e32 v[222:223], v[152:153], v[24:25]
	v_add_f64 v[2:3], v[2:3], v[220:221]
	s_waitcnt vmcnt(13) lgkmcnt(12)
	v_mul_f64 v[226:227], v[158:159], v[34:35]
	v_fmac_f64_e32 v[224:225], v[156:157], v[28:29]
	v_add_f64 v[2:3], v[2:3], v[222:223]
	;; [unrolled: 4-line block ×14, first 2 shown]
	v_add_f64 v[2:3], v[2:3], v[248:249]
	v_fmac_f64_e32 v[250:251], v[208:209], v[126:127]
	v_add_f64 v[214:215], v[2:3], v[250:251]
	v_mul_f64 v[2:3], v[132:133], v[6:7]
	v_fma_f64 v[2:3], v[130:131], v[4:5], -v[2:3]
	v_mul_f64 v[4:5], v[136:137], v[10:11]
	v_add_f64 v[2:3], v[2:3], 0
	v_fma_f64 v[4:5], v[134:135], v[8:9], -v[4:5]
	v_add_f64 v[2:3], v[2:3], v[4:5]
	v_mul_f64 v[4:5], v[140:141], v[14:15]
	v_fma_f64 v[4:5], v[138:139], v[12:13], -v[4:5]
	v_add_f64 v[2:3], v[2:3], v[4:5]
	v_mul_f64 v[4:5], v[144:145], v[18:19]
	;; [unrolled: 3-line block ×18, first 2 shown]
	v_fma_f64 v[4:5], v[206:207], v[126:127], -v[4:5]
	v_add_f64 v[2:3], v[2:3], v[4:5]
	s_waitcnt vmcnt(0)
	v_add_f64 v[2:3], v[210:211], -v[2:3]
	v_add_f64 v[4:5], v[212:213], -v[214:215]
	scratch_store_dwordx4 off, v[2:5], off offset:16
	s_and_saveexec_b64 s[2:3], vcc
	s_cbranch_execz .LBB85_145
; %bb.144:
	scratch_load_dwordx4 v[2:5], off, off
	v_mov_b32_e32 v6, 0
	v_mov_b32_e32 v7, v6
	;; [unrolled: 1-line block ×4, first 2 shown]
	scratch_store_dwordx4 off, v[6:9], off
	s_waitcnt vmcnt(1)
	ds_write_b128 v64, v[2:5]
.LBB85_145:
	s_or_b64 exec, exec, s[2:3]
	s_waitcnt lgkmcnt(0)
	; wave barrier
	scratch_load_dwordx4 v[2:5], off, off offset:16
	scratch_load_dwordx4 v[6:9], off, off offset:32
	;; [unrolled: 1-line block ×21, first 2 shown]
	scratch_load_dwordx4 v[132:135], off, off
	v_mov_b32_e32 v114, 0
	ds_read_b128 v[136:139], v114 offset:368
	ds_read_b128 v[140:143], v114 offset:384
	;; [unrolled: 1-line block ×20, first 2 shown]
	s_and_b64 vcc, exec, s[14:15]
	s_waitcnt vmcnt(21) lgkmcnt(14)
	v_mul_f64 v[216:217], v[136:137], v[4:5]
	v_mul_f64 v[4:5], v[138:139], v[4:5]
	v_fmac_f64_e32 v[216:217], v[138:139], v[2:3]
	v_fma_f64 v[2:3], v[136:137], v[2:3], -v[4:5]
	s_waitcnt vmcnt(20)
	v_mul_f64 v[4:5], v[142:143], v[8:9]
	v_add_f64 v[2:3], v[2:3], 0
	v_fma_f64 v[4:5], v[140:141], v[6:7], -v[4:5]
	v_add_f64 v[2:3], v[2:3], v[4:5]
	s_waitcnt vmcnt(19)
	v_mul_f64 v[4:5], v[146:147], v[12:13]
	v_fma_f64 v[4:5], v[144:145], v[10:11], -v[4:5]
	v_add_f64 v[2:3], v[2:3], v[4:5]
	s_waitcnt vmcnt(18)
	v_mul_f64 v[4:5], v[150:151], v[16:17]
	;; [unrolled: 4-line block ×4, first 2 shown]
	v_fma_f64 v[4:5], v[156:157], v[22:23], -v[4:5]
	v_add_f64 v[2:3], v[2:3], v[4:5]
	s_waitcnt vmcnt(15) lgkmcnt(13)
	v_mul_f64 v[4:5], v[162:163], v[28:29]
	v_fma_f64 v[4:5], v[160:161], v[26:27], -v[4:5]
	v_add_f64 v[2:3], v[2:3], v[4:5]
	s_waitcnt vmcnt(14) lgkmcnt(12)
	v_mul_f64 v[4:5], v[166:167], v[32:33]
	;; [unrolled: 4-line block ×3, first 2 shown]
	v_mul_f64 v[218:219], v[140:141], v[8:9]
	v_fma_f64 v[4:5], v[168:169], v[34:35], -v[4:5]
	v_mul_f64 v[220:221], v[144:145], v[12:13]
	v_fmac_f64_e32 v[218:219], v[142:143], v[6:7]
	v_add_f64 v[216:217], v[216:217], 0
	v_add_f64 v[2:3], v[2:3], v[4:5]
	s_waitcnt vmcnt(12) lgkmcnt(10)
	v_mul_f64 v[4:5], v[174:175], v[40:41]
	v_mul_f64 v[222:223], v[148:149], v[16:17]
	v_fmac_f64_e32 v[220:221], v[146:147], v[10:11]
	v_add_f64 v[216:217], v[216:217], v[218:219]
	v_fma_f64 v[4:5], v[172:173], v[38:39], -v[4:5]
	v_mul_f64 v[224:225], v[152:153], v[20:21]
	v_fmac_f64_e32 v[222:223], v[150:151], v[14:15]
	v_add_f64 v[216:217], v[216:217], v[220:221]
	v_add_f64 v[2:3], v[2:3], v[4:5]
	s_waitcnt vmcnt(11) lgkmcnt(9)
	v_mul_f64 v[4:5], v[178:179], v[44:45]
	v_mul_f64 v[226:227], v[156:157], v[24:25]
	v_fmac_f64_e32 v[224:225], v[154:155], v[18:19]
	v_add_f64 v[216:217], v[216:217], v[222:223]
	;; [unrolled: 10-line block ×7, first 2 shown]
	v_fma_f64 v[4:5], v[196:197], v[62:63], -v[4:5]
	s_waitcnt vmcnt(5) lgkmcnt(3)
	v_mul_f64 v[248:249], v[200:201], v[68:69]
	v_fmac_f64_e32 v[246:247], v[198:199], v[62:63]
	v_add_f64 v[216:217], v[216:217], v[244:245]
	v_add_f64 v[2:3], v[2:3], v[4:5]
	v_mul_f64 v[4:5], v[202:203], v[68:69]
	s_waitcnt vmcnt(4) lgkmcnt(2)
	v_mul_f64 v[250:251], v[204:205], v[118:119]
	v_fmac_f64_e32 v[248:249], v[202:203], v[66:67]
	v_add_f64 v[216:217], v[216:217], v[246:247]
	v_fma_f64 v[4:5], v[200:201], v[66:67], -v[4:5]
	v_fmac_f64_e32 v[250:251], v[206:207], v[116:117]
	v_add_f64 v[216:217], v[216:217], v[248:249]
	v_add_f64 v[2:3], v[2:3], v[4:5]
	v_mul_f64 v[4:5], v[206:207], v[118:119]
	v_add_f64 v[220:221], v[216:217], v[250:251]
	ds_read_b128 v[216:219], v114 offset:688
	v_fma_f64 v[4:5], v[204:205], v[116:117], -v[4:5]
	v_add_f64 v[2:3], v[2:3], v[4:5]
	s_waitcnt vmcnt(3) lgkmcnt(2)
	v_mul_f64 v[4:5], v[210:211], v[122:123]
	v_mul_f64 v[252:253], v[208:209], v[122:123]
	v_fma_f64 v[4:5], v[208:209], v[120:121], -v[4:5]
	v_fmac_f64_e32 v[252:253], v[210:211], v[120:121]
	s_waitcnt vmcnt(2) lgkmcnt(1)
	v_mul_f64 v[222:223], v[212:213], v[126:127]
	v_add_f64 v[2:3], v[2:3], v[4:5]
	v_mul_f64 v[4:5], v[214:215], v[126:127]
	v_add_f64 v[220:221], v[220:221], v[252:253]
	v_fmac_f64_e32 v[222:223], v[214:215], v[124:125]
	v_fma_f64 v[4:5], v[212:213], v[124:125], -v[4:5]
	v_add_f64 v[220:221], v[220:221], v[222:223]
	s_waitcnt vmcnt(1) lgkmcnt(0)
	v_mul_f64 v[222:223], v[216:217], v[130:131]
	v_add_f64 v[2:3], v[2:3], v[4:5]
	v_mul_f64 v[4:5], v[218:219], v[130:131]
	v_fmac_f64_e32 v[222:223], v[218:219], v[128:129]
	v_fma_f64 v[4:5], v[216:217], v[128:129], -v[4:5]
	v_add_f64 v[220:221], v[220:221], v[222:223]
	v_add_f64 v[2:3], v[2:3], v[4:5]
	s_waitcnt vmcnt(0)
	v_add_f64 v[2:3], v[132:133], -v[2:3]
	v_add_f64 v[4:5], v[134:135], -v[220:221]
	scratch_store_dwordx4 off, v[2:5], off
	s_cbranch_vccz .LBB85_188
; %bb.146:
	global_load_dword v2, v114, s[12:13] offset:80
	s_load_dwordx2 s[2:3], s[0:1], 0x4
	v_bfe_u32 v3, v0, 10, 10
	v_bfe_u32 v0, v0, 20, 10
	s_waitcnt lgkmcnt(0)
	s_lshr_b32 s0, s2, 16
	s_mul_i32 s0, s0, s3
	v_mul_u32_u24_e32 v1, s0, v1
	v_mul_u32_u24_e32 v3, s3, v3
	v_add3_u32 v0, v1, v3, v0
	v_mov_b32_e32 v1, 0x2c8
	v_lshl_add_u32 v0, v0, 4, v1
	s_waitcnt vmcnt(0)
	v_readfirstlane_b32 s0, v2
	s_add_i32 s0, s0, -1
	s_cmp_lg_u32 s0, 20
	s_cbranch_scc0 .LBB85_148
; %bb.147:
	s_lshl_b32 s0, s0, 4
	scratch_load_dwordx4 v[2:5], off, s19
	scratch_load_dwordx4 v[6:9], off, s0
	s_waitcnt vmcnt(1)
	ds_write2_b64 v0, v[2:3], v[4:5] offset1:1
	s_waitcnt vmcnt(0)
	scratch_store_dwordx4 off, v[6:9], s19
	scratch_store_dwordx4 off, v[2:5], s0
.LBB85_148:
	v_mov_b32_e32 v1, 0
	global_load_dword v2, v1, s[12:13] offset:76
	s_waitcnt vmcnt(0)
	v_readfirstlane_b32 s0, v2
	s_add_i32 s0, s0, -1
	s_cmp_eq_u32 s0, 19
	s_cbranch_scc1 .LBB85_150
; %bb.149:
	s_lshl_b32 s0, s0, 4
	scratch_load_dwordx4 v[2:5], off, s20
	scratch_load_dwordx4 v[6:9], off, s0
	s_waitcnt vmcnt(1)
	ds_write2_b64 v0, v[2:3], v[4:5] offset1:1
	s_waitcnt vmcnt(0)
	scratch_store_dwordx4 off, v[6:9], s20
	scratch_store_dwordx4 off, v[2:5], s0
.LBB85_150:
	global_load_dword v1, v1, s[12:13] offset:72
	s_waitcnt vmcnt(0)
	v_readfirstlane_b32 s0, v1
	s_add_i32 s0, s0, -1
	s_cmp_eq_u32 s0, 18
	s_cbranch_scc1 .LBB85_152
; %bb.151:
	s_lshl_b32 s0, s0, 4
	scratch_load_dwordx4 v[2:5], off, s21
	scratch_load_dwordx4 v[6:9], off, s0
	s_waitcnt vmcnt(1)
	ds_write2_b64 v0, v[2:3], v[4:5] offset1:1
	s_waitcnt vmcnt(0)
	scratch_store_dwordx4 off, v[6:9], s21
	scratch_store_dwordx4 off, v[2:5], s0
.LBB85_152:
	v_mov_b32_e32 v1, 0
	global_load_dword v2, v1, s[12:13] offset:68
	s_waitcnt vmcnt(0)
	v_readfirstlane_b32 s0, v2
	s_add_i32 s0, s0, -1
	s_cmp_eq_u32 s0, 17
	s_cbranch_scc1 .LBB85_154
; %bb.153:
	s_lshl_b32 s0, s0, 4
	scratch_load_dwordx4 v[2:5], off, s22
	scratch_load_dwordx4 v[6:9], off, s0
	s_waitcnt vmcnt(1)
	ds_write2_b64 v0, v[2:3], v[4:5] offset1:1
	s_waitcnt vmcnt(0)
	scratch_store_dwordx4 off, v[6:9], s22
	scratch_store_dwordx4 off, v[2:5], s0
.LBB85_154:
	global_load_dword v1, v1, s[12:13] offset:64
	s_waitcnt vmcnt(0)
	v_readfirstlane_b32 s0, v1
	s_add_i32 s0, s0, -1
	s_cmp_eq_u32 s0, 16
	s_cbranch_scc1 .LBB85_156
; %bb.155:
	s_lshl_b32 s0, s0, 4
	scratch_load_dwordx4 v[2:5], off, s23
	scratch_load_dwordx4 v[6:9], off, s0
	s_waitcnt vmcnt(1)
	ds_write2_b64 v0, v[2:3], v[4:5] offset1:1
	s_waitcnt vmcnt(0)
	scratch_store_dwordx4 off, v[6:9], s23
	scratch_store_dwordx4 off, v[2:5], s0
.LBB85_156:
	;; [unrolled: 33-line block ×9, first 2 shown]
	v_mov_b32_e32 v1, 0
	global_load_dword v2, v1, s[12:13] offset:4
	s_waitcnt vmcnt(0)
	v_readfirstlane_b32 s0, v2
	s_add_i32 s0, s0, -1
	s_cmp_eq_u32 s0, 1
	s_cbranch_scc1 .LBB85_186
; %bb.185:
	s_lshl_b32 s0, s0, 4
	scratch_load_dwordx4 v[2:5], off, s39
	scratch_load_dwordx4 v[6:9], off, s0
	s_waitcnt vmcnt(1)
	ds_write2_b64 v0, v[2:3], v[4:5] offset1:1
	s_waitcnt vmcnt(0)
	scratch_store_dwordx4 off, v[6:9], s39
	scratch_store_dwordx4 off, v[2:5], s0
.LBB85_186:
	global_load_dword v1, v1, s[12:13]
	s_waitcnt vmcnt(0)
	v_readfirstlane_b32 s0, v1
	s_add_i32 s0, s0, -1
	s_cmp_eq_u32 s0, 0
	s_cbranch_scc1 .LBB85_188
; %bb.187:
	s_lshl_b32 s0, s0, 4
	scratch_load_dwordx4 v[2:5], off, off
	scratch_load_dwordx4 v[6:9], off, s0
	s_waitcnt vmcnt(1)
	ds_write2_b64 v0, v[2:3], v[4:5] offset1:1
	s_waitcnt vmcnt(0)
	scratch_store_dwordx4 off, v[6:9], off
	scratch_store_dwordx4 off, v[2:5], s0
.LBB85_188:
	scratch_load_dwordx4 v[0:3], off, off
	s_waitcnt vmcnt(0)
	flat_store_dwordx4 v[70:71], v[0:3]
	scratch_load_dwordx4 v[0:3], off, s39
	s_waitcnt vmcnt(0)
	flat_store_dwordx4 v[72:73], v[0:3]
	scratch_load_dwordx4 v[0:3], off, s38
	s_waitcnt vmcnt(0)
	flat_store_dwordx4 v[74:75], v[0:3]
	scratch_load_dwordx4 v[0:3], off, s37
	s_waitcnt vmcnt(0)
	flat_store_dwordx4 v[76:77], v[0:3]
	scratch_load_dwordx4 v[0:3], off, s36
	s_waitcnt vmcnt(0)
	flat_store_dwordx4 v[78:79], v[0:3]
	scratch_load_dwordx4 v[0:3], off, s35
	s_waitcnt vmcnt(0)
	flat_store_dwordx4 v[80:81], v[0:3]
	scratch_load_dwordx4 v[0:3], off, s34
	s_waitcnt vmcnt(0)
	flat_store_dwordx4 v[82:83], v[0:3]
	scratch_load_dwordx4 v[0:3], off, s33
	s_waitcnt vmcnt(0)
	flat_store_dwordx4 v[84:85], v[0:3]
	scratch_load_dwordx4 v[0:3], off, s31
	s_waitcnt vmcnt(0)
	flat_store_dwordx4 v[86:87], v[0:3]
	scratch_load_dwordx4 v[0:3], off, s30
	s_waitcnt vmcnt(0)
	flat_store_dwordx4 v[88:89], v[0:3]
	scratch_load_dwordx4 v[0:3], off, s29
	s_waitcnt vmcnt(0)
	flat_store_dwordx4 v[90:91], v[0:3]
	scratch_load_dwordx4 v[0:3], off, s28
	s_waitcnt vmcnt(0)
	flat_store_dwordx4 v[92:93], v[0:3]
	scratch_load_dwordx4 v[0:3], off, s27
	s_waitcnt vmcnt(0)
	flat_store_dwordx4 v[94:95], v[0:3]
	scratch_load_dwordx4 v[0:3], off, s26
	s_waitcnt vmcnt(0)
	flat_store_dwordx4 v[96:97], v[0:3]
	scratch_load_dwordx4 v[0:3], off, s25
	s_waitcnt vmcnt(0)
	flat_store_dwordx4 v[98:99], v[0:3]
	scratch_load_dwordx4 v[0:3], off, s24
	s_waitcnt vmcnt(0)
	flat_store_dwordx4 v[100:101], v[0:3]
	scratch_load_dwordx4 v[0:3], off, s23
	s_waitcnt vmcnt(0)
	flat_store_dwordx4 v[102:103], v[0:3]
	scratch_load_dwordx4 v[0:3], off, s22
	s_waitcnt vmcnt(0)
	flat_store_dwordx4 v[104:105], v[0:3]
	scratch_load_dwordx4 v[0:3], off, s21
	s_waitcnt vmcnt(0)
	flat_store_dwordx4 v[106:107], v[0:3]
	scratch_load_dwordx4 v[0:3], off, s20
	s_waitcnt vmcnt(0)
	flat_store_dwordx4 v[108:109], v[0:3]
	scratch_load_dwordx4 v[0:3], off, s19
	s_waitcnt vmcnt(0)
	flat_store_dwordx4 v[110:111], v[0:3]
	scratch_load_dwordx4 v[0:3], off, s18
	s_waitcnt vmcnt(0)
	flat_store_dwordx4 v[112:113], v[0:3]
	s_endpgm
	.section	.rodata,"a",@progbits
	.p2align	6, 0x0
	.amdhsa_kernel _ZN9rocsolver6v33100L18getri_kernel_smallILi22E19rocblas_complex_numIdEPKPS3_EEvT1_iilPiilS8_bb
		.amdhsa_group_segment_fixed_size 1736
		.amdhsa_private_segment_fixed_size 368
		.amdhsa_kernarg_size 60
		.amdhsa_user_sgpr_count 4
		.amdhsa_user_sgpr_dispatch_ptr 1
		.amdhsa_user_sgpr_queue_ptr 0
		.amdhsa_user_sgpr_kernarg_segment_ptr 1
		.amdhsa_user_sgpr_dispatch_id 0
		.amdhsa_user_sgpr_kernarg_preload_length 0
		.amdhsa_user_sgpr_kernarg_preload_offset 0
		.amdhsa_user_sgpr_private_segment_size 0
		.amdhsa_uses_dynamic_stack 0
		.amdhsa_enable_private_segment 1
		.amdhsa_system_sgpr_workgroup_id_x 1
		.amdhsa_system_sgpr_workgroup_id_y 0
		.amdhsa_system_sgpr_workgroup_id_z 0
		.amdhsa_system_sgpr_workgroup_info 0
		.amdhsa_system_vgpr_workitem_id 2
		.amdhsa_next_free_vgpr 254
		.amdhsa_next_free_sgpr 45
		.amdhsa_accum_offset 256
		.amdhsa_reserve_vcc 1
		.amdhsa_float_round_mode_32 0
		.amdhsa_float_round_mode_16_64 0
		.amdhsa_float_denorm_mode_32 3
		.amdhsa_float_denorm_mode_16_64 3
		.amdhsa_dx10_clamp 1
		.amdhsa_ieee_mode 1
		.amdhsa_fp16_overflow 0
		.amdhsa_tg_split 0
		.amdhsa_exception_fp_ieee_invalid_op 0
		.amdhsa_exception_fp_denorm_src 0
		.amdhsa_exception_fp_ieee_div_zero 0
		.amdhsa_exception_fp_ieee_overflow 0
		.amdhsa_exception_fp_ieee_underflow 0
		.amdhsa_exception_fp_ieee_inexact 0
		.amdhsa_exception_int_div_zero 0
	.end_amdhsa_kernel
	.section	.text._ZN9rocsolver6v33100L18getri_kernel_smallILi22E19rocblas_complex_numIdEPKPS3_EEvT1_iilPiilS8_bb,"axG",@progbits,_ZN9rocsolver6v33100L18getri_kernel_smallILi22E19rocblas_complex_numIdEPKPS3_EEvT1_iilPiilS8_bb,comdat
.Lfunc_end85:
	.size	_ZN9rocsolver6v33100L18getri_kernel_smallILi22E19rocblas_complex_numIdEPKPS3_EEvT1_iilPiilS8_bb, .Lfunc_end85-_ZN9rocsolver6v33100L18getri_kernel_smallILi22E19rocblas_complex_numIdEPKPS3_EEvT1_iilPiilS8_bb
                                        ; -- End function
	.set _ZN9rocsolver6v33100L18getri_kernel_smallILi22E19rocblas_complex_numIdEPKPS3_EEvT1_iilPiilS8_bb.num_vgpr, 254
	.set _ZN9rocsolver6v33100L18getri_kernel_smallILi22E19rocblas_complex_numIdEPKPS3_EEvT1_iilPiilS8_bb.num_agpr, 0
	.set _ZN9rocsolver6v33100L18getri_kernel_smallILi22E19rocblas_complex_numIdEPKPS3_EEvT1_iilPiilS8_bb.numbered_sgpr, 45
	.set _ZN9rocsolver6v33100L18getri_kernel_smallILi22E19rocblas_complex_numIdEPKPS3_EEvT1_iilPiilS8_bb.num_named_barrier, 0
	.set _ZN9rocsolver6v33100L18getri_kernel_smallILi22E19rocblas_complex_numIdEPKPS3_EEvT1_iilPiilS8_bb.private_seg_size, 368
	.set _ZN9rocsolver6v33100L18getri_kernel_smallILi22E19rocblas_complex_numIdEPKPS3_EEvT1_iilPiilS8_bb.uses_vcc, 1
	.set _ZN9rocsolver6v33100L18getri_kernel_smallILi22E19rocblas_complex_numIdEPKPS3_EEvT1_iilPiilS8_bb.uses_flat_scratch, 0
	.set _ZN9rocsolver6v33100L18getri_kernel_smallILi22E19rocblas_complex_numIdEPKPS3_EEvT1_iilPiilS8_bb.has_dyn_sized_stack, 0
	.set _ZN9rocsolver6v33100L18getri_kernel_smallILi22E19rocblas_complex_numIdEPKPS3_EEvT1_iilPiilS8_bb.has_recursion, 0
	.set _ZN9rocsolver6v33100L18getri_kernel_smallILi22E19rocblas_complex_numIdEPKPS3_EEvT1_iilPiilS8_bb.has_indirect_call, 0
	.section	.AMDGPU.csdata,"",@progbits
; Kernel info:
; codeLenInByte = 25492
; TotalNumSgprs: 51
; NumVgprs: 254
; NumAgprs: 0
; TotalNumVgprs: 254
; ScratchSize: 368
; MemoryBound: 0
; FloatMode: 240
; IeeeMode: 1
; LDSByteSize: 1736 bytes/workgroup (compile time only)
; SGPRBlocks: 6
; VGPRBlocks: 31
; NumSGPRsForWavesPerEU: 51
; NumVGPRsForWavesPerEU: 254
; AccumOffset: 256
; Occupancy: 2
; WaveLimiterHint : 1
; COMPUTE_PGM_RSRC2:SCRATCH_EN: 1
; COMPUTE_PGM_RSRC2:USER_SGPR: 4
; COMPUTE_PGM_RSRC2:TRAP_HANDLER: 0
; COMPUTE_PGM_RSRC2:TGID_X_EN: 1
; COMPUTE_PGM_RSRC2:TGID_Y_EN: 0
; COMPUTE_PGM_RSRC2:TGID_Z_EN: 0
; COMPUTE_PGM_RSRC2:TIDIG_COMP_CNT: 2
; COMPUTE_PGM_RSRC3_GFX90A:ACCUM_OFFSET: 63
; COMPUTE_PGM_RSRC3_GFX90A:TG_SPLIT: 0
	.section	.text._ZN9rocsolver6v33100L18getri_kernel_smallILi23E19rocblas_complex_numIdEPKPS3_EEvT1_iilPiilS8_bb,"axG",@progbits,_ZN9rocsolver6v33100L18getri_kernel_smallILi23E19rocblas_complex_numIdEPKPS3_EEvT1_iilPiilS8_bb,comdat
	.globl	_ZN9rocsolver6v33100L18getri_kernel_smallILi23E19rocblas_complex_numIdEPKPS3_EEvT1_iilPiilS8_bb ; -- Begin function _ZN9rocsolver6v33100L18getri_kernel_smallILi23E19rocblas_complex_numIdEPKPS3_EEvT1_iilPiilS8_bb
	.p2align	8
	.type	_ZN9rocsolver6v33100L18getri_kernel_smallILi23E19rocblas_complex_numIdEPKPS3_EEvT1_iilPiilS8_bb,@function
_ZN9rocsolver6v33100L18getri_kernel_smallILi23E19rocblas_complex_numIdEPKPS3_EEvT1_iilPiilS8_bb: ; @_ZN9rocsolver6v33100L18getri_kernel_smallILi23E19rocblas_complex_numIdEPKPS3_EEvT1_iilPiilS8_bb
; %bb.0:
	v_and_b32_e32 v1, 0x3ff, v0
	v_cmp_gt_u32_e32 vcc, 23, v1
	s_and_saveexec_b64 s[6:7], vcc
	s_cbranch_execz .LBB86_106
; %bb.1:
	s_load_dword s18, s[2:3], 0x38
	s_load_dwordx2 s[6:7], s[2:3], 0x0
	s_load_dwordx4 s[8:11], s[2:3], 0x28
	s_waitcnt lgkmcnt(0)
	s_bitcmp1_b32 s18, 8
	s_cselect_b64 s[14:15], -1, 0
	s_ashr_i32 s5, s4, 31
	s_lshl_b64 s[12:13], s[4:5], 3
	s_add_u32 s6, s6, s12
	s_addc_u32 s7, s7, s13
	s_load_dwordx2 s[16:17], s[6:7], 0x0
	s_bfe_u32 s6, s18, 0x10008
	s_cmp_eq_u32 s6, 0
                                        ; implicit-def: $sgpr12_sgpr13
	s_cbranch_scc1 .LBB86_3
; %bb.2:
	s_load_dword s6, s[2:3], 0x20
	s_load_dwordx2 s[12:13], s[2:3], 0x18
	s_mul_i32 s7, s8, s5
	s_mul_hi_u32 s18, s8, s4
	s_add_i32 s18, s18, s7
	s_mul_i32 s9, s9, s4
	s_add_i32 s9, s18, s9
	s_mul_i32 s8, s8, s4
	s_waitcnt lgkmcnt(0)
	s_ashr_i32 s7, s6, 31
	s_lshl_b64 s[8:9], s[8:9], 2
	s_add_u32 s8, s12, s8
	s_addc_u32 s9, s13, s9
	s_lshl_b64 s[6:7], s[6:7], 2
	s_add_u32 s12, s8, s6
	s_addc_u32 s13, s9, s7
.LBB86_3:
	s_load_dwordx2 s[6:7], s[2:3], 0x8
	s_load_dword s8, s[2:3], 0x38
	v_lshlrev_b32_e32 v14, 4, v1
	v_mov_b32_e32 v15, 0
	s_movk_i32 s41, 0x120
	s_waitcnt lgkmcnt(0)
	s_ashr_i32 s3, s6, 31
	s_mov_b32 s2, s6
	s_lshl_b64 s[2:3], s[2:3], 4
	s_add_u32 s2, s16, s2
	s_addc_u32 s3, s17, s3
	v_lshl_add_u64 v[120:121], s[2:3], 0, v[14:15]
	flat_load_dwordx4 v[2:5], v[120:121]
	s_mov_b32 s16, s7
	s_ashr_i32 s17, s7, 31
	v_lshl_add_u64 v[122:123], s[16:17], 4, v[120:121]
	s_add_i32 s6, s7, s7
	v_add_u32_e32 v6, s6, v1
	v_ashrrev_i32_e32 v7, 31, v6
	v_lshl_add_u64 v[124:125], v[6:7], 4, s[2:3]
	v_add_u32_e32 v6, s7, v6
	v_ashrrev_i32_e32 v7, 31, v6
	v_lshl_add_u64 v[126:127], v[6:7], 4, s[2:3]
	;; [unrolled: 3-line block ×21, first 2 shown]
	s_movk_i32 s42, 0x130
	s_movk_i32 s43, 0x140
	;; [unrolled: 1-line block ×12, first 2 shown]
	s_waitcnt vmcnt(0) lgkmcnt(0)
	scratch_store_dwordx4 off, v[2:5], off
	flat_load_dwordx4 v[2:5], v[122:123]
	s_movk_i32 s27, 0xd0
	s_movk_i32 s26, 0xe0
	;; [unrolled: 1-line block ×5, first 2 shown]
	s_mov_b32 s40, 16
	s_mov_b32 s39, 32
	;; [unrolled: 1-line block ×9, first 2 shown]
	s_bitcmp0_b32 s8, 0
	s_mov_b64 s[6:7], -1
	s_waitcnt vmcnt(0) lgkmcnt(0)
	scratch_store_dwordx4 off, v[2:5], off offset:16
	flat_load_dwordx4 v[2:5], v[124:125]
	s_waitcnt vmcnt(0) lgkmcnt(0)
	scratch_store_dwordx4 off, v[2:5], off offset:32
	flat_load_dwordx4 v[2:5], v[126:127]
	;; [unrolled: 3-line block ×21, first 2 shown]
	s_waitcnt vmcnt(0) lgkmcnt(0)
	scratch_store_dwordx4 off, v[2:5], off offset:352
	s_cbranch_scc1 .LBB86_104
; %bb.4:
	v_cmp_eq_u32_e64 s[2:3], 0, v1
	s_and_saveexec_b64 s[6:7], s[2:3]
; %bb.5:
	v_mov_b32_e32 v2, 0
	ds_write_b32 v2, v2 offset:736
; %bb.6:
	s_or_b64 exec, exec, s[6:7]
	s_waitcnt lgkmcnt(0)
	; wave barrier
	scratch_load_dwordx4 v[2:5], v14, off
	s_waitcnt vmcnt(0)
	v_cmp_eq_f64_e32 vcc, 0, v[2:3]
	v_cmp_eq_f64_e64 s[6:7], 0, v[4:5]
	s_and_b64 s[6:7], vcc, s[6:7]
	s_and_saveexec_b64 s[8:9], s[6:7]
	s_cbranch_execz .LBB86_10
; %bb.7:
	v_mov_b32_e32 v2, 0
	ds_read_b32 v4, v2 offset:736
	v_add_u32_e32 v3, 1, v1
	s_waitcnt lgkmcnt(0)
	v_readfirstlane_b32 s6, v4
	s_cmp_eq_u32 s6, 0
	s_cselect_b64 s[16:17], -1, 0
	v_cmp_gt_i32_e32 vcc, s6, v3
	s_or_b64 s[16:17], s[16:17], vcc
	s_and_b64 exec, exec, s[16:17]
	s_cbranch_execz .LBB86_10
; %bb.8:
	s_mov_b64 s[16:17], 0
	v_mov_b32_e32 v4, s6
.LBB86_9:                               ; =>This Inner Loop Header: Depth=1
	ds_cmpst_rtn_b32 v4, v2, v4, v3 offset:736
	s_waitcnt lgkmcnt(0)
	v_cmp_ne_u32_e32 vcc, 0, v4
	v_cmp_le_i32_e64 s[6:7], v4, v3
	s_and_b64 s[6:7], vcc, s[6:7]
	s_and_b64 s[6:7], exec, s[6:7]
	s_or_b64 s[16:17], s[6:7], s[16:17]
	s_andn2_b64 exec, exec, s[16:17]
	s_cbranch_execnz .LBB86_9
.LBB86_10:
	s_or_b64 exec, exec, s[8:9]
	v_mov_b32_e32 v3, 0
	; wave barrier
	ds_read_b32 v2, v3 offset:736
	s_and_saveexec_b64 s[6:7], s[2:3]
	s_cbranch_execz .LBB86_12
; %bb.11:
	s_lshl_b64 s[8:9], s[4:5], 2
	s_add_u32 s8, s10, s8
	s_addc_u32 s9, s11, s9
	s_waitcnt lgkmcnt(0)
	global_store_dword v3, v2, s[8:9]
.LBB86_12:
	s_or_b64 exec, exec, s[6:7]
	s_waitcnt lgkmcnt(0)
	v_cmp_ne_u32_e32 vcc, 0, v2
	s_mov_b64 s[6:7], 0
	s_cbranch_vccnz .LBB86_104
; %bb.13:
	v_mov_b32_e32 v15, v14
	scratch_load_dwordx4 v[2:5], v15, off
                                        ; implicit-def: $vgpr6_vgpr7
                                        ; implicit-def: $vgpr10_vgpr11
	s_waitcnt vmcnt(0)
	v_cmp_ngt_f64_e64 s[6:7], |v[2:3]|, |v[4:5]|
	s_and_saveexec_b64 s[8:9], s[6:7]
	s_xor_b64 s[6:7], exec, s[8:9]
	s_cbranch_execz .LBB86_15
; %bb.14:
	v_div_scale_f64 v[6:7], s[8:9], v[4:5], v[4:5], v[2:3]
	v_rcp_f64_e32 v[8:9], v[6:7]
	v_div_scale_f64 v[10:11], vcc, v[2:3], v[4:5], v[2:3]
	v_fma_f64 v[12:13], -v[6:7], v[8:9], 1.0
	v_fmac_f64_e32 v[8:9], v[8:9], v[12:13]
	v_fma_f64 v[12:13], -v[6:7], v[8:9], 1.0
	v_fmac_f64_e32 v[8:9], v[8:9], v[12:13]
	v_mul_f64 v[12:13], v[10:11], v[8:9]
	v_fma_f64 v[6:7], -v[6:7], v[12:13], v[10:11]
	v_div_fmas_f64 v[6:7], v[6:7], v[8:9], v[12:13]
	v_div_fixup_f64 v[6:7], v[6:7], v[4:5], v[2:3]
	v_fmac_f64_e32 v[4:5], v[2:3], v[6:7]
	v_div_scale_f64 v[2:3], s[8:9], v[4:5], v[4:5], 1.0
	v_rcp_f64_e32 v[8:9], v[2:3]
	s_nop 0
	v_fma_f64 v[10:11], -v[2:3], v[8:9], 1.0
	v_fmac_f64_e32 v[8:9], v[8:9], v[10:11]
	v_fma_f64 v[10:11], -v[2:3], v[8:9], 1.0
	v_fmac_f64_e32 v[8:9], v[8:9], v[10:11]
	v_div_scale_f64 v[10:11], vcc, 1.0, v[4:5], 1.0
	v_mul_f64 v[12:13], v[10:11], v[8:9]
	v_fma_f64 v[2:3], -v[2:3], v[12:13], v[10:11]
	s_nop 1
	v_div_fmas_f64 v[2:3], v[2:3], v[8:9], v[12:13]
	v_div_fixup_f64 v[8:9], v[2:3], v[4:5], 1.0
	v_mul_f64 v[6:7], v[6:7], v[8:9]
	v_xor_b32_e32 v9, 0x80000000, v9
	v_xor_b32_e32 v11, 0x80000000, v7
	v_mov_b32_e32 v10, v6
                                        ; implicit-def: $vgpr2_vgpr3
.LBB86_15:
	s_andn2_saveexec_b64 s[6:7], s[6:7]
	s_cbranch_execz .LBB86_17
; %bb.16:
	v_div_scale_f64 v[6:7], s[8:9], v[2:3], v[2:3], v[4:5]
	v_rcp_f64_e32 v[8:9], v[6:7]
	v_div_scale_f64 v[10:11], vcc, v[4:5], v[2:3], v[4:5]
	v_fma_f64 v[12:13], -v[6:7], v[8:9], 1.0
	v_fmac_f64_e32 v[8:9], v[8:9], v[12:13]
	v_fma_f64 v[12:13], -v[6:7], v[8:9], 1.0
	v_fmac_f64_e32 v[8:9], v[8:9], v[12:13]
	v_mul_f64 v[12:13], v[10:11], v[8:9]
	v_fma_f64 v[6:7], -v[6:7], v[12:13], v[10:11]
	v_div_fmas_f64 v[6:7], v[6:7], v[8:9], v[12:13]
	v_div_fixup_f64 v[8:9], v[6:7], v[2:3], v[4:5]
	v_fmac_f64_e32 v[2:3], v[4:5], v[8:9]
	v_div_scale_f64 v[4:5], s[8:9], v[2:3], v[2:3], 1.0
	v_rcp_f64_e32 v[6:7], v[4:5]
	s_nop 0
	v_fma_f64 v[10:11], -v[4:5], v[6:7], 1.0
	v_fmac_f64_e32 v[6:7], v[6:7], v[10:11]
	v_fma_f64 v[10:11], -v[4:5], v[6:7], 1.0
	v_fmac_f64_e32 v[6:7], v[6:7], v[10:11]
	v_div_scale_f64 v[10:11], vcc, 1.0, v[2:3], 1.0
	v_mul_f64 v[12:13], v[10:11], v[6:7]
	v_fma_f64 v[4:5], -v[4:5], v[12:13], v[10:11]
	s_nop 1
	v_div_fmas_f64 v[4:5], v[4:5], v[6:7], v[12:13]
	v_div_fixup_f64 v[6:7], v[4:5], v[2:3], 1.0
	v_xor_b32_e32 v11, 0x80000000, v7
	v_mov_b32_e32 v10, v6
	v_mul_f64 v[8:9], v[8:9], -v[6:7]
.LBB86_17:
	s_or_b64 exec, exec, s[6:7]
	scratch_store_dwordx4 v15, v[6:9], off
	scratch_load_dwordx4 v[2:5], off, s40
	v_xor_b32_e32 v13, 0x80000000, v9
	v_mov_b32_e32 v12, v8
	v_add_u32_e32 v6, 0x170, v14
	ds_write_b128 v14, v[10:13]
	s_waitcnt vmcnt(0)
	ds_write_b128 v14, v[2:5] offset:368
	s_waitcnt lgkmcnt(0)
	; wave barrier
	s_and_saveexec_b64 s[6:7], s[2:3]
	s_cbranch_execz .LBB86_19
; %bb.18:
	scratch_load_dwordx4 v[2:5], v15, off
	ds_read_b128 v[8:11], v6
	v_mov_b32_e32 v7, 0
	ds_read_b128 v[16:19], v7 offset:16
	s_waitcnt vmcnt(0) lgkmcnt(1)
	v_mul_f64 v[12:13], v[10:11], v[4:5]
	v_mul_f64 v[4:5], v[8:9], v[4:5]
	v_fma_f64 v[8:9], v[8:9], v[2:3], -v[12:13]
	v_fmac_f64_e32 v[4:5], v[10:11], v[2:3]
	v_add_f64 v[2:3], v[8:9], 0
	v_add_f64 v[8:9], v[4:5], 0
	s_waitcnt lgkmcnt(0)
	v_mul_f64 v[10:11], v[8:9], v[18:19]
	v_mul_f64 v[4:5], v[2:3], v[18:19]
	v_fma_f64 v[2:3], v[2:3], v[16:17], -v[10:11]
	v_fmac_f64_e32 v[4:5], v[8:9], v[16:17]
	scratch_store_dwordx4 off, v[2:5], off offset:16
.LBB86_19:
	s_or_b64 exec, exec, s[6:7]
	; wave barrier
	scratch_load_dwordx4 v[2:5], off, s39
	v_cmp_gt_u32_e32 vcc, 2, v1
	s_waitcnt vmcnt(0)
	ds_write_b128 v6, v[2:5]
	s_waitcnt lgkmcnt(0)
	; wave barrier
	s_and_saveexec_b64 s[6:7], vcc
	s_cbranch_execz .LBB86_23
; %bb.20:
	scratch_load_dwordx4 v[2:5], v15, off
	ds_read_b128 v[8:11], v6
	s_waitcnt vmcnt(0) lgkmcnt(0)
	v_mul_f64 v[12:13], v[10:11], v[4:5]
	v_mul_f64 v[16:17], v[8:9], v[4:5]
	v_fma_f64 v[4:5], v[8:9], v[2:3], -v[12:13]
	v_fmac_f64_e32 v[16:17], v[10:11], v[2:3]
	v_add_f64 v[4:5], v[4:5], 0
	v_add_f64 v[2:3], v[16:17], 0
	s_and_saveexec_b64 s[8:9], s[2:3]
	s_cbranch_execz .LBB86_22
; %bb.21:
	scratch_load_dwordx4 v[8:11], off, off offset:16
	v_mov_b32_e32 v7, 0
	ds_read_b128 v[16:19], v7 offset:384
	s_waitcnt vmcnt(0) lgkmcnt(0)
	v_mul_f64 v[12:13], v[16:17], v[10:11]
	v_mul_f64 v[10:11], v[18:19], v[10:11]
	v_fmac_f64_e32 v[12:13], v[18:19], v[8:9]
	v_fma_f64 v[8:9], v[16:17], v[8:9], -v[10:11]
	v_add_f64 v[2:3], v[2:3], v[12:13]
	v_add_f64 v[4:5], v[4:5], v[8:9]
.LBB86_22:
	s_or_b64 exec, exec, s[8:9]
	v_mov_b32_e32 v7, 0
	ds_read_b128 v[8:11], v7 offset:32
	s_waitcnt lgkmcnt(0)
	v_mul_f64 v[16:17], v[2:3], v[10:11]
	v_mul_f64 v[12:13], v[4:5], v[10:11]
	v_fma_f64 v[10:11], v[4:5], v[8:9], -v[16:17]
	v_fmac_f64_e32 v[12:13], v[2:3], v[8:9]
	scratch_store_dwordx4 off, v[10:13], off offset:32
.LBB86_23:
	s_or_b64 exec, exec, s[6:7]
	; wave barrier
	scratch_load_dwordx4 v[2:5], off, s38
	v_cmp_gt_u32_e32 vcc, 3, v1
	v_add_u32_e32 v7, -1, v1
	s_waitcnt vmcnt(0)
	ds_write_b128 v6, v[2:5]
	s_waitcnt lgkmcnt(0)
	; wave barrier
	s_and_saveexec_b64 s[2:3], vcc
	s_cbranch_execz .LBB86_27
; %bb.24:
	v_add_u32_e32 v8, -1, v1
	v_add_u32_e32 v9, 0x170, v14
	v_mov_b32_e32 v10, v14
	v_mov_b64_e32 v[2:3], 0
	s_mov_b64 s[6:7], 0
	v_mov_b64_e32 v[4:5], 0
.LBB86_25:                              ; =>This Inner Loop Header: Depth=1
	scratch_load_dwordx4 v[16:19], v10, off
	ds_read_b128 v[20:23], v9
	v_add_u32_e32 v8, 1, v8
	v_cmp_lt_u32_e32 vcc, 1, v8
	v_add_u32_e32 v9, 16, v9
	v_add_u32_e32 v10, 16, v10
	s_or_b64 s[6:7], vcc, s[6:7]
	s_waitcnt vmcnt(0) lgkmcnt(0)
	v_mul_f64 v[12:13], v[22:23], v[18:19]
	v_mul_f64 v[18:19], v[20:21], v[18:19]
	v_fma_f64 v[12:13], v[20:21], v[16:17], -v[12:13]
	v_fmac_f64_e32 v[18:19], v[22:23], v[16:17]
	v_add_f64 v[4:5], v[4:5], v[12:13]
	v_add_f64 v[2:3], v[2:3], v[18:19]
	s_andn2_b64 exec, exec, s[6:7]
	s_cbranch_execnz .LBB86_25
; %bb.26:
	s_or_b64 exec, exec, s[6:7]
	v_mov_b32_e32 v8, 0
	ds_read_b128 v[8:11], v8 offset:48
	s_waitcnt lgkmcnt(0)
	v_mul_f64 v[16:17], v[2:3], v[10:11]
	v_mul_f64 v[12:13], v[4:5], v[10:11]
	v_fma_f64 v[10:11], v[4:5], v[8:9], -v[16:17]
	v_fmac_f64_e32 v[12:13], v[2:3], v[8:9]
	scratch_store_dwordx4 off, v[10:13], off offset:48
.LBB86_27:
	s_or_b64 exec, exec, s[2:3]
	; wave barrier
	scratch_load_dwordx4 v[2:5], off, s37
	v_cmp_gt_u32_e32 vcc, 4, v1
	s_waitcnt vmcnt(0)
	ds_write_b128 v6, v[2:5]
	s_waitcnt lgkmcnt(0)
	; wave barrier
	s_and_saveexec_b64 s[2:3], vcc
	s_cbranch_execz .LBB86_31
; %bb.28:
	v_add_u32_e32 v8, -1, v1
	v_add_u32_e32 v9, 0x170, v14
	v_mov_b32_e32 v10, v14
	v_mov_b64_e32 v[2:3], 0
	s_mov_b64 s[6:7], 0
	v_mov_b64_e32 v[4:5], 0
.LBB86_29:                              ; =>This Inner Loop Header: Depth=1
	scratch_load_dwordx4 v[16:19], v10, off
	ds_read_b128 v[20:23], v9
	v_add_u32_e32 v8, 1, v8
	v_cmp_lt_u32_e32 vcc, 2, v8
	v_add_u32_e32 v9, 16, v9
	v_add_u32_e32 v10, 16, v10
	s_or_b64 s[6:7], vcc, s[6:7]
	s_waitcnt vmcnt(0) lgkmcnt(0)
	v_mul_f64 v[12:13], v[22:23], v[18:19]
	v_mul_f64 v[18:19], v[20:21], v[18:19]
	v_fma_f64 v[12:13], v[20:21], v[16:17], -v[12:13]
	v_fmac_f64_e32 v[18:19], v[22:23], v[16:17]
	v_add_f64 v[4:5], v[4:5], v[12:13]
	v_add_f64 v[2:3], v[2:3], v[18:19]
	s_andn2_b64 exec, exec, s[6:7]
	s_cbranch_execnz .LBB86_29
; %bb.30:
	s_or_b64 exec, exec, s[6:7]
	v_mov_b32_e32 v8, 0
	ds_read_b128 v[8:11], v8 offset:64
	s_waitcnt lgkmcnt(0)
	v_mul_f64 v[16:17], v[2:3], v[10:11]
	v_mul_f64 v[12:13], v[4:5], v[10:11]
	v_fma_f64 v[10:11], v[4:5], v[8:9], -v[16:17]
	v_fmac_f64_e32 v[12:13], v[2:3], v[8:9]
	scratch_store_dwordx4 off, v[10:13], off offset:64
.LBB86_31:
	s_or_b64 exec, exec, s[2:3]
	; wave barrier
	scratch_load_dwordx4 v[2:5], off, s36
	v_cmp_gt_u32_e32 vcc, 5, v1
	;; [unrolled: 45-line block ×18, first 2 shown]
	s_waitcnt vmcnt(0)
	ds_write_b128 v6, v[2:5]
	s_waitcnt lgkmcnt(0)
	; wave barrier
	s_and_saveexec_b64 s[2:3], vcc
	s_cbranch_execz .LBB86_99
; %bb.96:
	v_add_u32_e32 v8, -1, v1
	v_add_u32_e32 v9, 0x170, v14
	v_mov_b32_e32 v10, v14
	v_mov_b64_e32 v[2:3], 0
	s_mov_b64 s[6:7], 0
	v_mov_b64_e32 v[4:5], 0
.LBB86_97:                              ; =>This Inner Loop Header: Depth=1
	scratch_load_dwordx4 v[16:19], v10, off
	ds_read_b128 v[20:23], v9
	v_add_u32_e32 v8, 1, v8
	v_cmp_lt_u32_e32 vcc, 19, v8
	v_add_u32_e32 v9, 16, v9
	v_add_u32_e32 v10, 16, v10
	s_or_b64 s[6:7], vcc, s[6:7]
	s_waitcnt vmcnt(0) lgkmcnt(0)
	v_mul_f64 v[12:13], v[22:23], v[18:19]
	v_mul_f64 v[18:19], v[20:21], v[18:19]
	v_fma_f64 v[12:13], v[20:21], v[16:17], -v[12:13]
	v_fmac_f64_e32 v[18:19], v[22:23], v[16:17]
	v_add_f64 v[4:5], v[4:5], v[12:13]
	v_add_f64 v[2:3], v[2:3], v[18:19]
	s_andn2_b64 exec, exec, s[6:7]
	s_cbranch_execnz .LBB86_97
; %bb.98:
	s_or_b64 exec, exec, s[6:7]
	v_mov_b32_e32 v8, 0
	ds_read_b128 v[8:11], v8 offset:336
	s_waitcnt lgkmcnt(0)
	v_mul_f64 v[16:17], v[2:3], v[10:11]
	v_mul_f64 v[12:13], v[4:5], v[10:11]
	v_fma_f64 v[10:11], v[4:5], v[8:9], -v[16:17]
	v_fmac_f64_e32 v[12:13], v[2:3], v[8:9]
	scratch_store_dwordx4 off, v[10:13], off offset:336
.LBB86_99:
	s_or_b64 exec, exec, s[2:3]
	; wave barrier
	scratch_load_dwordx4 v[2:5], off, s18
	v_cmp_ne_u32_e32 vcc, 22, v1
	s_waitcnt vmcnt(0)
	ds_write_b128 v6, v[2:5]
	s_waitcnt lgkmcnt(0)
	; wave barrier
	s_and_saveexec_b64 s[2:3], vcc
	s_cbranch_execz .LBB86_103
; %bb.100:
	v_add_u32_e32 v6, 0x170, v14
	v_mov_b32_e32 v8, v14
	v_mov_b64_e32 v[2:3], 0
	s_mov_b64 s[6:7], 0
	v_mov_b64_e32 v[4:5], 0
.LBB86_101:                             ; =>This Inner Loop Header: Depth=1
	scratch_load_dwordx4 v[10:13], v8, off
	ds_read_b128 v[14:17], v6
	v_add_u32_e32 v7, 1, v7
	v_cmp_lt_u32_e32 vcc, 20, v7
	v_add_u32_e32 v6, 16, v6
	v_add_u32_e32 v8, 16, v8
	s_or_b64 s[6:7], vcc, s[6:7]
	s_waitcnt vmcnt(0) lgkmcnt(0)
	v_mul_f64 v[18:19], v[16:17], v[12:13]
	v_mul_f64 v[12:13], v[14:15], v[12:13]
	v_fma_f64 v[14:15], v[14:15], v[10:11], -v[18:19]
	v_fmac_f64_e32 v[12:13], v[16:17], v[10:11]
	v_add_f64 v[4:5], v[4:5], v[14:15]
	v_add_f64 v[2:3], v[2:3], v[12:13]
	s_andn2_b64 exec, exec, s[6:7]
	s_cbranch_execnz .LBB86_101
; %bb.102:
	s_or_b64 exec, exec, s[6:7]
	v_mov_b32_e32 v6, 0
	ds_read_b128 v[6:9], v6 offset:352
	s_waitcnt lgkmcnt(0)
	v_mul_f64 v[12:13], v[2:3], v[8:9]
	v_mul_f64 v[10:11], v[4:5], v[8:9]
	v_fma_f64 v[8:9], v[4:5], v[6:7], -v[12:13]
	v_fmac_f64_e32 v[10:11], v[2:3], v[6:7]
	scratch_store_dwordx4 off, v[8:11], off offset:352
.LBB86_103:
	s_or_b64 exec, exec, s[2:3]
	s_mov_b64 s[6:7], -1
	; wave barrier
.LBB86_104:
	s_and_b64 vcc, exec, s[6:7]
	s_cbranch_vccz .LBB86_106
; %bb.105:
	s_lshl_b64 s[2:3], s[4:5], 2
	s_add_u32 s2, s10, s2
	s_addc_u32 s3, s11, s3
	v_mov_b32_e32 v2, 0
	global_load_dword v2, v2, s[2:3]
	s_waitcnt vmcnt(0)
	v_cmp_ne_u32_e32 vcc, 0, v2
	s_cbranch_vccz .LBB86_107
.LBB86_106:
	s_endpgm
.LBB86_107:
	v_mov_b32_e32 v2, 0x170
	v_lshl_add_u32 v106, v1, 4, v2
	v_cmp_eq_u32_e32 vcc, 22, v1
	s_and_saveexec_b64 s[2:3], vcc
	s_cbranch_execz .LBB86_109
; %bb.108:
	scratch_load_dwordx4 v[2:5], off, s19
	v_mov_b32_e32 v6, 0
	v_mov_b32_e32 v7, v6
	;; [unrolled: 1-line block ×4, first 2 shown]
	scratch_store_dwordx4 off, v[6:9], off offset:336
	s_waitcnt vmcnt(1)
	ds_write_b128 v106, v[2:5]
.LBB86_109:
	s_or_b64 exec, exec, s[2:3]
	s_waitcnt lgkmcnt(0)
	; wave barrier
	scratch_load_dwordx4 v[4:7], off, off offset:352
	scratch_load_dwordx4 v[8:11], off, off offset:336
	v_mov_b32_e32 v2, 0
	ds_read_b128 v[12:15], v2 offset:720
	v_cmp_lt_u32_e32 vcc, 20, v1
	s_waitcnt vmcnt(1) lgkmcnt(0)
	v_mul_f64 v[16:17], v[12:13], v[6:7]
	v_mul_f64 v[6:7], v[14:15], v[6:7]
	v_fmac_f64_e32 v[16:17], v[14:15], v[4:5]
	v_fma_f64 v[4:5], v[12:13], v[4:5], -v[6:7]
	v_add_f64 v[6:7], v[16:17], 0
	v_add_f64 v[4:5], v[4:5], 0
	s_waitcnt vmcnt(0)
	v_add_f64 v[4:5], v[8:9], -v[4:5]
	v_add_f64 v[6:7], v[10:11], -v[6:7]
	scratch_store_dwordx4 off, v[4:7], off offset:336
	s_and_saveexec_b64 s[2:3], vcc
	s_cbranch_execz .LBB86_111
; %bb.110:
	scratch_load_dwordx4 v[6:9], off, s20
	v_mov_b32_e32 v3, v2
	v_mov_b32_e32 v4, v2
	;; [unrolled: 1-line block ×3, first 2 shown]
	scratch_store_dwordx4 off, v[2:5], off offset:320
	s_waitcnt vmcnt(1)
	ds_write_b128 v106, v[6:9]
.LBB86_111:
	s_or_b64 exec, exec, s[2:3]
	s_waitcnt lgkmcnt(0)
	; wave barrier
	scratch_load_dwordx4 v[4:7], off, off offset:336
	scratch_load_dwordx4 v[8:11], off, off offset:352
	;; [unrolled: 1-line block ×3, first 2 shown]
	ds_read_b128 v[16:19], v2 offset:704
	ds_read_b128 v[20:23], v2 offset:720
	v_cmp_lt_u32_e32 vcc, 19, v1
	s_waitcnt vmcnt(2) lgkmcnt(1)
	v_mul_f64 v[2:3], v[16:17], v[6:7]
	v_mul_f64 v[6:7], v[18:19], v[6:7]
	s_waitcnt vmcnt(1) lgkmcnt(0)
	v_mul_f64 v[24:25], v[20:21], v[10:11]
	v_mul_f64 v[10:11], v[22:23], v[10:11]
	v_fmac_f64_e32 v[2:3], v[18:19], v[4:5]
	v_fma_f64 v[4:5], v[16:17], v[4:5], -v[6:7]
	v_fmac_f64_e32 v[24:25], v[22:23], v[8:9]
	v_fma_f64 v[6:7], v[20:21], v[8:9], -v[10:11]
	v_add_f64 v[2:3], v[2:3], 0
	v_add_f64 v[4:5], v[4:5], 0
	;; [unrolled: 1-line block ×4, first 2 shown]
	s_waitcnt vmcnt(0)
	v_add_f64 v[2:3], v[12:13], -v[2:3]
	v_add_f64 v[4:5], v[14:15], -v[8:9]
	scratch_store_dwordx4 off, v[2:5], off offset:320
	s_and_saveexec_b64 s[2:3], vcc
	s_cbranch_execz .LBB86_113
; %bb.112:
	scratch_load_dwordx4 v[2:5], off, s21
	v_mov_b32_e32 v6, 0
	v_mov_b32_e32 v7, v6
	;; [unrolled: 1-line block ×4, first 2 shown]
	scratch_store_dwordx4 off, v[6:9], off offset:304
	s_waitcnt vmcnt(1)
	ds_write_b128 v106, v[2:5]
.LBB86_113:
	s_or_b64 exec, exec, s[2:3]
	s_waitcnt lgkmcnt(0)
	; wave barrier
	scratch_load_dwordx4 v[4:7], off, off offset:320
	scratch_load_dwordx4 v[8:11], off, off offset:336
	;; [unrolled: 1-line block ×4, first 2 shown]
	v_mov_b32_e32 v2, 0
	ds_read_b128 v[20:23], v2 offset:688
	ds_read_b128 v[24:27], v2 offset:704
	;; [unrolled: 1-line block ×3, first 2 shown]
	v_cmp_lt_u32_e32 vcc, 18, v1
	s_waitcnt vmcnt(3) lgkmcnt(2)
	v_mul_f64 v[32:33], v[20:21], v[6:7]
	v_mul_f64 v[6:7], v[22:23], v[6:7]
	s_waitcnt vmcnt(2) lgkmcnt(1)
	v_mul_f64 v[34:35], v[24:25], v[10:11]
	v_mul_f64 v[10:11], v[26:27], v[10:11]
	v_fmac_f64_e32 v[32:33], v[22:23], v[4:5]
	v_fma_f64 v[4:5], v[20:21], v[4:5], -v[6:7]
	s_waitcnt vmcnt(1) lgkmcnt(0)
	v_mul_f64 v[36:37], v[28:29], v[14:15]
	v_mul_f64 v[14:15], v[30:31], v[14:15]
	v_fmac_f64_e32 v[34:35], v[26:27], v[8:9]
	v_fma_f64 v[6:7], v[24:25], v[8:9], -v[10:11]
	v_add_f64 v[10:11], v[32:33], 0
	v_add_f64 v[4:5], v[4:5], 0
	v_fmac_f64_e32 v[36:37], v[30:31], v[12:13]
	v_fma_f64 v[8:9], v[28:29], v[12:13], -v[14:15]
	v_add_f64 v[10:11], v[10:11], v[34:35]
	v_add_f64 v[4:5], v[4:5], v[6:7]
	;; [unrolled: 1-line block ×4, first 2 shown]
	s_waitcnt vmcnt(0)
	v_add_f64 v[4:5], v[16:17], -v[4:5]
	v_add_f64 v[6:7], v[18:19], -v[6:7]
	scratch_store_dwordx4 off, v[4:7], off offset:304
	s_and_saveexec_b64 s[2:3], vcc
	s_cbranch_execz .LBB86_115
; %bb.114:
	scratch_load_dwordx4 v[6:9], off, s22
	v_mov_b32_e32 v3, v2
	v_mov_b32_e32 v4, v2
	;; [unrolled: 1-line block ×3, first 2 shown]
	scratch_store_dwordx4 off, v[2:5], off offset:288
	s_waitcnt vmcnt(1)
	ds_write_b128 v106, v[6:9]
.LBB86_115:
	s_or_b64 exec, exec, s[2:3]
	s_waitcnt lgkmcnt(0)
	; wave barrier
	scratch_load_dwordx4 v[4:7], off, off offset:304
	scratch_load_dwordx4 v[8:11], off, off offset:320
	;; [unrolled: 1-line block ×5, first 2 shown]
	ds_read_b128 v[24:27], v2 offset:672
	ds_read_b128 v[28:31], v2 offset:688
	;; [unrolled: 1-line block ×4, first 2 shown]
	v_cmp_lt_u32_e32 vcc, 17, v1
	s_waitcnt vmcnt(4) lgkmcnt(3)
	v_mul_f64 v[2:3], v[24:25], v[6:7]
	v_mul_f64 v[6:7], v[26:27], v[6:7]
	s_waitcnt vmcnt(3) lgkmcnt(2)
	v_mul_f64 v[40:41], v[28:29], v[10:11]
	v_mul_f64 v[10:11], v[30:31], v[10:11]
	v_fmac_f64_e32 v[2:3], v[26:27], v[4:5]
	v_fma_f64 v[4:5], v[24:25], v[4:5], -v[6:7]
	s_waitcnt vmcnt(2) lgkmcnt(1)
	v_mul_f64 v[42:43], v[32:33], v[14:15]
	v_mul_f64 v[14:15], v[34:35], v[14:15]
	v_fmac_f64_e32 v[40:41], v[30:31], v[8:9]
	v_fma_f64 v[6:7], v[28:29], v[8:9], -v[10:11]
	v_add_f64 v[2:3], v[2:3], 0
	v_add_f64 v[4:5], v[4:5], 0
	s_waitcnt vmcnt(1) lgkmcnt(0)
	v_mul_f64 v[44:45], v[36:37], v[18:19]
	v_mul_f64 v[18:19], v[38:39], v[18:19]
	v_fmac_f64_e32 v[42:43], v[34:35], v[12:13]
	v_fma_f64 v[8:9], v[32:33], v[12:13], -v[14:15]
	v_add_f64 v[2:3], v[2:3], v[40:41]
	v_add_f64 v[4:5], v[4:5], v[6:7]
	v_fmac_f64_e32 v[44:45], v[38:39], v[16:17]
	v_fma_f64 v[10:11], v[36:37], v[16:17], -v[18:19]
	v_add_f64 v[2:3], v[2:3], v[42:43]
	v_add_f64 v[4:5], v[4:5], v[8:9]
	;; [unrolled: 1-line block ×4, first 2 shown]
	s_waitcnt vmcnt(0)
	v_add_f64 v[2:3], v[20:21], -v[2:3]
	v_add_f64 v[4:5], v[22:23], -v[6:7]
	scratch_store_dwordx4 off, v[2:5], off offset:288
	s_and_saveexec_b64 s[2:3], vcc
	s_cbranch_execz .LBB86_117
; %bb.116:
	scratch_load_dwordx4 v[2:5], off, s23
	v_mov_b32_e32 v6, 0
	v_mov_b32_e32 v7, v6
	;; [unrolled: 1-line block ×4, first 2 shown]
	scratch_store_dwordx4 off, v[6:9], off offset:272
	s_waitcnt vmcnt(1)
	ds_write_b128 v106, v[2:5]
.LBB86_117:
	s_or_b64 exec, exec, s[2:3]
	s_waitcnt lgkmcnt(0)
	; wave barrier
	scratch_load_dwordx4 v[4:7], off, off offset:288
	scratch_load_dwordx4 v[8:11], off, off offset:304
	;; [unrolled: 1-line block ×6, first 2 shown]
	v_mov_b32_e32 v2, 0
	ds_read_b128 v[28:31], v2 offset:656
	ds_read_b128 v[32:35], v2 offset:672
	;; [unrolled: 1-line block ×5, first 2 shown]
	v_cmp_lt_u32_e32 vcc, 16, v1
	s_waitcnt vmcnt(5) lgkmcnt(4)
	v_mul_f64 v[48:49], v[28:29], v[6:7]
	v_mul_f64 v[6:7], v[30:31], v[6:7]
	s_waitcnt vmcnt(4) lgkmcnt(3)
	v_mul_f64 v[50:51], v[32:33], v[10:11]
	s_waitcnt vmcnt(3) lgkmcnt(2)
	v_mul_f64 v[52:53], v[36:37], v[14:15]
	v_mul_f64 v[10:11], v[34:35], v[10:11]
	;; [unrolled: 1-line block ×3, first 2 shown]
	v_fmac_f64_e32 v[48:49], v[30:31], v[4:5]
	v_fma_f64 v[4:5], v[28:29], v[4:5], -v[6:7]
	v_fmac_f64_e32 v[50:51], v[34:35], v[8:9]
	v_fma_f64 v[6:7], v[32:33], v[8:9], -v[10:11]
	v_fma_f64 v[8:9], v[36:37], v[12:13], -v[14:15]
	v_add_f64 v[14:15], v[48:49], 0
	v_add_f64 v[4:5], v[4:5], 0
	s_waitcnt vmcnt(2) lgkmcnt(1)
	v_mul_f64 v[54:55], v[40:41], v[18:19]
	v_mul_f64 v[18:19], v[42:43], v[18:19]
	v_fmac_f64_e32 v[52:53], v[38:39], v[12:13]
	v_add_f64 v[14:15], v[14:15], v[50:51]
	v_add_f64 v[4:5], v[4:5], v[6:7]
	s_waitcnt vmcnt(1) lgkmcnt(0)
	v_mul_f64 v[56:57], v[44:45], v[22:23]
	v_mul_f64 v[22:23], v[46:47], v[22:23]
	v_fmac_f64_e32 v[54:55], v[42:43], v[16:17]
	v_fma_f64 v[10:11], v[40:41], v[16:17], -v[18:19]
	v_add_f64 v[6:7], v[14:15], v[52:53]
	v_add_f64 v[4:5], v[4:5], v[8:9]
	v_fmac_f64_e32 v[56:57], v[46:47], v[20:21]
	v_fma_f64 v[12:13], v[44:45], v[20:21], -v[22:23]
	v_add_f64 v[6:7], v[6:7], v[54:55]
	v_add_f64 v[4:5], v[4:5], v[10:11]
	;; [unrolled: 1-line block ×4, first 2 shown]
	s_waitcnt vmcnt(0)
	v_add_f64 v[4:5], v[24:25], -v[4:5]
	v_add_f64 v[6:7], v[26:27], -v[6:7]
	scratch_store_dwordx4 off, v[4:7], off offset:272
	s_and_saveexec_b64 s[2:3], vcc
	s_cbranch_execz .LBB86_119
; %bb.118:
	scratch_load_dwordx4 v[6:9], off, s24
	v_mov_b32_e32 v3, v2
	v_mov_b32_e32 v4, v2
	;; [unrolled: 1-line block ×3, first 2 shown]
	scratch_store_dwordx4 off, v[2:5], off offset:256
	s_waitcnt vmcnt(1)
	ds_write_b128 v106, v[6:9]
.LBB86_119:
	s_or_b64 exec, exec, s[2:3]
	s_waitcnt lgkmcnt(0)
	; wave barrier
	scratch_load_dwordx4 v[4:7], off, off offset:272
	scratch_load_dwordx4 v[8:11], off, off offset:288
	;; [unrolled: 1-line block ×7, first 2 shown]
	ds_read_b128 v[32:35], v2 offset:640
	ds_read_b128 v[36:39], v2 offset:656
	;; [unrolled: 1-line block ×6, first 2 shown]
	v_cmp_lt_u32_e32 vcc, 15, v1
	s_waitcnt vmcnt(6) lgkmcnt(5)
	v_mul_f64 v[2:3], v[32:33], v[6:7]
	v_mul_f64 v[6:7], v[34:35], v[6:7]
	s_waitcnt vmcnt(5) lgkmcnt(4)
	v_mul_f64 v[56:57], v[36:37], v[10:11]
	v_mul_f64 v[10:11], v[38:39], v[10:11]
	v_fmac_f64_e32 v[2:3], v[34:35], v[4:5]
	v_fma_f64 v[4:5], v[32:33], v[4:5], -v[6:7]
	s_waitcnt vmcnt(4) lgkmcnt(3)
	v_mul_f64 v[58:59], v[40:41], v[14:15]
	v_mul_f64 v[14:15], v[42:43], v[14:15]
	v_fmac_f64_e32 v[56:57], v[38:39], v[8:9]
	v_fma_f64 v[6:7], v[36:37], v[8:9], -v[10:11]
	v_add_f64 v[2:3], v[2:3], 0
	v_add_f64 v[4:5], v[4:5], 0
	s_waitcnt vmcnt(3) lgkmcnt(2)
	v_mul_f64 v[60:61], v[44:45], v[18:19]
	v_mul_f64 v[18:19], v[46:47], v[18:19]
	v_fmac_f64_e32 v[58:59], v[42:43], v[12:13]
	v_fma_f64 v[8:9], v[40:41], v[12:13], -v[14:15]
	v_add_f64 v[2:3], v[2:3], v[56:57]
	v_add_f64 v[4:5], v[4:5], v[6:7]
	;; [unrolled: 7-line block ×4, first 2 shown]
	v_fmac_f64_e32 v[64:65], v[54:55], v[24:25]
	v_fma_f64 v[14:15], v[52:53], v[24:25], -v[26:27]
	v_add_f64 v[2:3], v[2:3], v[62:63]
	v_add_f64 v[4:5], v[4:5], v[12:13]
	;; [unrolled: 1-line block ×4, first 2 shown]
	s_waitcnt vmcnt(0)
	v_add_f64 v[2:3], v[28:29], -v[2:3]
	v_add_f64 v[4:5], v[30:31], -v[6:7]
	scratch_store_dwordx4 off, v[2:5], off offset:256
	s_and_saveexec_b64 s[2:3], vcc
	s_cbranch_execz .LBB86_121
; %bb.120:
	scratch_load_dwordx4 v[2:5], off, s25
	v_mov_b32_e32 v6, 0
	v_mov_b32_e32 v7, v6
	;; [unrolled: 1-line block ×4, first 2 shown]
	scratch_store_dwordx4 off, v[6:9], off offset:240
	s_waitcnt vmcnt(1)
	ds_write_b128 v106, v[2:5]
.LBB86_121:
	s_or_b64 exec, exec, s[2:3]
	s_waitcnt lgkmcnt(0)
	; wave barrier
	scratch_load_dwordx4 v[4:7], off, off offset:256
	scratch_load_dwordx4 v[8:11], off, off offset:272
	;; [unrolled: 1-line block ×8, first 2 shown]
	v_mov_b32_e32 v2, 0
	ds_read_b128 v[36:39], v2 offset:624
	ds_read_b128 v[40:43], v2 offset:640
	;; [unrolled: 1-line block ×7, first 2 shown]
	v_cmp_lt_u32_e32 vcc, 14, v1
	s_waitcnt vmcnt(7) lgkmcnt(6)
	v_mul_f64 v[64:65], v[36:37], v[6:7]
	v_mul_f64 v[6:7], v[38:39], v[6:7]
	s_waitcnt vmcnt(6) lgkmcnt(5)
	v_mul_f64 v[66:67], v[40:41], v[10:11]
	s_waitcnt vmcnt(4) lgkmcnt(3)
	v_mul_f64 v[70:71], v[48:49], v[18:19]
	v_mul_f64 v[10:11], v[42:43], v[10:11]
	;; [unrolled: 1-line block ×3, first 2 shown]
	v_fmac_f64_e32 v[64:65], v[38:39], v[4:5]
	v_fma_f64 v[4:5], v[36:37], v[4:5], -v[6:7]
	v_mul_f64 v[68:69], v[44:45], v[14:15]
	v_mul_f64 v[14:15], v[46:47], v[14:15]
	v_fmac_f64_e32 v[66:67], v[42:43], v[8:9]
	v_fma_f64 v[6:7], v[40:41], v[8:9], -v[10:11]
	v_fma_f64 v[10:11], v[48:49], v[16:17], -v[18:19]
	v_add_f64 v[18:19], v[64:65], 0
	v_add_f64 v[4:5], v[4:5], 0
	v_fmac_f64_e32 v[68:69], v[46:47], v[12:13]
	v_fma_f64 v[8:9], v[44:45], v[12:13], -v[14:15]
	v_add_f64 v[18:19], v[18:19], v[66:67]
	v_add_f64 v[4:5], v[4:5], v[6:7]
	s_waitcnt vmcnt(3) lgkmcnt(2)
	v_mul_f64 v[72:73], v[52:53], v[22:23]
	v_mul_f64 v[22:23], v[54:55], v[22:23]
	v_fmac_f64_e32 v[70:71], v[50:51], v[16:17]
	v_add_f64 v[6:7], v[18:19], v[68:69]
	v_add_f64 v[4:5], v[4:5], v[8:9]
	s_waitcnt vmcnt(2) lgkmcnt(1)
	v_mul_f64 v[74:75], v[56:57], v[26:27]
	v_mul_f64 v[26:27], v[58:59], v[26:27]
	v_fmac_f64_e32 v[72:73], v[54:55], v[20:21]
	v_fma_f64 v[12:13], v[52:53], v[20:21], -v[22:23]
	v_add_f64 v[6:7], v[6:7], v[70:71]
	v_add_f64 v[4:5], v[4:5], v[10:11]
	s_waitcnt vmcnt(1) lgkmcnt(0)
	v_mul_f64 v[76:77], v[60:61], v[30:31]
	v_mul_f64 v[30:31], v[62:63], v[30:31]
	v_fmac_f64_e32 v[74:75], v[58:59], v[24:25]
	v_fma_f64 v[14:15], v[56:57], v[24:25], -v[26:27]
	v_add_f64 v[6:7], v[6:7], v[72:73]
	v_add_f64 v[4:5], v[4:5], v[12:13]
	v_fmac_f64_e32 v[76:77], v[62:63], v[28:29]
	v_fma_f64 v[16:17], v[60:61], v[28:29], -v[30:31]
	v_add_f64 v[6:7], v[6:7], v[74:75]
	v_add_f64 v[4:5], v[4:5], v[14:15]
	;; [unrolled: 1-line block ×4, first 2 shown]
	s_waitcnt vmcnt(0)
	v_add_f64 v[4:5], v[32:33], -v[4:5]
	v_add_f64 v[6:7], v[34:35], -v[6:7]
	scratch_store_dwordx4 off, v[4:7], off offset:240
	s_and_saveexec_b64 s[2:3], vcc
	s_cbranch_execz .LBB86_123
; %bb.122:
	scratch_load_dwordx4 v[6:9], off, s26
	v_mov_b32_e32 v3, v2
	v_mov_b32_e32 v4, v2
	;; [unrolled: 1-line block ×3, first 2 shown]
	scratch_store_dwordx4 off, v[2:5], off offset:224
	s_waitcnt vmcnt(1)
	ds_write_b128 v106, v[6:9]
.LBB86_123:
	s_or_b64 exec, exec, s[2:3]
	s_waitcnt lgkmcnt(0)
	; wave barrier
	ds_read_b128 v[4:7], v2 offset:608
	ds_read_b128 v[8:11], v2 offset:624
	;; [unrolled: 1-line block ×4, first 2 shown]
	scratch_load_dwordx4 v[20:23], off, off offset:240
	scratch_load_dwordx4 v[40:43], off, off offset:304
	v_cmp_lt_u32_e32 vcc, 13, v1
	scratch_load_dwordx4 v[48:51], off, off offset:320
	scratch_load_dwordx4 v[56:59], off, off offset:336
	;; [unrolled: 1-line block ×3, first 2 shown]
	s_waitcnt vmcnt(4) lgkmcnt(3)
	v_mul_f64 v[24:25], v[4:5], v[22:23]
	v_fmac_f64_e32 v[24:25], v[6:7], v[20:21]
	v_add_f64 v[28:29], v[24:25], 0
	scratch_load_dwordx4 v[24:27], off, off offset:256
	s_waitcnt vmcnt(0) lgkmcnt(2)
	v_mul_f64 v[30:31], v[8:9], v[26:27]
	v_fmac_f64_e32 v[30:31], v[10:11], v[24:25]
	v_add_f64 v[32:33], v[28:29], v[30:31]
	scratch_load_dwordx4 v[28:31], off, off offset:272
	;; [unrolled: 5-line block ×3, first 2 shown]
	s_waitcnt vmcnt(0) lgkmcnt(0)
	v_mul_f64 v[38:39], v[16:17], v[34:35]
	v_fmac_f64_e32 v[38:39], v[18:19], v[32:33]
	v_add_f64 v[44:45], v[36:37], v[38:39]
	ds_read_b128 v[36:39], v2 offset:672
	s_waitcnt lgkmcnt(0)
	v_mul_f64 v[46:47], v[36:37], v[42:43]
	v_fmac_f64_e32 v[46:47], v[38:39], v[40:41]
	v_add_f64 v[52:53], v[44:45], v[46:47]
	ds_read_b128 v[44:47], v2 offset:688
	s_waitcnt lgkmcnt(0)
	;; [unrolled: 5-line block ×4, first 2 shown]
	v_mul_f64 v[2:3], v[60:61], v[66:67]
	v_fmac_f64_e32 v[2:3], v[62:63], v[64:65]
	v_add_f64 v[68:69], v[68:69], v[2:3]
	v_mul_f64 v[2:3], v[6:7], v[22:23]
	v_fma_f64 v[2:3], v[4:5], v[20:21], -v[2:3]
	v_mul_f64 v[4:5], v[10:11], v[26:27]
	v_add_f64 v[2:3], v[2:3], 0
	v_fma_f64 v[4:5], v[8:9], v[24:25], -v[4:5]
	v_add_f64 v[2:3], v[2:3], v[4:5]
	v_mul_f64 v[4:5], v[14:15], v[30:31]
	v_fma_f64 v[4:5], v[12:13], v[28:29], -v[4:5]
	v_add_f64 v[2:3], v[2:3], v[4:5]
	v_mul_f64 v[4:5], v[18:19], v[34:35]
	;; [unrolled: 3-line block ×6, first 2 shown]
	v_fma_f64 v[4:5], v[60:61], v[64:65], -v[4:5]
	v_add_f64 v[6:7], v[2:3], v[4:5]
	scratch_load_dwordx4 v[2:5], off, off offset:224
	s_waitcnt vmcnt(0)
	v_add_f64 v[2:3], v[2:3], -v[6:7]
	v_add_f64 v[4:5], v[4:5], -v[68:69]
	scratch_store_dwordx4 off, v[2:5], off offset:224
	s_and_saveexec_b64 s[2:3], vcc
	s_cbranch_execz .LBB86_125
; %bb.124:
	scratch_load_dwordx4 v[2:5], off, s27
	v_mov_b32_e32 v6, 0
	v_mov_b32_e32 v7, v6
	;; [unrolled: 1-line block ×4, first 2 shown]
	scratch_store_dwordx4 off, v[6:9], off offset:208
	s_waitcnt vmcnt(1)
	ds_write_b128 v106, v[2:5]
.LBB86_125:
	s_or_b64 exec, exec, s[2:3]
	v_mov_b32_e32 v2, 0
	s_waitcnt lgkmcnt(0)
	; wave barrier
	ds_read_b128 v[4:7], v2 offset:592
	ds_read_b128 v[8:11], v2 offset:608
	;; [unrolled: 1-line block ×4, first 2 shown]
	scratch_load_dwordx4 v[20:23], off, off offset:224
	scratch_load_dwordx4 v[40:43], off, off offset:288
	;; [unrolled: 1-line block ×3, first 2 shown]
	v_cmp_lt_u32_e32 vcc, 12, v1
	scratch_load_dwordx4 v[48:51], off, off offset:304
	scratch_load_dwordx4 v[56:59], off, off offset:320
	;; [unrolled: 1-line block ×3, first 2 shown]
	s_waitcnt vmcnt(5) lgkmcnt(3)
	v_mul_f64 v[24:25], v[4:5], v[22:23]
	v_fmac_f64_e32 v[24:25], v[6:7], v[20:21]
	v_add_f64 v[28:29], v[24:25], 0
	scratch_load_dwordx4 v[24:27], off, off offset:240
	v_mul_f64 v[6:7], v[6:7], v[22:23]
	v_fma_f64 v[4:5], v[4:5], v[20:21], -v[6:7]
	v_add_f64 v[4:5], v[4:5], 0
	s_waitcnt vmcnt(0) lgkmcnt(2)
	v_mul_f64 v[30:31], v[8:9], v[26:27]
	v_fmac_f64_e32 v[30:31], v[10:11], v[24:25]
	v_add_f64 v[32:33], v[28:29], v[30:31]
	scratch_load_dwordx4 v[28:31], off, off offset:256
	v_mul_f64 v[6:7], v[10:11], v[26:27]
	v_fma_f64 v[6:7], v[8:9], v[24:25], -v[6:7]
	v_add_f64 v[4:5], v[4:5], v[6:7]
	;; [unrolled: 8-line block ×3, first 2 shown]
	s_waitcnt vmcnt(0) lgkmcnt(0)
	v_mul_f64 v[38:39], v[16:17], v[34:35]
	v_fmac_f64_e32 v[38:39], v[18:19], v[32:33]
	v_add_f64 v[44:45], v[36:37], v[38:39]
	ds_read_b128 v[36:39], v2 offset:656
	v_mul_f64 v[6:7], v[18:19], v[34:35]
	v_fma_f64 v[6:7], v[16:17], v[32:33], -v[6:7]
	v_add_f64 v[4:5], v[4:5], v[6:7]
	s_waitcnt lgkmcnt(0)
	v_mul_f64 v[46:47], v[36:37], v[42:43]
	v_fmac_f64_e32 v[46:47], v[38:39], v[40:41]
	v_add_f64 v[52:53], v[44:45], v[46:47]
	ds_read_b128 v[44:47], v2 offset:672
	v_mul_f64 v[6:7], v[38:39], v[42:43]
	v_fma_f64 v[6:7], v[36:37], v[40:41], -v[6:7]
	v_add_f64 v[4:5], v[4:5], v[6:7]
	s_waitcnt lgkmcnt(0)
	;; [unrolled: 8-line block ×5, first 2 shown]
	v_mul_f64 v[6:7], v[70:71], v[74:75]
	v_fma_f64 v[6:7], v[68:69], v[72:73], -v[6:7]
	v_add_f64 v[8:9], v[4:5], v[6:7]
	scratch_load_dwordx4 v[4:7], off, off offset:208
	v_mul_f64 v[78:79], v[68:69], v[74:75]
	v_fmac_f64_e32 v[78:79], v[70:71], v[72:73]
	v_add_f64 v[76:77], v[76:77], v[78:79]
	s_waitcnt vmcnt(0)
	v_add_f64 v[4:5], v[4:5], -v[8:9]
	v_add_f64 v[6:7], v[6:7], -v[76:77]
	scratch_store_dwordx4 off, v[4:7], off offset:208
	s_and_saveexec_b64 s[2:3], vcc
	s_cbranch_execz .LBB86_127
; %bb.126:
	scratch_load_dwordx4 v[6:9], off, s28
	v_mov_b32_e32 v3, v2
	v_mov_b32_e32 v4, v2
	;; [unrolled: 1-line block ×3, first 2 shown]
	scratch_store_dwordx4 off, v[2:5], off offset:192
	s_waitcnt vmcnt(1)
	ds_write_b128 v106, v[6:9]
.LBB86_127:
	s_or_b64 exec, exec, s[2:3]
	s_waitcnt lgkmcnt(0)
	; wave barrier
	scratch_load_dwordx4 v[4:7], off, off offset:208
	scratch_load_dwordx4 v[8:11], off, off offset:224
	;; [unrolled: 1-line block ×11, first 2 shown]
	ds_read_b128 v[48:51], v2 offset:576
	ds_read_b128 v[52:55], v2 offset:592
	;; [unrolled: 1-line block ×10, first 2 shown]
	v_cmp_lt_u32_e32 vcc, 11, v1
	s_waitcnt vmcnt(10) lgkmcnt(9)
	v_mul_f64 v[2:3], v[48:49], v[6:7]
	v_mul_f64 v[6:7], v[50:51], v[6:7]
	s_waitcnt vmcnt(9) lgkmcnt(8)
	v_mul_f64 v[88:89], v[52:53], v[10:11]
	v_mul_f64 v[10:11], v[54:55], v[10:11]
	v_fmac_f64_e32 v[2:3], v[50:51], v[4:5]
	v_fma_f64 v[4:5], v[48:49], v[4:5], -v[6:7]
	s_waitcnt vmcnt(8) lgkmcnt(7)
	v_mul_f64 v[90:91], v[56:57], v[14:15]
	v_mul_f64 v[14:15], v[58:59], v[14:15]
	v_fmac_f64_e32 v[88:89], v[54:55], v[8:9]
	v_fma_f64 v[6:7], v[52:53], v[8:9], -v[10:11]
	v_add_f64 v[2:3], v[2:3], 0
	v_add_f64 v[4:5], v[4:5], 0
	s_waitcnt vmcnt(7) lgkmcnt(6)
	v_mul_f64 v[92:93], v[60:61], v[18:19]
	v_mul_f64 v[18:19], v[62:63], v[18:19]
	v_fmac_f64_e32 v[90:91], v[58:59], v[12:13]
	v_fma_f64 v[8:9], v[56:57], v[12:13], -v[14:15]
	v_add_f64 v[2:3], v[2:3], v[88:89]
	v_add_f64 v[4:5], v[4:5], v[6:7]
	;; [unrolled: 7-line block ×8, first 2 shown]
	v_fmac_f64_e32 v[104:105], v[86:87], v[40:41]
	v_fma_f64 v[22:23], v[84:85], v[40:41], -v[42:43]
	v_add_f64 v[2:3], v[2:3], v[102:103]
	v_add_f64 v[4:5], v[4:5], v[20:21]
	;; [unrolled: 1-line block ×4, first 2 shown]
	s_waitcnt vmcnt(0)
	v_add_f64 v[2:3], v[44:45], -v[2:3]
	v_add_f64 v[4:5], v[46:47], -v[6:7]
	scratch_store_dwordx4 off, v[2:5], off offset:192
	s_and_saveexec_b64 s[2:3], vcc
	s_cbranch_execz .LBB86_129
; %bb.128:
	scratch_load_dwordx4 v[2:5], off, s29
	v_mov_b32_e32 v6, 0
	v_mov_b32_e32 v7, v6
	;; [unrolled: 1-line block ×4, first 2 shown]
	scratch_store_dwordx4 off, v[6:9], off offset:176
	s_waitcnt vmcnt(1)
	ds_write_b128 v106, v[2:5]
.LBB86_129:
	s_or_b64 exec, exec, s[2:3]
	s_waitcnt lgkmcnt(0)
	; wave barrier
	scratch_load_dwordx4 v[4:7], off, off offset:192
	scratch_load_dwordx4 v[8:11], off, off offset:208
	;; [unrolled: 1-line block ×12, first 2 shown]
	v_mov_b32_e32 v2, 0
	ds_read_b128 v[52:55], v2 offset:560
	ds_read_b128 v[56:59], v2 offset:576
	;; [unrolled: 1-line block ×11, first 2 shown]
	v_cmp_lt_u32_e32 vcc, 10, v1
	s_waitcnt vmcnt(11) lgkmcnt(10)
	v_mul_f64 v[96:97], v[52:53], v[6:7]
	v_mul_f64 v[6:7], v[54:55], v[6:7]
	s_waitcnt vmcnt(10) lgkmcnt(9)
	v_mul_f64 v[98:99], v[56:57], v[10:11]
	s_waitcnt vmcnt(9) lgkmcnt(8)
	v_mul_f64 v[100:101], v[60:61], v[14:15]
	v_mul_f64 v[10:11], v[58:59], v[10:11]
	s_waitcnt vmcnt(6) lgkmcnt(5)
	v_mul_f64 v[108:109], v[72:73], v[26:27]
	v_mul_f64 v[14:15], v[62:63], v[14:15]
	;; [unrolled: 1-line block ×3, first 2 shown]
	v_fmac_f64_e32 v[96:97], v[54:55], v[4:5]
	v_fma_f64 v[4:5], v[52:53], v[4:5], -v[6:7]
	v_fmac_f64_e32 v[98:99], v[58:59], v[8:9]
	v_fma_f64 v[6:7], v[56:57], v[8:9], -v[10:11]
	v_fma_f64 v[8:9], v[60:61], v[12:13], -v[14:15]
	;; [unrolled: 1-line block ×3, first 2 shown]
	v_add_f64 v[26:27], v[96:97], 0
	v_add_f64 v[4:5], v[4:5], 0
	v_mul_f64 v[102:103], v[64:65], v[18:19]
	v_mul_f64 v[18:19], v[66:67], v[18:19]
	v_fmac_f64_e32 v[100:101], v[62:63], v[12:13]
	v_add_f64 v[26:27], v[26:27], v[98:99]
	v_add_f64 v[4:5], v[4:5], v[6:7]
	v_mul_f64 v[104:105], v[68:69], v[22:23]
	v_mul_f64 v[22:23], v[70:71], v[22:23]
	v_fmac_f64_e32 v[102:103], v[66:67], v[16:17]
	v_fma_f64 v[10:11], v[64:65], v[16:17], -v[18:19]
	v_add_f64 v[6:7], v[26:27], v[100:101]
	v_add_f64 v[4:5], v[4:5], v[8:9]
	v_fmac_f64_e32 v[104:105], v[70:71], v[20:21]
	v_fma_f64 v[12:13], v[68:69], v[20:21], -v[22:23]
	v_add_f64 v[6:7], v[6:7], v[102:103]
	v_add_f64 v[4:5], v[4:5], v[10:11]
	s_waitcnt vmcnt(5) lgkmcnt(4)
	v_mul_f64 v[110:111], v[76:77], v[30:31]
	v_mul_f64 v[30:31], v[78:79], v[30:31]
	v_fmac_f64_e32 v[108:109], v[74:75], v[24:25]
	v_add_f64 v[6:7], v[6:7], v[104:105]
	v_add_f64 v[4:5], v[4:5], v[12:13]
	s_waitcnt vmcnt(4) lgkmcnt(3)
	v_mul_f64 v[112:113], v[80:81], v[34:35]
	v_mul_f64 v[34:35], v[82:83], v[34:35]
	v_fmac_f64_e32 v[110:111], v[78:79], v[28:29]
	v_fma_f64 v[16:17], v[76:77], v[28:29], -v[30:31]
	v_add_f64 v[6:7], v[6:7], v[108:109]
	v_add_f64 v[4:5], v[4:5], v[14:15]
	s_waitcnt vmcnt(3) lgkmcnt(2)
	v_mul_f64 v[114:115], v[84:85], v[38:39]
	v_mul_f64 v[38:39], v[86:87], v[38:39]
	v_fmac_f64_e32 v[112:113], v[82:83], v[32:33]
	v_fma_f64 v[18:19], v[80:81], v[32:33], -v[34:35]
	;; [unrolled: 7-line block ×4, first 2 shown]
	v_add_f64 v[6:7], v[6:7], v[114:115]
	v_add_f64 v[4:5], v[4:5], v[20:21]
	v_fmac_f64_e32 v[118:119], v[94:95], v[44:45]
	v_fma_f64 v[24:25], v[92:93], v[44:45], -v[46:47]
	v_add_f64 v[6:7], v[6:7], v[116:117]
	v_add_f64 v[4:5], v[4:5], v[22:23]
	;; [unrolled: 1-line block ×4, first 2 shown]
	s_waitcnt vmcnt(0)
	v_add_f64 v[4:5], v[48:49], -v[4:5]
	v_add_f64 v[6:7], v[50:51], -v[6:7]
	scratch_store_dwordx4 off, v[4:7], off offset:176
	s_and_saveexec_b64 s[2:3], vcc
	s_cbranch_execz .LBB86_131
; %bb.130:
	scratch_load_dwordx4 v[6:9], off, s30
	v_mov_b32_e32 v3, v2
	v_mov_b32_e32 v4, v2
	;; [unrolled: 1-line block ×3, first 2 shown]
	scratch_store_dwordx4 off, v[2:5], off offset:160
	s_waitcnt vmcnt(1)
	ds_write_b128 v106, v[6:9]
.LBB86_131:
	s_or_b64 exec, exec, s[2:3]
	s_waitcnt lgkmcnt(0)
	; wave barrier
	ds_read_b128 v[4:7], v2 offset:544
	ds_read_b128 v[8:11], v2 offset:560
	;; [unrolled: 1-line block ×4, first 2 shown]
	scratch_load_dwordx4 v[20:23], off, off offset:176
	scratch_load_dwordx4 v[40:43], off, off offset:240
	;; [unrolled: 1-line block ×6, first 2 shown]
	v_cmp_lt_u32_e32 vcc, 9, v1
	scratch_load_dwordx4 v[48:51], off, off offset:256
	scratch_load_dwordx4 v[56:59], off, off offset:272
	;; [unrolled: 1-line block ×3, first 2 shown]
	s_waitcnt vmcnt(8) lgkmcnt(3)
	v_mul_f64 v[24:25], v[4:5], v[22:23]
	v_fmac_f64_e32 v[24:25], v[6:7], v[20:21]
	v_add_f64 v[28:29], v[24:25], 0
	scratch_load_dwordx4 v[24:27], off, off offset:192
	s_waitcnt vmcnt(0) lgkmcnt(2)
	v_mul_f64 v[30:31], v[8:9], v[26:27]
	v_fmac_f64_e32 v[30:31], v[10:11], v[24:25]
	v_add_f64 v[32:33], v[28:29], v[30:31]
	scratch_load_dwordx4 v[28:31], off, off offset:208
	;; [unrolled: 5-line block ×3, first 2 shown]
	s_waitcnt vmcnt(0) lgkmcnt(0)
	v_mul_f64 v[38:39], v[16:17], v[34:35]
	v_fmac_f64_e32 v[38:39], v[18:19], v[32:33]
	v_add_f64 v[44:45], v[36:37], v[38:39]
	ds_read_b128 v[36:39], v2 offset:608
	s_waitcnt lgkmcnt(0)
	v_mul_f64 v[46:47], v[36:37], v[42:43]
	v_fmac_f64_e32 v[46:47], v[38:39], v[40:41]
	v_add_f64 v[52:53], v[44:45], v[46:47]
	ds_read_b128 v[44:47], v2 offset:624
	s_waitcnt lgkmcnt(0)
	;; [unrolled: 5-line block ×8, first 2 shown]
	v_mul_f64 v[2:3], v[92:93], v[98:99]
	v_fmac_f64_e32 v[2:3], v[94:95], v[96:97]
	v_add_f64 v[100:101], v[100:101], v[2:3]
	v_mul_f64 v[2:3], v[6:7], v[22:23]
	v_fma_f64 v[2:3], v[4:5], v[20:21], -v[2:3]
	v_mul_f64 v[4:5], v[10:11], v[26:27]
	v_add_f64 v[2:3], v[2:3], 0
	v_fma_f64 v[4:5], v[8:9], v[24:25], -v[4:5]
	v_add_f64 v[2:3], v[2:3], v[4:5]
	v_mul_f64 v[4:5], v[14:15], v[30:31]
	v_fma_f64 v[4:5], v[12:13], v[28:29], -v[4:5]
	v_add_f64 v[2:3], v[2:3], v[4:5]
	v_mul_f64 v[4:5], v[18:19], v[34:35]
	;; [unrolled: 3-line block ×10, first 2 shown]
	v_fma_f64 v[4:5], v[92:93], v[96:97], -v[4:5]
	v_add_f64 v[6:7], v[2:3], v[4:5]
	scratch_load_dwordx4 v[2:5], off, off offset:160
	s_waitcnt vmcnt(0)
	v_add_f64 v[2:3], v[2:3], -v[6:7]
	v_add_f64 v[4:5], v[4:5], -v[100:101]
	scratch_store_dwordx4 off, v[2:5], off offset:160
	s_and_saveexec_b64 s[2:3], vcc
	s_cbranch_execz .LBB86_133
; %bb.132:
	scratch_load_dwordx4 v[2:5], off, s31
	v_mov_b32_e32 v6, 0
	v_mov_b32_e32 v7, v6
	;; [unrolled: 1-line block ×4, first 2 shown]
	scratch_store_dwordx4 off, v[6:9], off offset:144
	s_waitcnt vmcnt(1)
	ds_write_b128 v106, v[2:5]
.LBB86_133:
	s_or_b64 exec, exec, s[2:3]
	v_mov_b32_e32 v2, 0
	s_waitcnt lgkmcnt(0)
	; wave barrier
	ds_read_b128 v[4:7], v2 offset:528
	ds_read_b128 v[8:11], v2 offset:544
	;; [unrolled: 1-line block ×4, first 2 shown]
	scratch_load_dwordx4 v[20:23], off, off offset:160
	scratch_load_dwordx4 v[40:43], off, off offset:224
	;; [unrolled: 1-line block ×7, first 2 shown]
	v_cmp_lt_u32_e32 vcc, 8, v1
	scratch_load_dwordx4 v[48:51], off, off offset:240
	scratch_load_dwordx4 v[56:59], off, off offset:256
	;; [unrolled: 1-line block ×3, first 2 shown]
	s_waitcnt vmcnt(9) lgkmcnt(3)
	v_mul_f64 v[24:25], v[4:5], v[22:23]
	v_fmac_f64_e32 v[24:25], v[6:7], v[20:21]
	v_add_f64 v[28:29], v[24:25], 0
	scratch_load_dwordx4 v[24:27], off, off offset:176
	v_mul_f64 v[6:7], v[6:7], v[22:23]
	v_fma_f64 v[4:5], v[4:5], v[20:21], -v[6:7]
	v_add_f64 v[4:5], v[4:5], 0
	s_waitcnt vmcnt(0) lgkmcnt(2)
	v_mul_f64 v[30:31], v[8:9], v[26:27]
	v_fmac_f64_e32 v[30:31], v[10:11], v[24:25]
	v_add_f64 v[32:33], v[28:29], v[30:31]
	scratch_load_dwordx4 v[28:31], off, off offset:192
	v_mul_f64 v[6:7], v[10:11], v[26:27]
	v_fma_f64 v[6:7], v[8:9], v[24:25], -v[6:7]
	v_add_f64 v[4:5], v[4:5], v[6:7]
	;; [unrolled: 8-line block ×3, first 2 shown]
	s_waitcnt vmcnt(0) lgkmcnt(0)
	v_mul_f64 v[38:39], v[16:17], v[34:35]
	v_fmac_f64_e32 v[38:39], v[18:19], v[32:33]
	v_add_f64 v[44:45], v[36:37], v[38:39]
	ds_read_b128 v[36:39], v2 offset:592
	v_mul_f64 v[6:7], v[18:19], v[34:35]
	v_fma_f64 v[6:7], v[16:17], v[32:33], -v[6:7]
	v_add_f64 v[4:5], v[4:5], v[6:7]
	s_waitcnt lgkmcnt(0)
	v_mul_f64 v[46:47], v[36:37], v[42:43]
	v_fmac_f64_e32 v[46:47], v[38:39], v[40:41]
	v_add_f64 v[52:53], v[44:45], v[46:47]
	ds_read_b128 v[44:47], v2 offset:608
	v_mul_f64 v[6:7], v[38:39], v[42:43]
	v_fma_f64 v[6:7], v[36:37], v[40:41], -v[6:7]
	v_add_f64 v[4:5], v[4:5], v[6:7]
	s_waitcnt lgkmcnt(0)
	;; [unrolled: 8-line block ×9, first 2 shown]
	v_mul_f64 v[6:7], v[102:103], v[110:111]
	v_fma_f64 v[6:7], v[100:101], v[108:109], -v[6:7]
	v_add_f64 v[8:9], v[4:5], v[6:7]
	scratch_load_dwordx4 v[4:7], off, off offset:144
	v_mul_f64 v[112:113], v[100:101], v[110:111]
	v_fmac_f64_e32 v[112:113], v[102:103], v[108:109]
	v_add_f64 v[104:105], v[104:105], v[112:113]
	s_waitcnt vmcnt(0)
	v_add_f64 v[4:5], v[4:5], -v[8:9]
	v_add_f64 v[6:7], v[6:7], -v[104:105]
	scratch_store_dwordx4 off, v[4:7], off offset:144
	s_and_saveexec_b64 s[2:3], vcc
	s_cbranch_execz .LBB86_135
; %bb.134:
	scratch_load_dwordx4 v[6:9], off, s33
	v_mov_b32_e32 v3, v2
	v_mov_b32_e32 v4, v2
	;; [unrolled: 1-line block ×3, first 2 shown]
	scratch_store_dwordx4 off, v[2:5], off offset:128
	s_waitcnt vmcnt(1)
	ds_write_b128 v106, v[6:9]
.LBB86_135:
	s_or_b64 exec, exec, s[2:3]
	s_waitcnt lgkmcnt(0)
	; wave barrier
	ds_read_b128 v[4:7], v2 offset:512
	ds_read_b128 v[8:11], v2 offset:528
	;; [unrolled: 1-line block ×4, first 2 shown]
	scratch_load_dwordx4 v[20:23], off, off offset:144
	scratch_load_dwordx4 v[40:43], off, off offset:208
	;; [unrolled: 1-line block ×8, first 2 shown]
	v_cmp_lt_u32_e32 vcc, 7, v1
	scratch_load_dwordx4 v[48:51], off, off offset:224
	scratch_load_dwordx4 v[56:59], off, off offset:240
	;; [unrolled: 1-line block ×3, first 2 shown]
	s_waitcnt vmcnt(10) lgkmcnt(3)
	v_mul_f64 v[24:25], v[4:5], v[22:23]
	v_fmac_f64_e32 v[24:25], v[6:7], v[20:21]
	v_add_f64 v[28:29], v[24:25], 0
	scratch_load_dwordx4 v[24:27], off, off offset:160
	s_waitcnt vmcnt(0) lgkmcnt(2)
	v_mul_f64 v[30:31], v[8:9], v[26:27]
	v_fmac_f64_e32 v[30:31], v[10:11], v[24:25]
	v_add_f64 v[32:33], v[28:29], v[30:31]
	scratch_load_dwordx4 v[28:31], off, off offset:176
	;; [unrolled: 5-line block ×3, first 2 shown]
	s_waitcnt vmcnt(0) lgkmcnt(0)
	v_mul_f64 v[38:39], v[16:17], v[34:35]
	v_fmac_f64_e32 v[38:39], v[18:19], v[32:33]
	v_add_f64 v[44:45], v[36:37], v[38:39]
	ds_read_b128 v[36:39], v2 offset:576
	s_waitcnt lgkmcnt(0)
	v_mul_f64 v[46:47], v[36:37], v[42:43]
	v_fmac_f64_e32 v[46:47], v[38:39], v[40:41]
	v_add_f64 v[52:53], v[44:45], v[46:47]
	ds_read_b128 v[44:47], v2 offset:592
	s_waitcnt lgkmcnt(0)
	;; [unrolled: 5-line block ×10, first 2 shown]
	v_mul_f64 v[2:3], v[112:113], v[118:119]
	v_fmac_f64_e32 v[2:3], v[114:115], v[116:117]
	v_add_f64 v[104:105], v[104:105], v[2:3]
	v_mul_f64 v[2:3], v[6:7], v[22:23]
	v_fma_f64 v[2:3], v[4:5], v[20:21], -v[2:3]
	v_mul_f64 v[4:5], v[10:11], v[26:27]
	v_add_f64 v[2:3], v[2:3], 0
	v_fma_f64 v[4:5], v[8:9], v[24:25], -v[4:5]
	v_add_f64 v[2:3], v[2:3], v[4:5]
	v_mul_f64 v[4:5], v[14:15], v[30:31]
	v_fma_f64 v[4:5], v[12:13], v[28:29], -v[4:5]
	v_add_f64 v[2:3], v[2:3], v[4:5]
	v_mul_f64 v[4:5], v[18:19], v[34:35]
	;; [unrolled: 3-line block ×12, first 2 shown]
	v_fma_f64 v[4:5], v[112:113], v[116:117], -v[4:5]
	v_add_f64 v[6:7], v[2:3], v[4:5]
	scratch_load_dwordx4 v[2:5], off, off offset:128
	s_waitcnt vmcnt(0)
	v_add_f64 v[2:3], v[2:3], -v[6:7]
	v_add_f64 v[4:5], v[4:5], -v[104:105]
	scratch_store_dwordx4 off, v[2:5], off offset:128
	s_and_saveexec_b64 s[2:3], vcc
	s_cbranch_execz .LBB86_137
; %bb.136:
	scratch_load_dwordx4 v[2:5], off, s34
	v_mov_b32_e32 v6, 0
	v_mov_b32_e32 v7, v6
	;; [unrolled: 1-line block ×4, first 2 shown]
	scratch_store_dwordx4 off, v[6:9], off offset:112
	s_waitcnt vmcnt(1)
	ds_write_b128 v106, v[2:5]
.LBB86_137:
	s_or_b64 exec, exec, s[2:3]
	s_waitcnt lgkmcnt(0)
	; wave barrier
	scratch_load_dwordx4 v[4:7], off, off offset:128
	scratch_load_dwordx4 v[12:15], off, off offset:144
	;; [unrolled: 1-line block ×16, first 2 shown]
	v_mov_b32_e32 v2, 0
	ds_read_b128 v[68:71], v2 offset:496
	ds_read_b128 v[72:75], v2 offset:512
	;; [unrolled: 1-line block ×15, first 2 shown]
	v_cmp_lt_u32_e32 vcc, 6, v1
	s_waitcnt vmcnt(15) lgkmcnt(14)
	v_mul_f64 v[104:105], v[68:69], v[6:7]
	v_mul_f64 v[6:7], v[70:71], v[6:7]
	s_waitcnt vmcnt(14) lgkmcnt(13)
	v_mul_f64 v[178:179], v[72:73], v[14:15]
	v_mul_f64 v[14:15], v[74:75], v[14:15]
	v_fmac_f64_e32 v[104:105], v[70:71], v[4:5]
	v_fma_f64 v[4:5], v[68:69], v[4:5], -v[6:7]
	s_waitcnt vmcnt(13) lgkmcnt(12)
	v_mul_f64 v[180:181], v[76:77], v[10:11]
	v_mul_f64 v[10:11], v[78:79], v[10:11]
	v_fma_f64 v[6:7], v[72:73], v[12:13], -v[14:15]
	v_add_f64 v[4:5], v[4:5], 0
	s_waitcnt vmcnt(12) lgkmcnt(11)
	v_mul_f64 v[182:183], v[80:81], v[18:19]
	v_mul_f64 v[18:19], v[82:83], v[18:19]
	v_fmac_f64_e32 v[180:181], v[78:79], v[8:9]
	v_fma_f64 v[8:9], v[76:77], v[8:9], -v[10:11]
	v_add_f64 v[4:5], v[4:5], v[6:7]
	s_waitcnt vmcnt(11) lgkmcnt(10)
	v_mul_f64 v[184:185], v[84:85], v[22:23]
	v_mul_f64 v[22:23], v[86:87], v[22:23]
	v_fma_f64 v[10:11], v[80:81], v[16:17], -v[18:19]
	v_add_f64 v[4:5], v[4:5], v[8:9]
	s_waitcnt vmcnt(10) lgkmcnt(9)
	v_mul_f64 v[186:187], v[88:89], v[30:31]
	v_mul_f64 v[30:31], v[90:91], v[30:31]
	v_fmac_f64_e32 v[178:179], v[74:75], v[12:13]
	v_fma_f64 v[12:13], v[84:85], v[20:21], -v[22:23]
	v_add_f64 v[4:5], v[4:5], v[10:11]
	v_fma_f64 v[14:15], v[88:89], v[28:29], -v[30:31]
	v_add_f64 v[4:5], v[4:5], v[12:13]
	s_waitcnt vmcnt(9) lgkmcnt(8)
	v_mul_f64 v[8:9], v[94:95], v[26:27]
	v_add_f64 v[4:5], v[4:5], v[14:15]
	v_fma_f64 v[8:9], v[92:93], v[24:25], -v[8:9]
	v_add_f64 v[4:5], v[4:5], v[8:9]
	s_waitcnt vmcnt(8) lgkmcnt(7)
	v_mul_f64 v[8:9], v[98:99], v[34:35]
	v_fma_f64 v[8:9], v[96:97], v[32:33], -v[8:9]
	v_fmac_f64_e32 v[182:183], v[82:83], v[16:17]
	v_add_f64 v[16:17], v[104:105], 0
	v_add_f64 v[4:5], v[4:5], v[8:9]
	s_waitcnt vmcnt(7) lgkmcnt(6)
	v_mul_f64 v[8:9], v[102:103], v[38:39]
	v_add_f64 v[16:17], v[16:17], v[178:179]
	v_fma_f64 v[8:9], v[100:101], v[36:37], -v[8:9]
	v_add_f64 v[6:7], v[16:17], v[180:181]
	v_add_f64 v[4:5], v[4:5], v[8:9]
	s_waitcnt vmcnt(6) lgkmcnt(5)
	v_mul_f64 v[8:9], v[110:111], v[42:43]
	v_fmac_f64_e32 v[184:185], v[86:87], v[20:21]
	v_add_f64 v[6:7], v[6:7], v[182:183]
	v_fma_f64 v[8:9], v[108:109], v[40:41], -v[8:9]
	v_mul_f64 v[188:189], v[92:93], v[26:27]
	v_fmac_f64_e32 v[186:187], v[90:91], v[28:29]
	v_add_f64 v[6:7], v[6:7], v[184:185]
	v_add_f64 v[4:5], v[4:5], v[8:9]
	s_waitcnt vmcnt(5) lgkmcnt(4)
	v_mul_f64 v[8:9], v[114:115], v[46:47]
	v_mul_f64 v[190:191], v[96:97], v[34:35]
	v_fmac_f64_e32 v[188:189], v[94:95], v[24:25]
	v_add_f64 v[6:7], v[6:7], v[186:187]
	v_fma_f64 v[8:9], v[112:113], v[44:45], -v[8:9]
	v_mul_f64 v[192:193], v[100:101], v[38:39]
	v_fmac_f64_e32 v[190:191], v[98:99], v[32:33]
	v_add_f64 v[6:7], v[6:7], v[188:189]
	v_add_f64 v[4:5], v[4:5], v[8:9]
	s_waitcnt vmcnt(4) lgkmcnt(3)
	v_mul_f64 v[8:9], v[118:119], v[50:51]
	;; [unrolled: 10-line block ×4, first 2 shown]
	v_mul_f64 v[202:203], v[170:171], v[58:59]
	v_fmac_f64_e32 v[200:201], v[168:169], v[52:53]
	v_add_f64 v[6:7], v[6:7], v[198:199]
	v_fma_f64 v[8:9], v[170:171], v[56:57], -v[8:9]
	s_waitcnt vmcnt(1) lgkmcnt(0)
	v_mul_f64 v[204:205], v[174:175], v[62:63]
	v_fmac_f64_e32 v[202:203], v[172:173], v[56:57]
	v_add_f64 v[6:7], v[6:7], v[200:201]
	v_add_f64 v[4:5], v[4:5], v[8:9]
	v_mul_f64 v[8:9], v[176:177], v[62:63]
	v_fmac_f64_e32 v[204:205], v[176:177], v[60:61]
	v_add_f64 v[6:7], v[6:7], v[202:203]
	v_fma_f64 v[8:9], v[174:175], v[60:61], -v[8:9]
	v_add_f64 v[6:7], v[6:7], v[204:205]
	v_add_f64 v[4:5], v[4:5], v[8:9]
	s_waitcnt vmcnt(0)
	v_add_f64 v[4:5], v[64:65], -v[4:5]
	v_add_f64 v[6:7], v[66:67], -v[6:7]
	scratch_store_dwordx4 off, v[4:7], off offset:112
	s_and_saveexec_b64 s[2:3], vcc
	s_cbranch_execz .LBB86_139
; %bb.138:
	scratch_load_dwordx4 v[6:9], off, s35
	v_mov_b32_e32 v3, v2
	v_mov_b32_e32 v4, v2
	;; [unrolled: 1-line block ×3, first 2 shown]
	scratch_store_dwordx4 off, v[2:5], off offset:96
	s_waitcnt vmcnt(1)
	ds_write_b128 v106, v[6:9]
.LBB86_139:
	s_or_b64 exec, exec, s[2:3]
	s_waitcnt lgkmcnt(0)
	; wave barrier
	scratch_load_dwordx4 v[4:7], off, off offset:112
	scratch_load_dwordx4 v[8:11], off, off offset:128
	scratch_load_dwordx4 v[12:15], off, off offset:144
	scratch_load_dwordx4 v[16:19], off, off offset:160
	scratch_load_dwordx4 v[24:27], off, off offset:176
	scratch_load_dwordx4 v[20:23], off, off offset:192
	scratch_load_dwordx4 v[28:31], off, off offset:208
	scratch_load_dwordx4 v[32:35], off, off offset:224
	scratch_load_dwordx4 v[36:39], off, off offset:240
	scratch_load_dwordx4 v[40:43], off, off offset:256
	scratch_load_dwordx4 v[44:47], off, off offset:272
	scratch_load_dwordx4 v[48:51], off, off offset:288
	scratch_load_dwordx4 v[52:55], off, off offset:304
	scratch_load_dwordx4 v[56:59], off, off offset:320
	scratch_load_dwordx4 v[60:63], off, off offset:336
	scratch_load_dwordx4 v[64:67], off, off offset:352
	ds_read_b128 v[68:71], v2 offset:480
	ds_read_b128 v[72:75], v2 offset:496
	;; [unrolled: 1-line block ×16, first 2 shown]
	scratch_load_dwordx4 v[182:185], off, off offset:96
	v_cmp_lt_u32_e32 vcc, 5, v1
	s_waitcnt vmcnt(16) lgkmcnt(14)
	v_mul_f64 v[2:3], v[68:69], v[6:7]
	s_waitcnt vmcnt(15)
	v_mul_f64 v[104:105], v[72:73], v[10:11]
	v_fmac_f64_e32 v[2:3], v[70:71], v[4:5]
	s_waitcnt vmcnt(14) lgkmcnt(13)
	v_mul_f64 v[186:187], v[76:77], v[14:15]
	v_fmac_f64_e32 v[104:105], v[74:75], v[8:9]
	v_add_f64 v[2:3], v[2:3], 0
	s_waitcnt vmcnt(13) lgkmcnt(12)
	v_mul_f64 v[188:189], v[80:81], v[18:19]
	v_fmac_f64_e32 v[186:187], v[78:79], v[12:13]
	v_add_f64 v[2:3], v[2:3], v[104:105]
	;; [unrolled: 4-line block ×10, first 2 shown]
	s_waitcnt vmcnt(4) lgkmcnt(3)
	v_mul_f64 v[206:207], v[166:167], v[54:55]
	v_mul_f64 v[6:7], v[70:71], v[6:7]
	v_fmac_f64_e32 v[204:205], v[118:119], v[48:49]
	v_add_f64 v[2:3], v[2:3], v[202:203]
	s_waitcnt vmcnt(3) lgkmcnt(2)
	v_mul_f64 v[208:209], v[170:171], v[58:59]
	v_mul_f64 v[10:11], v[74:75], v[10:11]
	v_fmac_f64_e32 v[206:207], v[168:169], v[52:53]
	v_fma_f64 v[4:5], v[68:69], v[4:5], -v[6:7]
	v_add_f64 v[2:3], v[2:3], v[204:205]
	s_waitcnt vmcnt(2) lgkmcnt(1)
	v_mul_f64 v[210:211], v[174:175], v[62:63]
	v_mul_f64 v[14:15], v[78:79], v[14:15]
	v_fmac_f64_e32 v[208:209], v[172:173], v[56:57]
	v_fma_f64 v[6:7], v[72:73], v[8:9], -v[10:11]
	v_add_f64 v[4:5], v[4:5], 0
	v_add_f64 v[2:3], v[2:3], v[206:207]
	s_waitcnt vmcnt(1) lgkmcnt(0)
	v_mul_f64 v[212:213], v[178:179], v[66:67]
	v_mul_f64 v[18:19], v[82:83], v[18:19]
	v_fmac_f64_e32 v[210:211], v[176:177], v[60:61]
	v_fma_f64 v[8:9], v[76:77], v[12:13], -v[14:15]
	v_add_f64 v[4:5], v[4:5], v[6:7]
	v_add_f64 v[2:3], v[2:3], v[208:209]
	v_mul_f64 v[26:27], v[86:87], v[26:27]
	v_fmac_f64_e32 v[212:213], v[180:181], v[64:65]
	v_fma_f64 v[10:11], v[80:81], v[16:17], -v[18:19]
	v_add_f64 v[4:5], v[4:5], v[8:9]
	v_add_f64 v[2:3], v[2:3], v[210:211]
	v_fma_f64 v[12:13], v[84:85], v[24:25], -v[26:27]
	v_add_f64 v[4:5], v[4:5], v[10:11]
	v_add_f64 v[6:7], v[2:3], v[212:213]
	v_mul_f64 v[2:3], v[90:91], v[22:23]
	v_add_f64 v[4:5], v[4:5], v[12:13]
	v_fma_f64 v[2:3], v[88:89], v[20:21], -v[2:3]
	v_add_f64 v[2:3], v[4:5], v[2:3]
	v_mul_f64 v[4:5], v[94:95], v[30:31]
	v_fma_f64 v[4:5], v[92:93], v[28:29], -v[4:5]
	v_add_f64 v[2:3], v[2:3], v[4:5]
	v_mul_f64 v[4:5], v[98:99], v[34:35]
	;; [unrolled: 3-line block ×10, first 2 shown]
	v_fma_f64 v[4:5], v[178:179], v[64:65], -v[4:5]
	v_add_f64 v[2:3], v[2:3], v[4:5]
	s_waitcnt vmcnt(0)
	v_add_f64 v[2:3], v[182:183], -v[2:3]
	v_add_f64 v[4:5], v[184:185], -v[6:7]
	scratch_store_dwordx4 off, v[2:5], off offset:96
	s_and_saveexec_b64 s[2:3], vcc
	s_cbranch_execz .LBB86_141
; %bb.140:
	scratch_load_dwordx4 v[2:5], off, s36
	v_mov_b32_e32 v6, 0
	v_mov_b32_e32 v7, v6
	;; [unrolled: 1-line block ×4, first 2 shown]
	scratch_store_dwordx4 off, v[6:9], off offset:80
	s_waitcnt vmcnt(1)
	ds_write_b128 v106, v[2:5]
.LBB86_141:
	s_or_b64 exec, exec, s[2:3]
	s_waitcnt lgkmcnt(0)
	; wave barrier
	scratch_load_dwordx4 v[4:7], off, off offset:96
	scratch_load_dwordx4 v[8:11], off, off offset:112
	;; [unrolled: 1-line block ×18, first 2 shown]
	v_mov_b32_e32 v2, 0
	ds_read_b128 v[76:79], v2 offset:464
	ds_read_b128 v[80:83], v2 offset:480
	;; [unrolled: 1-line block ×17, first 2 shown]
	v_cmp_lt_u32_e32 vcc, 4, v1
	s_waitcnt vmcnt(17) lgkmcnt(14)
	v_mul_f64 v[104:105], v[76:77], v[6:7]
	v_mul_f64 v[6:7], v[78:79], v[6:7]
	s_waitcnt vmcnt(16)
	v_mul_f64 v[194:195], v[80:81], v[10:11]
	v_mul_f64 v[10:11], v[82:83], v[10:11]
	v_fmac_f64_e32 v[104:105], v[78:79], v[4:5]
	v_fma_f64 v[4:5], v[76:77], v[4:5], -v[6:7]
	s_waitcnt vmcnt(15)
	v_mul_f64 v[196:197], v[84:85], v[18:19]
	v_mul_f64 v[18:19], v[86:87], v[18:19]
	v_fma_f64 v[6:7], v[80:81], v[8:9], -v[10:11]
	v_add_f64 v[4:5], v[4:5], 0
	s_waitcnt vmcnt(14) lgkmcnt(13)
	v_mul_f64 v[198:199], v[88:89], v[14:15]
	v_mul_f64 v[14:15], v[90:91], v[14:15]
	v_fmac_f64_e32 v[194:195], v[82:83], v[8:9]
	v_fma_f64 v[8:9], v[84:85], v[16:17], -v[18:19]
	v_add_f64 v[4:5], v[4:5], v[6:7]
	v_add_f64 v[4:5], v[4:5], v[8:9]
	v_fma_f64 v[8:9], v[88:89], v[12:13], -v[14:15]
	v_add_f64 v[4:5], v[4:5], v[8:9]
	s_waitcnt vmcnt(13) lgkmcnt(12)
	v_mul_f64 v[8:9], v[94:95], v[22:23]
	v_fma_f64 v[8:9], v[92:93], v[20:21], -v[8:9]
	v_add_f64 v[4:5], v[4:5], v[8:9]
	s_waitcnt vmcnt(12) lgkmcnt(11)
	v_mul_f64 v[8:9], v[98:99], v[26:27]
	;; [unrolled: 4-line block ×5, first 2 shown]
	v_fma_f64 v[8:9], v[112:113], v[36:37], -v[8:9]
	v_add_f64 v[10:11], v[104:105], 0
	v_add_f64 v[4:5], v[4:5], v[8:9]
	s_waitcnt vmcnt(8) lgkmcnt(7)
	v_mul_f64 v[8:9], v[118:119], v[42:43]
	v_fmac_f64_e32 v[196:197], v[86:87], v[16:17]
	v_add_f64 v[10:11], v[10:11], v[194:195]
	v_fma_f64 v[8:9], v[116:117], v[40:41], -v[8:9]
	v_mul_f64 v[200:201], v[92:93], v[22:23]
	v_fmac_f64_e32 v[198:199], v[90:91], v[12:13]
	v_add_f64 v[6:7], v[10:11], v[196:197]
	v_add_f64 v[4:5], v[4:5], v[8:9]
	s_waitcnt vmcnt(7) lgkmcnt(6)
	v_mul_f64 v[8:9], v[168:169], v[46:47]
	v_mul_f64 v[202:203], v[96:97], v[26:27]
	v_fmac_f64_e32 v[200:201], v[94:95], v[20:21]
	v_add_f64 v[6:7], v[6:7], v[198:199]
	v_fma_f64 v[8:9], v[166:167], v[44:45], -v[8:9]
	v_mul_f64 v[204:205], v[100:101], v[30:31]
	v_fmac_f64_e32 v[202:203], v[98:99], v[24:25]
	v_add_f64 v[6:7], v[6:7], v[200:201]
	v_add_f64 v[4:5], v[4:5], v[8:9]
	s_waitcnt vmcnt(6) lgkmcnt(5)
	v_mul_f64 v[8:9], v[172:173], v[50:51]
	;; [unrolled: 10-line block ×6, first 2 shown]
	v_mul_f64 v[222:223], v[186:187], v[66:67]
	v_fmac_f64_e32 v[220:221], v[184:185], v[60:61]
	v_add_f64 v[6:7], v[6:7], v[218:219]
	v_fma_f64 v[8:9], v[186:187], v[64:65], -v[8:9]
	s_waitcnt vmcnt(1) lgkmcnt(0)
	v_mul_f64 v[224:225], v[190:191], v[70:71]
	v_fmac_f64_e32 v[222:223], v[188:189], v[64:65]
	v_add_f64 v[6:7], v[6:7], v[220:221]
	v_add_f64 v[4:5], v[4:5], v[8:9]
	v_mul_f64 v[8:9], v[192:193], v[70:71]
	v_fmac_f64_e32 v[224:225], v[192:193], v[68:69]
	v_add_f64 v[6:7], v[6:7], v[222:223]
	v_fma_f64 v[8:9], v[190:191], v[68:69], -v[8:9]
	v_add_f64 v[6:7], v[6:7], v[224:225]
	v_add_f64 v[4:5], v[4:5], v[8:9]
	s_waitcnt vmcnt(0)
	v_add_f64 v[4:5], v[72:73], -v[4:5]
	v_add_f64 v[6:7], v[74:75], -v[6:7]
	scratch_store_dwordx4 off, v[4:7], off offset:80
	s_and_saveexec_b64 s[2:3], vcc
	s_cbranch_execz .LBB86_143
; %bb.142:
	scratch_load_dwordx4 v[6:9], off, s37
	v_mov_b32_e32 v3, v2
	v_mov_b32_e32 v4, v2
	;; [unrolled: 1-line block ×3, first 2 shown]
	scratch_store_dwordx4 off, v[2:5], off offset:64
	s_waitcnt vmcnt(1)
	ds_write_b128 v106, v[6:9]
.LBB86_143:
	s_or_b64 exec, exec, s[2:3]
	s_waitcnt lgkmcnt(0)
	; wave barrier
	scratch_load_dwordx4 v[4:7], off, off offset:80
	scratch_load_dwordx4 v[12:15], off, off offset:96
	scratch_load_dwordx4 v[8:11], off, off offset:112
	scratch_load_dwordx4 v[16:19], off, off offset:128
	scratch_load_dwordx4 v[20:23], off, off offset:144
	scratch_load_dwordx4 v[24:27], off, off offset:160
	scratch_load_dwordx4 v[28:31], off, off offset:176
	scratch_load_dwordx4 v[32:35], off, off offset:192
	scratch_load_dwordx4 v[36:39], off, off offset:208
	scratch_load_dwordx4 v[40:43], off, off offset:224
	scratch_load_dwordx4 v[44:47], off, off offset:240
	scratch_load_dwordx4 v[48:51], off, off offset:256
	scratch_load_dwordx4 v[52:55], off, off offset:272
	scratch_load_dwordx4 v[56:59], off, off offset:288
	scratch_load_dwordx4 v[60:63], off, off offset:304
	scratch_load_dwordx4 v[64:67], off, off offset:320
	scratch_load_dwordx4 v[68:71], off, off offset:336
	scratch_load_dwordx4 v[72:75], off, off offset:352
	ds_read_b128 v[76:79], v2 offset:448
	ds_read_b128 v[80:83], v2 offset:464
	;; [unrolled: 1-line block ×18, first 2 shown]
	scratch_load_dwordx4 v[198:201], off, off offset:64
	v_cmp_lt_u32_e32 vcc, 3, v1
	s_waitcnt vmcnt(18) lgkmcnt(14)
	v_mul_f64 v[2:3], v[76:77], v[6:7]
	s_waitcnt vmcnt(17)
	v_mul_f64 v[104:105], v[80:81], v[14:15]
	v_fmac_f64_e32 v[2:3], v[78:79], v[4:5]
	s_waitcnt vmcnt(16)
	v_mul_f64 v[202:203], v[84:85], v[10:11]
	v_fmac_f64_e32 v[104:105], v[82:83], v[12:13]
	v_add_f64 v[2:3], v[2:3], 0
	s_waitcnt vmcnt(15)
	v_mul_f64 v[204:205], v[88:89], v[18:19]
	v_fmac_f64_e32 v[202:203], v[86:87], v[8:9]
	v_add_f64 v[2:3], v[2:3], v[104:105]
	s_waitcnt vmcnt(14) lgkmcnt(13)
	v_mul_f64 v[206:207], v[92:93], v[22:23]
	v_fmac_f64_e32 v[204:205], v[90:91], v[16:17]
	v_add_f64 v[2:3], v[2:3], v[202:203]
	s_waitcnt vmcnt(13) lgkmcnt(12)
	;; [unrolled: 4-line block ×13, first 2 shown]
	v_mul_f64 v[230:231], v[190:191], v[70:71]
	v_mul_f64 v[6:7], v[78:79], v[6:7]
	v_fmac_f64_e32 v[228:229], v[188:189], v[64:65]
	v_add_f64 v[2:3], v[2:3], v[226:227]
	s_waitcnt vmcnt(1) lgkmcnt(0)
	v_mul_f64 v[232:233], v[194:195], v[74:75]
	v_mul_f64 v[14:15], v[82:83], v[14:15]
	v_fmac_f64_e32 v[230:231], v[192:193], v[68:69]
	v_fma_f64 v[4:5], v[76:77], v[4:5], -v[6:7]
	v_add_f64 v[2:3], v[2:3], v[228:229]
	v_mul_f64 v[10:11], v[86:87], v[10:11]
	v_fmac_f64_e32 v[232:233], v[196:197], v[72:73]
	v_fma_f64 v[6:7], v[80:81], v[12:13], -v[14:15]
	v_add_f64 v[4:5], v[4:5], 0
	v_add_f64 v[2:3], v[2:3], v[230:231]
	;; [unrolled: 1-line block ×4, first 2 shown]
	v_fma_f64 v[2:3], v[84:85], v[8:9], -v[10:11]
	v_add_f64 v[2:3], v[4:5], v[2:3]
	v_mul_f64 v[4:5], v[90:91], v[18:19]
	v_fma_f64 v[4:5], v[88:89], v[16:17], -v[4:5]
	v_add_f64 v[2:3], v[2:3], v[4:5]
	v_mul_f64 v[4:5], v[94:95], v[22:23]
	;; [unrolled: 3-line block ×15, first 2 shown]
	v_fma_f64 v[4:5], v[194:195], v[72:73], -v[4:5]
	v_add_f64 v[2:3], v[2:3], v[4:5]
	s_waitcnt vmcnt(0)
	v_add_f64 v[2:3], v[198:199], -v[2:3]
	v_add_f64 v[4:5], v[200:201], -v[6:7]
	scratch_store_dwordx4 off, v[2:5], off offset:64
	s_and_saveexec_b64 s[2:3], vcc
	s_cbranch_execz .LBB86_145
; %bb.144:
	scratch_load_dwordx4 v[2:5], off, s38
	v_mov_b32_e32 v6, 0
	v_mov_b32_e32 v7, v6
	;; [unrolled: 1-line block ×4, first 2 shown]
	scratch_store_dwordx4 off, v[6:9], off offset:48
	s_waitcnt vmcnt(1)
	ds_write_b128 v106, v[2:5]
.LBB86_145:
	s_or_b64 exec, exec, s[2:3]
	s_waitcnt lgkmcnt(0)
	; wave barrier
	scratch_load_dwordx4 v[8:11], off, off offset:64
	scratch_load_dwordx4 v[4:7], off, off offset:80
	;; [unrolled: 1-line block ×20, first 2 shown]
	v_mov_b32_e32 v2, 0
	ds_read_b128 v[84:87], v2 offset:432
	ds_read_b128 v[88:91], v2 offset:448
	;; [unrolled: 1-line block ×19, first 2 shown]
	v_cmp_lt_u32_e32 vcc, 2, v1
	s_waitcnt vmcnt(19) lgkmcnt(14)
	v_mul_f64 v[104:105], v[84:85], v[10:11]
	v_mul_f64 v[10:11], v[86:87], v[10:11]
	s_waitcnt vmcnt(18)
	v_mul_f64 v[210:211], v[88:89], v[6:7]
	v_fmac_f64_e32 v[104:105], v[86:87], v[8:9]
	v_fma_f64 v[8:9], v[84:85], v[8:9], -v[10:11]
	v_mul_f64 v[6:7], v[90:91], v[6:7]
	v_fmac_f64_e32 v[210:211], v[90:91], v[4:5]
	v_add_f64 v[8:9], v[8:9], 0
	v_fma_f64 v[4:5], v[88:89], v[4:5], -v[6:7]
	s_waitcnt vmcnt(17)
	v_mul_f64 v[6:7], v[94:95], v[14:15]
	v_add_f64 v[4:5], v[8:9], v[4:5]
	v_fma_f64 v[6:7], v[92:93], v[12:13], -v[6:7]
	v_add_f64 v[4:5], v[4:5], v[6:7]
	s_waitcnt vmcnt(16)
	v_mul_f64 v[6:7], v[98:99], v[18:19]
	v_fma_f64 v[6:7], v[96:97], v[16:17], -v[6:7]
	v_add_f64 v[4:5], v[4:5], v[6:7]
	s_waitcnt vmcnt(15)
	v_mul_f64 v[6:7], v[102:103], v[22:23]
	v_fma_f64 v[6:7], v[100:101], v[20:21], -v[6:7]
	v_add_f64 v[4:5], v[4:5], v[6:7]
	s_waitcnt vmcnt(14) lgkmcnt(13)
	v_mul_f64 v[6:7], v[110:111], v[26:27]
	v_fma_f64 v[6:7], v[108:109], v[24:25], -v[6:7]
	v_add_f64 v[4:5], v[4:5], v[6:7]
	s_waitcnt vmcnt(13) lgkmcnt(12)
	v_mul_f64 v[6:7], v[114:115], v[30:31]
	v_fma_f64 v[6:7], v[112:113], v[28:29], -v[6:7]
	v_add_f64 v[4:5], v[4:5], v[6:7]
	s_waitcnt vmcnt(12) lgkmcnt(11)
	v_mul_f64 v[6:7], v[118:119], v[34:35]
	v_fma_f64 v[6:7], v[116:117], v[32:33], -v[6:7]
	v_add_f64 v[4:5], v[4:5], v[6:7]
	s_waitcnt vmcnt(11) lgkmcnt(10)
	v_mul_f64 v[6:7], v[168:169], v[38:39]
	v_fma_f64 v[6:7], v[166:167], v[36:37], -v[6:7]
	v_add_f64 v[4:5], v[4:5], v[6:7]
	s_waitcnt vmcnt(10) lgkmcnt(9)
	v_mul_f64 v[6:7], v[172:173], v[42:43]
	v_fma_f64 v[6:7], v[170:171], v[40:41], -v[6:7]
	v_mul_f64 v[212:213], v[92:93], v[14:15]
	v_add_f64 v[10:11], v[104:105], 0
	v_add_f64 v[4:5], v[4:5], v[6:7]
	s_waitcnt vmcnt(9) lgkmcnt(8)
	v_mul_f64 v[6:7], v[176:177], v[46:47]
	v_mul_f64 v[214:215], v[96:97], v[18:19]
	v_fmac_f64_e32 v[212:213], v[94:95], v[12:13]
	v_add_f64 v[10:11], v[10:11], v[210:211]
	v_fma_f64 v[6:7], v[174:175], v[44:45], -v[6:7]
	v_mul_f64 v[216:217], v[100:101], v[22:23]
	v_fmac_f64_e32 v[214:215], v[98:99], v[16:17]
	v_add_f64 v[10:11], v[10:11], v[212:213]
	v_add_f64 v[4:5], v[4:5], v[6:7]
	s_waitcnt vmcnt(8) lgkmcnt(7)
	v_mul_f64 v[6:7], v[180:181], v[50:51]
	v_mul_f64 v[218:219], v[108:109], v[26:27]
	v_fmac_f64_e32 v[216:217], v[102:103], v[20:21]
	v_add_f64 v[10:11], v[10:11], v[214:215]
	v_fma_f64 v[6:7], v[178:179], v[48:49], -v[6:7]
	v_mul_f64 v[220:221], v[112:113], v[30:31]
	v_fmac_f64_e32 v[218:219], v[110:111], v[24:25]
	;; [unrolled: 10-line block ×7, first 2 shown]
	v_add_f64 v[10:11], v[10:11], v[236:237]
	v_add_f64 v[4:5], v[4:5], v[6:7]
	s_waitcnt vmcnt(2) lgkmcnt(1)
	v_mul_f64 v[6:7], v[204:205], v[74:75]
	v_mul_f64 v[242:243], v[202:203], v[74:75]
	v_fmac_f64_e32 v[240:241], v[200:201], v[68:69]
	v_add_f64 v[10:11], v[10:11], v[238:239]
	v_fma_f64 v[6:7], v[202:203], v[72:73], -v[6:7]
	s_waitcnt vmcnt(1) lgkmcnt(0)
	v_mul_f64 v[244:245], v[206:207], v[78:79]
	v_fmac_f64_e32 v[242:243], v[204:205], v[72:73]
	v_add_f64 v[10:11], v[10:11], v[240:241]
	v_add_f64 v[4:5], v[4:5], v[6:7]
	v_mul_f64 v[6:7], v[208:209], v[78:79]
	v_fmac_f64_e32 v[244:245], v[208:209], v[76:77]
	v_add_f64 v[10:11], v[10:11], v[242:243]
	v_fma_f64 v[6:7], v[206:207], v[76:77], -v[6:7]
	v_add_f64 v[10:11], v[10:11], v[244:245]
	v_add_f64 v[4:5], v[4:5], v[6:7]
	s_waitcnt vmcnt(0)
	v_add_f64 v[4:5], v[80:81], -v[4:5]
	v_add_f64 v[6:7], v[82:83], -v[10:11]
	scratch_store_dwordx4 off, v[4:7], off offset:48
	s_and_saveexec_b64 s[2:3], vcc
	s_cbranch_execz .LBB86_147
; %bb.146:
	scratch_load_dwordx4 v[6:9], off, s39
	v_mov_b32_e32 v3, v2
	v_mov_b32_e32 v4, v2
	;; [unrolled: 1-line block ×3, first 2 shown]
	scratch_store_dwordx4 off, v[2:5], off offset:32
	s_waitcnt vmcnt(1)
	ds_write_b128 v106, v[6:9]
.LBB86_147:
	s_or_b64 exec, exec, s[2:3]
	s_waitcnt lgkmcnt(0)
	; wave barrier
	scratch_load_dwordx4 v[4:7], off, off offset:48
	scratch_load_dwordx4 v[8:11], off, off offset:64
	;; [unrolled: 1-line block ×20, first 2 shown]
	ds_read_b128 v[84:87], v2 offset:416
	ds_read_b128 v[88:91], v2 offset:432
	;; [unrolled: 1-line block ×20, first 2 shown]
	scratch_load_dwordx4 v[214:217], off, off offset:32
	v_cmp_lt_u32_e32 vcc, 1, v1
	s_waitcnt vmcnt(20) lgkmcnt(14)
	v_mul_f64 v[2:3], v[84:85], v[6:7]
	s_waitcnt vmcnt(19)
	v_mul_f64 v[104:105], v[88:89], v[10:11]
	v_fmac_f64_e32 v[2:3], v[86:87], v[4:5]
	s_waitcnt vmcnt(18)
	v_mul_f64 v[218:219], v[92:93], v[14:15]
	v_fmac_f64_e32 v[104:105], v[90:91], v[8:9]
	v_add_f64 v[2:3], v[2:3], 0
	s_waitcnt vmcnt(17)
	v_mul_f64 v[220:221], v[96:97], v[18:19]
	v_fmac_f64_e32 v[218:219], v[94:95], v[12:13]
	v_add_f64 v[2:3], v[2:3], v[104:105]
	;; [unrolled: 4-line block ×4, first 2 shown]
	s_waitcnt vmcnt(14) lgkmcnt(13)
	v_mul_f64 v[226:227], v[112:113], v[30:31]
	v_fmac_f64_e32 v[224:225], v[110:111], v[24:25]
	v_add_f64 v[2:3], v[2:3], v[222:223]
	s_waitcnt vmcnt(13) lgkmcnt(12)
	v_mul_f64 v[228:229], v[116:117], v[34:35]
	v_fmac_f64_e32 v[226:227], v[114:115], v[28:29]
	v_add_f64 v[2:3], v[2:3], v[224:225]
	;; [unrolled: 4-line block ×14, first 2 shown]
	v_add_f64 v[2:3], v[2:3], v[250:251]
	v_fmac_f64_e32 v[252:253], v[212:213], v[80:81]
	v_add_f64 v[104:105], v[2:3], v[252:253]
	v_mul_f64 v[2:3], v[86:87], v[6:7]
	v_fma_f64 v[2:3], v[84:85], v[4:5], -v[2:3]
	v_mul_f64 v[4:5], v[90:91], v[10:11]
	v_add_f64 v[2:3], v[2:3], 0
	v_fma_f64 v[4:5], v[88:89], v[8:9], -v[4:5]
	v_add_f64 v[2:3], v[2:3], v[4:5]
	v_mul_f64 v[4:5], v[94:95], v[14:15]
	v_fma_f64 v[4:5], v[92:93], v[12:13], -v[4:5]
	v_add_f64 v[2:3], v[2:3], v[4:5]
	v_mul_f64 v[4:5], v[98:99], v[18:19]
	;; [unrolled: 3-line block ×18, first 2 shown]
	v_fma_f64 v[4:5], v[210:211], v[80:81], -v[4:5]
	v_add_f64 v[2:3], v[2:3], v[4:5]
	s_waitcnt vmcnt(0)
	v_add_f64 v[2:3], v[214:215], -v[2:3]
	v_add_f64 v[4:5], v[216:217], -v[104:105]
	scratch_store_dwordx4 off, v[2:5], off offset:32
	s_and_saveexec_b64 s[2:3], vcc
	s_cbranch_execz .LBB86_149
; %bb.148:
	scratch_load_dwordx4 v[2:5], off, s40
	v_mov_b32_e32 v6, 0
	v_mov_b32_e32 v7, v6
	;; [unrolled: 1-line block ×4, first 2 shown]
	scratch_store_dwordx4 off, v[6:9], off offset:16
	s_waitcnt vmcnt(1)
	ds_write_b128 v106, v[2:5]
.LBB86_149:
	s_or_b64 exec, exec, s[2:3]
	v_mov_b32_e32 v2, 0
	s_waitcnt lgkmcnt(0)
	; wave barrier
	ds_read_b128 v[16:19], v2 offset:400
	ds_read_b128 v[12:15], v2 offset:416
	;; [unrolled: 1-line block ×4, first 2 shown]
	scratch_load_dwordx4 v[20:23], off, off offset:32
	scratch_load_dwordx4 v[40:43], off, off offset:96
	;; [unrolled: 1-line block ×15, first 2 shown]
	v_cmp_ne_u32_e32 vcc, 0, v1
	scratch_load_dwordx4 v[48:51], off, off offset:112
	scratch_load_dwordx4 v[56:59], off, off offset:128
	;; [unrolled: 1-line block ×3, first 2 shown]
	s_waitcnt vmcnt(17) lgkmcnt(3)
	v_mul_f64 v[24:25], v[16:17], v[22:23]
	v_fmac_f64_e32 v[24:25], v[18:19], v[20:21]
	v_add_f64 v[28:29], v[24:25], 0
	scratch_load_dwordx4 v[24:27], off, off offset:48
	v_mul_f64 v[18:19], v[18:19], v[22:23]
	v_fma_f64 v[16:17], v[16:17], v[20:21], -v[18:19]
	v_add_f64 v[16:17], v[16:17], 0
	s_waitcnt vmcnt(0) lgkmcnt(2)
	v_mul_f64 v[30:31], v[12:13], v[26:27]
	v_fmac_f64_e32 v[30:31], v[14:15], v[24:25]
	v_add_f64 v[32:33], v[28:29], v[30:31]
	scratch_load_dwordx4 v[28:31], off, off offset:64
	v_mul_f64 v[14:15], v[14:15], v[26:27]
	v_fma_f64 v[12:13], v[12:13], v[24:25], -v[14:15]
	v_add_f64 v[12:13], v[16:17], v[12:13]
	;; [unrolled: 8-line block ×3, first 2 shown]
	s_waitcnt vmcnt(0) lgkmcnt(0)
	v_mul_f64 v[38:39], v[4:5], v[34:35]
	v_fmac_f64_e32 v[38:39], v[6:7], v[32:33]
	v_add_f64 v[44:45], v[36:37], v[38:39]
	ds_read_b128 v[36:39], v2 offset:464
	v_mul_f64 v[6:7], v[6:7], v[34:35]
	v_fma_f64 v[4:5], v[4:5], v[32:33], -v[6:7]
	v_add_f64 v[4:5], v[8:9], v[4:5]
	s_waitcnt lgkmcnt(0)
	v_mul_f64 v[46:47], v[36:37], v[42:43]
	v_fmac_f64_e32 v[46:47], v[38:39], v[40:41]
	v_add_f64 v[52:53], v[44:45], v[46:47]
	ds_read_b128 v[44:47], v2 offset:480
	v_mul_f64 v[6:7], v[38:39], v[42:43]
	v_fma_f64 v[6:7], v[36:37], v[40:41], -v[6:7]
	v_add_f64 v[4:5], v[4:5], v[6:7]
	s_waitcnt lgkmcnt(0)
	;; [unrolled: 8-line block ×17, first 2 shown]
	v_mul_f64 v[6:7], v[216:217], v[220:221]
	v_fma_f64 v[6:7], v[214:215], v[218:219], -v[6:7]
	v_add_f64 v[8:9], v[4:5], v[6:7]
	scratch_load_dwordx4 v[4:7], off, off offset:16
	v_mul_f64 v[222:223], v[214:215], v[220:221]
	v_fmac_f64_e32 v[222:223], v[216:217], v[218:219]
	v_add_f64 v[104:105], v[104:105], v[222:223]
	s_waitcnt vmcnt(0)
	v_add_f64 v[4:5], v[4:5], -v[8:9]
	v_add_f64 v[6:7], v[6:7], -v[104:105]
	scratch_store_dwordx4 off, v[4:7], off offset:16
	s_and_saveexec_b64 s[2:3], vcc
	s_cbranch_execz .LBB86_151
; %bb.150:
	scratch_load_dwordx4 v[6:9], off, off
	v_mov_b32_e32 v3, v2
	v_mov_b32_e32 v4, v2
	;; [unrolled: 1-line block ×3, first 2 shown]
	scratch_store_dwordx4 off, v[2:5], off
	s_waitcnt vmcnt(1)
	ds_write_b128 v106, v[6:9]
.LBB86_151:
	s_or_b64 exec, exec, s[2:3]
	s_waitcnt lgkmcnt(0)
	; wave barrier
	ds_read_b128 v[16:19], v2 offset:384
	ds_read_b128 v[12:15], v2 offset:400
	;; [unrolled: 1-line block ×4, first 2 shown]
	scratch_load_dwordx4 v[20:23], off, off offset:16
	scratch_load_dwordx4 v[40:43], off, off offset:80
	;; [unrolled: 1-line block ×16, first 2 shown]
	s_and_b64 vcc, exec, s[14:15]
	scratch_load_dwordx4 v[48:51], off, off offset:96
	scratch_load_dwordx4 v[56:59], off, off offset:112
	;; [unrolled: 1-line block ×3, first 2 shown]
	s_waitcnt vmcnt(18) lgkmcnt(3)
	v_mul_f64 v[24:25], v[16:17], v[22:23]
	v_fmac_f64_e32 v[24:25], v[18:19], v[20:21]
	v_add_f64 v[28:29], v[24:25], 0
	scratch_load_dwordx4 v[24:27], off, off offset:32
	s_waitcnt vmcnt(0) lgkmcnt(2)
	v_mul_f64 v[30:31], v[12:13], v[26:27]
	v_fmac_f64_e32 v[30:31], v[14:15], v[24:25]
	v_add_f64 v[32:33], v[28:29], v[30:31]
	scratch_load_dwordx4 v[28:31], off, off offset:48
	v_mul_f64 v[14:15], v[14:15], v[26:27]
	v_fma_f64 v[12:13], v[12:13], v[24:25], -v[14:15]
	s_waitcnt vmcnt(0) lgkmcnt(1)
	v_mul_f64 v[34:35], v[8:9], v[30:31]
	v_fmac_f64_e32 v[34:35], v[10:11], v[28:29]
	v_add_f64 v[36:37], v[32:33], v[34:35]
	scratch_load_dwordx4 v[32:35], off, off offset:64
	v_mul_f64 v[10:11], v[10:11], v[30:31]
	v_fma_f64 v[8:9], v[8:9], v[28:29], -v[10:11]
	s_waitcnt vmcnt(0) lgkmcnt(0)
	v_mul_f64 v[38:39], v[4:5], v[34:35]
	v_fmac_f64_e32 v[38:39], v[6:7], v[32:33]
	v_add_f64 v[44:45], v[36:37], v[38:39]
	ds_read_b128 v[36:39], v2 offset:448
	v_mul_f64 v[6:7], v[6:7], v[34:35]
	v_fma_f64 v[4:5], v[4:5], v[32:33], -v[6:7]
	s_waitcnt lgkmcnt(0)
	v_mul_f64 v[46:47], v[36:37], v[42:43]
	v_fmac_f64_e32 v[46:47], v[38:39], v[40:41]
	v_add_f64 v[52:53], v[44:45], v[46:47]
	ds_read_b128 v[44:47], v2 offset:464
	s_waitcnt lgkmcnt(0)
	v_mul_f64 v[54:55], v[44:45], v[50:51]
	v_fmac_f64_e32 v[54:55], v[46:47], v[48:49]
	v_add_f64 v[60:61], v[52:53], v[54:55]
	ds_read_b128 v[52:55], v2 offset:480
	;; [unrolled: 5-line block ×17, first 2 shown]
	s_waitcnt lgkmcnt(0)
	v_mul_f64 v[2:3], v[220:221], v[226:227]
	v_fmac_f64_e32 v[2:3], v[222:223], v[224:225]
	v_add_f64 v[166:167], v[166:167], v[2:3]
	v_mul_f64 v[2:3], v[18:19], v[22:23]
	v_fma_f64 v[2:3], v[16:17], v[20:21], -v[2:3]
	v_add_f64 v[2:3], v[2:3], 0
	v_add_f64 v[2:3], v[2:3], v[12:13]
	;; [unrolled: 1-line block ×4, first 2 shown]
	v_mul_f64 v[4:5], v[38:39], v[42:43]
	v_fma_f64 v[4:5], v[36:37], v[40:41], -v[4:5]
	v_add_f64 v[2:3], v[2:3], v[4:5]
	v_mul_f64 v[4:5], v[46:47], v[50:51]
	v_fma_f64 v[4:5], v[44:45], v[48:49], -v[4:5]
	v_add_f64 v[2:3], v[2:3], v[4:5]
	;; [unrolled: 3-line block ×18, first 2 shown]
	scratch_load_dwordx4 v[2:5], off, off
	s_waitcnt vmcnt(0)
	v_add_f64 v[2:3], v[2:3], -v[6:7]
	v_add_f64 v[4:5], v[4:5], -v[166:167]
	scratch_store_dwordx4 off, v[2:5], off
	s_cbranch_vccz .LBB86_196
; %bb.152:
	s_nop 0
	v_mov_b32_e32 v2, 0
	global_load_dword v3, v2, s[12:13] offset:84
	s_load_dwordx2 s[2:3], s[0:1], 0x4
	v_bfe_u32 v4, v0, 10, 10
	v_bfe_u32 v0, v0, 20, 10
	s_waitcnt lgkmcnt(0)
	s_lshr_b32 s0, s2, 16
	s_mul_i32 s0, s0, s3
	v_mul_u32_u24_e32 v1, s0, v1
	v_mul_u32_u24_e32 v4, s3, v4
	v_add3_u32 v0, v1, v4, v0
	v_mov_b32_e32 v1, 0x2e8
	v_lshl_add_u32 v0, v0, 4, v1
	s_waitcnt vmcnt(0)
	v_readfirstlane_b32 s0, v3
	s_add_i32 s0, s0, -1
	s_cmp_lg_u32 s0, 21
	s_cbranch_scc0 .LBB86_154
; %bb.153:
	s_lshl_b32 s0, s0, 4
	scratch_load_dwordx4 v[4:7], off, s19
	scratch_load_dwordx4 v[8:11], off, s0
	s_waitcnt vmcnt(1)
	ds_write2_b64 v0, v[4:5], v[6:7] offset1:1
	s_waitcnt vmcnt(0)
	scratch_store_dwordx4 off, v[8:11], s19
	scratch_store_dwordx4 off, v[4:7], s0
.LBB86_154:
	global_load_dword v1, v2, s[12:13] offset:80
	s_waitcnt vmcnt(0)
	v_readfirstlane_b32 s0, v1
	s_add_i32 s0, s0, -1
	s_cmp_eq_u32 s0, 20
	s_cbranch_scc1 .LBB86_156
; %bb.155:
	s_lshl_b32 s0, s0, 4
	scratch_load_dwordx4 v[2:5], off, s20
	scratch_load_dwordx4 v[6:9], off, s0
	s_waitcnt vmcnt(1)
	ds_write2_b64 v0, v[2:3], v[4:5] offset1:1
	s_waitcnt vmcnt(0)
	scratch_store_dwordx4 off, v[6:9], s20
	scratch_store_dwordx4 off, v[2:5], s0
.LBB86_156:
	v_mov_b32_e32 v1, 0
	global_load_dword v2, v1, s[12:13] offset:76
	s_waitcnt vmcnt(0)
	v_readfirstlane_b32 s0, v2
	s_add_i32 s0, s0, -1
	s_cmp_eq_u32 s0, 19
	s_cbranch_scc1 .LBB86_158
; %bb.157:
	s_lshl_b32 s0, s0, 4
	scratch_load_dwordx4 v[2:5], off, s21
	scratch_load_dwordx4 v[6:9], off, s0
	s_waitcnt vmcnt(1)
	ds_write2_b64 v0, v[2:3], v[4:5] offset1:1
	s_waitcnt vmcnt(0)
	scratch_store_dwordx4 off, v[6:9], s21
	scratch_store_dwordx4 off, v[2:5], s0
.LBB86_158:
	global_load_dword v1, v1, s[12:13] offset:72
	s_waitcnt vmcnt(0)
	v_readfirstlane_b32 s0, v1
	s_add_i32 s0, s0, -1
	s_cmp_eq_u32 s0, 18
	s_cbranch_scc1 .LBB86_160
; %bb.159:
	s_lshl_b32 s0, s0, 4
	scratch_load_dwordx4 v[2:5], off, s22
	scratch_load_dwordx4 v[6:9], off, s0
	s_waitcnt vmcnt(1)
	ds_write2_b64 v0, v[2:3], v[4:5] offset1:1
	s_waitcnt vmcnt(0)
	scratch_store_dwordx4 off, v[6:9], s22
	scratch_store_dwordx4 off, v[2:5], s0
.LBB86_160:
	v_mov_b32_e32 v1, 0
	global_load_dword v2, v1, s[12:13] offset:68
	s_waitcnt vmcnt(0)
	v_readfirstlane_b32 s0, v2
	s_add_i32 s0, s0, -1
	s_cmp_eq_u32 s0, 17
	s_cbranch_scc1 .LBB86_162
; %bb.161:
	s_lshl_b32 s0, s0, 4
	scratch_load_dwordx4 v[2:5], off, s23
	scratch_load_dwordx4 v[6:9], off, s0
	s_waitcnt vmcnt(1)
	ds_write2_b64 v0, v[2:3], v[4:5] offset1:1
	s_waitcnt vmcnt(0)
	scratch_store_dwordx4 off, v[6:9], s23
	scratch_store_dwordx4 off, v[2:5], s0
.LBB86_162:
	;; [unrolled: 33-line block ×10, first 2 shown]
	global_load_dword v1, v1, s[12:13]
	s_waitcnt vmcnt(0)
	v_readfirstlane_b32 s0, v1
	s_add_i32 s0, s0, -1
	s_cmp_eq_u32 s0, 0
	s_cbranch_scc1 .LBB86_196
; %bb.195:
	s_lshl_b32 s0, s0, 4
	scratch_load_dwordx4 v[2:5], off, off
	scratch_load_dwordx4 v[6:9], off, s0
	s_waitcnt vmcnt(1)
	ds_write2_b64 v0, v[2:3], v[4:5] offset1:1
	s_waitcnt vmcnt(0)
	scratch_store_dwordx4 off, v[6:9], off
	scratch_store_dwordx4 off, v[2:5], s0
.LBB86_196:
	scratch_load_dwordx4 v[0:3], off, off
	s_waitcnt vmcnt(0)
	flat_store_dwordx4 v[120:121], v[0:3]
	scratch_load_dwordx4 v[0:3], off, s40
	s_waitcnt vmcnt(0)
	flat_store_dwordx4 v[122:123], v[0:3]
	scratch_load_dwordx4 v[0:3], off, s39
	;; [unrolled: 3-line block ×22, first 2 shown]
	s_waitcnt vmcnt(0)
	flat_store_dwordx4 v[164:165], v[0:3]
	s_endpgm
	.section	.rodata,"a",@progbits
	.p2align	6, 0x0
	.amdhsa_kernel _ZN9rocsolver6v33100L18getri_kernel_smallILi23E19rocblas_complex_numIdEPKPS3_EEvT1_iilPiilS8_bb
		.amdhsa_group_segment_fixed_size 1768
		.amdhsa_private_segment_fixed_size 384
		.amdhsa_kernarg_size 60
		.amdhsa_user_sgpr_count 4
		.amdhsa_user_sgpr_dispatch_ptr 1
		.amdhsa_user_sgpr_queue_ptr 0
		.amdhsa_user_sgpr_kernarg_segment_ptr 1
		.amdhsa_user_sgpr_dispatch_id 0
		.amdhsa_user_sgpr_kernarg_preload_length 0
		.amdhsa_user_sgpr_kernarg_preload_offset 0
		.amdhsa_user_sgpr_private_segment_size 0
		.amdhsa_uses_dynamic_stack 0
		.amdhsa_enable_private_segment 1
		.amdhsa_system_sgpr_workgroup_id_x 1
		.amdhsa_system_sgpr_workgroup_id_y 0
		.amdhsa_system_sgpr_workgroup_id_z 0
		.amdhsa_system_sgpr_workgroup_info 0
		.amdhsa_system_vgpr_workitem_id 2
		.amdhsa_next_free_vgpr 254
		.amdhsa_next_free_sgpr 46
		.amdhsa_accum_offset 256
		.amdhsa_reserve_vcc 1
		.amdhsa_float_round_mode_32 0
		.amdhsa_float_round_mode_16_64 0
		.amdhsa_float_denorm_mode_32 3
		.amdhsa_float_denorm_mode_16_64 3
		.amdhsa_dx10_clamp 1
		.amdhsa_ieee_mode 1
		.amdhsa_fp16_overflow 0
		.amdhsa_tg_split 0
		.amdhsa_exception_fp_ieee_invalid_op 0
		.amdhsa_exception_fp_denorm_src 0
		.amdhsa_exception_fp_ieee_div_zero 0
		.amdhsa_exception_fp_ieee_overflow 0
		.amdhsa_exception_fp_ieee_underflow 0
		.amdhsa_exception_fp_ieee_inexact 0
		.amdhsa_exception_int_div_zero 0
	.end_amdhsa_kernel
	.section	.text._ZN9rocsolver6v33100L18getri_kernel_smallILi23E19rocblas_complex_numIdEPKPS3_EEvT1_iilPiilS8_bb,"axG",@progbits,_ZN9rocsolver6v33100L18getri_kernel_smallILi23E19rocblas_complex_numIdEPKPS3_EEvT1_iilPiilS8_bb,comdat
.Lfunc_end86:
	.size	_ZN9rocsolver6v33100L18getri_kernel_smallILi23E19rocblas_complex_numIdEPKPS3_EEvT1_iilPiilS8_bb, .Lfunc_end86-_ZN9rocsolver6v33100L18getri_kernel_smallILi23E19rocblas_complex_numIdEPKPS3_EEvT1_iilPiilS8_bb
                                        ; -- End function
	.set _ZN9rocsolver6v33100L18getri_kernel_smallILi23E19rocblas_complex_numIdEPKPS3_EEvT1_iilPiilS8_bb.num_vgpr, 254
	.set _ZN9rocsolver6v33100L18getri_kernel_smallILi23E19rocblas_complex_numIdEPKPS3_EEvT1_iilPiilS8_bb.num_agpr, 0
	.set _ZN9rocsolver6v33100L18getri_kernel_smallILi23E19rocblas_complex_numIdEPKPS3_EEvT1_iilPiilS8_bb.numbered_sgpr, 46
	.set _ZN9rocsolver6v33100L18getri_kernel_smallILi23E19rocblas_complex_numIdEPKPS3_EEvT1_iilPiilS8_bb.num_named_barrier, 0
	.set _ZN9rocsolver6v33100L18getri_kernel_smallILi23E19rocblas_complex_numIdEPKPS3_EEvT1_iilPiilS8_bb.private_seg_size, 384
	.set _ZN9rocsolver6v33100L18getri_kernel_smallILi23E19rocblas_complex_numIdEPKPS3_EEvT1_iilPiilS8_bb.uses_vcc, 1
	.set _ZN9rocsolver6v33100L18getri_kernel_smallILi23E19rocblas_complex_numIdEPKPS3_EEvT1_iilPiilS8_bb.uses_flat_scratch, 0
	.set _ZN9rocsolver6v33100L18getri_kernel_smallILi23E19rocblas_complex_numIdEPKPS3_EEvT1_iilPiilS8_bb.has_dyn_sized_stack, 0
	.set _ZN9rocsolver6v33100L18getri_kernel_smallILi23E19rocblas_complex_numIdEPKPS3_EEvT1_iilPiilS8_bb.has_recursion, 0
	.set _ZN9rocsolver6v33100L18getri_kernel_smallILi23E19rocblas_complex_numIdEPKPS3_EEvT1_iilPiilS8_bb.has_indirect_call, 0
	.section	.AMDGPU.csdata,"",@progbits
; Kernel info:
; codeLenInByte = 27360
; TotalNumSgprs: 52
; NumVgprs: 254
; NumAgprs: 0
; TotalNumVgprs: 254
; ScratchSize: 384
; MemoryBound: 0
; FloatMode: 240
; IeeeMode: 1
; LDSByteSize: 1768 bytes/workgroup (compile time only)
; SGPRBlocks: 6
; VGPRBlocks: 31
; NumSGPRsForWavesPerEU: 52
; NumVGPRsForWavesPerEU: 254
; AccumOffset: 256
; Occupancy: 2
; WaveLimiterHint : 1
; COMPUTE_PGM_RSRC2:SCRATCH_EN: 1
; COMPUTE_PGM_RSRC2:USER_SGPR: 4
; COMPUTE_PGM_RSRC2:TRAP_HANDLER: 0
; COMPUTE_PGM_RSRC2:TGID_X_EN: 1
; COMPUTE_PGM_RSRC2:TGID_Y_EN: 0
; COMPUTE_PGM_RSRC2:TGID_Z_EN: 0
; COMPUTE_PGM_RSRC2:TIDIG_COMP_CNT: 2
; COMPUTE_PGM_RSRC3_GFX90A:ACCUM_OFFSET: 63
; COMPUTE_PGM_RSRC3_GFX90A:TG_SPLIT: 0
	.section	.text._ZN9rocsolver6v33100L18getri_kernel_smallILi24E19rocblas_complex_numIdEPKPS3_EEvT1_iilPiilS8_bb,"axG",@progbits,_ZN9rocsolver6v33100L18getri_kernel_smallILi24E19rocblas_complex_numIdEPKPS3_EEvT1_iilPiilS8_bb,comdat
	.globl	_ZN9rocsolver6v33100L18getri_kernel_smallILi24E19rocblas_complex_numIdEPKPS3_EEvT1_iilPiilS8_bb ; -- Begin function _ZN9rocsolver6v33100L18getri_kernel_smallILi24E19rocblas_complex_numIdEPKPS3_EEvT1_iilPiilS8_bb
	.p2align	8
	.type	_ZN9rocsolver6v33100L18getri_kernel_smallILi24E19rocblas_complex_numIdEPKPS3_EEvT1_iilPiilS8_bb,@function
_ZN9rocsolver6v33100L18getri_kernel_smallILi24E19rocblas_complex_numIdEPKPS3_EEvT1_iilPiilS8_bb: ; @_ZN9rocsolver6v33100L18getri_kernel_smallILi24E19rocblas_complex_numIdEPKPS3_EEvT1_iilPiilS8_bb
; %bb.0:
	v_and_b32_e32 v1, 0x3ff, v0
	v_cmp_gt_u32_e32 vcc, 24, v1
	s_and_saveexec_b64 s[6:7], vcc
	s_cbranch_execz .LBB87_110
; %bb.1:
	s_load_dword s18, s[2:3], 0x38
	s_load_dwordx2 s[6:7], s[2:3], 0x0
	s_load_dwordx4 s[8:11], s[2:3], 0x28
	s_waitcnt lgkmcnt(0)
	s_bitcmp1_b32 s18, 8
	s_cselect_b64 s[14:15], -1, 0
	s_ashr_i32 s5, s4, 31
	s_lshl_b64 s[12:13], s[4:5], 3
	s_add_u32 s6, s6, s12
	s_addc_u32 s7, s7, s13
	s_load_dwordx2 s[16:17], s[6:7], 0x0
	s_bfe_u32 s6, s18, 0x10008
	s_cmp_eq_u32 s6, 0
                                        ; implicit-def: $sgpr12_sgpr13
	s_cbranch_scc1 .LBB87_3
; %bb.2:
	s_load_dword s6, s[2:3], 0x20
	s_load_dwordx2 s[12:13], s[2:3], 0x18
	s_mul_i32 s7, s8, s5
	s_mul_hi_u32 s18, s8, s4
	s_add_i32 s18, s18, s7
	s_mul_i32 s9, s9, s4
	s_add_i32 s9, s18, s9
	s_mul_i32 s8, s8, s4
	s_waitcnt lgkmcnt(0)
	s_ashr_i32 s7, s6, 31
	s_lshl_b64 s[8:9], s[8:9], 2
	s_add_u32 s8, s12, s8
	s_addc_u32 s9, s13, s9
	s_lshl_b64 s[6:7], s[6:7], 2
	s_add_u32 s12, s8, s6
	s_addc_u32 s13, s9, s7
.LBB87_3:
	s_load_dwordx2 s[6:7], s[2:3], 0x8
	s_load_dword s8, s[2:3], 0x38
	v_lshlrev_b32_e32 v14, 4, v1
	v_mov_b32_e32 v15, 0
	s_movk_i32 s42, 0x120
	s_waitcnt lgkmcnt(0)
	s_ashr_i32 s3, s6, 31
	s_mov_b32 s2, s6
	s_lshl_b64 s[2:3], s[2:3], 4
	s_add_u32 s2, s16, s2
	s_addc_u32 s3, s17, s3
	v_lshl_add_u64 v[126:127], s[2:3], 0, v[14:15]
	flat_load_dwordx4 v[2:5], v[126:127]
	s_mov_b32 s16, s7
	s_ashr_i32 s17, s7, 31
	v_lshl_add_u64 v[128:129], s[16:17], 4, v[126:127]
	s_add_i32 s6, s7, s7
	v_add_u32_e32 v6, s6, v1
	v_ashrrev_i32_e32 v7, 31, v6
	v_lshl_add_u64 v[130:131], v[6:7], 4, s[2:3]
	v_add_u32_e32 v6, s7, v6
	v_ashrrev_i32_e32 v7, 31, v6
	v_lshl_add_u64 v[132:133], v[6:7], 4, s[2:3]
	;; [unrolled: 3-line block ×22, first 2 shown]
	s_movk_i32 s43, 0x130
	s_movk_i32 s44, 0x140
	;; [unrolled: 1-line block ×9, first 2 shown]
	s_waitcnt vmcnt(0) lgkmcnt(0)
	scratch_store_dwordx4 off, v[2:5], off
	flat_load_dwordx4 v[2:5], v[128:129]
	s_movk_i32 s33, 0x90
	s_movk_i32 s31, 0xa0
	;; [unrolled: 1-line block ×9, first 2 shown]
	s_mov_b32 s41, 16
	s_mov_b32 s40, 32
	s_mov_b32 s39, 48
	s_mov_b32 s38, 64
	s_mov_b32 s23, s42
	s_mov_b32 s22, s43
	s_mov_b32 s21, s44
	s_mov_b32 s20, s45
	s_mov_b32 s19, s46
	s_mov_b32 s18, s47
	s_bitcmp0_b32 s8, 0
	s_mov_b64 s[6:7], -1
	s_waitcnt vmcnt(0) lgkmcnt(0)
	scratch_store_dwordx4 off, v[2:5], off offset:16
	flat_load_dwordx4 v[2:5], v[130:131]
	s_waitcnt vmcnt(0) lgkmcnt(0)
	scratch_store_dwordx4 off, v[2:5], off offset:32
	flat_load_dwordx4 v[2:5], v[132:133]
	;; [unrolled: 3-line block ×22, first 2 shown]
	s_waitcnt vmcnt(0) lgkmcnt(0)
	scratch_store_dwordx4 off, v[2:5], off offset:368
	s_cbranch_scc1 .LBB87_108
; %bb.4:
	v_cmp_eq_u32_e64 s[2:3], 0, v1
	s_and_saveexec_b64 s[6:7], s[2:3]
; %bb.5:
	v_mov_b32_e32 v2, 0
	ds_write_b32 v2, v2 offset:768
; %bb.6:
	s_or_b64 exec, exec, s[6:7]
	s_waitcnt lgkmcnt(0)
	; wave barrier
	scratch_load_dwordx4 v[2:5], v14, off
	s_waitcnt vmcnt(0)
	v_cmp_eq_f64_e32 vcc, 0, v[2:3]
	v_cmp_eq_f64_e64 s[6:7], 0, v[4:5]
	s_and_b64 s[6:7], vcc, s[6:7]
	s_and_saveexec_b64 s[8:9], s[6:7]
	s_cbranch_execz .LBB87_10
; %bb.7:
	v_mov_b32_e32 v2, 0
	ds_read_b32 v4, v2 offset:768
	v_add_u32_e32 v3, 1, v1
	s_waitcnt lgkmcnt(0)
	v_readfirstlane_b32 s6, v4
	s_cmp_eq_u32 s6, 0
	s_cselect_b64 s[16:17], -1, 0
	v_cmp_gt_i32_e32 vcc, s6, v3
	s_or_b64 s[16:17], s[16:17], vcc
	s_and_b64 exec, exec, s[16:17]
	s_cbranch_execz .LBB87_10
; %bb.8:
	s_mov_b64 s[16:17], 0
	v_mov_b32_e32 v4, s6
.LBB87_9:                               ; =>This Inner Loop Header: Depth=1
	ds_cmpst_rtn_b32 v4, v2, v4, v3 offset:768
	s_waitcnt lgkmcnt(0)
	v_cmp_ne_u32_e32 vcc, 0, v4
	v_cmp_le_i32_e64 s[6:7], v4, v3
	s_and_b64 s[6:7], vcc, s[6:7]
	s_and_b64 s[6:7], exec, s[6:7]
	s_or_b64 s[16:17], s[6:7], s[16:17]
	s_andn2_b64 exec, exec, s[16:17]
	s_cbranch_execnz .LBB87_9
.LBB87_10:
	s_or_b64 exec, exec, s[8:9]
	v_mov_b32_e32 v3, 0
	; wave barrier
	ds_read_b32 v2, v3 offset:768
	s_and_saveexec_b64 s[6:7], s[2:3]
	s_cbranch_execz .LBB87_12
; %bb.11:
	s_lshl_b64 s[8:9], s[4:5], 2
	s_add_u32 s8, s10, s8
	s_addc_u32 s9, s11, s9
	s_waitcnt lgkmcnt(0)
	global_store_dword v3, v2, s[8:9]
.LBB87_12:
	s_or_b64 exec, exec, s[6:7]
	s_waitcnt lgkmcnt(0)
	v_cmp_ne_u32_e32 vcc, 0, v2
	s_mov_b64 s[6:7], 0
	s_cbranch_vccnz .LBB87_108
; %bb.13:
	v_mov_b32_e32 v15, v14
	scratch_load_dwordx4 v[2:5], v15, off
                                        ; implicit-def: $vgpr6_vgpr7
                                        ; implicit-def: $vgpr10_vgpr11
	s_waitcnt vmcnt(0)
	v_cmp_ngt_f64_e64 s[6:7], |v[2:3]|, |v[4:5]|
	s_and_saveexec_b64 s[8:9], s[6:7]
	s_xor_b64 s[6:7], exec, s[8:9]
	s_cbranch_execz .LBB87_15
; %bb.14:
	v_div_scale_f64 v[6:7], s[8:9], v[4:5], v[4:5], v[2:3]
	v_rcp_f64_e32 v[8:9], v[6:7]
	v_div_scale_f64 v[10:11], vcc, v[2:3], v[4:5], v[2:3]
	v_fma_f64 v[12:13], -v[6:7], v[8:9], 1.0
	v_fmac_f64_e32 v[8:9], v[8:9], v[12:13]
	v_fma_f64 v[12:13], -v[6:7], v[8:9], 1.0
	v_fmac_f64_e32 v[8:9], v[8:9], v[12:13]
	v_mul_f64 v[12:13], v[10:11], v[8:9]
	v_fma_f64 v[6:7], -v[6:7], v[12:13], v[10:11]
	v_div_fmas_f64 v[6:7], v[6:7], v[8:9], v[12:13]
	v_div_fixup_f64 v[6:7], v[6:7], v[4:5], v[2:3]
	v_fmac_f64_e32 v[4:5], v[2:3], v[6:7]
	v_div_scale_f64 v[2:3], s[8:9], v[4:5], v[4:5], 1.0
	v_rcp_f64_e32 v[8:9], v[2:3]
	s_nop 0
	v_fma_f64 v[10:11], -v[2:3], v[8:9], 1.0
	v_fmac_f64_e32 v[8:9], v[8:9], v[10:11]
	v_fma_f64 v[10:11], -v[2:3], v[8:9], 1.0
	v_fmac_f64_e32 v[8:9], v[8:9], v[10:11]
	v_div_scale_f64 v[10:11], vcc, 1.0, v[4:5], 1.0
	v_mul_f64 v[12:13], v[10:11], v[8:9]
	v_fma_f64 v[2:3], -v[2:3], v[12:13], v[10:11]
	s_nop 1
	v_div_fmas_f64 v[2:3], v[2:3], v[8:9], v[12:13]
	v_div_fixup_f64 v[8:9], v[2:3], v[4:5], 1.0
	v_mul_f64 v[6:7], v[6:7], v[8:9]
	v_xor_b32_e32 v9, 0x80000000, v9
	v_xor_b32_e32 v11, 0x80000000, v7
	v_mov_b32_e32 v10, v6
                                        ; implicit-def: $vgpr2_vgpr3
.LBB87_15:
	s_andn2_saveexec_b64 s[6:7], s[6:7]
	s_cbranch_execz .LBB87_17
; %bb.16:
	v_div_scale_f64 v[6:7], s[8:9], v[2:3], v[2:3], v[4:5]
	v_rcp_f64_e32 v[8:9], v[6:7]
	v_div_scale_f64 v[10:11], vcc, v[4:5], v[2:3], v[4:5]
	v_fma_f64 v[12:13], -v[6:7], v[8:9], 1.0
	v_fmac_f64_e32 v[8:9], v[8:9], v[12:13]
	v_fma_f64 v[12:13], -v[6:7], v[8:9], 1.0
	v_fmac_f64_e32 v[8:9], v[8:9], v[12:13]
	v_mul_f64 v[12:13], v[10:11], v[8:9]
	v_fma_f64 v[6:7], -v[6:7], v[12:13], v[10:11]
	v_div_fmas_f64 v[6:7], v[6:7], v[8:9], v[12:13]
	v_div_fixup_f64 v[8:9], v[6:7], v[2:3], v[4:5]
	v_fmac_f64_e32 v[2:3], v[4:5], v[8:9]
	v_div_scale_f64 v[4:5], s[8:9], v[2:3], v[2:3], 1.0
	v_rcp_f64_e32 v[6:7], v[4:5]
	s_nop 0
	v_fma_f64 v[10:11], -v[4:5], v[6:7], 1.0
	v_fmac_f64_e32 v[6:7], v[6:7], v[10:11]
	v_fma_f64 v[10:11], -v[4:5], v[6:7], 1.0
	v_fmac_f64_e32 v[6:7], v[6:7], v[10:11]
	v_div_scale_f64 v[10:11], vcc, 1.0, v[2:3], 1.0
	v_mul_f64 v[12:13], v[10:11], v[6:7]
	v_fma_f64 v[4:5], -v[4:5], v[12:13], v[10:11]
	s_nop 1
	v_div_fmas_f64 v[4:5], v[4:5], v[6:7], v[12:13]
	v_div_fixup_f64 v[6:7], v[4:5], v[2:3], 1.0
	v_xor_b32_e32 v11, 0x80000000, v7
	v_mov_b32_e32 v10, v6
	v_mul_f64 v[8:9], v[8:9], -v[6:7]
.LBB87_17:
	s_or_b64 exec, exec, s[6:7]
	scratch_store_dwordx4 v15, v[6:9], off
	scratch_load_dwordx4 v[2:5], off, s41
	v_xor_b32_e32 v13, 0x80000000, v9
	v_mov_b32_e32 v12, v8
	v_add_u32_e32 v6, 0x180, v14
	ds_write_b128 v14, v[10:13]
	s_waitcnt vmcnt(0)
	ds_write_b128 v14, v[2:5] offset:384
	s_waitcnt lgkmcnt(0)
	; wave barrier
	s_and_saveexec_b64 s[6:7], s[2:3]
	s_cbranch_execz .LBB87_19
; %bb.18:
	scratch_load_dwordx4 v[2:5], v15, off
	ds_read_b128 v[8:11], v6
	v_mov_b32_e32 v7, 0
	ds_read_b128 v[16:19], v7 offset:16
	s_waitcnt vmcnt(0) lgkmcnt(1)
	v_mul_f64 v[12:13], v[10:11], v[4:5]
	v_mul_f64 v[4:5], v[8:9], v[4:5]
	v_fma_f64 v[8:9], v[8:9], v[2:3], -v[12:13]
	v_fmac_f64_e32 v[4:5], v[10:11], v[2:3]
	v_add_f64 v[2:3], v[8:9], 0
	v_add_f64 v[8:9], v[4:5], 0
	s_waitcnt lgkmcnt(0)
	v_mul_f64 v[10:11], v[8:9], v[18:19]
	v_mul_f64 v[4:5], v[2:3], v[18:19]
	v_fma_f64 v[2:3], v[2:3], v[16:17], -v[10:11]
	v_fmac_f64_e32 v[4:5], v[8:9], v[16:17]
	scratch_store_dwordx4 off, v[2:5], off offset:16
.LBB87_19:
	s_or_b64 exec, exec, s[6:7]
	; wave barrier
	scratch_load_dwordx4 v[2:5], off, s40
	v_cmp_gt_u32_e32 vcc, 2, v1
	s_waitcnt vmcnt(0)
	ds_write_b128 v6, v[2:5]
	s_waitcnt lgkmcnt(0)
	; wave barrier
	s_and_saveexec_b64 s[6:7], vcc
	s_cbranch_execz .LBB87_23
; %bb.20:
	scratch_load_dwordx4 v[2:5], v15, off
	ds_read_b128 v[8:11], v6
	s_waitcnt vmcnt(0) lgkmcnt(0)
	v_mul_f64 v[12:13], v[10:11], v[4:5]
	v_mul_f64 v[16:17], v[8:9], v[4:5]
	v_fma_f64 v[4:5], v[8:9], v[2:3], -v[12:13]
	v_fmac_f64_e32 v[16:17], v[10:11], v[2:3]
	v_add_f64 v[4:5], v[4:5], 0
	v_add_f64 v[2:3], v[16:17], 0
	s_and_saveexec_b64 s[8:9], s[2:3]
	s_cbranch_execz .LBB87_22
; %bb.21:
	scratch_load_dwordx4 v[8:11], off, off offset:16
	v_mov_b32_e32 v7, 0
	ds_read_b128 v[16:19], v7 offset:400
	s_waitcnt vmcnt(0) lgkmcnt(0)
	v_mul_f64 v[12:13], v[16:17], v[10:11]
	v_mul_f64 v[10:11], v[18:19], v[10:11]
	v_fmac_f64_e32 v[12:13], v[18:19], v[8:9]
	v_fma_f64 v[8:9], v[16:17], v[8:9], -v[10:11]
	v_add_f64 v[2:3], v[2:3], v[12:13]
	v_add_f64 v[4:5], v[4:5], v[8:9]
.LBB87_22:
	s_or_b64 exec, exec, s[8:9]
	v_mov_b32_e32 v7, 0
	ds_read_b128 v[8:11], v7 offset:32
	s_waitcnt lgkmcnt(0)
	v_mul_f64 v[16:17], v[2:3], v[10:11]
	v_mul_f64 v[12:13], v[4:5], v[10:11]
	v_fma_f64 v[10:11], v[4:5], v[8:9], -v[16:17]
	v_fmac_f64_e32 v[12:13], v[2:3], v[8:9]
	scratch_store_dwordx4 off, v[10:13], off offset:32
.LBB87_23:
	s_or_b64 exec, exec, s[6:7]
	; wave barrier
	scratch_load_dwordx4 v[2:5], off, s39
	v_cmp_gt_u32_e32 vcc, 3, v1
	v_add_u32_e32 v7, -1, v1
	s_waitcnt vmcnt(0)
	ds_write_b128 v6, v[2:5]
	s_waitcnt lgkmcnt(0)
	; wave barrier
	s_and_saveexec_b64 s[2:3], vcc
	s_cbranch_execz .LBB87_27
; %bb.24:
	v_add_u32_e32 v8, -1, v1
	v_add_u32_e32 v9, 0x180, v14
	v_mov_b32_e32 v10, v14
	v_mov_b64_e32 v[2:3], 0
	s_mov_b64 s[6:7], 0
	v_mov_b64_e32 v[4:5], 0
.LBB87_25:                              ; =>This Inner Loop Header: Depth=1
	scratch_load_dwordx4 v[16:19], v10, off
	ds_read_b128 v[20:23], v9
	v_add_u32_e32 v8, 1, v8
	v_cmp_lt_u32_e32 vcc, 1, v8
	v_add_u32_e32 v9, 16, v9
	v_add_u32_e32 v10, 16, v10
	s_or_b64 s[6:7], vcc, s[6:7]
	s_waitcnt vmcnt(0) lgkmcnt(0)
	v_mul_f64 v[12:13], v[22:23], v[18:19]
	v_mul_f64 v[18:19], v[20:21], v[18:19]
	v_fma_f64 v[12:13], v[20:21], v[16:17], -v[12:13]
	v_fmac_f64_e32 v[18:19], v[22:23], v[16:17]
	v_add_f64 v[4:5], v[4:5], v[12:13]
	v_add_f64 v[2:3], v[2:3], v[18:19]
	s_andn2_b64 exec, exec, s[6:7]
	s_cbranch_execnz .LBB87_25
; %bb.26:
	s_or_b64 exec, exec, s[6:7]
	v_mov_b32_e32 v8, 0
	ds_read_b128 v[8:11], v8 offset:48
	s_waitcnt lgkmcnt(0)
	v_mul_f64 v[16:17], v[2:3], v[10:11]
	v_mul_f64 v[12:13], v[4:5], v[10:11]
	v_fma_f64 v[10:11], v[4:5], v[8:9], -v[16:17]
	v_fmac_f64_e32 v[12:13], v[2:3], v[8:9]
	scratch_store_dwordx4 off, v[10:13], off offset:48
.LBB87_27:
	s_or_b64 exec, exec, s[2:3]
	; wave barrier
	scratch_load_dwordx4 v[2:5], off, s38
	v_cmp_gt_u32_e32 vcc, 4, v1
	s_waitcnt vmcnt(0)
	ds_write_b128 v6, v[2:5]
	s_waitcnt lgkmcnt(0)
	; wave barrier
	s_and_saveexec_b64 s[2:3], vcc
	s_cbranch_execz .LBB87_31
; %bb.28:
	v_add_u32_e32 v8, -1, v1
	v_add_u32_e32 v9, 0x180, v14
	v_mov_b32_e32 v10, v14
	v_mov_b64_e32 v[2:3], 0
	s_mov_b64 s[6:7], 0
	v_mov_b64_e32 v[4:5], 0
.LBB87_29:                              ; =>This Inner Loop Header: Depth=1
	scratch_load_dwordx4 v[16:19], v10, off
	ds_read_b128 v[20:23], v9
	v_add_u32_e32 v8, 1, v8
	v_cmp_lt_u32_e32 vcc, 2, v8
	v_add_u32_e32 v9, 16, v9
	v_add_u32_e32 v10, 16, v10
	s_or_b64 s[6:7], vcc, s[6:7]
	s_waitcnt vmcnt(0) lgkmcnt(0)
	v_mul_f64 v[12:13], v[22:23], v[18:19]
	v_mul_f64 v[18:19], v[20:21], v[18:19]
	v_fma_f64 v[12:13], v[20:21], v[16:17], -v[12:13]
	v_fmac_f64_e32 v[18:19], v[22:23], v[16:17]
	v_add_f64 v[4:5], v[4:5], v[12:13]
	v_add_f64 v[2:3], v[2:3], v[18:19]
	s_andn2_b64 exec, exec, s[6:7]
	s_cbranch_execnz .LBB87_29
; %bb.30:
	s_or_b64 exec, exec, s[6:7]
	v_mov_b32_e32 v8, 0
	ds_read_b128 v[8:11], v8 offset:64
	s_waitcnt lgkmcnt(0)
	v_mul_f64 v[16:17], v[2:3], v[10:11]
	v_mul_f64 v[12:13], v[4:5], v[10:11]
	v_fma_f64 v[10:11], v[4:5], v[8:9], -v[16:17]
	v_fmac_f64_e32 v[12:13], v[2:3], v[8:9]
	scratch_store_dwordx4 off, v[10:13], off offset:64
.LBB87_31:
	s_or_b64 exec, exec, s[2:3]
	; wave barrier
	scratch_load_dwordx4 v[2:5], off, s37
	v_cmp_gt_u32_e32 vcc, 5, v1
	;; [unrolled: 45-line block ×19, first 2 shown]
	s_waitcnt vmcnt(0)
	ds_write_b128 v6, v[2:5]
	s_waitcnt lgkmcnt(0)
	; wave barrier
	s_and_saveexec_b64 s[2:3], vcc
	s_cbranch_execz .LBB87_103
; %bb.100:
	v_add_u32_e32 v8, -1, v1
	v_add_u32_e32 v9, 0x180, v14
	v_mov_b32_e32 v10, v14
	v_mov_b64_e32 v[2:3], 0
	s_mov_b64 s[6:7], 0
	v_mov_b64_e32 v[4:5], 0
.LBB87_101:                             ; =>This Inner Loop Header: Depth=1
	scratch_load_dwordx4 v[16:19], v10, off
	ds_read_b128 v[20:23], v9
	v_add_u32_e32 v8, 1, v8
	v_cmp_lt_u32_e32 vcc, 20, v8
	v_add_u32_e32 v9, 16, v9
	v_add_u32_e32 v10, 16, v10
	s_or_b64 s[6:7], vcc, s[6:7]
	s_waitcnt vmcnt(0) lgkmcnt(0)
	v_mul_f64 v[12:13], v[22:23], v[18:19]
	v_mul_f64 v[18:19], v[20:21], v[18:19]
	v_fma_f64 v[12:13], v[20:21], v[16:17], -v[12:13]
	v_fmac_f64_e32 v[18:19], v[22:23], v[16:17]
	v_add_f64 v[4:5], v[4:5], v[12:13]
	v_add_f64 v[2:3], v[2:3], v[18:19]
	s_andn2_b64 exec, exec, s[6:7]
	s_cbranch_execnz .LBB87_101
; %bb.102:
	s_or_b64 exec, exec, s[6:7]
	v_mov_b32_e32 v8, 0
	ds_read_b128 v[8:11], v8 offset:352
	s_waitcnt lgkmcnt(0)
	v_mul_f64 v[16:17], v[2:3], v[10:11]
	v_mul_f64 v[12:13], v[4:5], v[10:11]
	v_fma_f64 v[10:11], v[4:5], v[8:9], -v[16:17]
	v_fmac_f64_e32 v[12:13], v[2:3], v[8:9]
	scratch_store_dwordx4 off, v[10:13], off offset:352
.LBB87_103:
	s_or_b64 exec, exec, s[2:3]
	; wave barrier
	scratch_load_dwordx4 v[2:5], off, s18
	v_cmp_ne_u32_e32 vcc, 23, v1
	s_waitcnt vmcnt(0)
	ds_write_b128 v6, v[2:5]
	s_waitcnt lgkmcnt(0)
	; wave barrier
	s_and_saveexec_b64 s[2:3], vcc
	s_cbranch_execz .LBB87_107
; %bb.104:
	v_add_u32_e32 v6, 0x180, v14
	v_mov_b32_e32 v8, v14
	v_mov_b64_e32 v[2:3], 0
	s_mov_b64 s[6:7], 0
	v_mov_b64_e32 v[4:5], 0
.LBB87_105:                             ; =>This Inner Loop Header: Depth=1
	scratch_load_dwordx4 v[10:13], v8, off
	ds_read_b128 v[14:17], v6
	v_add_u32_e32 v7, 1, v7
	v_cmp_lt_u32_e32 vcc, 21, v7
	v_add_u32_e32 v6, 16, v6
	v_add_u32_e32 v8, 16, v8
	s_or_b64 s[6:7], vcc, s[6:7]
	s_waitcnt vmcnt(0) lgkmcnt(0)
	v_mul_f64 v[18:19], v[16:17], v[12:13]
	v_mul_f64 v[12:13], v[14:15], v[12:13]
	v_fma_f64 v[14:15], v[14:15], v[10:11], -v[18:19]
	v_fmac_f64_e32 v[12:13], v[16:17], v[10:11]
	v_add_f64 v[4:5], v[4:5], v[14:15]
	v_add_f64 v[2:3], v[2:3], v[12:13]
	s_andn2_b64 exec, exec, s[6:7]
	s_cbranch_execnz .LBB87_105
; %bb.106:
	s_or_b64 exec, exec, s[6:7]
	v_mov_b32_e32 v6, 0
	ds_read_b128 v[6:9], v6 offset:368
	s_waitcnt lgkmcnt(0)
	v_mul_f64 v[12:13], v[2:3], v[8:9]
	v_mul_f64 v[10:11], v[4:5], v[8:9]
	v_fma_f64 v[8:9], v[4:5], v[6:7], -v[12:13]
	v_fmac_f64_e32 v[10:11], v[2:3], v[6:7]
	scratch_store_dwordx4 off, v[8:11], off offset:368
.LBB87_107:
	s_or_b64 exec, exec, s[2:3]
	s_mov_b64 s[6:7], -1
	; wave barrier
.LBB87_108:
	s_and_b64 vcc, exec, s[6:7]
	s_cbranch_vccz .LBB87_110
; %bb.109:
	s_lshl_b64 s[2:3], s[4:5], 2
	s_add_u32 s2, s10, s2
	s_addc_u32 s3, s11, s3
	v_mov_b32_e32 v2, 0
	global_load_dword v2, v2, s[2:3]
	s_waitcnt vmcnt(0)
	v_cmp_ne_u32_e32 vcc, 0, v2
	s_cbranch_vccz .LBB87_111
.LBB87_110:
	s_endpgm
.LBB87_111:
	v_mov_b32_e32 v2, 0x180
	v_lshl_add_u32 v122, v1, 4, v2
	v_cmp_eq_u32_e32 vcc, 23, v1
	s_and_saveexec_b64 s[2:3], vcc
	s_cbranch_execz .LBB87_113
; %bb.112:
	scratch_load_dwordx4 v[2:5], off, s19
	v_mov_b32_e32 v6, 0
	v_mov_b32_e32 v7, v6
	;; [unrolled: 1-line block ×4, first 2 shown]
	scratch_store_dwordx4 off, v[6:9], off offset:352
	s_waitcnt vmcnt(1)
	ds_write_b128 v122, v[2:5]
.LBB87_113:
	s_or_b64 exec, exec, s[2:3]
	s_waitcnt lgkmcnt(0)
	; wave barrier
	scratch_load_dwordx4 v[4:7], off, off offset:368
	scratch_load_dwordx4 v[8:11], off, off offset:352
	v_mov_b32_e32 v2, 0
	ds_read_b128 v[12:15], v2 offset:752
	v_cmp_lt_u32_e32 vcc, 21, v1
	s_waitcnt vmcnt(1) lgkmcnt(0)
	v_mul_f64 v[16:17], v[12:13], v[6:7]
	v_mul_f64 v[6:7], v[14:15], v[6:7]
	v_fmac_f64_e32 v[16:17], v[14:15], v[4:5]
	v_fma_f64 v[4:5], v[12:13], v[4:5], -v[6:7]
	v_add_f64 v[6:7], v[16:17], 0
	v_add_f64 v[4:5], v[4:5], 0
	s_waitcnt vmcnt(0)
	v_add_f64 v[4:5], v[8:9], -v[4:5]
	v_add_f64 v[6:7], v[10:11], -v[6:7]
	scratch_store_dwordx4 off, v[4:7], off offset:352
	s_and_saveexec_b64 s[2:3], vcc
	s_cbranch_execz .LBB87_115
; %bb.114:
	scratch_load_dwordx4 v[6:9], off, s20
	v_mov_b32_e32 v3, v2
	v_mov_b32_e32 v4, v2
	;; [unrolled: 1-line block ×3, first 2 shown]
	scratch_store_dwordx4 off, v[2:5], off offset:336
	s_waitcnt vmcnt(1)
	ds_write_b128 v122, v[6:9]
.LBB87_115:
	s_or_b64 exec, exec, s[2:3]
	s_waitcnt lgkmcnt(0)
	; wave barrier
	scratch_load_dwordx4 v[4:7], off, off offset:352
	scratch_load_dwordx4 v[8:11], off, off offset:368
	;; [unrolled: 1-line block ×3, first 2 shown]
	ds_read_b128 v[16:19], v2 offset:736
	ds_read_b128 v[20:23], v2 offset:752
	v_cmp_lt_u32_e32 vcc, 20, v1
	s_waitcnt vmcnt(2) lgkmcnt(1)
	v_mul_f64 v[2:3], v[16:17], v[6:7]
	v_mul_f64 v[6:7], v[18:19], v[6:7]
	s_waitcnt vmcnt(1) lgkmcnt(0)
	v_mul_f64 v[24:25], v[20:21], v[10:11]
	v_mul_f64 v[10:11], v[22:23], v[10:11]
	v_fmac_f64_e32 v[2:3], v[18:19], v[4:5]
	v_fma_f64 v[4:5], v[16:17], v[4:5], -v[6:7]
	v_fmac_f64_e32 v[24:25], v[22:23], v[8:9]
	v_fma_f64 v[6:7], v[20:21], v[8:9], -v[10:11]
	v_add_f64 v[2:3], v[2:3], 0
	v_add_f64 v[4:5], v[4:5], 0
	;; [unrolled: 1-line block ×4, first 2 shown]
	s_waitcnt vmcnt(0)
	v_add_f64 v[2:3], v[12:13], -v[2:3]
	v_add_f64 v[4:5], v[14:15], -v[8:9]
	scratch_store_dwordx4 off, v[2:5], off offset:336
	s_and_saveexec_b64 s[2:3], vcc
	s_cbranch_execz .LBB87_117
; %bb.116:
	scratch_load_dwordx4 v[2:5], off, s21
	v_mov_b32_e32 v6, 0
	v_mov_b32_e32 v7, v6
	;; [unrolled: 1-line block ×4, first 2 shown]
	scratch_store_dwordx4 off, v[6:9], off offset:320
	s_waitcnt vmcnt(1)
	ds_write_b128 v122, v[2:5]
.LBB87_117:
	s_or_b64 exec, exec, s[2:3]
	s_waitcnt lgkmcnt(0)
	; wave barrier
	scratch_load_dwordx4 v[4:7], off, off offset:336
	scratch_load_dwordx4 v[8:11], off, off offset:352
	scratch_load_dwordx4 v[12:15], off, off offset:368
	scratch_load_dwordx4 v[16:19], off, off offset:320
	v_mov_b32_e32 v2, 0
	ds_read_b128 v[20:23], v2 offset:720
	ds_read_b128 v[24:27], v2 offset:736
	;; [unrolled: 1-line block ×3, first 2 shown]
	v_cmp_lt_u32_e32 vcc, 19, v1
	s_waitcnt vmcnt(3) lgkmcnt(2)
	v_mul_f64 v[32:33], v[20:21], v[6:7]
	v_mul_f64 v[6:7], v[22:23], v[6:7]
	s_waitcnt vmcnt(2) lgkmcnt(1)
	v_mul_f64 v[34:35], v[24:25], v[10:11]
	v_mul_f64 v[10:11], v[26:27], v[10:11]
	v_fmac_f64_e32 v[32:33], v[22:23], v[4:5]
	v_fma_f64 v[4:5], v[20:21], v[4:5], -v[6:7]
	s_waitcnt vmcnt(1) lgkmcnt(0)
	v_mul_f64 v[36:37], v[28:29], v[14:15]
	v_mul_f64 v[14:15], v[30:31], v[14:15]
	v_fmac_f64_e32 v[34:35], v[26:27], v[8:9]
	v_fma_f64 v[6:7], v[24:25], v[8:9], -v[10:11]
	v_add_f64 v[10:11], v[32:33], 0
	v_add_f64 v[4:5], v[4:5], 0
	v_fmac_f64_e32 v[36:37], v[30:31], v[12:13]
	v_fma_f64 v[8:9], v[28:29], v[12:13], -v[14:15]
	v_add_f64 v[10:11], v[10:11], v[34:35]
	v_add_f64 v[4:5], v[4:5], v[6:7]
	;; [unrolled: 1-line block ×4, first 2 shown]
	s_waitcnt vmcnt(0)
	v_add_f64 v[4:5], v[16:17], -v[4:5]
	v_add_f64 v[6:7], v[18:19], -v[6:7]
	scratch_store_dwordx4 off, v[4:7], off offset:320
	s_and_saveexec_b64 s[2:3], vcc
	s_cbranch_execz .LBB87_119
; %bb.118:
	scratch_load_dwordx4 v[6:9], off, s22
	v_mov_b32_e32 v3, v2
	v_mov_b32_e32 v4, v2
	;; [unrolled: 1-line block ×3, first 2 shown]
	scratch_store_dwordx4 off, v[2:5], off offset:304
	s_waitcnt vmcnt(1)
	ds_write_b128 v122, v[6:9]
.LBB87_119:
	s_or_b64 exec, exec, s[2:3]
	s_waitcnt lgkmcnt(0)
	; wave barrier
	scratch_load_dwordx4 v[4:7], off, off offset:320
	scratch_load_dwordx4 v[8:11], off, off offset:336
	;; [unrolled: 1-line block ×5, first 2 shown]
	ds_read_b128 v[24:27], v2 offset:704
	ds_read_b128 v[28:31], v2 offset:720
	;; [unrolled: 1-line block ×4, first 2 shown]
	v_cmp_lt_u32_e32 vcc, 18, v1
	s_waitcnt vmcnt(4) lgkmcnt(3)
	v_mul_f64 v[2:3], v[24:25], v[6:7]
	v_mul_f64 v[6:7], v[26:27], v[6:7]
	s_waitcnt vmcnt(3) lgkmcnt(2)
	v_mul_f64 v[40:41], v[28:29], v[10:11]
	v_mul_f64 v[10:11], v[30:31], v[10:11]
	v_fmac_f64_e32 v[2:3], v[26:27], v[4:5]
	v_fma_f64 v[4:5], v[24:25], v[4:5], -v[6:7]
	s_waitcnt vmcnt(2) lgkmcnt(1)
	v_mul_f64 v[42:43], v[32:33], v[14:15]
	v_mul_f64 v[14:15], v[34:35], v[14:15]
	v_fmac_f64_e32 v[40:41], v[30:31], v[8:9]
	v_fma_f64 v[6:7], v[28:29], v[8:9], -v[10:11]
	v_add_f64 v[2:3], v[2:3], 0
	v_add_f64 v[4:5], v[4:5], 0
	s_waitcnt vmcnt(1) lgkmcnt(0)
	v_mul_f64 v[44:45], v[36:37], v[18:19]
	v_mul_f64 v[18:19], v[38:39], v[18:19]
	v_fmac_f64_e32 v[42:43], v[34:35], v[12:13]
	v_fma_f64 v[8:9], v[32:33], v[12:13], -v[14:15]
	v_add_f64 v[2:3], v[2:3], v[40:41]
	v_add_f64 v[4:5], v[4:5], v[6:7]
	v_fmac_f64_e32 v[44:45], v[38:39], v[16:17]
	v_fma_f64 v[10:11], v[36:37], v[16:17], -v[18:19]
	v_add_f64 v[2:3], v[2:3], v[42:43]
	v_add_f64 v[4:5], v[4:5], v[8:9]
	v_add_f64 v[6:7], v[2:3], v[44:45]
	v_add_f64 v[2:3], v[4:5], v[10:11]
	s_waitcnt vmcnt(0)
	v_add_f64 v[2:3], v[20:21], -v[2:3]
	v_add_f64 v[4:5], v[22:23], -v[6:7]
	scratch_store_dwordx4 off, v[2:5], off offset:304
	s_and_saveexec_b64 s[2:3], vcc
	s_cbranch_execz .LBB87_121
; %bb.120:
	scratch_load_dwordx4 v[2:5], off, s23
	v_mov_b32_e32 v6, 0
	v_mov_b32_e32 v7, v6
	;; [unrolled: 1-line block ×4, first 2 shown]
	scratch_store_dwordx4 off, v[6:9], off offset:288
	s_waitcnt vmcnt(1)
	ds_write_b128 v122, v[2:5]
.LBB87_121:
	s_or_b64 exec, exec, s[2:3]
	s_waitcnt lgkmcnt(0)
	; wave barrier
	scratch_load_dwordx4 v[4:7], off, off offset:304
	scratch_load_dwordx4 v[8:11], off, off offset:320
	;; [unrolled: 1-line block ×6, first 2 shown]
	v_mov_b32_e32 v2, 0
	ds_read_b128 v[28:31], v2 offset:688
	ds_read_b128 v[32:35], v2 offset:704
	;; [unrolled: 1-line block ×5, first 2 shown]
	v_cmp_lt_u32_e32 vcc, 17, v1
	s_waitcnt vmcnt(5) lgkmcnt(4)
	v_mul_f64 v[48:49], v[28:29], v[6:7]
	v_mul_f64 v[6:7], v[30:31], v[6:7]
	s_waitcnt vmcnt(4) lgkmcnt(3)
	v_mul_f64 v[50:51], v[32:33], v[10:11]
	s_waitcnt vmcnt(3) lgkmcnt(2)
	v_mul_f64 v[52:53], v[36:37], v[14:15]
	v_mul_f64 v[10:11], v[34:35], v[10:11]
	;; [unrolled: 1-line block ×3, first 2 shown]
	v_fmac_f64_e32 v[48:49], v[30:31], v[4:5]
	v_fma_f64 v[4:5], v[28:29], v[4:5], -v[6:7]
	v_fmac_f64_e32 v[50:51], v[34:35], v[8:9]
	v_fma_f64 v[6:7], v[32:33], v[8:9], -v[10:11]
	v_fma_f64 v[8:9], v[36:37], v[12:13], -v[14:15]
	v_add_f64 v[14:15], v[48:49], 0
	v_add_f64 v[4:5], v[4:5], 0
	s_waitcnt vmcnt(2) lgkmcnt(1)
	v_mul_f64 v[54:55], v[40:41], v[18:19]
	v_mul_f64 v[18:19], v[42:43], v[18:19]
	v_fmac_f64_e32 v[52:53], v[38:39], v[12:13]
	v_add_f64 v[14:15], v[14:15], v[50:51]
	v_add_f64 v[4:5], v[4:5], v[6:7]
	s_waitcnt vmcnt(1) lgkmcnt(0)
	v_mul_f64 v[56:57], v[44:45], v[22:23]
	v_mul_f64 v[22:23], v[46:47], v[22:23]
	v_fmac_f64_e32 v[54:55], v[42:43], v[16:17]
	v_fma_f64 v[10:11], v[40:41], v[16:17], -v[18:19]
	v_add_f64 v[6:7], v[14:15], v[52:53]
	v_add_f64 v[4:5], v[4:5], v[8:9]
	v_fmac_f64_e32 v[56:57], v[46:47], v[20:21]
	v_fma_f64 v[12:13], v[44:45], v[20:21], -v[22:23]
	v_add_f64 v[6:7], v[6:7], v[54:55]
	v_add_f64 v[4:5], v[4:5], v[10:11]
	;; [unrolled: 1-line block ×4, first 2 shown]
	s_waitcnt vmcnt(0)
	v_add_f64 v[4:5], v[24:25], -v[4:5]
	v_add_f64 v[6:7], v[26:27], -v[6:7]
	scratch_store_dwordx4 off, v[4:7], off offset:288
	s_and_saveexec_b64 s[2:3], vcc
	s_cbranch_execz .LBB87_123
; %bb.122:
	scratch_load_dwordx4 v[6:9], off, s24
	v_mov_b32_e32 v3, v2
	v_mov_b32_e32 v4, v2
	;; [unrolled: 1-line block ×3, first 2 shown]
	scratch_store_dwordx4 off, v[2:5], off offset:272
	s_waitcnt vmcnt(1)
	ds_write_b128 v122, v[6:9]
.LBB87_123:
	s_or_b64 exec, exec, s[2:3]
	s_waitcnt lgkmcnt(0)
	; wave barrier
	scratch_load_dwordx4 v[4:7], off, off offset:288
	scratch_load_dwordx4 v[8:11], off, off offset:304
	;; [unrolled: 1-line block ×7, first 2 shown]
	ds_read_b128 v[32:35], v2 offset:672
	ds_read_b128 v[36:39], v2 offset:688
	;; [unrolled: 1-line block ×6, first 2 shown]
	v_cmp_lt_u32_e32 vcc, 16, v1
	s_waitcnt vmcnt(6) lgkmcnt(5)
	v_mul_f64 v[2:3], v[32:33], v[6:7]
	v_mul_f64 v[6:7], v[34:35], v[6:7]
	s_waitcnt vmcnt(5) lgkmcnt(4)
	v_mul_f64 v[56:57], v[36:37], v[10:11]
	v_mul_f64 v[10:11], v[38:39], v[10:11]
	v_fmac_f64_e32 v[2:3], v[34:35], v[4:5]
	v_fma_f64 v[4:5], v[32:33], v[4:5], -v[6:7]
	s_waitcnt vmcnt(4) lgkmcnt(3)
	v_mul_f64 v[58:59], v[40:41], v[14:15]
	v_mul_f64 v[14:15], v[42:43], v[14:15]
	v_fmac_f64_e32 v[56:57], v[38:39], v[8:9]
	v_fma_f64 v[6:7], v[36:37], v[8:9], -v[10:11]
	v_add_f64 v[2:3], v[2:3], 0
	v_add_f64 v[4:5], v[4:5], 0
	s_waitcnt vmcnt(3) lgkmcnt(2)
	v_mul_f64 v[60:61], v[44:45], v[18:19]
	v_mul_f64 v[18:19], v[46:47], v[18:19]
	v_fmac_f64_e32 v[58:59], v[42:43], v[12:13]
	v_fma_f64 v[8:9], v[40:41], v[12:13], -v[14:15]
	v_add_f64 v[2:3], v[2:3], v[56:57]
	v_add_f64 v[4:5], v[4:5], v[6:7]
	s_waitcnt vmcnt(2) lgkmcnt(1)
	v_mul_f64 v[62:63], v[48:49], v[22:23]
	v_mul_f64 v[22:23], v[50:51], v[22:23]
	v_fmac_f64_e32 v[60:61], v[46:47], v[16:17]
	v_fma_f64 v[10:11], v[44:45], v[16:17], -v[18:19]
	v_add_f64 v[2:3], v[2:3], v[58:59]
	v_add_f64 v[4:5], v[4:5], v[8:9]
	s_waitcnt vmcnt(1) lgkmcnt(0)
	v_mul_f64 v[64:65], v[52:53], v[26:27]
	v_mul_f64 v[26:27], v[54:55], v[26:27]
	v_fmac_f64_e32 v[62:63], v[50:51], v[20:21]
	v_fma_f64 v[12:13], v[48:49], v[20:21], -v[22:23]
	v_add_f64 v[2:3], v[2:3], v[60:61]
	v_add_f64 v[4:5], v[4:5], v[10:11]
	v_fmac_f64_e32 v[64:65], v[54:55], v[24:25]
	v_fma_f64 v[14:15], v[52:53], v[24:25], -v[26:27]
	v_add_f64 v[2:3], v[2:3], v[62:63]
	v_add_f64 v[4:5], v[4:5], v[12:13]
	;; [unrolled: 1-line block ×4, first 2 shown]
	s_waitcnt vmcnt(0)
	v_add_f64 v[2:3], v[28:29], -v[2:3]
	v_add_f64 v[4:5], v[30:31], -v[6:7]
	scratch_store_dwordx4 off, v[2:5], off offset:272
	s_and_saveexec_b64 s[2:3], vcc
	s_cbranch_execz .LBB87_125
; %bb.124:
	scratch_load_dwordx4 v[2:5], off, s25
	v_mov_b32_e32 v6, 0
	v_mov_b32_e32 v7, v6
	;; [unrolled: 1-line block ×4, first 2 shown]
	scratch_store_dwordx4 off, v[6:9], off offset:256
	s_waitcnt vmcnt(1)
	ds_write_b128 v122, v[2:5]
.LBB87_125:
	s_or_b64 exec, exec, s[2:3]
	s_waitcnt lgkmcnt(0)
	; wave barrier
	scratch_load_dwordx4 v[4:7], off, off offset:272
	scratch_load_dwordx4 v[8:11], off, off offset:288
	;; [unrolled: 1-line block ×8, first 2 shown]
	v_mov_b32_e32 v2, 0
	ds_read_b128 v[36:39], v2 offset:656
	ds_read_b128 v[40:43], v2 offset:672
	;; [unrolled: 1-line block ×7, first 2 shown]
	v_cmp_lt_u32_e32 vcc, 15, v1
	s_waitcnt vmcnt(7) lgkmcnt(6)
	v_mul_f64 v[64:65], v[36:37], v[6:7]
	v_mul_f64 v[6:7], v[38:39], v[6:7]
	s_waitcnt vmcnt(6) lgkmcnt(5)
	v_mul_f64 v[66:67], v[40:41], v[10:11]
	s_waitcnt vmcnt(4) lgkmcnt(3)
	v_mul_f64 v[70:71], v[48:49], v[18:19]
	v_mul_f64 v[10:11], v[42:43], v[10:11]
	;; [unrolled: 1-line block ×3, first 2 shown]
	v_fmac_f64_e32 v[64:65], v[38:39], v[4:5]
	v_fma_f64 v[4:5], v[36:37], v[4:5], -v[6:7]
	v_mul_f64 v[68:69], v[44:45], v[14:15]
	v_mul_f64 v[14:15], v[46:47], v[14:15]
	v_fmac_f64_e32 v[66:67], v[42:43], v[8:9]
	v_fma_f64 v[6:7], v[40:41], v[8:9], -v[10:11]
	v_fma_f64 v[10:11], v[48:49], v[16:17], -v[18:19]
	v_add_f64 v[18:19], v[64:65], 0
	v_add_f64 v[4:5], v[4:5], 0
	v_fmac_f64_e32 v[68:69], v[46:47], v[12:13]
	v_fma_f64 v[8:9], v[44:45], v[12:13], -v[14:15]
	v_add_f64 v[18:19], v[18:19], v[66:67]
	v_add_f64 v[4:5], v[4:5], v[6:7]
	s_waitcnt vmcnt(3) lgkmcnt(2)
	v_mul_f64 v[72:73], v[52:53], v[22:23]
	v_mul_f64 v[22:23], v[54:55], v[22:23]
	v_fmac_f64_e32 v[70:71], v[50:51], v[16:17]
	v_add_f64 v[6:7], v[18:19], v[68:69]
	v_add_f64 v[4:5], v[4:5], v[8:9]
	s_waitcnt vmcnt(2) lgkmcnt(1)
	v_mul_f64 v[74:75], v[56:57], v[26:27]
	v_mul_f64 v[26:27], v[58:59], v[26:27]
	v_fmac_f64_e32 v[72:73], v[54:55], v[20:21]
	v_fma_f64 v[12:13], v[52:53], v[20:21], -v[22:23]
	v_add_f64 v[6:7], v[6:7], v[70:71]
	v_add_f64 v[4:5], v[4:5], v[10:11]
	s_waitcnt vmcnt(1) lgkmcnt(0)
	v_mul_f64 v[76:77], v[60:61], v[30:31]
	v_mul_f64 v[30:31], v[62:63], v[30:31]
	v_fmac_f64_e32 v[74:75], v[58:59], v[24:25]
	v_fma_f64 v[14:15], v[56:57], v[24:25], -v[26:27]
	v_add_f64 v[6:7], v[6:7], v[72:73]
	v_add_f64 v[4:5], v[4:5], v[12:13]
	v_fmac_f64_e32 v[76:77], v[62:63], v[28:29]
	v_fma_f64 v[16:17], v[60:61], v[28:29], -v[30:31]
	v_add_f64 v[6:7], v[6:7], v[74:75]
	v_add_f64 v[4:5], v[4:5], v[14:15]
	;; [unrolled: 1-line block ×4, first 2 shown]
	s_waitcnt vmcnt(0)
	v_add_f64 v[4:5], v[32:33], -v[4:5]
	v_add_f64 v[6:7], v[34:35], -v[6:7]
	scratch_store_dwordx4 off, v[4:7], off offset:256
	s_and_saveexec_b64 s[2:3], vcc
	s_cbranch_execz .LBB87_127
; %bb.126:
	scratch_load_dwordx4 v[6:9], off, s26
	v_mov_b32_e32 v3, v2
	v_mov_b32_e32 v4, v2
	;; [unrolled: 1-line block ×3, first 2 shown]
	scratch_store_dwordx4 off, v[2:5], off offset:240
	s_waitcnt vmcnt(1)
	ds_write_b128 v122, v[6:9]
.LBB87_127:
	s_or_b64 exec, exec, s[2:3]
	s_waitcnt lgkmcnt(0)
	; wave barrier
	ds_read_b128 v[4:7], v2 offset:640
	ds_read_b128 v[8:11], v2 offset:656
	;; [unrolled: 1-line block ×4, first 2 shown]
	scratch_load_dwordx4 v[20:23], off, off offset:256
	scratch_load_dwordx4 v[40:43], off, off offset:320
	v_cmp_lt_u32_e32 vcc, 14, v1
	scratch_load_dwordx4 v[48:51], off, off offset:336
	scratch_load_dwordx4 v[56:59], off, off offset:352
	;; [unrolled: 1-line block ×3, first 2 shown]
	s_waitcnt vmcnt(4) lgkmcnt(3)
	v_mul_f64 v[24:25], v[4:5], v[22:23]
	v_fmac_f64_e32 v[24:25], v[6:7], v[20:21]
	v_add_f64 v[28:29], v[24:25], 0
	scratch_load_dwordx4 v[24:27], off, off offset:272
	s_waitcnt vmcnt(0) lgkmcnt(2)
	v_mul_f64 v[30:31], v[8:9], v[26:27]
	v_fmac_f64_e32 v[30:31], v[10:11], v[24:25]
	v_add_f64 v[32:33], v[28:29], v[30:31]
	scratch_load_dwordx4 v[28:31], off, off offset:288
	;; [unrolled: 5-line block ×3, first 2 shown]
	s_waitcnt vmcnt(0) lgkmcnt(0)
	v_mul_f64 v[38:39], v[16:17], v[34:35]
	v_fmac_f64_e32 v[38:39], v[18:19], v[32:33]
	v_add_f64 v[44:45], v[36:37], v[38:39]
	ds_read_b128 v[36:39], v2 offset:704
	s_waitcnt lgkmcnt(0)
	v_mul_f64 v[46:47], v[36:37], v[42:43]
	v_fmac_f64_e32 v[46:47], v[38:39], v[40:41]
	v_add_f64 v[52:53], v[44:45], v[46:47]
	ds_read_b128 v[44:47], v2 offset:720
	s_waitcnt lgkmcnt(0)
	;; [unrolled: 5-line block ×4, first 2 shown]
	v_mul_f64 v[2:3], v[60:61], v[66:67]
	v_fmac_f64_e32 v[2:3], v[62:63], v[64:65]
	v_add_f64 v[68:69], v[68:69], v[2:3]
	v_mul_f64 v[2:3], v[6:7], v[22:23]
	v_fma_f64 v[2:3], v[4:5], v[20:21], -v[2:3]
	v_mul_f64 v[4:5], v[10:11], v[26:27]
	v_add_f64 v[2:3], v[2:3], 0
	v_fma_f64 v[4:5], v[8:9], v[24:25], -v[4:5]
	v_add_f64 v[2:3], v[2:3], v[4:5]
	v_mul_f64 v[4:5], v[14:15], v[30:31]
	v_fma_f64 v[4:5], v[12:13], v[28:29], -v[4:5]
	v_add_f64 v[2:3], v[2:3], v[4:5]
	v_mul_f64 v[4:5], v[18:19], v[34:35]
	;; [unrolled: 3-line block ×6, first 2 shown]
	v_fma_f64 v[4:5], v[60:61], v[64:65], -v[4:5]
	v_add_f64 v[6:7], v[2:3], v[4:5]
	scratch_load_dwordx4 v[2:5], off, off offset:240
	s_waitcnt vmcnt(0)
	v_add_f64 v[2:3], v[2:3], -v[6:7]
	v_add_f64 v[4:5], v[4:5], -v[68:69]
	scratch_store_dwordx4 off, v[2:5], off offset:240
	s_and_saveexec_b64 s[2:3], vcc
	s_cbranch_execz .LBB87_129
; %bb.128:
	scratch_load_dwordx4 v[2:5], off, s27
	v_mov_b32_e32 v6, 0
	v_mov_b32_e32 v7, v6
	;; [unrolled: 1-line block ×4, first 2 shown]
	scratch_store_dwordx4 off, v[6:9], off offset:224
	s_waitcnt vmcnt(1)
	ds_write_b128 v122, v[2:5]
.LBB87_129:
	s_or_b64 exec, exec, s[2:3]
	s_waitcnt lgkmcnt(0)
	; wave barrier
	scratch_load_dwordx4 v[4:7], off, off offset:240
	scratch_load_dwordx4 v[8:11], off, off offset:256
	scratch_load_dwordx4 v[12:15], off, off offset:272
	scratch_load_dwordx4 v[16:19], off, off offset:288
	scratch_load_dwordx4 v[20:23], off, off offset:304
	scratch_load_dwordx4 v[24:27], off, off offset:320
	scratch_load_dwordx4 v[28:31], off, off offset:336
	scratch_load_dwordx4 v[32:35], off, off offset:352
	scratch_load_dwordx4 v[36:39], off, off offset:368
	scratch_load_dwordx4 v[40:43], off, off offset:224
	v_mov_b32_e32 v2, 0
	ds_read_b128 v[44:47], v2 offset:624
	ds_read_b128 v[48:51], v2 offset:640
	;; [unrolled: 1-line block ×9, first 2 shown]
	v_cmp_lt_u32_e32 vcc, 13, v1
	s_waitcnt vmcnt(9) lgkmcnt(8)
	v_mul_f64 v[80:81], v[44:45], v[6:7]
	v_mul_f64 v[6:7], v[46:47], v[6:7]
	s_waitcnt vmcnt(8) lgkmcnt(7)
	v_mul_f64 v[82:83], v[48:49], v[10:11]
	s_waitcnt vmcnt(7) lgkmcnt(6)
	;; [unrolled: 2-line block ×3, first 2 shown]
	v_mul_f64 v[88:89], v[60:61], v[22:23]
	v_mul_f64 v[10:11], v[50:51], v[10:11]
	;; [unrolled: 1-line block ×4, first 2 shown]
	v_fmac_f64_e32 v[80:81], v[46:47], v[4:5]
	v_fma_f64 v[4:5], v[44:45], v[4:5], -v[6:7]
	v_fmac_f64_e32 v[82:83], v[50:51], v[8:9]
	v_fmac_f64_e32 v[84:85], v[54:55], v[12:13]
	v_fma_f64 v[6:7], v[48:49], v[8:9], -v[10:11]
	v_fma_f64 v[8:9], v[52:53], v[12:13], -v[14:15]
	;; [unrolled: 1-line block ×3, first 2 shown]
	v_add_f64 v[22:23], v[80:81], 0
	v_add_f64 v[4:5], v[4:5], 0
	v_mul_f64 v[86:87], v[56:57], v[18:19]
	v_mul_f64 v[18:19], v[58:59], v[18:19]
	v_add_f64 v[22:23], v[22:23], v[82:83]
	v_add_f64 v[4:5], v[4:5], v[6:7]
	v_fmac_f64_e32 v[86:87], v[58:59], v[16:17]
	v_fma_f64 v[10:11], v[56:57], v[16:17], -v[18:19]
	v_add_f64 v[6:7], v[22:23], v[84:85]
	v_add_f64 v[4:5], v[4:5], v[8:9]
	s_waitcnt vmcnt(4) lgkmcnt(3)
	v_mul_f64 v[90:91], v[64:65], v[26:27]
	v_mul_f64 v[26:27], v[66:67], v[26:27]
	v_fmac_f64_e32 v[88:89], v[62:63], v[20:21]
	v_add_f64 v[6:7], v[6:7], v[86:87]
	v_add_f64 v[4:5], v[4:5], v[10:11]
	s_waitcnt vmcnt(3) lgkmcnt(2)
	v_mul_f64 v[92:93], v[68:69], v[30:31]
	v_mul_f64 v[30:31], v[70:71], v[30:31]
	v_fmac_f64_e32 v[90:91], v[66:67], v[24:25]
	v_fma_f64 v[14:15], v[64:65], v[24:25], -v[26:27]
	v_add_f64 v[6:7], v[6:7], v[88:89]
	v_add_f64 v[4:5], v[4:5], v[12:13]
	s_waitcnt vmcnt(2) lgkmcnt(1)
	v_mul_f64 v[94:95], v[72:73], v[34:35]
	v_mul_f64 v[34:35], v[74:75], v[34:35]
	v_fmac_f64_e32 v[92:93], v[70:71], v[28:29]
	v_fma_f64 v[16:17], v[68:69], v[28:29], -v[30:31]
	;; [unrolled: 7-line block ×3, first 2 shown]
	v_add_f64 v[6:7], v[6:7], v[92:93]
	v_add_f64 v[4:5], v[4:5], v[16:17]
	v_fmac_f64_e32 v[96:97], v[78:79], v[36:37]
	v_fma_f64 v[20:21], v[76:77], v[36:37], -v[38:39]
	v_add_f64 v[6:7], v[6:7], v[94:95]
	v_add_f64 v[4:5], v[4:5], v[18:19]
	;; [unrolled: 1-line block ×4, first 2 shown]
	s_waitcnt vmcnt(0)
	v_add_f64 v[4:5], v[40:41], -v[4:5]
	v_add_f64 v[6:7], v[42:43], -v[6:7]
	scratch_store_dwordx4 off, v[4:7], off offset:224
	s_and_saveexec_b64 s[2:3], vcc
	s_cbranch_execz .LBB87_131
; %bb.130:
	scratch_load_dwordx4 v[6:9], off, s28
	v_mov_b32_e32 v3, v2
	v_mov_b32_e32 v4, v2
	;; [unrolled: 1-line block ×3, first 2 shown]
	scratch_store_dwordx4 off, v[2:5], off offset:208
	s_waitcnt vmcnt(1)
	ds_write_b128 v122, v[6:9]
.LBB87_131:
	s_or_b64 exec, exec, s[2:3]
	s_waitcnt lgkmcnt(0)
	; wave barrier
	scratch_load_dwordx4 v[4:7], off, off offset:224
	scratch_load_dwordx4 v[8:11], off, off offset:240
	;; [unrolled: 1-line block ×11, first 2 shown]
	ds_read_b128 v[48:51], v2 offset:608
	ds_read_b128 v[52:55], v2 offset:624
	;; [unrolled: 1-line block ×10, first 2 shown]
	v_cmp_lt_u32_e32 vcc, 12, v1
	s_waitcnt vmcnt(10) lgkmcnt(9)
	v_mul_f64 v[2:3], v[48:49], v[6:7]
	v_mul_f64 v[6:7], v[50:51], v[6:7]
	s_waitcnt vmcnt(9) lgkmcnt(8)
	v_mul_f64 v[88:89], v[52:53], v[10:11]
	v_mul_f64 v[10:11], v[54:55], v[10:11]
	v_fmac_f64_e32 v[2:3], v[50:51], v[4:5]
	v_fma_f64 v[4:5], v[48:49], v[4:5], -v[6:7]
	s_waitcnt vmcnt(8) lgkmcnt(7)
	v_mul_f64 v[90:91], v[56:57], v[14:15]
	v_mul_f64 v[14:15], v[58:59], v[14:15]
	v_fmac_f64_e32 v[88:89], v[54:55], v[8:9]
	v_fma_f64 v[6:7], v[52:53], v[8:9], -v[10:11]
	v_add_f64 v[2:3], v[2:3], 0
	v_add_f64 v[4:5], v[4:5], 0
	s_waitcnt vmcnt(7) lgkmcnt(6)
	v_mul_f64 v[92:93], v[60:61], v[18:19]
	v_mul_f64 v[18:19], v[62:63], v[18:19]
	v_fmac_f64_e32 v[90:91], v[58:59], v[12:13]
	v_fma_f64 v[8:9], v[56:57], v[12:13], -v[14:15]
	v_add_f64 v[2:3], v[2:3], v[88:89]
	v_add_f64 v[4:5], v[4:5], v[6:7]
	;; [unrolled: 7-line block ×8, first 2 shown]
	v_fmac_f64_e32 v[104:105], v[86:87], v[40:41]
	v_fma_f64 v[22:23], v[84:85], v[40:41], -v[42:43]
	v_add_f64 v[2:3], v[2:3], v[102:103]
	v_add_f64 v[4:5], v[4:5], v[20:21]
	;; [unrolled: 1-line block ×4, first 2 shown]
	s_waitcnt vmcnt(0)
	v_add_f64 v[2:3], v[44:45], -v[2:3]
	v_add_f64 v[4:5], v[46:47], -v[6:7]
	scratch_store_dwordx4 off, v[2:5], off offset:208
	s_and_saveexec_b64 s[2:3], vcc
	s_cbranch_execz .LBB87_133
; %bb.132:
	scratch_load_dwordx4 v[2:5], off, s29
	v_mov_b32_e32 v6, 0
	v_mov_b32_e32 v7, v6
	;; [unrolled: 1-line block ×4, first 2 shown]
	scratch_store_dwordx4 off, v[6:9], off offset:192
	s_waitcnt vmcnt(1)
	ds_write_b128 v122, v[2:5]
.LBB87_133:
	s_or_b64 exec, exec, s[2:3]
	s_waitcnt lgkmcnt(0)
	; wave barrier
	scratch_load_dwordx4 v[4:7], off, off offset:208
	scratch_load_dwordx4 v[8:11], off, off offset:224
	;; [unrolled: 1-line block ×12, first 2 shown]
	v_mov_b32_e32 v2, 0
	ds_read_b128 v[52:55], v2 offset:592
	ds_read_b128 v[56:59], v2 offset:608
	;; [unrolled: 1-line block ×11, first 2 shown]
	v_cmp_lt_u32_e32 vcc, 11, v1
	s_waitcnt vmcnt(11) lgkmcnt(10)
	v_mul_f64 v[96:97], v[52:53], v[6:7]
	v_mul_f64 v[6:7], v[54:55], v[6:7]
	s_waitcnt vmcnt(10) lgkmcnt(9)
	v_mul_f64 v[98:99], v[56:57], v[10:11]
	s_waitcnt vmcnt(9) lgkmcnt(8)
	v_mul_f64 v[100:101], v[60:61], v[14:15]
	v_mul_f64 v[10:11], v[58:59], v[10:11]
	s_waitcnt vmcnt(6) lgkmcnt(5)
	v_mul_f64 v[106:107], v[72:73], v[26:27]
	v_mul_f64 v[14:15], v[62:63], v[14:15]
	;; [unrolled: 1-line block ×3, first 2 shown]
	v_fmac_f64_e32 v[96:97], v[54:55], v[4:5]
	v_fma_f64 v[4:5], v[52:53], v[4:5], -v[6:7]
	v_fmac_f64_e32 v[98:99], v[58:59], v[8:9]
	v_fma_f64 v[6:7], v[56:57], v[8:9], -v[10:11]
	v_fma_f64 v[8:9], v[60:61], v[12:13], -v[14:15]
	;; [unrolled: 1-line block ×3, first 2 shown]
	v_add_f64 v[26:27], v[96:97], 0
	v_add_f64 v[4:5], v[4:5], 0
	v_mul_f64 v[102:103], v[64:65], v[18:19]
	v_mul_f64 v[18:19], v[66:67], v[18:19]
	v_fmac_f64_e32 v[100:101], v[62:63], v[12:13]
	v_add_f64 v[26:27], v[26:27], v[98:99]
	v_add_f64 v[4:5], v[4:5], v[6:7]
	v_mul_f64 v[104:105], v[68:69], v[22:23]
	v_mul_f64 v[22:23], v[70:71], v[22:23]
	v_fmac_f64_e32 v[102:103], v[66:67], v[16:17]
	v_fma_f64 v[10:11], v[64:65], v[16:17], -v[18:19]
	v_add_f64 v[6:7], v[26:27], v[100:101]
	v_add_f64 v[4:5], v[4:5], v[8:9]
	v_fmac_f64_e32 v[104:105], v[70:71], v[20:21]
	v_fma_f64 v[12:13], v[68:69], v[20:21], -v[22:23]
	v_add_f64 v[6:7], v[6:7], v[102:103]
	v_add_f64 v[4:5], v[4:5], v[10:11]
	s_waitcnt vmcnt(5) lgkmcnt(4)
	v_mul_f64 v[108:109], v[76:77], v[30:31]
	v_mul_f64 v[30:31], v[78:79], v[30:31]
	v_fmac_f64_e32 v[106:107], v[74:75], v[24:25]
	v_add_f64 v[6:7], v[6:7], v[104:105]
	v_add_f64 v[4:5], v[4:5], v[12:13]
	s_waitcnt vmcnt(4) lgkmcnt(3)
	v_mul_f64 v[110:111], v[80:81], v[34:35]
	v_mul_f64 v[34:35], v[82:83], v[34:35]
	v_fmac_f64_e32 v[108:109], v[78:79], v[28:29]
	v_fma_f64 v[16:17], v[76:77], v[28:29], -v[30:31]
	v_add_f64 v[6:7], v[6:7], v[106:107]
	v_add_f64 v[4:5], v[4:5], v[14:15]
	s_waitcnt vmcnt(3) lgkmcnt(2)
	v_mul_f64 v[112:113], v[84:85], v[38:39]
	v_mul_f64 v[38:39], v[86:87], v[38:39]
	v_fmac_f64_e32 v[110:111], v[82:83], v[32:33]
	v_fma_f64 v[18:19], v[80:81], v[32:33], -v[34:35]
	;; [unrolled: 7-line block ×4, first 2 shown]
	v_add_f64 v[6:7], v[6:7], v[112:113]
	v_add_f64 v[4:5], v[4:5], v[20:21]
	v_fmac_f64_e32 v[116:117], v[94:95], v[44:45]
	v_fma_f64 v[24:25], v[92:93], v[44:45], -v[46:47]
	v_add_f64 v[6:7], v[6:7], v[114:115]
	v_add_f64 v[4:5], v[4:5], v[22:23]
	v_add_f64 v[6:7], v[6:7], v[116:117]
	v_add_f64 v[4:5], v[4:5], v[24:25]
	s_waitcnt vmcnt(0)
	v_add_f64 v[4:5], v[48:49], -v[4:5]
	v_add_f64 v[6:7], v[50:51], -v[6:7]
	scratch_store_dwordx4 off, v[4:7], off offset:192
	s_and_saveexec_b64 s[2:3], vcc
	s_cbranch_execz .LBB87_135
; %bb.134:
	scratch_load_dwordx4 v[6:9], off, s30
	v_mov_b32_e32 v3, v2
	v_mov_b32_e32 v4, v2
	;; [unrolled: 1-line block ×3, first 2 shown]
	scratch_store_dwordx4 off, v[2:5], off offset:176
	s_waitcnt vmcnt(1)
	ds_write_b128 v122, v[6:9]
.LBB87_135:
	s_or_b64 exec, exec, s[2:3]
	s_waitcnt lgkmcnt(0)
	; wave barrier
	ds_read_b128 v[4:7], v2 offset:576
	ds_read_b128 v[8:11], v2 offset:592
	;; [unrolled: 1-line block ×4, first 2 shown]
	scratch_load_dwordx4 v[20:23], off, off offset:192
	scratch_load_dwordx4 v[40:43], off, off offset:256
	;; [unrolled: 1-line block ×6, first 2 shown]
	v_cmp_lt_u32_e32 vcc, 10, v1
	scratch_load_dwordx4 v[48:51], off, off offset:272
	scratch_load_dwordx4 v[56:59], off, off offset:288
	scratch_load_dwordx4 v[64:67], off, off offset:304
	s_waitcnt vmcnt(8) lgkmcnt(3)
	v_mul_f64 v[24:25], v[4:5], v[22:23]
	v_fmac_f64_e32 v[24:25], v[6:7], v[20:21]
	v_add_f64 v[28:29], v[24:25], 0
	scratch_load_dwordx4 v[24:27], off, off offset:208
	s_waitcnt vmcnt(0) lgkmcnt(2)
	v_mul_f64 v[30:31], v[8:9], v[26:27]
	v_fmac_f64_e32 v[30:31], v[10:11], v[24:25]
	v_add_f64 v[32:33], v[28:29], v[30:31]
	scratch_load_dwordx4 v[28:31], off, off offset:224
	;; [unrolled: 5-line block ×3, first 2 shown]
	s_waitcnt vmcnt(0) lgkmcnt(0)
	v_mul_f64 v[38:39], v[16:17], v[34:35]
	v_fmac_f64_e32 v[38:39], v[18:19], v[32:33]
	v_add_f64 v[44:45], v[36:37], v[38:39]
	ds_read_b128 v[36:39], v2 offset:640
	s_waitcnt lgkmcnt(0)
	v_mul_f64 v[46:47], v[36:37], v[42:43]
	v_fmac_f64_e32 v[46:47], v[38:39], v[40:41]
	v_add_f64 v[52:53], v[44:45], v[46:47]
	ds_read_b128 v[44:47], v2 offset:656
	s_waitcnt lgkmcnt(0)
	;; [unrolled: 5-line block ×8, first 2 shown]
	v_mul_f64 v[2:3], v[92:93], v[98:99]
	v_fmac_f64_e32 v[2:3], v[94:95], v[96:97]
	v_add_f64 v[100:101], v[100:101], v[2:3]
	v_mul_f64 v[2:3], v[6:7], v[22:23]
	v_fma_f64 v[2:3], v[4:5], v[20:21], -v[2:3]
	v_mul_f64 v[4:5], v[10:11], v[26:27]
	v_add_f64 v[2:3], v[2:3], 0
	v_fma_f64 v[4:5], v[8:9], v[24:25], -v[4:5]
	v_add_f64 v[2:3], v[2:3], v[4:5]
	v_mul_f64 v[4:5], v[14:15], v[30:31]
	v_fma_f64 v[4:5], v[12:13], v[28:29], -v[4:5]
	v_add_f64 v[2:3], v[2:3], v[4:5]
	v_mul_f64 v[4:5], v[18:19], v[34:35]
	;; [unrolled: 3-line block ×10, first 2 shown]
	v_fma_f64 v[4:5], v[92:93], v[96:97], -v[4:5]
	v_add_f64 v[6:7], v[2:3], v[4:5]
	scratch_load_dwordx4 v[2:5], off, off offset:176
	s_waitcnt vmcnt(0)
	v_add_f64 v[2:3], v[2:3], -v[6:7]
	v_add_f64 v[4:5], v[4:5], -v[100:101]
	scratch_store_dwordx4 off, v[2:5], off offset:176
	s_and_saveexec_b64 s[2:3], vcc
	s_cbranch_execz .LBB87_137
; %bb.136:
	scratch_load_dwordx4 v[2:5], off, s31
	v_mov_b32_e32 v6, 0
	v_mov_b32_e32 v7, v6
	;; [unrolled: 1-line block ×4, first 2 shown]
	scratch_store_dwordx4 off, v[6:9], off offset:160
	s_waitcnt vmcnt(1)
	ds_write_b128 v122, v[2:5]
.LBB87_137:
	s_or_b64 exec, exec, s[2:3]
	v_mov_b32_e32 v2, 0
	s_waitcnt lgkmcnt(0)
	; wave barrier
	ds_read_b128 v[4:7], v2 offset:560
	ds_read_b128 v[8:11], v2 offset:576
	;; [unrolled: 1-line block ×4, first 2 shown]
	scratch_load_dwordx4 v[20:23], off, off offset:176
	scratch_load_dwordx4 v[40:43], off, off offset:240
	scratch_load_dwordx4 v[72:75], off, off offset:304
	scratch_load_dwordx4 v[80:83], off, off offset:320
	scratch_load_dwordx4 v[88:91], off, off offset:336
	scratch_load_dwordx4 v[96:99], off, off offset:352
	scratch_load_dwordx4 v[104:107], off, off offset:368
	v_cmp_lt_u32_e32 vcc, 9, v1
	scratch_load_dwordx4 v[48:51], off, off offset:256
	scratch_load_dwordx4 v[56:59], off, off offset:272
	;; [unrolled: 1-line block ×3, first 2 shown]
	s_waitcnt vmcnt(9) lgkmcnt(3)
	v_mul_f64 v[24:25], v[4:5], v[22:23]
	v_fmac_f64_e32 v[24:25], v[6:7], v[20:21]
	v_add_f64 v[28:29], v[24:25], 0
	scratch_load_dwordx4 v[24:27], off, off offset:192
	v_mul_f64 v[6:7], v[6:7], v[22:23]
	v_fma_f64 v[4:5], v[4:5], v[20:21], -v[6:7]
	v_add_f64 v[4:5], v[4:5], 0
	s_waitcnt vmcnt(0) lgkmcnt(2)
	v_mul_f64 v[30:31], v[8:9], v[26:27]
	v_fmac_f64_e32 v[30:31], v[10:11], v[24:25]
	v_add_f64 v[32:33], v[28:29], v[30:31]
	scratch_load_dwordx4 v[28:31], off, off offset:208
	v_mul_f64 v[6:7], v[10:11], v[26:27]
	v_fma_f64 v[6:7], v[8:9], v[24:25], -v[6:7]
	v_add_f64 v[4:5], v[4:5], v[6:7]
	;; [unrolled: 8-line block ×3, first 2 shown]
	s_waitcnt vmcnt(0) lgkmcnt(0)
	v_mul_f64 v[38:39], v[16:17], v[34:35]
	v_fmac_f64_e32 v[38:39], v[18:19], v[32:33]
	v_add_f64 v[44:45], v[36:37], v[38:39]
	ds_read_b128 v[36:39], v2 offset:624
	v_mul_f64 v[6:7], v[18:19], v[34:35]
	v_fma_f64 v[6:7], v[16:17], v[32:33], -v[6:7]
	v_add_f64 v[4:5], v[4:5], v[6:7]
	s_waitcnt lgkmcnt(0)
	v_mul_f64 v[46:47], v[36:37], v[42:43]
	v_fmac_f64_e32 v[46:47], v[38:39], v[40:41]
	v_add_f64 v[52:53], v[44:45], v[46:47]
	ds_read_b128 v[44:47], v2 offset:640
	v_mul_f64 v[6:7], v[38:39], v[42:43]
	v_fma_f64 v[6:7], v[36:37], v[40:41], -v[6:7]
	v_add_f64 v[4:5], v[4:5], v[6:7]
	s_waitcnt lgkmcnt(0)
	;; [unrolled: 8-line block ×9, first 2 shown]
	v_mul_f64 v[6:7], v[102:103], v[106:107]
	v_fma_f64 v[6:7], v[100:101], v[104:105], -v[6:7]
	v_add_f64 v[8:9], v[4:5], v[6:7]
	scratch_load_dwordx4 v[4:7], off, off offset:160
	v_mul_f64 v[110:111], v[100:101], v[106:107]
	v_fmac_f64_e32 v[110:111], v[102:103], v[104:105]
	v_add_f64 v[108:109], v[108:109], v[110:111]
	s_waitcnt vmcnt(0)
	v_add_f64 v[4:5], v[4:5], -v[8:9]
	v_add_f64 v[6:7], v[6:7], -v[108:109]
	scratch_store_dwordx4 off, v[4:7], off offset:160
	s_and_saveexec_b64 s[2:3], vcc
	s_cbranch_execz .LBB87_139
; %bb.138:
	scratch_load_dwordx4 v[6:9], off, s33
	v_mov_b32_e32 v3, v2
	v_mov_b32_e32 v4, v2
	;; [unrolled: 1-line block ×3, first 2 shown]
	scratch_store_dwordx4 off, v[2:5], off offset:144
	s_waitcnt vmcnt(1)
	ds_write_b128 v122, v[6:9]
.LBB87_139:
	s_or_b64 exec, exec, s[2:3]
	s_waitcnt lgkmcnt(0)
	; wave barrier
	scratch_load_dwordx4 v[8:11], off, off offset:160
	scratch_load_dwordx4 v[4:7], off, off offset:176
	;; [unrolled: 1-line block ×14, first 2 shown]
	ds_read_b128 v[60:63], v2 offset:544
	ds_read_b128 v[64:67], v2 offset:560
	;; [unrolled: 1-line block ×14, first 2 shown]
	scratch_load_dwordx4 v[116:119], off, off offset:144
	v_cmp_lt_u32_e32 vcc, 8, v1
	s_waitcnt vmcnt(14) lgkmcnt(13)
	v_mul_f64 v[2:3], v[60:61], v[10:11]
	s_waitcnt vmcnt(13) lgkmcnt(12)
	v_mul_f64 v[120:121], v[64:65], v[6:7]
	v_fmac_f64_e32 v[2:3], v[62:63], v[8:9]
	s_waitcnt vmcnt(12) lgkmcnt(11)
	v_mul_f64 v[124:125], v[68:69], v[14:15]
	v_fmac_f64_e32 v[120:121], v[66:67], v[4:5]
	v_add_f64 v[2:3], v[2:3], 0
	s_waitcnt vmcnt(11) lgkmcnt(10)
	v_mul_f64 v[174:175], v[72:73], v[18:19]
	v_fmac_f64_e32 v[124:125], v[70:71], v[12:13]
	v_add_f64 v[2:3], v[2:3], v[120:121]
	;; [unrolled: 4-line block ×4, first 2 shown]
	s_waitcnt vmcnt(8) lgkmcnt(7)
	v_mul_f64 v[180:181], v[84:85], v[30:31]
	v_mul_f64 v[10:11], v[62:63], v[10:11]
	v_fmac_f64_e32 v[178:179], v[82:83], v[24:25]
	v_add_f64 v[2:3], v[2:3], v[176:177]
	s_waitcnt vmcnt(7) lgkmcnt(6)
	v_mul_f64 v[182:183], v[88:89], v[34:35]
	v_mul_f64 v[6:7], v[66:67], v[6:7]
	v_fma_f64 v[8:9], v[60:61], v[8:9], -v[10:11]
	v_fmac_f64_e32 v[180:181], v[86:87], v[28:29]
	v_add_f64 v[2:3], v[2:3], v[178:179]
	s_waitcnt vmcnt(6) lgkmcnt(5)
	v_mul_f64 v[184:185], v[92:93], v[38:39]
	v_mul_f64 v[14:15], v[70:71], v[14:15]
	v_fmac_f64_e32 v[182:183], v[90:91], v[32:33]
	v_fma_f64 v[4:5], v[64:65], v[4:5], -v[6:7]
	v_add_f64 v[8:9], v[8:9], 0
	v_add_f64 v[2:3], v[2:3], v[180:181]
	s_waitcnt vmcnt(5) lgkmcnt(4)
	v_mul_f64 v[186:187], v[96:97], v[42:43]
	v_mul_f64 v[18:19], v[74:75], v[18:19]
	v_fmac_f64_e32 v[184:185], v[94:95], v[36:37]
	v_fma_f64 v[6:7], v[68:69], v[12:13], -v[14:15]
	v_add_f64 v[4:5], v[8:9], v[4:5]
	;; [unrolled: 7-line block ×6, first 2 shown]
	v_add_f64 v[2:3], v[2:3], v[190:191]
	v_fmac_f64_e32 v[194:195], v[114:115], v[56:57]
	v_fma_f64 v[18:19], v[88:89], v[32:33], -v[34:35]
	v_add_f64 v[4:5], v[4:5], v[16:17]
	v_add_f64 v[2:3], v[2:3], v[192:193]
	;; [unrolled: 1-line block ×4, first 2 shown]
	v_mul_f64 v[4:5], v[94:95], v[38:39]
	v_fma_f64 v[4:5], v[92:93], v[36:37], -v[4:5]
	v_add_f64 v[2:3], v[2:3], v[4:5]
	v_mul_f64 v[4:5], v[98:99], v[42:43]
	v_fma_f64 v[4:5], v[96:97], v[40:41], -v[4:5]
	v_add_f64 v[2:3], v[2:3], v[4:5]
	;; [unrolled: 3-line block ×6, first 2 shown]
	s_waitcnt vmcnt(0)
	v_add_f64 v[2:3], v[116:117], -v[2:3]
	v_add_f64 v[4:5], v[118:119], -v[6:7]
	scratch_store_dwordx4 off, v[2:5], off offset:144
	s_and_saveexec_b64 s[2:3], vcc
	s_cbranch_execz .LBB87_141
; %bb.140:
	scratch_load_dwordx4 v[2:5], off, s34
	v_mov_b32_e32 v6, 0
	v_mov_b32_e32 v7, v6
	;; [unrolled: 1-line block ×4, first 2 shown]
	scratch_store_dwordx4 off, v[6:9], off offset:128
	s_waitcnt vmcnt(1)
	ds_write_b128 v122, v[2:5]
.LBB87_141:
	s_or_b64 exec, exec, s[2:3]
	s_waitcnt lgkmcnt(0)
	; wave barrier
	scratch_load_dwordx4 v[4:7], off, off offset:144
	scratch_load_dwordx4 v[8:11], off, off offset:160
	;; [unrolled: 1-line block ×16, first 2 shown]
	v_mov_b32_e32 v2, 0
	ds_read_b128 v[68:71], v2 offset:528
	ds_read_b128 v[72:75], v2 offset:544
	;; [unrolled: 1-line block ×15, first 2 shown]
	v_cmp_lt_u32_e32 vcc, 7, v1
	s_waitcnt vmcnt(15) lgkmcnt(14)
	v_mul_f64 v[120:121], v[68:69], v[6:7]
	v_mul_f64 v[6:7], v[70:71], v[6:7]
	s_waitcnt vmcnt(14) lgkmcnt(13)
	v_mul_f64 v[124:125], v[72:73], v[10:11]
	v_mul_f64 v[10:11], v[74:75], v[10:11]
	v_fmac_f64_e32 v[120:121], v[70:71], v[4:5]
	v_fma_f64 v[4:5], v[68:69], v[4:5], -v[6:7]
	s_waitcnt vmcnt(13) lgkmcnt(12)
	v_mul_f64 v[182:183], v[76:77], v[14:15]
	v_mul_f64 v[14:15], v[78:79], v[14:15]
	v_fma_f64 v[6:7], v[72:73], v[8:9], -v[10:11]
	v_add_f64 v[4:5], v[4:5], 0
	s_waitcnt vmcnt(12) lgkmcnt(11)
	v_mul_f64 v[184:185], v[80:81], v[18:19]
	v_mul_f64 v[18:19], v[82:83], v[18:19]
	v_fmac_f64_e32 v[124:125], v[74:75], v[8:9]
	v_fma_f64 v[8:9], v[76:77], v[12:13], -v[14:15]
	v_add_f64 v[4:5], v[4:5], v[6:7]
	s_waitcnt vmcnt(11) lgkmcnt(10)
	v_mul_f64 v[186:187], v[84:85], v[22:23]
	v_mul_f64 v[22:23], v[86:87], v[22:23]
	v_fma_f64 v[10:11], v[80:81], v[16:17], -v[18:19]
	v_add_f64 v[4:5], v[4:5], v[8:9]
	s_waitcnt vmcnt(10) lgkmcnt(9)
	v_mul_f64 v[188:189], v[88:89], v[26:27]
	v_mul_f64 v[26:27], v[90:91], v[26:27]
	v_fmac_f64_e32 v[182:183], v[78:79], v[12:13]
	v_fma_f64 v[12:13], v[84:85], v[20:21], -v[22:23]
	v_add_f64 v[4:5], v[4:5], v[10:11]
	v_fma_f64 v[14:15], v[88:89], v[24:25], -v[26:27]
	v_add_f64 v[4:5], v[4:5], v[12:13]
	s_waitcnt vmcnt(9) lgkmcnt(8)
	v_mul_f64 v[8:9], v[94:95], v[30:31]
	v_add_f64 v[4:5], v[4:5], v[14:15]
	v_fma_f64 v[8:9], v[92:93], v[28:29], -v[8:9]
	v_add_f64 v[4:5], v[4:5], v[8:9]
	s_waitcnt vmcnt(8) lgkmcnt(7)
	v_mul_f64 v[8:9], v[98:99], v[34:35]
	v_fma_f64 v[8:9], v[96:97], v[32:33], -v[8:9]
	v_fmac_f64_e32 v[184:185], v[82:83], v[16:17]
	v_add_f64 v[16:17], v[120:121], 0
	v_add_f64 v[4:5], v[4:5], v[8:9]
	s_waitcnt vmcnt(7) lgkmcnt(6)
	v_mul_f64 v[8:9], v[102:103], v[38:39]
	v_add_f64 v[16:17], v[16:17], v[124:125]
	v_fma_f64 v[8:9], v[100:101], v[36:37], -v[8:9]
	v_add_f64 v[6:7], v[16:17], v[182:183]
	v_add_f64 v[4:5], v[4:5], v[8:9]
	s_waitcnt vmcnt(6) lgkmcnt(5)
	v_mul_f64 v[8:9], v[106:107], v[42:43]
	v_fmac_f64_e32 v[186:187], v[86:87], v[20:21]
	v_add_f64 v[6:7], v[6:7], v[184:185]
	v_fma_f64 v[8:9], v[104:105], v[40:41], -v[8:9]
	v_mul_f64 v[190:191], v[92:93], v[30:31]
	v_fmac_f64_e32 v[188:189], v[90:91], v[24:25]
	v_add_f64 v[6:7], v[6:7], v[186:187]
	v_add_f64 v[4:5], v[4:5], v[8:9]
	s_waitcnt vmcnt(5) lgkmcnt(4)
	v_mul_f64 v[8:9], v[110:111], v[46:47]
	v_mul_f64 v[192:193], v[96:97], v[34:35]
	v_fmac_f64_e32 v[190:191], v[94:95], v[28:29]
	v_add_f64 v[6:7], v[6:7], v[188:189]
	v_fma_f64 v[8:9], v[108:109], v[44:45], -v[8:9]
	v_mul_f64 v[194:195], v[100:101], v[38:39]
	v_fmac_f64_e32 v[192:193], v[98:99], v[32:33]
	v_add_f64 v[6:7], v[6:7], v[190:191]
	v_add_f64 v[4:5], v[4:5], v[8:9]
	s_waitcnt vmcnt(4) lgkmcnt(3)
	v_mul_f64 v[8:9], v[114:115], v[50:51]
	;; [unrolled: 10-line block ×4, first 2 shown]
	v_mul_f64 v[204:205], v[174:175], v[58:59]
	v_fmac_f64_e32 v[202:203], v[118:119], v[52:53]
	v_add_f64 v[6:7], v[6:7], v[200:201]
	v_fma_f64 v[8:9], v[174:175], v[56:57], -v[8:9]
	s_waitcnt vmcnt(1) lgkmcnt(0)
	v_mul_f64 v[206:207], v[178:179], v[62:63]
	v_fmac_f64_e32 v[204:205], v[176:177], v[56:57]
	v_add_f64 v[6:7], v[6:7], v[202:203]
	v_add_f64 v[4:5], v[4:5], v[8:9]
	v_mul_f64 v[8:9], v[180:181], v[62:63]
	v_fmac_f64_e32 v[206:207], v[180:181], v[60:61]
	v_add_f64 v[6:7], v[6:7], v[204:205]
	v_fma_f64 v[8:9], v[178:179], v[60:61], -v[8:9]
	v_add_f64 v[6:7], v[6:7], v[206:207]
	v_add_f64 v[4:5], v[4:5], v[8:9]
	s_waitcnt vmcnt(0)
	v_add_f64 v[4:5], v[64:65], -v[4:5]
	v_add_f64 v[6:7], v[66:67], -v[6:7]
	scratch_store_dwordx4 off, v[4:7], off offset:128
	s_and_saveexec_b64 s[2:3], vcc
	s_cbranch_execz .LBB87_143
; %bb.142:
	scratch_load_dwordx4 v[6:9], off, s35
	v_mov_b32_e32 v3, v2
	v_mov_b32_e32 v4, v2
	;; [unrolled: 1-line block ×3, first 2 shown]
	scratch_store_dwordx4 off, v[2:5], off offset:112
	s_waitcnt vmcnt(1)
	ds_write_b128 v122, v[6:9]
.LBB87_143:
	s_or_b64 exec, exec, s[2:3]
	s_waitcnt lgkmcnt(0)
	; wave barrier
	scratch_load_dwordx4 v[4:7], off, off offset:128
	scratch_load_dwordx4 v[8:11], off, off offset:144
	scratch_load_dwordx4 v[12:15], off, off offset:160
	scratch_load_dwordx4 v[16:19], off, off offset:176
	scratch_load_dwordx4 v[24:27], off, off offset:192
	scratch_load_dwordx4 v[20:23], off, off offset:208
	scratch_load_dwordx4 v[28:31], off, off offset:224
	scratch_load_dwordx4 v[32:35], off, off offset:240
	scratch_load_dwordx4 v[36:39], off, off offset:256
	scratch_load_dwordx4 v[40:43], off, off offset:272
	scratch_load_dwordx4 v[44:47], off, off offset:288
	scratch_load_dwordx4 v[48:51], off, off offset:304
	scratch_load_dwordx4 v[52:55], off, off offset:320
	scratch_load_dwordx4 v[56:59], off, off offset:336
	scratch_load_dwordx4 v[60:63], off, off offset:352
	scratch_load_dwordx4 v[64:67], off, off offset:368
	ds_read_b128 v[68:71], v2 offset:512
	ds_read_b128 v[72:75], v2 offset:528
	;; [unrolled: 1-line block ×16, first 2 shown]
	scratch_load_dwordx4 v[186:189], off, off offset:112
	v_cmp_lt_u32_e32 vcc, 6, v1
	s_waitcnt vmcnt(16) lgkmcnt(14)
	v_mul_f64 v[2:3], v[68:69], v[6:7]
	s_waitcnt vmcnt(15)
	v_mul_f64 v[120:121], v[72:73], v[10:11]
	v_fmac_f64_e32 v[2:3], v[70:71], v[4:5]
	s_waitcnt vmcnt(14) lgkmcnt(13)
	v_mul_f64 v[124:125], v[76:77], v[14:15]
	v_fmac_f64_e32 v[120:121], v[74:75], v[8:9]
	v_add_f64 v[2:3], v[2:3], 0
	s_waitcnt vmcnt(13) lgkmcnt(12)
	v_mul_f64 v[190:191], v[80:81], v[18:19]
	v_fmac_f64_e32 v[124:125], v[78:79], v[12:13]
	v_add_f64 v[2:3], v[2:3], v[120:121]
	;; [unrolled: 4-line block ×10, first 2 shown]
	s_waitcnt vmcnt(4) lgkmcnt(3)
	v_mul_f64 v[208:209], v[116:117], v[54:55]
	v_mul_f64 v[6:7], v[70:71], v[6:7]
	v_fmac_f64_e32 v[206:207], v[114:115], v[48:49]
	v_add_f64 v[2:3], v[2:3], v[204:205]
	s_waitcnt vmcnt(3) lgkmcnt(2)
	v_mul_f64 v[210:211], v[174:175], v[58:59]
	v_mul_f64 v[10:11], v[74:75], v[10:11]
	v_fmac_f64_e32 v[208:209], v[118:119], v[52:53]
	v_fma_f64 v[4:5], v[68:69], v[4:5], -v[6:7]
	v_add_f64 v[2:3], v[2:3], v[206:207]
	s_waitcnt vmcnt(2) lgkmcnt(1)
	v_mul_f64 v[212:213], v[178:179], v[62:63]
	v_mul_f64 v[14:15], v[78:79], v[14:15]
	v_fmac_f64_e32 v[210:211], v[176:177], v[56:57]
	v_fma_f64 v[6:7], v[72:73], v[8:9], -v[10:11]
	v_add_f64 v[4:5], v[4:5], 0
	v_add_f64 v[2:3], v[2:3], v[208:209]
	s_waitcnt vmcnt(1) lgkmcnt(0)
	v_mul_f64 v[214:215], v[182:183], v[66:67]
	v_mul_f64 v[18:19], v[82:83], v[18:19]
	v_fmac_f64_e32 v[212:213], v[180:181], v[60:61]
	v_fma_f64 v[8:9], v[76:77], v[12:13], -v[14:15]
	v_add_f64 v[4:5], v[4:5], v[6:7]
	v_add_f64 v[2:3], v[2:3], v[210:211]
	v_mul_f64 v[26:27], v[86:87], v[26:27]
	v_fmac_f64_e32 v[214:215], v[184:185], v[64:65]
	v_fma_f64 v[10:11], v[80:81], v[16:17], -v[18:19]
	v_add_f64 v[4:5], v[4:5], v[8:9]
	v_add_f64 v[2:3], v[2:3], v[212:213]
	v_fma_f64 v[12:13], v[84:85], v[24:25], -v[26:27]
	v_add_f64 v[4:5], v[4:5], v[10:11]
	v_add_f64 v[6:7], v[2:3], v[214:215]
	v_mul_f64 v[2:3], v[90:91], v[22:23]
	v_add_f64 v[4:5], v[4:5], v[12:13]
	v_fma_f64 v[2:3], v[88:89], v[20:21], -v[2:3]
	v_add_f64 v[2:3], v[4:5], v[2:3]
	v_mul_f64 v[4:5], v[94:95], v[30:31]
	v_fma_f64 v[4:5], v[92:93], v[28:29], -v[4:5]
	v_add_f64 v[2:3], v[2:3], v[4:5]
	v_mul_f64 v[4:5], v[98:99], v[34:35]
	;; [unrolled: 3-line block ×10, first 2 shown]
	v_fma_f64 v[4:5], v[182:183], v[64:65], -v[4:5]
	v_add_f64 v[2:3], v[2:3], v[4:5]
	s_waitcnt vmcnt(0)
	v_add_f64 v[2:3], v[186:187], -v[2:3]
	v_add_f64 v[4:5], v[188:189], -v[6:7]
	scratch_store_dwordx4 off, v[2:5], off offset:112
	s_and_saveexec_b64 s[2:3], vcc
	s_cbranch_execz .LBB87_145
; %bb.144:
	scratch_load_dwordx4 v[2:5], off, s36
	v_mov_b32_e32 v6, 0
	v_mov_b32_e32 v7, v6
	;; [unrolled: 1-line block ×4, first 2 shown]
	scratch_store_dwordx4 off, v[6:9], off offset:96
	s_waitcnt vmcnt(1)
	ds_write_b128 v122, v[2:5]
.LBB87_145:
	s_or_b64 exec, exec, s[2:3]
	s_waitcnt lgkmcnt(0)
	; wave barrier
	scratch_load_dwordx4 v[4:7], off, off offset:112
	scratch_load_dwordx4 v[8:11], off, off offset:128
	;; [unrolled: 1-line block ×18, first 2 shown]
	v_mov_b32_e32 v2, 0
	ds_read_b128 v[76:79], v2 offset:496
	ds_read_b128 v[80:83], v2 offset:512
	;; [unrolled: 1-line block ×17, first 2 shown]
	v_cmp_lt_u32_e32 vcc, 5, v1
	s_waitcnt vmcnt(17) lgkmcnt(14)
	v_mul_f64 v[120:121], v[76:77], v[6:7]
	v_mul_f64 v[6:7], v[78:79], v[6:7]
	s_waitcnt vmcnt(16)
	v_mul_f64 v[124:125], v[80:81], v[10:11]
	v_mul_f64 v[10:11], v[82:83], v[10:11]
	v_fmac_f64_e32 v[120:121], v[78:79], v[4:5]
	v_fma_f64 v[4:5], v[76:77], v[4:5], -v[6:7]
	s_waitcnt vmcnt(15)
	v_mul_f64 v[198:199], v[84:85], v[18:19]
	v_mul_f64 v[18:19], v[86:87], v[18:19]
	v_fma_f64 v[6:7], v[80:81], v[8:9], -v[10:11]
	v_add_f64 v[4:5], v[4:5], 0
	s_waitcnt vmcnt(14) lgkmcnt(13)
	v_mul_f64 v[200:201], v[88:89], v[14:15]
	v_mul_f64 v[14:15], v[90:91], v[14:15]
	v_fmac_f64_e32 v[124:125], v[82:83], v[8:9]
	v_fma_f64 v[8:9], v[84:85], v[16:17], -v[18:19]
	v_add_f64 v[4:5], v[4:5], v[6:7]
	v_add_f64 v[4:5], v[4:5], v[8:9]
	v_fma_f64 v[8:9], v[88:89], v[12:13], -v[14:15]
	v_add_f64 v[4:5], v[4:5], v[8:9]
	s_waitcnt vmcnt(13) lgkmcnt(12)
	v_mul_f64 v[8:9], v[94:95], v[22:23]
	v_fma_f64 v[8:9], v[92:93], v[20:21], -v[8:9]
	v_add_f64 v[4:5], v[4:5], v[8:9]
	s_waitcnt vmcnt(12) lgkmcnt(11)
	v_mul_f64 v[8:9], v[98:99], v[26:27]
	;; [unrolled: 4-line block ×5, first 2 shown]
	v_fma_f64 v[8:9], v[108:109], v[36:37], -v[8:9]
	v_add_f64 v[10:11], v[120:121], 0
	v_add_f64 v[4:5], v[4:5], v[8:9]
	s_waitcnt vmcnt(8) lgkmcnt(7)
	v_mul_f64 v[8:9], v[114:115], v[42:43]
	v_fmac_f64_e32 v[198:199], v[86:87], v[16:17]
	v_add_f64 v[10:11], v[10:11], v[124:125]
	v_fma_f64 v[8:9], v[112:113], v[40:41], -v[8:9]
	v_mul_f64 v[202:203], v[92:93], v[22:23]
	v_fmac_f64_e32 v[200:201], v[90:91], v[12:13]
	v_add_f64 v[6:7], v[10:11], v[198:199]
	v_add_f64 v[4:5], v[4:5], v[8:9]
	s_waitcnt vmcnt(7) lgkmcnt(6)
	v_mul_f64 v[8:9], v[118:119], v[46:47]
	v_mul_f64 v[204:205], v[96:97], v[26:27]
	v_fmac_f64_e32 v[202:203], v[94:95], v[20:21]
	v_add_f64 v[6:7], v[6:7], v[200:201]
	v_fma_f64 v[8:9], v[116:117], v[44:45], -v[8:9]
	v_mul_f64 v[206:207], v[100:101], v[30:31]
	v_fmac_f64_e32 v[204:205], v[98:99], v[24:25]
	v_add_f64 v[6:7], v[6:7], v[202:203]
	v_add_f64 v[4:5], v[4:5], v[8:9]
	s_waitcnt vmcnt(6) lgkmcnt(5)
	v_mul_f64 v[8:9], v[176:177], v[50:51]
	;; [unrolled: 10-line block ×6, first 2 shown]
	v_mul_f64 v[224:225], v[190:191], v[66:67]
	v_fmac_f64_e32 v[222:223], v[188:189], v[60:61]
	v_add_f64 v[6:7], v[6:7], v[220:221]
	v_fma_f64 v[8:9], v[190:191], v[64:65], -v[8:9]
	s_waitcnt vmcnt(1) lgkmcnt(0)
	v_mul_f64 v[226:227], v[194:195], v[70:71]
	v_fmac_f64_e32 v[224:225], v[192:193], v[64:65]
	v_add_f64 v[6:7], v[6:7], v[222:223]
	v_add_f64 v[4:5], v[4:5], v[8:9]
	v_mul_f64 v[8:9], v[196:197], v[70:71]
	v_fmac_f64_e32 v[226:227], v[196:197], v[68:69]
	v_add_f64 v[6:7], v[6:7], v[224:225]
	v_fma_f64 v[8:9], v[194:195], v[68:69], -v[8:9]
	v_add_f64 v[6:7], v[6:7], v[226:227]
	v_add_f64 v[4:5], v[4:5], v[8:9]
	s_waitcnt vmcnt(0)
	v_add_f64 v[4:5], v[72:73], -v[4:5]
	v_add_f64 v[6:7], v[74:75], -v[6:7]
	scratch_store_dwordx4 off, v[4:7], off offset:96
	s_and_saveexec_b64 s[2:3], vcc
	s_cbranch_execz .LBB87_147
; %bb.146:
	scratch_load_dwordx4 v[6:9], off, s37
	v_mov_b32_e32 v3, v2
	v_mov_b32_e32 v4, v2
	;; [unrolled: 1-line block ×3, first 2 shown]
	scratch_store_dwordx4 off, v[2:5], off offset:80
	s_waitcnt vmcnt(1)
	ds_write_b128 v122, v[6:9]
.LBB87_147:
	s_or_b64 exec, exec, s[2:3]
	s_waitcnt lgkmcnt(0)
	; wave barrier
	scratch_load_dwordx4 v[4:7], off, off offset:96
	scratch_load_dwordx4 v[12:15], off, off offset:112
	;; [unrolled: 1-line block ×18, first 2 shown]
	ds_read_b128 v[76:79], v2 offset:480
	ds_read_b128 v[80:83], v2 offset:496
	;; [unrolled: 1-line block ×18, first 2 shown]
	scratch_load_dwordx4 v[202:205], off, off offset:80
	v_cmp_lt_u32_e32 vcc, 4, v1
	s_waitcnt vmcnt(18) lgkmcnt(14)
	v_mul_f64 v[2:3], v[76:77], v[6:7]
	s_waitcnt vmcnt(17)
	v_mul_f64 v[120:121], v[80:81], v[14:15]
	v_fmac_f64_e32 v[2:3], v[78:79], v[4:5]
	s_waitcnt vmcnt(16)
	v_mul_f64 v[124:125], v[84:85], v[10:11]
	v_fmac_f64_e32 v[120:121], v[82:83], v[12:13]
	v_add_f64 v[2:3], v[2:3], 0
	s_waitcnt vmcnt(15)
	v_mul_f64 v[206:207], v[88:89], v[18:19]
	v_fmac_f64_e32 v[124:125], v[86:87], v[8:9]
	v_add_f64 v[2:3], v[2:3], v[120:121]
	s_waitcnt vmcnt(14) lgkmcnt(13)
	v_mul_f64 v[208:209], v[92:93], v[22:23]
	v_fmac_f64_e32 v[206:207], v[90:91], v[16:17]
	v_add_f64 v[2:3], v[2:3], v[124:125]
	s_waitcnt vmcnt(13) lgkmcnt(12)
	;; [unrolled: 4-line block ×13, first 2 shown]
	v_mul_f64 v[232:233], v[194:195], v[70:71]
	v_mul_f64 v[6:7], v[78:79], v[6:7]
	v_fmac_f64_e32 v[230:231], v[192:193], v[64:65]
	v_add_f64 v[2:3], v[2:3], v[228:229]
	s_waitcnt vmcnt(1) lgkmcnt(0)
	v_mul_f64 v[234:235], v[198:199], v[74:75]
	v_mul_f64 v[14:15], v[82:83], v[14:15]
	v_fmac_f64_e32 v[232:233], v[196:197], v[68:69]
	v_fma_f64 v[4:5], v[76:77], v[4:5], -v[6:7]
	v_add_f64 v[2:3], v[2:3], v[230:231]
	v_mul_f64 v[10:11], v[86:87], v[10:11]
	v_fmac_f64_e32 v[234:235], v[200:201], v[72:73]
	v_fma_f64 v[6:7], v[80:81], v[12:13], -v[14:15]
	v_add_f64 v[4:5], v[4:5], 0
	v_add_f64 v[2:3], v[2:3], v[232:233]
	;; [unrolled: 1-line block ×4, first 2 shown]
	v_fma_f64 v[2:3], v[84:85], v[8:9], -v[10:11]
	v_add_f64 v[2:3], v[4:5], v[2:3]
	v_mul_f64 v[4:5], v[90:91], v[18:19]
	v_fma_f64 v[4:5], v[88:89], v[16:17], -v[4:5]
	v_add_f64 v[2:3], v[2:3], v[4:5]
	v_mul_f64 v[4:5], v[94:95], v[22:23]
	;; [unrolled: 3-line block ×15, first 2 shown]
	v_fma_f64 v[4:5], v[198:199], v[72:73], -v[4:5]
	v_add_f64 v[2:3], v[2:3], v[4:5]
	s_waitcnt vmcnt(0)
	v_add_f64 v[2:3], v[202:203], -v[2:3]
	v_add_f64 v[4:5], v[204:205], -v[6:7]
	scratch_store_dwordx4 off, v[2:5], off offset:80
	s_and_saveexec_b64 s[2:3], vcc
	s_cbranch_execz .LBB87_149
; %bb.148:
	scratch_load_dwordx4 v[2:5], off, s38
	v_mov_b32_e32 v6, 0
	v_mov_b32_e32 v7, v6
	;; [unrolled: 1-line block ×4, first 2 shown]
	scratch_store_dwordx4 off, v[6:9], off offset:64
	s_waitcnt vmcnt(1)
	ds_write_b128 v122, v[2:5]
.LBB87_149:
	s_or_b64 exec, exec, s[2:3]
	s_waitcnt lgkmcnt(0)
	; wave barrier
	scratch_load_dwordx4 v[8:11], off, off offset:80
	scratch_load_dwordx4 v[4:7], off, off offset:96
	;; [unrolled: 1-line block ×20, first 2 shown]
	v_mov_b32_e32 v2, 0
	ds_read_b128 v[84:87], v2 offset:464
	ds_read_b128 v[88:91], v2 offset:480
	;; [unrolled: 1-line block ×19, first 2 shown]
	v_cmp_lt_u32_e32 vcc, 3, v1
	s_waitcnt vmcnt(19) lgkmcnt(14)
	v_mul_f64 v[120:121], v[84:85], v[10:11]
	v_mul_f64 v[10:11], v[86:87], v[10:11]
	s_waitcnt vmcnt(18)
	v_mul_f64 v[124:125], v[88:89], v[6:7]
	v_fmac_f64_e32 v[120:121], v[86:87], v[8:9]
	v_fma_f64 v[8:9], v[84:85], v[8:9], -v[10:11]
	v_mul_f64 v[6:7], v[90:91], v[6:7]
	v_fmac_f64_e32 v[124:125], v[90:91], v[4:5]
	v_add_f64 v[8:9], v[8:9], 0
	v_fma_f64 v[4:5], v[88:89], v[4:5], -v[6:7]
	s_waitcnt vmcnt(17)
	v_mul_f64 v[6:7], v[94:95], v[14:15]
	v_add_f64 v[4:5], v[8:9], v[4:5]
	v_fma_f64 v[6:7], v[92:93], v[12:13], -v[6:7]
	v_add_f64 v[4:5], v[4:5], v[6:7]
	s_waitcnt vmcnt(16)
	v_mul_f64 v[6:7], v[98:99], v[18:19]
	v_fma_f64 v[6:7], v[96:97], v[16:17], -v[6:7]
	v_add_f64 v[4:5], v[4:5], v[6:7]
	s_waitcnt vmcnt(15)
	v_mul_f64 v[6:7], v[102:103], v[22:23]
	v_fma_f64 v[6:7], v[100:101], v[20:21], -v[6:7]
	v_add_f64 v[4:5], v[4:5], v[6:7]
	s_waitcnt vmcnt(14) lgkmcnt(13)
	v_mul_f64 v[6:7], v[106:107], v[26:27]
	v_fma_f64 v[6:7], v[104:105], v[24:25], -v[6:7]
	v_add_f64 v[4:5], v[4:5], v[6:7]
	s_waitcnt vmcnt(13) lgkmcnt(12)
	;; [unrolled: 4-line block ×5, first 2 shown]
	v_mul_f64 v[6:7], v[176:177], v[42:43]
	v_fma_f64 v[6:7], v[174:175], v[40:41], -v[6:7]
	v_mul_f64 v[214:215], v[92:93], v[14:15]
	v_add_f64 v[10:11], v[120:121], 0
	v_add_f64 v[4:5], v[4:5], v[6:7]
	s_waitcnt vmcnt(9) lgkmcnt(8)
	v_mul_f64 v[6:7], v[180:181], v[46:47]
	v_mul_f64 v[216:217], v[96:97], v[18:19]
	v_fmac_f64_e32 v[214:215], v[94:95], v[12:13]
	v_add_f64 v[10:11], v[10:11], v[124:125]
	v_fma_f64 v[6:7], v[178:179], v[44:45], -v[6:7]
	v_mul_f64 v[218:219], v[100:101], v[22:23]
	v_fmac_f64_e32 v[216:217], v[98:99], v[16:17]
	v_add_f64 v[10:11], v[10:11], v[214:215]
	v_add_f64 v[4:5], v[4:5], v[6:7]
	s_waitcnt vmcnt(8) lgkmcnt(7)
	v_mul_f64 v[6:7], v[184:185], v[50:51]
	v_mul_f64 v[220:221], v[104:105], v[26:27]
	v_fmac_f64_e32 v[218:219], v[102:103], v[20:21]
	v_add_f64 v[10:11], v[10:11], v[216:217]
	v_fma_f64 v[6:7], v[182:183], v[48:49], -v[6:7]
	v_mul_f64 v[222:223], v[108:109], v[30:31]
	v_fmac_f64_e32 v[220:221], v[106:107], v[24:25]
	;; [unrolled: 10-line block ×7, first 2 shown]
	v_add_f64 v[10:11], v[10:11], v[238:239]
	v_add_f64 v[4:5], v[4:5], v[6:7]
	s_waitcnt vmcnt(2) lgkmcnt(1)
	v_mul_f64 v[6:7], v[208:209], v[74:75]
	v_mul_f64 v[244:245], v[206:207], v[74:75]
	v_fmac_f64_e32 v[242:243], v[204:205], v[68:69]
	v_add_f64 v[10:11], v[10:11], v[240:241]
	v_fma_f64 v[6:7], v[206:207], v[72:73], -v[6:7]
	s_waitcnt vmcnt(1) lgkmcnt(0)
	v_mul_f64 v[246:247], v[210:211], v[78:79]
	v_fmac_f64_e32 v[244:245], v[208:209], v[72:73]
	v_add_f64 v[10:11], v[10:11], v[242:243]
	v_add_f64 v[4:5], v[4:5], v[6:7]
	v_mul_f64 v[6:7], v[212:213], v[78:79]
	v_fmac_f64_e32 v[246:247], v[212:213], v[76:77]
	v_add_f64 v[10:11], v[10:11], v[244:245]
	v_fma_f64 v[6:7], v[210:211], v[76:77], -v[6:7]
	v_add_f64 v[10:11], v[10:11], v[246:247]
	v_add_f64 v[4:5], v[4:5], v[6:7]
	s_waitcnt vmcnt(0)
	v_add_f64 v[4:5], v[80:81], -v[4:5]
	v_add_f64 v[6:7], v[82:83], -v[10:11]
	scratch_store_dwordx4 off, v[4:7], off offset:64
	s_and_saveexec_b64 s[2:3], vcc
	s_cbranch_execz .LBB87_151
; %bb.150:
	scratch_load_dwordx4 v[6:9], off, s39
	v_mov_b32_e32 v3, v2
	v_mov_b32_e32 v4, v2
	;; [unrolled: 1-line block ×3, first 2 shown]
	scratch_store_dwordx4 off, v[2:5], off offset:48
	s_waitcnt vmcnt(1)
	ds_write_b128 v122, v[6:9]
.LBB87_151:
	s_or_b64 exec, exec, s[2:3]
	s_waitcnt lgkmcnt(0)
	; wave barrier
	ds_read_b128 v[16:19], v2 offset:448
	ds_read_b128 v[12:15], v2 offset:464
	;; [unrolled: 1-line block ×4, first 2 shown]
	scratch_load_dwordx4 v[20:23], off, off offset:64
	scratch_load_dwordx4 v[40:43], off, off offset:128
	;; [unrolled: 1-line block ×14, first 2 shown]
	v_cmp_lt_u32_e32 vcc, 2, v1
	scratch_load_dwordx4 v[48:51], off, off offset:144
	scratch_load_dwordx4 v[56:59], off, off offset:160
	;; [unrolled: 1-line block ×3, first 2 shown]
	ds_read_b128 v[178:181], v2 offset:688
	ds_read_b128 v[186:189], v2 offset:704
	;; [unrolled: 1-line block ×5, first 2 shown]
	s_waitcnt vmcnt(16) lgkmcnt(8)
	v_mul_f64 v[24:25], v[16:17], v[22:23]
	v_fmac_f64_e32 v[24:25], v[18:19], v[20:21]
	v_add_f64 v[28:29], v[24:25], 0
	scratch_load_dwordx4 v[24:27], off, off offset:80
	s_waitcnt vmcnt(0) lgkmcnt(7)
	v_mul_f64 v[30:31], v[12:13], v[26:27]
	v_fmac_f64_e32 v[30:31], v[14:15], v[24:25]
	v_add_f64 v[32:33], v[28:29], v[30:31]
	scratch_load_dwordx4 v[28:31], off, off offset:96
	v_mul_f64 v[14:15], v[14:15], v[26:27]
	v_fma_f64 v[12:13], v[12:13], v[24:25], -v[14:15]
	s_waitcnt vmcnt(0) lgkmcnt(6)
	v_mul_f64 v[34:35], v[8:9], v[30:31]
	v_fmac_f64_e32 v[34:35], v[10:11], v[28:29]
	v_add_f64 v[36:37], v[32:33], v[34:35]
	scratch_load_dwordx4 v[32:35], off, off offset:112
	v_mul_f64 v[10:11], v[10:11], v[30:31]
	v_fma_f64 v[8:9], v[8:9], v[28:29], -v[10:11]
	s_waitcnt vmcnt(0) lgkmcnt(5)
	v_mul_f64 v[38:39], v[4:5], v[34:35]
	v_fmac_f64_e32 v[38:39], v[6:7], v[32:33]
	v_add_f64 v[44:45], v[36:37], v[38:39]
	ds_read_b128 v[36:39], v2 offset:512
	v_mul_f64 v[6:7], v[6:7], v[34:35]
	v_fma_f64 v[4:5], v[4:5], v[32:33], -v[6:7]
	s_waitcnt lgkmcnt(0)
	v_mul_f64 v[46:47], v[36:37], v[42:43]
	v_fmac_f64_e32 v[46:47], v[38:39], v[40:41]
	v_add_f64 v[52:53], v[44:45], v[46:47]
	ds_read_b128 v[44:47], v2 offset:528
	s_waitcnt lgkmcnt(0)
	v_mul_f64 v[54:55], v[44:45], v[50:51]
	v_fmac_f64_e32 v[54:55], v[46:47], v[48:49]
	v_add_f64 v[60:61], v[52:53], v[54:55]
	ds_read_b128 v[52:55], v2 offset:544
	;; [unrolled: 5-line block ×10, first 2 shown]
	v_mul_f64 v[2:3], v[210:211], v[216:217]
	v_fmac_f64_e32 v[2:3], v[212:213], v[214:215]
	s_waitcnt lgkmcnt(0)
	v_mul_f64 v[124:125], v[118:119], v[176:177]
	v_fmac_f64_e32 v[124:125], v[120:121], v[174:175]
	v_add_f64 v[96:97], v[96:97], v[124:125]
	v_mul_f64 v[124:125], v[178:179], v[184:185]
	v_fmac_f64_e32 v[124:125], v[180:181], v[182:183]
	v_add_f64 v[96:97], v[96:97], v[124:125]
	;; [unrolled: 3-line block ×5, first 2 shown]
	v_add_f64 v[96:97], v[96:97], v[2:3]
	v_mul_f64 v[2:3], v[18:19], v[22:23]
	v_fma_f64 v[2:3], v[16:17], v[20:21], -v[2:3]
	v_add_f64 v[2:3], v[2:3], 0
	v_add_f64 v[2:3], v[2:3], v[12:13]
	;; [unrolled: 1-line block ×4, first 2 shown]
	v_mul_f64 v[4:5], v[38:39], v[42:43]
	v_fma_f64 v[4:5], v[36:37], v[40:41], -v[4:5]
	v_add_f64 v[2:3], v[2:3], v[4:5]
	v_mul_f64 v[4:5], v[46:47], v[50:51]
	v_fma_f64 v[4:5], v[44:45], v[48:49], -v[4:5]
	v_add_f64 v[2:3], v[2:3], v[4:5]
	;; [unrolled: 3-line block ×16, first 2 shown]
	scratch_load_dwordx4 v[2:5], off, off offset:48
	s_waitcnt vmcnt(0)
	v_add_f64 v[2:3], v[2:3], -v[6:7]
	v_add_f64 v[4:5], v[4:5], -v[96:97]
	scratch_store_dwordx4 off, v[2:5], off offset:48
	s_and_saveexec_b64 s[2:3], vcc
	s_cbranch_execz .LBB87_153
; %bb.152:
	scratch_load_dwordx4 v[2:5], off, s40
	v_mov_b32_e32 v6, 0
	v_mov_b32_e32 v7, v6
	;; [unrolled: 1-line block ×4, first 2 shown]
	scratch_store_dwordx4 off, v[6:9], off offset:32
	s_waitcnt vmcnt(1)
	ds_write_b128 v122, v[2:5]
.LBB87_153:
	s_or_b64 exec, exec, s[2:3]
	v_mov_b32_e32 v2, 0
	s_waitcnt lgkmcnt(0)
	; wave barrier
	ds_read_b128 v[16:19], v2 offset:432
	ds_read_b128 v[12:15], v2 offset:448
	;; [unrolled: 1-line block ×4, first 2 shown]
	scratch_load_dwordx4 v[20:23], off, off offset:48
	scratch_load_dwordx4 v[40:43], off, off offset:112
	;; [unrolled: 1-line block ×15, first 2 shown]
	v_cmp_lt_u32_e32 vcc, 1, v1
	scratch_load_dwordx4 v[48:51], off, off offset:128
	scratch_load_dwordx4 v[56:59], off, off offset:144
	;; [unrolled: 1-line block ×3, first 2 shown]
	ds_read_b128 v[178:181], v2 offset:672
	ds_read_b128 v[186:189], v2 offset:688
	;; [unrolled: 1-line block ×6, first 2 shown]
	s_waitcnt vmcnt(17) lgkmcnt(9)
	v_mul_f64 v[24:25], v[16:17], v[22:23]
	v_fmac_f64_e32 v[24:25], v[18:19], v[20:21]
	v_add_f64 v[28:29], v[24:25], 0
	scratch_load_dwordx4 v[24:27], off, off offset:64
	v_mul_f64 v[18:19], v[18:19], v[22:23]
	v_fma_f64 v[16:17], v[16:17], v[20:21], -v[18:19]
	v_add_f64 v[16:17], v[16:17], 0
	s_waitcnt vmcnt(0) lgkmcnt(8)
	v_mul_f64 v[30:31], v[12:13], v[26:27]
	v_fmac_f64_e32 v[30:31], v[14:15], v[24:25]
	v_add_f64 v[32:33], v[28:29], v[30:31]
	scratch_load_dwordx4 v[28:31], off, off offset:80
	v_mul_f64 v[14:15], v[14:15], v[26:27]
	v_fma_f64 v[12:13], v[12:13], v[24:25], -v[14:15]
	v_add_f64 v[12:13], v[16:17], v[12:13]
	;; [unrolled: 8-line block ×3, first 2 shown]
	s_waitcnt vmcnt(0) lgkmcnt(6)
	v_mul_f64 v[38:39], v[4:5], v[34:35]
	v_fmac_f64_e32 v[38:39], v[6:7], v[32:33]
	v_add_f64 v[44:45], v[36:37], v[38:39]
	ds_read_b128 v[36:39], v2 offset:496
	v_mul_f64 v[6:7], v[6:7], v[34:35]
	v_fma_f64 v[4:5], v[4:5], v[32:33], -v[6:7]
	v_add_f64 v[4:5], v[8:9], v[4:5]
	s_waitcnt lgkmcnt(0)
	v_mul_f64 v[46:47], v[36:37], v[42:43]
	v_fmac_f64_e32 v[46:47], v[38:39], v[40:41]
	v_add_f64 v[52:53], v[44:45], v[46:47]
	ds_read_b128 v[44:47], v2 offset:512
	v_mul_f64 v[6:7], v[38:39], v[42:43]
	v_fma_f64 v[6:7], v[36:37], v[40:41], -v[6:7]
	v_add_f64 v[4:5], v[4:5], v[6:7]
	s_waitcnt lgkmcnt(0)
	;; [unrolled: 8-line block ×11, first 2 shown]
	v_mul_f64 v[6:7], v[120:121], v[176:177]
	v_fma_f64 v[6:7], v[118:119], v[174:175], -v[6:7]
	v_add_f64 v[4:5], v[4:5], v[6:7]
	v_mul_f64 v[6:7], v[180:181], v[184:185]
	v_fma_f64 v[6:7], v[178:179], v[182:183], -v[6:7]
	v_add_f64 v[4:5], v[4:5], v[6:7]
	;; [unrolled: 3-line block ×7, first 2 shown]
	scratch_load_dwordx4 v[4:7], off, off offset:32
	v_mul_f64 v[124:125], v[118:119], v[176:177]
	v_fmac_f64_e32 v[124:125], v[120:121], v[174:175]
	v_add_f64 v[104:105], v[104:105], v[124:125]
	v_mul_f64 v[124:125], v[178:179], v[184:185]
	v_fmac_f64_e32 v[124:125], v[180:181], v[182:183]
	v_add_f64 v[104:105], v[104:105], v[124:125]
	;; [unrolled: 3-line block ×7, first 2 shown]
	s_waitcnt vmcnt(0)
	v_add_f64 v[4:5], v[4:5], -v[8:9]
	v_add_f64 v[6:7], v[6:7], -v[104:105]
	scratch_store_dwordx4 off, v[4:7], off offset:32
	s_and_saveexec_b64 s[2:3], vcc
	s_cbranch_execz .LBB87_155
; %bb.154:
	scratch_load_dwordx4 v[6:9], off, s41
	v_mov_b32_e32 v3, v2
	v_mov_b32_e32 v4, v2
	;; [unrolled: 1-line block ×3, first 2 shown]
	scratch_store_dwordx4 off, v[2:5], off offset:16
	s_waitcnt vmcnt(1)
	ds_write_b128 v122, v[6:9]
.LBB87_155:
	s_or_b64 exec, exec, s[2:3]
	s_waitcnt lgkmcnt(0)
	; wave barrier
	ds_read_b128 v[16:19], v2 offset:416
	ds_read_b128 v[12:15], v2 offset:432
	;; [unrolled: 1-line block ×4, first 2 shown]
	scratch_load_dwordx4 v[20:23], off, off offset:32
	scratch_load_dwordx4 v[40:43], off, off offset:96
	;; [unrolled: 1-line block ×16, first 2 shown]
	v_cmp_ne_u32_e32 vcc, 0, v1
	scratch_load_dwordx4 v[48:51], off, off offset:112
	scratch_load_dwordx4 v[56:59], off, off offset:128
	;; [unrolled: 1-line block ×3, first 2 shown]
	ds_read_b128 v[178:181], v2 offset:656
	ds_read_b128 v[186:189], v2 offset:672
	;; [unrolled: 1-line block ×7, first 2 shown]
	s_waitcnt vmcnt(18) lgkmcnt(10)
	v_mul_f64 v[24:25], v[16:17], v[22:23]
	v_fmac_f64_e32 v[24:25], v[18:19], v[20:21]
	v_add_f64 v[28:29], v[24:25], 0
	scratch_load_dwordx4 v[24:27], off, off offset:48
	s_waitcnt vmcnt(0) lgkmcnt(9)
	v_mul_f64 v[30:31], v[12:13], v[26:27]
	v_fmac_f64_e32 v[30:31], v[14:15], v[24:25]
	v_add_f64 v[32:33], v[28:29], v[30:31]
	scratch_load_dwordx4 v[28:31], off, off offset:64
	v_mul_f64 v[14:15], v[14:15], v[26:27]
	v_fma_f64 v[12:13], v[12:13], v[24:25], -v[14:15]
	s_waitcnt vmcnt(0) lgkmcnt(8)
	v_mul_f64 v[34:35], v[8:9], v[30:31]
	v_fmac_f64_e32 v[34:35], v[10:11], v[28:29]
	v_add_f64 v[36:37], v[32:33], v[34:35]
	scratch_load_dwordx4 v[32:35], off, off offset:80
	v_mul_f64 v[10:11], v[10:11], v[30:31]
	v_fma_f64 v[8:9], v[8:9], v[28:29], -v[10:11]
	s_waitcnt vmcnt(0) lgkmcnt(7)
	v_mul_f64 v[38:39], v[4:5], v[34:35]
	v_fmac_f64_e32 v[38:39], v[6:7], v[32:33]
	v_add_f64 v[44:45], v[36:37], v[38:39]
	ds_read_b128 v[36:39], v2 offset:480
	v_mul_f64 v[6:7], v[6:7], v[34:35]
	v_fma_f64 v[4:5], v[4:5], v[32:33], -v[6:7]
	s_waitcnt lgkmcnt(0)
	v_mul_f64 v[46:47], v[36:37], v[42:43]
	v_fmac_f64_e32 v[46:47], v[38:39], v[40:41]
	v_add_f64 v[52:53], v[44:45], v[46:47]
	ds_read_b128 v[44:47], v2 offset:496
	s_waitcnt lgkmcnt(0)
	v_mul_f64 v[54:55], v[44:45], v[50:51]
	v_fmac_f64_e32 v[54:55], v[46:47], v[48:49]
	v_add_f64 v[60:61], v[52:53], v[54:55]
	ds_read_b128 v[52:55], v2 offset:512
	;; [unrolled: 5-line block ×10, first 2 shown]
	v_mul_f64 v[2:3], v[226:227], v[232:233]
	v_fmac_f64_e32 v[2:3], v[228:229], v[230:231]
	s_waitcnt lgkmcnt(0)
	v_mul_f64 v[124:125], v[116:117], v[176:177]
	v_fmac_f64_e32 v[124:125], v[118:119], v[174:175]
	v_add_f64 v[120:121], v[120:121], v[124:125]
	v_mul_f64 v[124:125], v[178:179], v[184:185]
	v_fmac_f64_e32 v[124:125], v[180:181], v[182:183]
	v_add_f64 v[120:121], v[120:121], v[124:125]
	;; [unrolled: 3-line block ×7, first 2 shown]
	v_add_f64 v[120:121], v[120:121], v[2:3]
	v_mul_f64 v[2:3], v[18:19], v[22:23]
	v_fma_f64 v[2:3], v[16:17], v[20:21], -v[2:3]
	v_add_f64 v[2:3], v[2:3], 0
	v_add_f64 v[2:3], v[2:3], v[12:13]
	;; [unrolled: 1-line block ×4, first 2 shown]
	v_mul_f64 v[4:5], v[38:39], v[42:43]
	v_fma_f64 v[4:5], v[36:37], v[40:41], -v[4:5]
	v_add_f64 v[2:3], v[2:3], v[4:5]
	v_mul_f64 v[4:5], v[46:47], v[50:51]
	v_fma_f64 v[4:5], v[44:45], v[48:49], -v[4:5]
	v_add_f64 v[2:3], v[2:3], v[4:5]
	;; [unrolled: 3-line block ×18, first 2 shown]
	scratch_load_dwordx4 v[2:5], off, off offset:16
	s_waitcnt vmcnt(0)
	v_add_f64 v[2:3], v[2:3], -v[6:7]
	v_add_f64 v[4:5], v[4:5], -v[120:121]
	scratch_store_dwordx4 off, v[2:5], off offset:16
	s_and_saveexec_b64 s[2:3], vcc
	s_cbranch_execz .LBB87_157
; %bb.156:
	scratch_load_dwordx4 v[2:5], off, off
	v_mov_b32_e32 v6, 0
	v_mov_b32_e32 v7, v6
	;; [unrolled: 1-line block ×4, first 2 shown]
	scratch_store_dwordx4 off, v[6:9], off
	s_waitcnt vmcnt(1)
	ds_write_b128 v122, v[2:5]
.LBB87_157:
	s_or_b64 exec, exec, s[2:3]
	v_mov_b32_e32 v176, 0
	s_waitcnt lgkmcnt(0)
	; wave barrier
	ds_read_b128 v[14:17], v176 offset:400
	ds_read_b128 v[10:13], v176 offset:416
	ds_read_b128 v[6:9], v176 offset:432
	ds_read_b128 v[2:5], v176 offset:448
	scratch_load_dwordx4 v[18:21], off, off offset:16
	scratch_load_dwordx4 v[38:41], off, off offset:80
	;; [unrolled: 1-line block ×17, first 2 shown]
	s_and_b64 vcc, exec, s[14:15]
	scratch_load_dwordx4 v[46:49], off, off offset:96
	scratch_load_dwordx4 v[54:57], off, off offset:112
	;; [unrolled: 1-line block ×3, first 2 shown]
	s_waitcnt vmcnt(19) lgkmcnt(3)
	v_mul_f64 v[22:23], v[14:15], v[20:21]
	v_fmac_f64_e32 v[22:23], v[16:17], v[18:19]
	v_add_f64 v[26:27], v[22:23], 0
	scratch_load_dwordx4 v[22:25], off, off offset:32
	v_mul_f64 v[16:17], v[16:17], v[20:21]
	v_fma_f64 v[14:15], v[14:15], v[18:19], -v[16:17]
	v_add_f64 v[14:15], v[14:15], 0
	s_waitcnt vmcnt(0) lgkmcnt(2)
	v_mul_f64 v[28:29], v[10:11], v[24:25]
	v_fmac_f64_e32 v[28:29], v[12:13], v[22:23]
	v_add_f64 v[30:31], v[26:27], v[28:29]
	scratch_load_dwordx4 v[26:29], off, off offset:48
	v_mul_f64 v[12:13], v[12:13], v[24:25]
	v_fma_f64 v[10:11], v[10:11], v[22:23], -v[12:13]
	v_add_f64 v[10:11], v[14:15], v[10:11]
	;; [unrolled: 8-line block ×3, first 2 shown]
	s_waitcnt vmcnt(0) lgkmcnt(0)
	v_mul_f64 v[36:37], v[2:3], v[32:33]
	v_fmac_f64_e32 v[36:37], v[4:5], v[30:31]
	v_add_f64 v[42:43], v[34:35], v[36:37]
	ds_read_b128 v[34:37], v176 offset:464
	v_mul_f64 v[4:5], v[4:5], v[32:33]
	v_fma_f64 v[2:3], v[2:3], v[30:31], -v[4:5]
	v_add_f64 v[2:3], v[6:7], v[2:3]
	s_waitcnt lgkmcnt(0)
	v_mul_f64 v[44:45], v[34:35], v[40:41]
	v_fmac_f64_e32 v[44:45], v[36:37], v[38:39]
	v_add_f64 v[50:51], v[42:43], v[44:45]
	ds_read_b128 v[42:45], v176 offset:480
	v_mul_f64 v[4:5], v[36:37], v[40:41]
	v_fma_f64 v[4:5], v[34:35], v[38:39], -v[4:5]
	v_add_f64 v[2:3], v[2:3], v[4:5]
	s_waitcnt lgkmcnt(0)
	;; [unrolled: 8-line block ×19, first 2 shown]
	v_mul_f64 v[4:5], v[232:233], v[236:237]
	v_fma_f64 v[4:5], v[230:231], v[234:235], -v[4:5]
	v_add_f64 v[6:7], v[2:3], v[4:5]
	scratch_load_dwordx4 v[2:5], off, off
	v_mul_f64 v[238:239], v[230:231], v[236:237]
	v_fmac_f64_e32 v[238:239], v[232:233], v[234:235]
	v_add_f64 v[174:175], v[174:175], v[238:239]
	s_waitcnt vmcnt(0)
	v_add_f64 v[2:3], v[2:3], -v[6:7]
	v_add_f64 v[4:5], v[4:5], -v[174:175]
	scratch_store_dwordx4 off, v[2:5], off
	s_cbranch_vccz .LBB87_204
; %bb.158:
	global_load_dword v2, v176, s[12:13] offset:88
	s_load_dwordx2 s[2:3], s[0:1], 0x4
	v_bfe_u32 v3, v0, 10, 10
	v_bfe_u32 v0, v0, 20, 10
	s_waitcnt lgkmcnt(0)
	s_lshr_b32 s0, s2, 16
	s_mul_i32 s0, s0, s3
	v_mul_u32_u24_e32 v1, s0, v1
	v_mul_u32_u24_e32 v3, s3, v3
	v_add3_u32 v0, v1, v3, v0
	v_mov_b32_e32 v1, 0x308
	v_lshl_add_u32 v0, v0, 4, v1
	s_waitcnt vmcnt(0)
	v_readfirstlane_b32 s0, v2
	s_add_i32 s0, s0, -1
	s_cmp_lg_u32 s0, 22
	s_cbranch_scc0 .LBB87_160
; %bb.159:
	s_lshl_b32 s0, s0, 4
	scratch_load_dwordx4 v[2:5], off, s19
	scratch_load_dwordx4 v[6:9], off, s0
	s_waitcnt vmcnt(1)
	ds_write2_b64 v0, v[2:3], v[4:5] offset1:1
	s_waitcnt vmcnt(0)
	scratch_store_dwordx4 off, v[6:9], s19
	scratch_store_dwordx4 off, v[2:5], s0
.LBB87_160:
	v_mov_b32_e32 v1, 0
	global_load_dword v2, v1, s[12:13] offset:84
	s_waitcnt vmcnt(0)
	v_readfirstlane_b32 s0, v2
	s_add_i32 s0, s0, -1
	s_cmp_eq_u32 s0, 21
	s_cbranch_scc1 .LBB87_162
; %bb.161:
	s_lshl_b32 s0, s0, 4
	scratch_load_dwordx4 v[2:5], off, s20
	scratch_load_dwordx4 v[6:9], off, s0
	s_waitcnt vmcnt(1)
	ds_write2_b64 v0, v[2:3], v[4:5] offset1:1
	s_waitcnt vmcnt(0)
	scratch_store_dwordx4 off, v[6:9], s20
	scratch_store_dwordx4 off, v[2:5], s0
.LBB87_162:
	global_load_dword v1, v1, s[12:13] offset:80
	s_waitcnt vmcnt(0)
	v_readfirstlane_b32 s0, v1
	s_add_i32 s0, s0, -1
	s_cmp_eq_u32 s0, 20
	s_cbranch_scc1 .LBB87_164
; %bb.163:
	s_lshl_b32 s0, s0, 4
	scratch_load_dwordx4 v[2:5], off, s21
	scratch_load_dwordx4 v[6:9], off, s0
	s_waitcnt vmcnt(1)
	ds_write2_b64 v0, v[2:3], v[4:5] offset1:1
	s_waitcnt vmcnt(0)
	scratch_store_dwordx4 off, v[6:9], s21
	scratch_store_dwordx4 off, v[2:5], s0
.LBB87_164:
	v_mov_b32_e32 v1, 0
	global_load_dword v2, v1, s[12:13] offset:76
	s_waitcnt vmcnt(0)
	v_readfirstlane_b32 s0, v2
	s_add_i32 s0, s0, -1
	s_cmp_eq_u32 s0, 19
	s_cbranch_scc1 .LBB87_166
; %bb.165:
	s_lshl_b32 s0, s0, 4
	scratch_load_dwordx4 v[2:5], off, s22
	scratch_load_dwordx4 v[6:9], off, s0
	s_waitcnt vmcnt(1)
	ds_write2_b64 v0, v[2:3], v[4:5] offset1:1
	s_waitcnt vmcnt(0)
	scratch_store_dwordx4 off, v[6:9], s22
	scratch_store_dwordx4 off, v[2:5], s0
.LBB87_166:
	global_load_dword v1, v1, s[12:13] offset:72
	s_waitcnt vmcnt(0)
	v_readfirstlane_b32 s0, v1
	s_add_i32 s0, s0, -1
	s_cmp_eq_u32 s0, 18
	s_cbranch_scc1 .LBB87_168
; %bb.167:
	s_lshl_b32 s0, s0, 4
	scratch_load_dwordx4 v[2:5], off, s23
	scratch_load_dwordx4 v[6:9], off, s0
	s_waitcnt vmcnt(1)
	ds_write2_b64 v0, v[2:3], v[4:5] offset1:1
	s_waitcnt vmcnt(0)
	scratch_store_dwordx4 off, v[6:9], s23
	scratch_store_dwordx4 off, v[2:5], s0
.LBB87_168:
	;; [unrolled: 33-line block ×10, first 2 shown]
	v_mov_b32_e32 v1, 0
	global_load_dword v2, v1, s[12:13] offset:4
	s_waitcnt vmcnt(0)
	v_readfirstlane_b32 s0, v2
	s_add_i32 s0, s0, -1
	s_cmp_eq_u32 s0, 1
	s_cbranch_scc1 .LBB87_202
; %bb.201:
	s_lshl_b32 s0, s0, 4
	scratch_load_dwordx4 v[2:5], off, s41
	scratch_load_dwordx4 v[6:9], off, s0
	s_waitcnt vmcnt(1)
	ds_write2_b64 v0, v[2:3], v[4:5] offset1:1
	s_waitcnt vmcnt(0)
	scratch_store_dwordx4 off, v[6:9], s41
	scratch_store_dwordx4 off, v[2:5], s0
.LBB87_202:
	global_load_dword v1, v1, s[12:13]
	s_waitcnt vmcnt(0)
	v_readfirstlane_b32 s0, v1
	s_add_i32 s0, s0, -1
	s_cmp_eq_u32 s0, 0
	s_cbranch_scc1 .LBB87_204
; %bb.203:
	s_lshl_b32 s0, s0, 4
	scratch_load_dwordx4 v[2:5], off, off
	scratch_load_dwordx4 v[6:9], off, s0
	s_waitcnt vmcnt(1)
	ds_write2_b64 v0, v[2:3], v[4:5] offset1:1
	s_waitcnt vmcnt(0)
	scratch_store_dwordx4 off, v[6:9], off
	scratch_store_dwordx4 off, v[2:5], s0
.LBB87_204:
	scratch_load_dwordx4 v[0:3], off, off
	s_waitcnt vmcnt(0)
	flat_store_dwordx4 v[126:127], v[0:3]
	scratch_load_dwordx4 v[0:3], off, s41
	s_waitcnt vmcnt(0)
	flat_store_dwordx4 v[128:129], v[0:3]
	scratch_load_dwordx4 v[0:3], off, s40
	;; [unrolled: 3-line block ×23, first 2 shown]
	s_waitcnt vmcnt(0)
	flat_store_dwordx4 v[172:173], v[0:3]
	s_endpgm
	.section	.rodata,"a",@progbits
	.p2align	6, 0x0
	.amdhsa_kernel _ZN9rocsolver6v33100L18getri_kernel_smallILi24E19rocblas_complex_numIdEPKPS3_EEvT1_iilPiilS8_bb
		.amdhsa_group_segment_fixed_size 1800
		.amdhsa_private_segment_fixed_size 400
		.amdhsa_kernarg_size 60
		.amdhsa_user_sgpr_count 4
		.amdhsa_user_sgpr_dispatch_ptr 1
		.amdhsa_user_sgpr_queue_ptr 0
		.amdhsa_user_sgpr_kernarg_segment_ptr 1
		.amdhsa_user_sgpr_dispatch_id 0
		.amdhsa_user_sgpr_kernarg_preload_length 0
		.amdhsa_user_sgpr_kernarg_preload_offset 0
		.amdhsa_user_sgpr_private_segment_size 0
		.amdhsa_uses_dynamic_stack 0
		.amdhsa_enable_private_segment 1
		.amdhsa_system_sgpr_workgroup_id_x 1
		.amdhsa_system_sgpr_workgroup_id_y 0
		.amdhsa_system_sgpr_workgroup_id_z 0
		.amdhsa_system_sgpr_workgroup_info 0
		.amdhsa_system_vgpr_workitem_id 2
		.amdhsa_next_free_vgpr 248
		.amdhsa_next_free_sgpr 48
		.amdhsa_accum_offset 248
		.amdhsa_reserve_vcc 1
		.amdhsa_float_round_mode_32 0
		.amdhsa_float_round_mode_16_64 0
		.amdhsa_float_denorm_mode_32 3
		.amdhsa_float_denorm_mode_16_64 3
		.amdhsa_dx10_clamp 1
		.amdhsa_ieee_mode 1
		.amdhsa_fp16_overflow 0
		.amdhsa_tg_split 0
		.amdhsa_exception_fp_ieee_invalid_op 0
		.amdhsa_exception_fp_denorm_src 0
		.amdhsa_exception_fp_ieee_div_zero 0
		.amdhsa_exception_fp_ieee_overflow 0
		.amdhsa_exception_fp_ieee_underflow 0
		.amdhsa_exception_fp_ieee_inexact 0
		.amdhsa_exception_int_div_zero 0
	.end_amdhsa_kernel
	.section	.text._ZN9rocsolver6v33100L18getri_kernel_smallILi24E19rocblas_complex_numIdEPKPS3_EEvT1_iilPiilS8_bb,"axG",@progbits,_ZN9rocsolver6v33100L18getri_kernel_smallILi24E19rocblas_complex_numIdEPKPS3_EEvT1_iilPiilS8_bb,comdat
.Lfunc_end87:
	.size	_ZN9rocsolver6v33100L18getri_kernel_smallILi24E19rocblas_complex_numIdEPKPS3_EEvT1_iilPiilS8_bb, .Lfunc_end87-_ZN9rocsolver6v33100L18getri_kernel_smallILi24E19rocblas_complex_numIdEPKPS3_EEvT1_iilPiilS8_bb
                                        ; -- End function
	.set _ZN9rocsolver6v33100L18getri_kernel_smallILi24E19rocblas_complex_numIdEPKPS3_EEvT1_iilPiilS8_bb.num_vgpr, 248
	.set _ZN9rocsolver6v33100L18getri_kernel_smallILi24E19rocblas_complex_numIdEPKPS3_EEvT1_iilPiilS8_bb.num_agpr, 0
	.set _ZN9rocsolver6v33100L18getri_kernel_smallILi24E19rocblas_complex_numIdEPKPS3_EEvT1_iilPiilS8_bb.numbered_sgpr, 48
	.set _ZN9rocsolver6v33100L18getri_kernel_smallILi24E19rocblas_complex_numIdEPKPS3_EEvT1_iilPiilS8_bb.num_named_barrier, 0
	.set _ZN9rocsolver6v33100L18getri_kernel_smallILi24E19rocblas_complex_numIdEPKPS3_EEvT1_iilPiilS8_bb.private_seg_size, 400
	.set _ZN9rocsolver6v33100L18getri_kernel_smallILi24E19rocblas_complex_numIdEPKPS3_EEvT1_iilPiilS8_bb.uses_vcc, 1
	.set _ZN9rocsolver6v33100L18getri_kernel_smallILi24E19rocblas_complex_numIdEPKPS3_EEvT1_iilPiilS8_bb.uses_flat_scratch, 0
	.set _ZN9rocsolver6v33100L18getri_kernel_smallILi24E19rocblas_complex_numIdEPKPS3_EEvT1_iilPiilS8_bb.has_dyn_sized_stack, 0
	.set _ZN9rocsolver6v33100L18getri_kernel_smallILi24E19rocblas_complex_numIdEPKPS3_EEvT1_iilPiilS8_bb.has_recursion, 0
	.set _ZN9rocsolver6v33100L18getri_kernel_smallILi24E19rocblas_complex_numIdEPKPS3_EEvT1_iilPiilS8_bb.has_indirect_call, 0
	.section	.AMDGPU.csdata,"",@progbits
; Kernel info:
; codeLenInByte = 29216
; TotalNumSgprs: 54
; NumVgprs: 248
; NumAgprs: 0
; TotalNumVgprs: 248
; ScratchSize: 400
; MemoryBound: 0
; FloatMode: 240
; IeeeMode: 1
; LDSByteSize: 1800 bytes/workgroup (compile time only)
; SGPRBlocks: 6
; VGPRBlocks: 30
; NumSGPRsForWavesPerEU: 54
; NumVGPRsForWavesPerEU: 248
; AccumOffset: 248
; Occupancy: 2
; WaveLimiterHint : 1
; COMPUTE_PGM_RSRC2:SCRATCH_EN: 1
; COMPUTE_PGM_RSRC2:USER_SGPR: 4
; COMPUTE_PGM_RSRC2:TRAP_HANDLER: 0
; COMPUTE_PGM_RSRC2:TGID_X_EN: 1
; COMPUTE_PGM_RSRC2:TGID_Y_EN: 0
; COMPUTE_PGM_RSRC2:TGID_Z_EN: 0
; COMPUTE_PGM_RSRC2:TIDIG_COMP_CNT: 2
; COMPUTE_PGM_RSRC3_GFX90A:ACCUM_OFFSET: 61
; COMPUTE_PGM_RSRC3_GFX90A:TG_SPLIT: 0
	.section	.text._ZN9rocsolver6v33100L18getri_kernel_smallILi25E19rocblas_complex_numIdEPKPS3_EEvT1_iilPiilS8_bb,"axG",@progbits,_ZN9rocsolver6v33100L18getri_kernel_smallILi25E19rocblas_complex_numIdEPKPS3_EEvT1_iilPiilS8_bb,comdat
	.globl	_ZN9rocsolver6v33100L18getri_kernel_smallILi25E19rocblas_complex_numIdEPKPS3_EEvT1_iilPiilS8_bb ; -- Begin function _ZN9rocsolver6v33100L18getri_kernel_smallILi25E19rocblas_complex_numIdEPKPS3_EEvT1_iilPiilS8_bb
	.p2align	8
	.type	_ZN9rocsolver6v33100L18getri_kernel_smallILi25E19rocblas_complex_numIdEPKPS3_EEvT1_iilPiilS8_bb,@function
_ZN9rocsolver6v33100L18getri_kernel_smallILi25E19rocblas_complex_numIdEPKPS3_EEvT1_iilPiilS8_bb: ; @_ZN9rocsolver6v33100L18getri_kernel_smallILi25E19rocblas_complex_numIdEPKPS3_EEvT1_iilPiilS8_bb
; %bb.0:
	v_and_b32_e32 v1, 0x3ff, v0
	v_cmp_gt_u32_e32 vcc, 25, v1
	s_and_saveexec_b64 s[6:7], vcc
	s_cbranch_execz .LBB88_114
; %bb.1:
	s_load_dword s18, s[2:3], 0x38
	s_load_dwordx2 s[6:7], s[2:3], 0x0
	s_load_dwordx4 s[8:11], s[2:3], 0x28
	s_waitcnt lgkmcnt(0)
	s_bitcmp1_b32 s18, 8
	s_cselect_b64 s[14:15], -1, 0
	s_ashr_i32 s5, s4, 31
	s_lshl_b64 s[12:13], s[4:5], 3
	s_add_u32 s6, s6, s12
	s_addc_u32 s7, s7, s13
	s_load_dwordx2 s[16:17], s[6:7], 0x0
	s_bfe_u32 s6, s18, 0x10008
	s_cmp_eq_u32 s6, 0
                                        ; implicit-def: $sgpr12_sgpr13
	s_cbranch_scc1 .LBB88_3
; %bb.2:
	s_load_dword s6, s[2:3], 0x20
	s_load_dwordx2 s[12:13], s[2:3], 0x18
	s_mul_i32 s7, s8, s5
	s_mul_hi_u32 s18, s8, s4
	s_add_i32 s18, s18, s7
	s_mul_i32 s9, s9, s4
	s_add_i32 s9, s18, s9
	s_mul_i32 s8, s8, s4
	s_waitcnt lgkmcnt(0)
	s_ashr_i32 s7, s6, 31
	s_lshl_b64 s[8:9], s[8:9], 2
	s_add_u32 s8, s12, s8
	s_addc_u32 s9, s13, s9
	s_lshl_b64 s[6:7], s[6:7], 2
	s_add_u32 s12, s8, s6
	s_addc_u32 s13, s9, s7
.LBB88_3:
	s_load_dwordx2 s[6:7], s[2:3], 0x8
	s_load_dword s8, s[2:3], 0x38
	v_lshlrev_b32_e32 v14, 4, v1
	v_mov_b32_e32 v15, 0
	s_movk_i32 s43, 0x130
	s_waitcnt lgkmcnt(0)
	s_ashr_i32 s3, s6, 31
	s_mov_b32 s2, s6
	s_lshl_b64 s[2:3], s[2:3], 4
	s_add_u32 s2, s16, s2
	s_addc_u32 s3, s17, s3
	v_lshl_add_u64 v[148:149], s[2:3], 0, v[14:15]
	flat_load_dwordx4 v[2:5], v[148:149]
	s_mov_b32 s16, s7
	s_ashr_i32 s17, s7, 31
	v_lshl_add_u64 v[150:151], s[16:17], 4, v[148:149]
	s_add_i32 s6, s7, s7
	v_add_u32_e32 v6, s6, v1
	v_ashrrev_i32_e32 v7, 31, v6
	v_lshl_add_u64 v[152:153], v[6:7], 4, s[2:3]
	v_add_u32_e32 v6, s7, v6
	v_ashrrev_i32_e32 v7, 31, v6
	v_lshl_add_u64 v[154:155], v[6:7], 4, s[2:3]
	;; [unrolled: 3-line block ×23, first 2 shown]
	s_movk_i32 s44, 0x140
	s_movk_i32 s45, 0x150
	;; [unrolled: 1-line block ×6, first 2 shown]
	s_waitcnt vmcnt(0) lgkmcnt(0)
	scratch_store_dwordx4 off, v[2:5], off
	flat_load_dwordx4 v[2:5], v[150:151]
	s_movk_i32 s37, 0x60
	s_movk_i32 s36, 0x70
	;; [unrolled: 1-line block ×13, first 2 shown]
	s_mov_b32 s42, 16
	s_mov_b32 s41, 32
	s_mov_b32 s40, 48
	s_mov_b32 s39, 64
	s_mov_b32 s23, s43
	s_mov_b32 s22, s44
	s_mov_b32 s21, s45
	s_mov_b32 s20, s46
	s_mov_b32 s19, s47
	s_mov_b32 s18, s48
	s_bitcmp0_b32 s8, 0
	s_mov_b64 s[6:7], -1
	s_waitcnt vmcnt(0) lgkmcnt(0)
	scratch_store_dwordx4 off, v[2:5], off offset:16
	flat_load_dwordx4 v[2:5], v[152:153]
	s_waitcnt vmcnt(0) lgkmcnt(0)
	scratch_store_dwordx4 off, v[2:5], off offset:32
	flat_load_dwordx4 v[2:5], v[154:155]
	s_waitcnt vmcnt(0) lgkmcnt(0)
	scratch_store_dwordx4 off, v[2:5], off offset:48
	flat_load_dwordx4 v[2:5], v[156:157]
	s_waitcnt vmcnt(0) lgkmcnt(0)
	scratch_store_dwordx4 off, v[2:5], off offset:64
	flat_load_dwordx4 v[2:5], v[158:159]
	s_waitcnt vmcnt(0) lgkmcnt(0)
	scratch_store_dwordx4 off, v[2:5], off offset:80
	flat_load_dwordx4 v[2:5], v[160:161]
	s_waitcnt vmcnt(0) lgkmcnt(0)
	scratch_store_dwordx4 off, v[2:5], off offset:96
	flat_load_dwordx4 v[2:5], v[162:163]
	s_waitcnt vmcnt(0) lgkmcnt(0)
	scratch_store_dwordx4 off, v[2:5], off offset:112
	flat_load_dwordx4 v[2:5], v[164:165]
	s_waitcnt vmcnt(0) lgkmcnt(0)
	scratch_store_dwordx4 off, v[2:5], off offset:128
	flat_load_dwordx4 v[2:5], v[166:167]
	s_waitcnt vmcnt(0) lgkmcnt(0)
	scratch_store_dwordx4 off, v[2:5], off offset:144
	flat_load_dwordx4 v[2:5], v[168:169]
	s_waitcnt vmcnt(0) lgkmcnt(0)
	scratch_store_dwordx4 off, v[2:5], off offset:160
	flat_load_dwordx4 v[2:5], v[170:171]
	s_waitcnt vmcnt(0) lgkmcnt(0)
	scratch_store_dwordx4 off, v[2:5], off offset:176
	flat_load_dwordx4 v[2:5], v[172:173]
	s_waitcnt vmcnt(0) lgkmcnt(0)
	scratch_store_dwordx4 off, v[2:5], off offset:192
	flat_load_dwordx4 v[2:5], v[174:175]
	s_waitcnt vmcnt(0) lgkmcnt(0)
	scratch_store_dwordx4 off, v[2:5], off offset:208
	flat_load_dwordx4 v[2:5], v[176:177]
	s_waitcnt vmcnt(0) lgkmcnt(0)
	scratch_store_dwordx4 off, v[2:5], off offset:224
	flat_load_dwordx4 v[2:5], v[178:179]
	s_waitcnt vmcnt(0) lgkmcnt(0)
	scratch_store_dwordx4 off, v[2:5], off offset:240
	flat_load_dwordx4 v[2:5], v[180:181]
	s_waitcnt vmcnt(0) lgkmcnt(0)
	scratch_store_dwordx4 off, v[2:5], off offset:256
	flat_load_dwordx4 v[2:5], v[182:183]
	s_waitcnt vmcnt(0) lgkmcnt(0)
	scratch_store_dwordx4 off, v[2:5], off offset:272
	flat_load_dwordx4 v[2:5], v[184:185]
	s_waitcnt vmcnt(0) lgkmcnt(0)
	scratch_store_dwordx4 off, v[2:5], off offset:288
	flat_load_dwordx4 v[2:5], v[186:187]
	s_waitcnt vmcnt(0) lgkmcnt(0)
	scratch_store_dwordx4 off, v[2:5], off offset:304
	flat_load_dwordx4 v[2:5], v[188:189]
	s_waitcnt vmcnt(0) lgkmcnt(0)
	scratch_store_dwordx4 off, v[2:5], off offset:320
	flat_load_dwordx4 v[2:5], v[190:191]
	s_waitcnt vmcnt(0) lgkmcnt(0)
	scratch_store_dwordx4 off, v[2:5], off offset:336
	flat_load_dwordx4 v[2:5], v[192:193]
	s_waitcnt vmcnt(0) lgkmcnt(0)
	scratch_store_dwordx4 off, v[2:5], off offset:352
	flat_load_dwordx4 v[2:5], v[194:195]
	s_waitcnt vmcnt(0) lgkmcnt(0)
	scratch_store_dwordx4 off, v[2:5], off offset:368
	flat_load_dwordx4 v[2:5], v[196:197]
	s_waitcnt vmcnt(0) lgkmcnt(0)
	scratch_store_dwordx4 off, v[2:5], off offset:384
	s_cbranch_scc1 .LBB88_112
; %bb.4:
	v_cmp_eq_u32_e64 s[2:3], 0, v1
	s_and_saveexec_b64 s[6:7], s[2:3]
; %bb.5:
	v_mov_b32_e32 v2, 0
	ds_write_b32 v2, v2 offset:800
; %bb.6:
	s_or_b64 exec, exec, s[6:7]
	s_waitcnt lgkmcnt(0)
	; wave barrier
	scratch_load_dwordx4 v[2:5], v14, off
	s_waitcnt vmcnt(0)
	v_cmp_eq_f64_e32 vcc, 0, v[2:3]
	v_cmp_eq_f64_e64 s[6:7], 0, v[4:5]
	s_and_b64 s[6:7], vcc, s[6:7]
	s_and_saveexec_b64 s[8:9], s[6:7]
	s_cbranch_execz .LBB88_10
; %bb.7:
	v_mov_b32_e32 v2, 0
	ds_read_b32 v4, v2 offset:800
	v_add_u32_e32 v3, 1, v1
	s_waitcnt lgkmcnt(0)
	v_readfirstlane_b32 s6, v4
	s_cmp_eq_u32 s6, 0
	s_cselect_b64 s[16:17], -1, 0
	v_cmp_gt_i32_e32 vcc, s6, v3
	s_or_b64 s[16:17], s[16:17], vcc
	s_and_b64 exec, exec, s[16:17]
	s_cbranch_execz .LBB88_10
; %bb.8:
	s_mov_b64 s[16:17], 0
	v_mov_b32_e32 v4, s6
.LBB88_9:                               ; =>This Inner Loop Header: Depth=1
	ds_cmpst_rtn_b32 v4, v2, v4, v3 offset:800
	s_waitcnt lgkmcnt(0)
	v_cmp_ne_u32_e32 vcc, 0, v4
	v_cmp_le_i32_e64 s[6:7], v4, v3
	s_and_b64 s[6:7], vcc, s[6:7]
	s_and_b64 s[6:7], exec, s[6:7]
	s_or_b64 s[16:17], s[6:7], s[16:17]
	s_andn2_b64 exec, exec, s[16:17]
	s_cbranch_execnz .LBB88_9
.LBB88_10:
	s_or_b64 exec, exec, s[8:9]
	v_mov_b32_e32 v3, 0
	; wave barrier
	ds_read_b32 v2, v3 offset:800
	s_and_saveexec_b64 s[6:7], s[2:3]
	s_cbranch_execz .LBB88_12
; %bb.11:
	s_lshl_b64 s[8:9], s[4:5], 2
	s_add_u32 s8, s10, s8
	s_addc_u32 s9, s11, s9
	s_waitcnt lgkmcnt(0)
	global_store_dword v3, v2, s[8:9]
.LBB88_12:
	s_or_b64 exec, exec, s[6:7]
	s_waitcnt lgkmcnt(0)
	v_cmp_ne_u32_e32 vcc, 0, v2
	s_mov_b64 s[6:7], 0
	s_cbranch_vccnz .LBB88_112
; %bb.13:
	v_mov_b32_e32 v15, v14
	scratch_load_dwordx4 v[2:5], v15, off
                                        ; implicit-def: $vgpr6_vgpr7
                                        ; implicit-def: $vgpr10_vgpr11
	s_waitcnt vmcnt(0)
	v_cmp_ngt_f64_e64 s[6:7], |v[2:3]|, |v[4:5]|
	s_and_saveexec_b64 s[8:9], s[6:7]
	s_xor_b64 s[6:7], exec, s[8:9]
	s_cbranch_execz .LBB88_15
; %bb.14:
	v_div_scale_f64 v[6:7], s[8:9], v[4:5], v[4:5], v[2:3]
	v_rcp_f64_e32 v[8:9], v[6:7]
	v_div_scale_f64 v[10:11], vcc, v[2:3], v[4:5], v[2:3]
	v_fma_f64 v[12:13], -v[6:7], v[8:9], 1.0
	v_fmac_f64_e32 v[8:9], v[8:9], v[12:13]
	v_fma_f64 v[12:13], -v[6:7], v[8:9], 1.0
	v_fmac_f64_e32 v[8:9], v[8:9], v[12:13]
	v_mul_f64 v[12:13], v[10:11], v[8:9]
	v_fma_f64 v[6:7], -v[6:7], v[12:13], v[10:11]
	v_div_fmas_f64 v[6:7], v[6:7], v[8:9], v[12:13]
	v_div_fixup_f64 v[6:7], v[6:7], v[4:5], v[2:3]
	v_fmac_f64_e32 v[4:5], v[2:3], v[6:7]
	v_div_scale_f64 v[2:3], s[8:9], v[4:5], v[4:5], 1.0
	v_rcp_f64_e32 v[8:9], v[2:3]
	s_nop 0
	v_fma_f64 v[10:11], -v[2:3], v[8:9], 1.0
	v_fmac_f64_e32 v[8:9], v[8:9], v[10:11]
	v_fma_f64 v[10:11], -v[2:3], v[8:9], 1.0
	v_fmac_f64_e32 v[8:9], v[8:9], v[10:11]
	v_div_scale_f64 v[10:11], vcc, 1.0, v[4:5], 1.0
	v_mul_f64 v[12:13], v[10:11], v[8:9]
	v_fma_f64 v[2:3], -v[2:3], v[12:13], v[10:11]
	s_nop 1
	v_div_fmas_f64 v[2:3], v[2:3], v[8:9], v[12:13]
	v_div_fixup_f64 v[8:9], v[2:3], v[4:5], 1.0
	v_mul_f64 v[6:7], v[6:7], v[8:9]
	v_xor_b32_e32 v9, 0x80000000, v9
	v_xor_b32_e32 v11, 0x80000000, v7
	v_mov_b32_e32 v10, v6
                                        ; implicit-def: $vgpr2_vgpr3
.LBB88_15:
	s_andn2_saveexec_b64 s[6:7], s[6:7]
	s_cbranch_execz .LBB88_17
; %bb.16:
	v_div_scale_f64 v[6:7], s[8:9], v[2:3], v[2:3], v[4:5]
	v_rcp_f64_e32 v[8:9], v[6:7]
	v_div_scale_f64 v[10:11], vcc, v[4:5], v[2:3], v[4:5]
	v_fma_f64 v[12:13], -v[6:7], v[8:9], 1.0
	v_fmac_f64_e32 v[8:9], v[8:9], v[12:13]
	v_fma_f64 v[12:13], -v[6:7], v[8:9], 1.0
	v_fmac_f64_e32 v[8:9], v[8:9], v[12:13]
	v_mul_f64 v[12:13], v[10:11], v[8:9]
	v_fma_f64 v[6:7], -v[6:7], v[12:13], v[10:11]
	v_div_fmas_f64 v[6:7], v[6:7], v[8:9], v[12:13]
	v_div_fixup_f64 v[8:9], v[6:7], v[2:3], v[4:5]
	v_fmac_f64_e32 v[2:3], v[4:5], v[8:9]
	v_div_scale_f64 v[4:5], s[8:9], v[2:3], v[2:3], 1.0
	v_rcp_f64_e32 v[6:7], v[4:5]
	s_nop 0
	v_fma_f64 v[10:11], -v[4:5], v[6:7], 1.0
	v_fmac_f64_e32 v[6:7], v[6:7], v[10:11]
	v_fma_f64 v[10:11], -v[4:5], v[6:7], 1.0
	v_fmac_f64_e32 v[6:7], v[6:7], v[10:11]
	v_div_scale_f64 v[10:11], vcc, 1.0, v[2:3], 1.0
	v_mul_f64 v[12:13], v[10:11], v[6:7]
	v_fma_f64 v[4:5], -v[4:5], v[12:13], v[10:11]
	s_nop 1
	v_div_fmas_f64 v[4:5], v[4:5], v[6:7], v[12:13]
	v_div_fixup_f64 v[6:7], v[4:5], v[2:3], 1.0
	v_xor_b32_e32 v11, 0x80000000, v7
	v_mov_b32_e32 v10, v6
	v_mul_f64 v[8:9], v[8:9], -v[6:7]
.LBB88_17:
	s_or_b64 exec, exec, s[6:7]
	scratch_store_dwordx4 v15, v[6:9], off
	scratch_load_dwordx4 v[2:5], off, s42
	v_xor_b32_e32 v13, 0x80000000, v9
	v_mov_b32_e32 v12, v8
	v_add_u32_e32 v6, 0x190, v14
	ds_write_b128 v14, v[10:13]
	s_waitcnt vmcnt(0)
	ds_write_b128 v14, v[2:5] offset:400
	s_waitcnt lgkmcnt(0)
	; wave barrier
	s_and_saveexec_b64 s[6:7], s[2:3]
	s_cbranch_execz .LBB88_19
; %bb.18:
	scratch_load_dwordx4 v[2:5], v15, off
	ds_read_b128 v[8:11], v6
	v_mov_b32_e32 v7, 0
	ds_read_b128 v[16:19], v7 offset:16
	s_waitcnt vmcnt(0) lgkmcnt(1)
	v_mul_f64 v[12:13], v[10:11], v[4:5]
	v_mul_f64 v[4:5], v[8:9], v[4:5]
	v_fma_f64 v[8:9], v[8:9], v[2:3], -v[12:13]
	v_fmac_f64_e32 v[4:5], v[10:11], v[2:3]
	v_add_f64 v[2:3], v[8:9], 0
	v_add_f64 v[8:9], v[4:5], 0
	s_waitcnt lgkmcnt(0)
	v_mul_f64 v[10:11], v[8:9], v[18:19]
	v_mul_f64 v[4:5], v[2:3], v[18:19]
	v_fma_f64 v[2:3], v[2:3], v[16:17], -v[10:11]
	v_fmac_f64_e32 v[4:5], v[8:9], v[16:17]
	scratch_store_dwordx4 off, v[2:5], off offset:16
.LBB88_19:
	s_or_b64 exec, exec, s[6:7]
	; wave barrier
	scratch_load_dwordx4 v[2:5], off, s41
	v_cmp_gt_u32_e32 vcc, 2, v1
	s_waitcnt vmcnt(0)
	ds_write_b128 v6, v[2:5]
	s_waitcnt lgkmcnt(0)
	; wave barrier
	s_and_saveexec_b64 s[6:7], vcc
	s_cbranch_execz .LBB88_23
; %bb.20:
	scratch_load_dwordx4 v[2:5], v15, off
	ds_read_b128 v[8:11], v6
	s_waitcnt vmcnt(0) lgkmcnt(0)
	v_mul_f64 v[12:13], v[10:11], v[4:5]
	v_mul_f64 v[16:17], v[8:9], v[4:5]
	v_fma_f64 v[4:5], v[8:9], v[2:3], -v[12:13]
	v_fmac_f64_e32 v[16:17], v[10:11], v[2:3]
	v_add_f64 v[4:5], v[4:5], 0
	v_add_f64 v[2:3], v[16:17], 0
	s_and_saveexec_b64 s[8:9], s[2:3]
	s_cbranch_execz .LBB88_22
; %bb.21:
	scratch_load_dwordx4 v[8:11], off, off offset:16
	v_mov_b32_e32 v7, 0
	ds_read_b128 v[16:19], v7 offset:416
	s_waitcnt vmcnt(0) lgkmcnt(0)
	v_mul_f64 v[12:13], v[16:17], v[10:11]
	v_mul_f64 v[10:11], v[18:19], v[10:11]
	v_fmac_f64_e32 v[12:13], v[18:19], v[8:9]
	v_fma_f64 v[8:9], v[16:17], v[8:9], -v[10:11]
	v_add_f64 v[2:3], v[2:3], v[12:13]
	v_add_f64 v[4:5], v[4:5], v[8:9]
.LBB88_22:
	s_or_b64 exec, exec, s[8:9]
	v_mov_b32_e32 v7, 0
	ds_read_b128 v[8:11], v7 offset:32
	s_waitcnt lgkmcnt(0)
	v_mul_f64 v[16:17], v[2:3], v[10:11]
	v_mul_f64 v[12:13], v[4:5], v[10:11]
	v_fma_f64 v[10:11], v[4:5], v[8:9], -v[16:17]
	v_fmac_f64_e32 v[12:13], v[2:3], v[8:9]
	scratch_store_dwordx4 off, v[10:13], off offset:32
.LBB88_23:
	s_or_b64 exec, exec, s[6:7]
	; wave barrier
	scratch_load_dwordx4 v[2:5], off, s40
	v_cmp_gt_u32_e32 vcc, 3, v1
	v_add_u32_e32 v7, -1, v1
	s_waitcnt vmcnt(0)
	ds_write_b128 v6, v[2:5]
	s_waitcnt lgkmcnt(0)
	; wave barrier
	s_and_saveexec_b64 s[2:3], vcc
	s_cbranch_execz .LBB88_27
; %bb.24:
	v_add_u32_e32 v8, -1, v1
	v_add_u32_e32 v9, 0x190, v14
	v_mov_b32_e32 v10, v14
	v_mov_b64_e32 v[2:3], 0
	s_mov_b64 s[6:7], 0
	v_mov_b64_e32 v[4:5], 0
.LBB88_25:                              ; =>This Inner Loop Header: Depth=1
	scratch_load_dwordx4 v[16:19], v10, off
	ds_read_b128 v[20:23], v9
	v_add_u32_e32 v8, 1, v8
	v_cmp_lt_u32_e32 vcc, 1, v8
	v_add_u32_e32 v9, 16, v9
	v_add_u32_e32 v10, 16, v10
	s_or_b64 s[6:7], vcc, s[6:7]
	s_waitcnt vmcnt(0) lgkmcnt(0)
	v_mul_f64 v[12:13], v[22:23], v[18:19]
	v_mul_f64 v[18:19], v[20:21], v[18:19]
	v_fma_f64 v[12:13], v[20:21], v[16:17], -v[12:13]
	v_fmac_f64_e32 v[18:19], v[22:23], v[16:17]
	v_add_f64 v[4:5], v[4:5], v[12:13]
	v_add_f64 v[2:3], v[2:3], v[18:19]
	s_andn2_b64 exec, exec, s[6:7]
	s_cbranch_execnz .LBB88_25
; %bb.26:
	s_or_b64 exec, exec, s[6:7]
	v_mov_b32_e32 v8, 0
	ds_read_b128 v[8:11], v8 offset:48
	s_waitcnt lgkmcnt(0)
	v_mul_f64 v[16:17], v[2:3], v[10:11]
	v_mul_f64 v[12:13], v[4:5], v[10:11]
	v_fma_f64 v[10:11], v[4:5], v[8:9], -v[16:17]
	v_fmac_f64_e32 v[12:13], v[2:3], v[8:9]
	scratch_store_dwordx4 off, v[10:13], off offset:48
.LBB88_27:
	s_or_b64 exec, exec, s[2:3]
	; wave barrier
	scratch_load_dwordx4 v[2:5], off, s39
	v_cmp_gt_u32_e32 vcc, 4, v1
	s_waitcnt vmcnt(0)
	ds_write_b128 v6, v[2:5]
	s_waitcnt lgkmcnt(0)
	; wave barrier
	s_and_saveexec_b64 s[2:3], vcc
	s_cbranch_execz .LBB88_31
; %bb.28:
	v_add_u32_e32 v8, -1, v1
	v_add_u32_e32 v9, 0x190, v14
	v_mov_b32_e32 v10, v14
	v_mov_b64_e32 v[2:3], 0
	s_mov_b64 s[6:7], 0
	v_mov_b64_e32 v[4:5], 0
.LBB88_29:                              ; =>This Inner Loop Header: Depth=1
	scratch_load_dwordx4 v[16:19], v10, off
	ds_read_b128 v[20:23], v9
	v_add_u32_e32 v8, 1, v8
	v_cmp_lt_u32_e32 vcc, 2, v8
	v_add_u32_e32 v9, 16, v9
	v_add_u32_e32 v10, 16, v10
	s_or_b64 s[6:7], vcc, s[6:7]
	s_waitcnt vmcnt(0) lgkmcnt(0)
	v_mul_f64 v[12:13], v[22:23], v[18:19]
	v_mul_f64 v[18:19], v[20:21], v[18:19]
	v_fma_f64 v[12:13], v[20:21], v[16:17], -v[12:13]
	v_fmac_f64_e32 v[18:19], v[22:23], v[16:17]
	v_add_f64 v[4:5], v[4:5], v[12:13]
	v_add_f64 v[2:3], v[2:3], v[18:19]
	s_andn2_b64 exec, exec, s[6:7]
	s_cbranch_execnz .LBB88_29
; %bb.30:
	s_or_b64 exec, exec, s[6:7]
	v_mov_b32_e32 v8, 0
	ds_read_b128 v[8:11], v8 offset:64
	s_waitcnt lgkmcnt(0)
	v_mul_f64 v[16:17], v[2:3], v[10:11]
	v_mul_f64 v[12:13], v[4:5], v[10:11]
	v_fma_f64 v[10:11], v[4:5], v[8:9], -v[16:17]
	v_fmac_f64_e32 v[12:13], v[2:3], v[8:9]
	scratch_store_dwordx4 off, v[10:13], off offset:64
.LBB88_31:
	s_or_b64 exec, exec, s[2:3]
	; wave barrier
	scratch_load_dwordx4 v[2:5], off, s38
	v_cmp_gt_u32_e32 vcc, 5, v1
	;; [unrolled: 45-line block ×19, first 2 shown]
	s_waitcnt vmcnt(0)
	ds_write_b128 v6, v[2:5]
	s_waitcnt lgkmcnt(0)
	; wave barrier
	s_and_saveexec_b64 s[2:3], vcc
	s_cbranch_execz .LBB88_103
; %bb.100:
	v_add_u32_e32 v8, -1, v1
	v_add_u32_e32 v9, 0x190, v14
	v_mov_b32_e32 v10, v14
	v_mov_b64_e32 v[2:3], 0
	s_mov_b64 s[6:7], 0
	v_mov_b64_e32 v[4:5], 0
.LBB88_101:                             ; =>This Inner Loop Header: Depth=1
	scratch_load_dwordx4 v[16:19], v10, off
	ds_read_b128 v[20:23], v9
	v_add_u32_e32 v8, 1, v8
	v_cmp_lt_u32_e32 vcc, 20, v8
	v_add_u32_e32 v9, 16, v9
	v_add_u32_e32 v10, 16, v10
	s_or_b64 s[6:7], vcc, s[6:7]
	s_waitcnt vmcnt(0) lgkmcnt(0)
	v_mul_f64 v[12:13], v[22:23], v[18:19]
	v_mul_f64 v[18:19], v[20:21], v[18:19]
	v_fma_f64 v[12:13], v[20:21], v[16:17], -v[12:13]
	v_fmac_f64_e32 v[18:19], v[22:23], v[16:17]
	v_add_f64 v[4:5], v[4:5], v[12:13]
	v_add_f64 v[2:3], v[2:3], v[18:19]
	s_andn2_b64 exec, exec, s[6:7]
	s_cbranch_execnz .LBB88_101
; %bb.102:
	s_or_b64 exec, exec, s[6:7]
	v_mov_b32_e32 v8, 0
	ds_read_b128 v[8:11], v8 offset:352
	s_waitcnt lgkmcnt(0)
	v_mul_f64 v[16:17], v[2:3], v[10:11]
	v_mul_f64 v[12:13], v[4:5], v[10:11]
	v_fma_f64 v[10:11], v[4:5], v[8:9], -v[16:17]
	v_fmac_f64_e32 v[12:13], v[2:3], v[8:9]
	scratch_store_dwordx4 off, v[10:13], off offset:352
.LBB88_103:
	s_or_b64 exec, exec, s[2:3]
	; wave barrier
	scratch_load_dwordx4 v[2:5], off, s19
	v_cmp_gt_u32_e32 vcc, 23, v1
	s_waitcnt vmcnt(0)
	ds_write_b128 v6, v[2:5]
	s_waitcnt lgkmcnt(0)
	; wave barrier
	s_and_saveexec_b64 s[2:3], vcc
	s_cbranch_execz .LBB88_107
; %bb.104:
	v_add_u32_e32 v8, -1, v1
	v_add_u32_e32 v9, 0x190, v14
	v_mov_b32_e32 v10, v14
	v_mov_b64_e32 v[2:3], 0
	s_mov_b64 s[6:7], 0
	v_mov_b64_e32 v[4:5], 0
.LBB88_105:                             ; =>This Inner Loop Header: Depth=1
	scratch_load_dwordx4 v[16:19], v10, off
	ds_read_b128 v[20:23], v9
	v_add_u32_e32 v8, 1, v8
	v_cmp_lt_u32_e32 vcc, 21, v8
	v_add_u32_e32 v9, 16, v9
	v_add_u32_e32 v10, 16, v10
	s_or_b64 s[6:7], vcc, s[6:7]
	s_waitcnt vmcnt(0) lgkmcnt(0)
	v_mul_f64 v[12:13], v[22:23], v[18:19]
	v_mul_f64 v[18:19], v[20:21], v[18:19]
	v_fma_f64 v[12:13], v[20:21], v[16:17], -v[12:13]
	v_fmac_f64_e32 v[18:19], v[22:23], v[16:17]
	v_add_f64 v[4:5], v[4:5], v[12:13]
	v_add_f64 v[2:3], v[2:3], v[18:19]
	s_andn2_b64 exec, exec, s[6:7]
	s_cbranch_execnz .LBB88_105
; %bb.106:
	s_or_b64 exec, exec, s[6:7]
	v_mov_b32_e32 v8, 0
	ds_read_b128 v[8:11], v8 offset:368
	s_waitcnt lgkmcnt(0)
	v_mul_f64 v[16:17], v[2:3], v[10:11]
	v_mul_f64 v[12:13], v[4:5], v[10:11]
	v_fma_f64 v[10:11], v[4:5], v[8:9], -v[16:17]
	v_fmac_f64_e32 v[12:13], v[2:3], v[8:9]
	scratch_store_dwordx4 off, v[10:13], off offset:368
.LBB88_107:
	s_or_b64 exec, exec, s[2:3]
	; wave barrier
	scratch_load_dwordx4 v[2:5], off, s18
	v_cmp_ne_u32_e32 vcc, 24, v1
	s_waitcnt vmcnt(0)
	ds_write_b128 v6, v[2:5]
	s_waitcnt lgkmcnt(0)
	; wave barrier
	s_and_saveexec_b64 s[2:3], vcc
	s_cbranch_execz .LBB88_111
; %bb.108:
	v_add_u32_e32 v6, 0x190, v14
	v_mov_b32_e32 v8, v14
	v_mov_b64_e32 v[2:3], 0
	s_mov_b64 s[6:7], 0
	v_mov_b64_e32 v[4:5], 0
.LBB88_109:                             ; =>This Inner Loop Header: Depth=1
	scratch_load_dwordx4 v[10:13], v8, off
	ds_read_b128 v[14:17], v6
	v_add_u32_e32 v7, 1, v7
	v_cmp_lt_u32_e32 vcc, 22, v7
	v_add_u32_e32 v6, 16, v6
	v_add_u32_e32 v8, 16, v8
	s_or_b64 s[6:7], vcc, s[6:7]
	s_waitcnt vmcnt(0) lgkmcnt(0)
	v_mul_f64 v[18:19], v[16:17], v[12:13]
	v_mul_f64 v[12:13], v[14:15], v[12:13]
	v_fma_f64 v[14:15], v[14:15], v[10:11], -v[18:19]
	v_fmac_f64_e32 v[12:13], v[16:17], v[10:11]
	v_add_f64 v[4:5], v[4:5], v[14:15]
	v_add_f64 v[2:3], v[2:3], v[12:13]
	s_andn2_b64 exec, exec, s[6:7]
	s_cbranch_execnz .LBB88_109
; %bb.110:
	s_or_b64 exec, exec, s[6:7]
	v_mov_b32_e32 v6, 0
	ds_read_b128 v[6:9], v6 offset:384
	s_waitcnt lgkmcnt(0)
	v_mul_f64 v[12:13], v[2:3], v[8:9]
	v_mul_f64 v[10:11], v[4:5], v[8:9]
	v_fma_f64 v[8:9], v[4:5], v[6:7], -v[12:13]
	v_fmac_f64_e32 v[10:11], v[2:3], v[6:7]
	scratch_store_dwordx4 off, v[8:11], off offset:384
.LBB88_111:
	s_or_b64 exec, exec, s[2:3]
	s_mov_b64 s[6:7], -1
	; wave barrier
.LBB88_112:
	s_and_b64 vcc, exec, s[6:7]
	s_cbranch_vccz .LBB88_114
; %bb.113:
	s_lshl_b64 s[2:3], s[4:5], 2
	s_add_u32 s2, s10, s2
	s_addc_u32 s3, s11, s3
	v_mov_b32_e32 v2, 0
	global_load_dword v2, v2, s[2:3]
	s_waitcnt vmcnt(0)
	v_cmp_ne_u32_e32 vcc, 0, v2
	s_cbranch_vccz .LBB88_115
.LBB88_114:
	s_endpgm
.LBB88_115:
	v_mov_b32_e32 v2, 0x190
	v_lshl_add_u32 v130, v1, 4, v2
	v_cmp_eq_u32_e32 vcc, 24, v1
	s_and_saveexec_b64 s[2:3], vcc
	s_cbranch_execz .LBB88_117
; %bb.116:
	scratch_load_dwordx4 v[2:5], off, s19
	v_mov_b32_e32 v6, 0
	v_mov_b32_e32 v7, v6
	;; [unrolled: 1-line block ×4, first 2 shown]
	scratch_store_dwordx4 off, v[6:9], off offset:368
	s_waitcnt vmcnt(1)
	ds_write_b128 v130, v[2:5]
.LBB88_117:
	s_or_b64 exec, exec, s[2:3]
	s_waitcnt lgkmcnt(0)
	; wave barrier
	scratch_load_dwordx4 v[4:7], off, off offset:384
	scratch_load_dwordx4 v[8:11], off, off offset:368
	v_mov_b32_e32 v2, 0
	ds_read_b128 v[12:15], v2 offset:784
	v_cmp_lt_u32_e32 vcc, 22, v1
	s_waitcnt vmcnt(1) lgkmcnt(0)
	v_mul_f64 v[16:17], v[12:13], v[6:7]
	v_mul_f64 v[6:7], v[14:15], v[6:7]
	v_fmac_f64_e32 v[16:17], v[14:15], v[4:5]
	v_fma_f64 v[4:5], v[12:13], v[4:5], -v[6:7]
	v_add_f64 v[6:7], v[16:17], 0
	v_add_f64 v[4:5], v[4:5], 0
	s_waitcnt vmcnt(0)
	v_add_f64 v[4:5], v[8:9], -v[4:5]
	v_add_f64 v[6:7], v[10:11], -v[6:7]
	scratch_store_dwordx4 off, v[4:7], off offset:368
	s_and_saveexec_b64 s[2:3], vcc
	s_cbranch_execz .LBB88_119
; %bb.118:
	scratch_load_dwordx4 v[6:9], off, s20
	v_mov_b32_e32 v3, v2
	v_mov_b32_e32 v4, v2
	;; [unrolled: 1-line block ×3, first 2 shown]
	scratch_store_dwordx4 off, v[2:5], off offset:352
	s_waitcnt vmcnt(1)
	ds_write_b128 v130, v[6:9]
.LBB88_119:
	s_or_b64 exec, exec, s[2:3]
	s_waitcnt lgkmcnt(0)
	; wave barrier
	scratch_load_dwordx4 v[4:7], off, off offset:368
	scratch_load_dwordx4 v[8:11], off, off offset:384
	;; [unrolled: 1-line block ×3, first 2 shown]
	ds_read_b128 v[16:19], v2 offset:768
	ds_read_b128 v[20:23], v2 offset:784
	v_cmp_lt_u32_e32 vcc, 21, v1
	s_waitcnt vmcnt(2) lgkmcnt(1)
	v_mul_f64 v[2:3], v[16:17], v[6:7]
	v_mul_f64 v[6:7], v[18:19], v[6:7]
	s_waitcnt vmcnt(1) lgkmcnt(0)
	v_mul_f64 v[24:25], v[20:21], v[10:11]
	v_mul_f64 v[10:11], v[22:23], v[10:11]
	v_fmac_f64_e32 v[2:3], v[18:19], v[4:5]
	v_fma_f64 v[4:5], v[16:17], v[4:5], -v[6:7]
	v_fmac_f64_e32 v[24:25], v[22:23], v[8:9]
	v_fma_f64 v[6:7], v[20:21], v[8:9], -v[10:11]
	v_add_f64 v[2:3], v[2:3], 0
	v_add_f64 v[4:5], v[4:5], 0
	;; [unrolled: 1-line block ×4, first 2 shown]
	s_waitcnt vmcnt(0)
	v_add_f64 v[2:3], v[12:13], -v[2:3]
	v_add_f64 v[4:5], v[14:15], -v[8:9]
	scratch_store_dwordx4 off, v[2:5], off offset:352
	s_and_saveexec_b64 s[2:3], vcc
	s_cbranch_execz .LBB88_121
; %bb.120:
	scratch_load_dwordx4 v[2:5], off, s21
	v_mov_b32_e32 v6, 0
	v_mov_b32_e32 v7, v6
	;; [unrolled: 1-line block ×4, first 2 shown]
	scratch_store_dwordx4 off, v[6:9], off offset:336
	s_waitcnt vmcnt(1)
	ds_write_b128 v130, v[2:5]
.LBB88_121:
	s_or_b64 exec, exec, s[2:3]
	s_waitcnt lgkmcnt(0)
	; wave barrier
	scratch_load_dwordx4 v[4:7], off, off offset:352
	scratch_load_dwordx4 v[8:11], off, off offset:368
	;; [unrolled: 1-line block ×4, first 2 shown]
	v_mov_b32_e32 v2, 0
	ds_read_b128 v[20:23], v2 offset:752
	ds_read_b128 v[24:27], v2 offset:768
	;; [unrolled: 1-line block ×3, first 2 shown]
	v_cmp_lt_u32_e32 vcc, 20, v1
	s_waitcnt vmcnt(3) lgkmcnt(2)
	v_mul_f64 v[32:33], v[20:21], v[6:7]
	v_mul_f64 v[6:7], v[22:23], v[6:7]
	s_waitcnt vmcnt(2) lgkmcnt(1)
	v_mul_f64 v[34:35], v[24:25], v[10:11]
	v_mul_f64 v[10:11], v[26:27], v[10:11]
	v_fmac_f64_e32 v[32:33], v[22:23], v[4:5]
	v_fma_f64 v[4:5], v[20:21], v[4:5], -v[6:7]
	s_waitcnt vmcnt(1) lgkmcnt(0)
	v_mul_f64 v[36:37], v[28:29], v[14:15]
	v_mul_f64 v[14:15], v[30:31], v[14:15]
	v_fmac_f64_e32 v[34:35], v[26:27], v[8:9]
	v_fma_f64 v[6:7], v[24:25], v[8:9], -v[10:11]
	v_add_f64 v[10:11], v[32:33], 0
	v_add_f64 v[4:5], v[4:5], 0
	v_fmac_f64_e32 v[36:37], v[30:31], v[12:13]
	v_fma_f64 v[8:9], v[28:29], v[12:13], -v[14:15]
	v_add_f64 v[10:11], v[10:11], v[34:35]
	v_add_f64 v[4:5], v[4:5], v[6:7]
	;; [unrolled: 1-line block ×4, first 2 shown]
	s_waitcnt vmcnt(0)
	v_add_f64 v[4:5], v[16:17], -v[4:5]
	v_add_f64 v[6:7], v[18:19], -v[6:7]
	scratch_store_dwordx4 off, v[4:7], off offset:336
	s_and_saveexec_b64 s[2:3], vcc
	s_cbranch_execz .LBB88_123
; %bb.122:
	scratch_load_dwordx4 v[6:9], off, s22
	v_mov_b32_e32 v3, v2
	v_mov_b32_e32 v4, v2
	;; [unrolled: 1-line block ×3, first 2 shown]
	scratch_store_dwordx4 off, v[2:5], off offset:320
	s_waitcnt vmcnt(1)
	ds_write_b128 v130, v[6:9]
.LBB88_123:
	s_or_b64 exec, exec, s[2:3]
	s_waitcnt lgkmcnt(0)
	; wave barrier
	scratch_load_dwordx4 v[4:7], off, off offset:336
	scratch_load_dwordx4 v[8:11], off, off offset:352
	scratch_load_dwordx4 v[12:15], off, off offset:368
	scratch_load_dwordx4 v[16:19], off, off offset:384
	scratch_load_dwordx4 v[20:23], off, off offset:320
	ds_read_b128 v[24:27], v2 offset:736
	ds_read_b128 v[28:31], v2 offset:752
	;; [unrolled: 1-line block ×4, first 2 shown]
	v_cmp_lt_u32_e32 vcc, 19, v1
	s_waitcnt vmcnt(4) lgkmcnt(3)
	v_mul_f64 v[2:3], v[24:25], v[6:7]
	v_mul_f64 v[6:7], v[26:27], v[6:7]
	s_waitcnt vmcnt(3) lgkmcnt(2)
	v_mul_f64 v[40:41], v[28:29], v[10:11]
	v_mul_f64 v[10:11], v[30:31], v[10:11]
	v_fmac_f64_e32 v[2:3], v[26:27], v[4:5]
	v_fma_f64 v[4:5], v[24:25], v[4:5], -v[6:7]
	s_waitcnt vmcnt(2) lgkmcnt(1)
	v_mul_f64 v[42:43], v[32:33], v[14:15]
	v_mul_f64 v[14:15], v[34:35], v[14:15]
	v_fmac_f64_e32 v[40:41], v[30:31], v[8:9]
	v_fma_f64 v[6:7], v[28:29], v[8:9], -v[10:11]
	v_add_f64 v[2:3], v[2:3], 0
	v_add_f64 v[4:5], v[4:5], 0
	s_waitcnt vmcnt(1) lgkmcnt(0)
	v_mul_f64 v[44:45], v[36:37], v[18:19]
	v_mul_f64 v[18:19], v[38:39], v[18:19]
	v_fmac_f64_e32 v[42:43], v[34:35], v[12:13]
	v_fma_f64 v[8:9], v[32:33], v[12:13], -v[14:15]
	v_add_f64 v[2:3], v[2:3], v[40:41]
	v_add_f64 v[4:5], v[4:5], v[6:7]
	v_fmac_f64_e32 v[44:45], v[38:39], v[16:17]
	v_fma_f64 v[10:11], v[36:37], v[16:17], -v[18:19]
	v_add_f64 v[2:3], v[2:3], v[42:43]
	v_add_f64 v[4:5], v[4:5], v[8:9]
	;; [unrolled: 1-line block ×4, first 2 shown]
	s_waitcnt vmcnt(0)
	v_add_f64 v[2:3], v[20:21], -v[2:3]
	v_add_f64 v[4:5], v[22:23], -v[6:7]
	scratch_store_dwordx4 off, v[2:5], off offset:320
	s_and_saveexec_b64 s[2:3], vcc
	s_cbranch_execz .LBB88_125
; %bb.124:
	scratch_load_dwordx4 v[2:5], off, s23
	v_mov_b32_e32 v6, 0
	v_mov_b32_e32 v7, v6
	;; [unrolled: 1-line block ×4, first 2 shown]
	scratch_store_dwordx4 off, v[6:9], off offset:304
	s_waitcnt vmcnt(1)
	ds_write_b128 v130, v[2:5]
.LBB88_125:
	s_or_b64 exec, exec, s[2:3]
	s_waitcnt lgkmcnt(0)
	; wave barrier
	scratch_load_dwordx4 v[4:7], off, off offset:320
	scratch_load_dwordx4 v[8:11], off, off offset:336
	;; [unrolled: 1-line block ×6, first 2 shown]
	v_mov_b32_e32 v2, 0
	ds_read_b128 v[28:31], v2 offset:720
	ds_read_b128 v[32:35], v2 offset:736
	;; [unrolled: 1-line block ×5, first 2 shown]
	v_cmp_lt_u32_e32 vcc, 18, v1
	s_waitcnt vmcnt(5) lgkmcnt(4)
	v_mul_f64 v[48:49], v[28:29], v[6:7]
	v_mul_f64 v[6:7], v[30:31], v[6:7]
	s_waitcnt vmcnt(4) lgkmcnt(3)
	v_mul_f64 v[50:51], v[32:33], v[10:11]
	s_waitcnt vmcnt(3) lgkmcnt(2)
	v_mul_f64 v[52:53], v[36:37], v[14:15]
	v_mul_f64 v[10:11], v[34:35], v[10:11]
	;; [unrolled: 1-line block ×3, first 2 shown]
	v_fmac_f64_e32 v[48:49], v[30:31], v[4:5]
	v_fma_f64 v[4:5], v[28:29], v[4:5], -v[6:7]
	v_fmac_f64_e32 v[50:51], v[34:35], v[8:9]
	v_fma_f64 v[6:7], v[32:33], v[8:9], -v[10:11]
	v_fma_f64 v[8:9], v[36:37], v[12:13], -v[14:15]
	v_add_f64 v[14:15], v[48:49], 0
	v_add_f64 v[4:5], v[4:5], 0
	s_waitcnt vmcnt(2) lgkmcnt(1)
	v_mul_f64 v[54:55], v[40:41], v[18:19]
	v_mul_f64 v[18:19], v[42:43], v[18:19]
	v_fmac_f64_e32 v[52:53], v[38:39], v[12:13]
	v_add_f64 v[14:15], v[14:15], v[50:51]
	v_add_f64 v[4:5], v[4:5], v[6:7]
	s_waitcnt vmcnt(1) lgkmcnt(0)
	v_mul_f64 v[56:57], v[44:45], v[22:23]
	v_mul_f64 v[22:23], v[46:47], v[22:23]
	v_fmac_f64_e32 v[54:55], v[42:43], v[16:17]
	v_fma_f64 v[10:11], v[40:41], v[16:17], -v[18:19]
	v_add_f64 v[6:7], v[14:15], v[52:53]
	v_add_f64 v[4:5], v[4:5], v[8:9]
	v_fmac_f64_e32 v[56:57], v[46:47], v[20:21]
	v_fma_f64 v[12:13], v[44:45], v[20:21], -v[22:23]
	v_add_f64 v[6:7], v[6:7], v[54:55]
	v_add_f64 v[4:5], v[4:5], v[10:11]
	;; [unrolled: 1-line block ×4, first 2 shown]
	s_waitcnt vmcnt(0)
	v_add_f64 v[4:5], v[24:25], -v[4:5]
	v_add_f64 v[6:7], v[26:27], -v[6:7]
	scratch_store_dwordx4 off, v[4:7], off offset:304
	s_and_saveexec_b64 s[2:3], vcc
	s_cbranch_execz .LBB88_127
; %bb.126:
	scratch_load_dwordx4 v[6:9], off, s24
	v_mov_b32_e32 v3, v2
	v_mov_b32_e32 v4, v2
	;; [unrolled: 1-line block ×3, first 2 shown]
	scratch_store_dwordx4 off, v[2:5], off offset:288
	s_waitcnt vmcnt(1)
	ds_write_b128 v130, v[6:9]
.LBB88_127:
	s_or_b64 exec, exec, s[2:3]
	s_waitcnt lgkmcnt(0)
	; wave barrier
	scratch_load_dwordx4 v[4:7], off, off offset:304
	scratch_load_dwordx4 v[8:11], off, off offset:320
	;; [unrolled: 1-line block ×7, first 2 shown]
	ds_read_b128 v[32:35], v2 offset:704
	ds_read_b128 v[36:39], v2 offset:720
	;; [unrolled: 1-line block ×6, first 2 shown]
	v_cmp_lt_u32_e32 vcc, 17, v1
	s_waitcnt vmcnt(6) lgkmcnt(5)
	v_mul_f64 v[2:3], v[32:33], v[6:7]
	v_mul_f64 v[6:7], v[34:35], v[6:7]
	s_waitcnt vmcnt(5) lgkmcnt(4)
	v_mul_f64 v[56:57], v[36:37], v[10:11]
	v_mul_f64 v[10:11], v[38:39], v[10:11]
	v_fmac_f64_e32 v[2:3], v[34:35], v[4:5]
	v_fma_f64 v[4:5], v[32:33], v[4:5], -v[6:7]
	s_waitcnt vmcnt(4) lgkmcnt(3)
	v_mul_f64 v[58:59], v[40:41], v[14:15]
	v_mul_f64 v[14:15], v[42:43], v[14:15]
	v_fmac_f64_e32 v[56:57], v[38:39], v[8:9]
	v_fma_f64 v[6:7], v[36:37], v[8:9], -v[10:11]
	v_add_f64 v[2:3], v[2:3], 0
	v_add_f64 v[4:5], v[4:5], 0
	s_waitcnt vmcnt(3) lgkmcnt(2)
	v_mul_f64 v[60:61], v[44:45], v[18:19]
	v_mul_f64 v[18:19], v[46:47], v[18:19]
	v_fmac_f64_e32 v[58:59], v[42:43], v[12:13]
	v_fma_f64 v[8:9], v[40:41], v[12:13], -v[14:15]
	v_add_f64 v[2:3], v[2:3], v[56:57]
	v_add_f64 v[4:5], v[4:5], v[6:7]
	;; [unrolled: 7-line block ×4, first 2 shown]
	v_fmac_f64_e32 v[64:65], v[54:55], v[24:25]
	v_fma_f64 v[14:15], v[52:53], v[24:25], -v[26:27]
	v_add_f64 v[2:3], v[2:3], v[62:63]
	v_add_f64 v[4:5], v[4:5], v[12:13]
	;; [unrolled: 1-line block ×4, first 2 shown]
	s_waitcnt vmcnt(0)
	v_add_f64 v[2:3], v[28:29], -v[2:3]
	v_add_f64 v[4:5], v[30:31], -v[6:7]
	scratch_store_dwordx4 off, v[2:5], off offset:288
	s_and_saveexec_b64 s[2:3], vcc
	s_cbranch_execz .LBB88_129
; %bb.128:
	scratch_load_dwordx4 v[2:5], off, s25
	v_mov_b32_e32 v6, 0
	v_mov_b32_e32 v7, v6
	v_mov_b32_e32 v8, v6
	v_mov_b32_e32 v9, v6
	scratch_store_dwordx4 off, v[6:9], off offset:272
	s_waitcnt vmcnt(1)
	ds_write_b128 v130, v[2:5]
.LBB88_129:
	s_or_b64 exec, exec, s[2:3]
	v_mov_b32_e32 v2, 0
	s_waitcnt lgkmcnt(0)
	; wave barrier
	ds_read_b128 v[4:7], v2 offset:688
	ds_read_b128 v[8:11], v2 offset:704
	;; [unrolled: 1-line block ×4, first 2 shown]
	scratch_load_dwordx4 v[20:23], off, off offset:288
	scratch_load_dwordx4 v[40:43], off, off offset:352
	v_cmp_lt_u32_e32 vcc, 16, v1
	scratch_load_dwordx4 v[48:51], off, off offset:368
	scratch_load_dwordx4 v[56:59], off, off offset:384
	s_waitcnt vmcnt(3) lgkmcnt(3)
	v_mul_f64 v[24:25], v[4:5], v[22:23]
	v_fmac_f64_e32 v[24:25], v[6:7], v[20:21]
	v_add_f64 v[28:29], v[24:25], 0
	scratch_load_dwordx4 v[24:27], off, off offset:304
	v_mul_f64 v[6:7], v[6:7], v[22:23]
	v_fma_f64 v[4:5], v[4:5], v[20:21], -v[6:7]
	v_add_f64 v[4:5], v[4:5], 0
	s_waitcnt vmcnt(0) lgkmcnt(2)
	v_mul_f64 v[30:31], v[8:9], v[26:27]
	v_fmac_f64_e32 v[30:31], v[10:11], v[24:25]
	v_add_f64 v[32:33], v[28:29], v[30:31]
	scratch_load_dwordx4 v[28:31], off, off offset:320
	v_mul_f64 v[6:7], v[10:11], v[26:27]
	v_fma_f64 v[6:7], v[8:9], v[24:25], -v[6:7]
	v_add_f64 v[4:5], v[4:5], v[6:7]
	;; [unrolled: 8-line block ×3, first 2 shown]
	s_waitcnt vmcnt(0) lgkmcnt(0)
	v_mul_f64 v[38:39], v[16:17], v[34:35]
	v_fmac_f64_e32 v[38:39], v[18:19], v[32:33]
	v_add_f64 v[44:45], v[36:37], v[38:39]
	ds_read_b128 v[36:39], v2 offset:752
	v_mul_f64 v[6:7], v[18:19], v[34:35]
	v_fma_f64 v[6:7], v[16:17], v[32:33], -v[6:7]
	v_add_f64 v[4:5], v[4:5], v[6:7]
	s_waitcnt lgkmcnt(0)
	v_mul_f64 v[46:47], v[36:37], v[42:43]
	v_fmac_f64_e32 v[46:47], v[38:39], v[40:41]
	v_add_f64 v[52:53], v[44:45], v[46:47]
	ds_read_b128 v[44:47], v2 offset:768
	v_mul_f64 v[6:7], v[38:39], v[42:43]
	v_fma_f64 v[6:7], v[36:37], v[40:41], -v[6:7]
	v_add_f64 v[4:5], v[4:5], v[6:7]
	s_waitcnt lgkmcnt(0)
	;; [unrolled: 8-line block ×3, first 2 shown]
	v_mul_f64 v[6:7], v[54:55], v[58:59]
	v_fma_f64 v[6:7], v[52:53], v[56:57], -v[6:7]
	v_add_f64 v[8:9], v[4:5], v[6:7]
	scratch_load_dwordx4 v[4:7], off, off offset:272
	v_mul_f64 v[62:63], v[52:53], v[58:59]
	v_fmac_f64_e32 v[62:63], v[54:55], v[56:57]
	v_add_f64 v[60:61], v[60:61], v[62:63]
	s_waitcnt vmcnt(0)
	v_add_f64 v[4:5], v[4:5], -v[8:9]
	v_add_f64 v[6:7], v[6:7], -v[60:61]
	scratch_store_dwordx4 off, v[4:7], off offset:272
	s_and_saveexec_b64 s[2:3], vcc
	s_cbranch_execz .LBB88_131
; %bb.130:
	scratch_load_dwordx4 v[6:9], off, s26
	v_mov_b32_e32 v3, v2
	v_mov_b32_e32 v4, v2
	;; [unrolled: 1-line block ×3, first 2 shown]
	scratch_store_dwordx4 off, v[2:5], off offset:256
	s_waitcnt vmcnt(1)
	ds_write_b128 v130, v[6:9]
.LBB88_131:
	s_or_b64 exec, exec, s[2:3]
	s_waitcnt lgkmcnt(0)
	; wave barrier
	ds_read_b128 v[4:7], v2 offset:672
	ds_read_b128 v[8:11], v2 offset:688
	;; [unrolled: 1-line block ×4, first 2 shown]
	scratch_load_dwordx4 v[20:23], off, off offset:272
	scratch_load_dwordx4 v[40:43], off, off offset:336
	v_cmp_lt_u32_e32 vcc, 15, v1
	scratch_load_dwordx4 v[48:51], off, off offset:352
	scratch_load_dwordx4 v[56:59], off, off offset:368
	;; [unrolled: 1-line block ×3, first 2 shown]
	s_waitcnt vmcnt(4) lgkmcnt(3)
	v_mul_f64 v[24:25], v[4:5], v[22:23]
	v_fmac_f64_e32 v[24:25], v[6:7], v[20:21]
	v_add_f64 v[28:29], v[24:25], 0
	scratch_load_dwordx4 v[24:27], off, off offset:288
	s_waitcnt vmcnt(0) lgkmcnt(2)
	v_mul_f64 v[30:31], v[8:9], v[26:27]
	v_fmac_f64_e32 v[30:31], v[10:11], v[24:25]
	v_add_f64 v[32:33], v[28:29], v[30:31]
	scratch_load_dwordx4 v[28:31], off, off offset:304
	;; [unrolled: 5-line block ×3, first 2 shown]
	s_waitcnt vmcnt(0) lgkmcnt(0)
	v_mul_f64 v[38:39], v[16:17], v[34:35]
	v_fmac_f64_e32 v[38:39], v[18:19], v[32:33]
	v_add_f64 v[44:45], v[36:37], v[38:39]
	ds_read_b128 v[36:39], v2 offset:736
	s_waitcnt lgkmcnt(0)
	v_mul_f64 v[46:47], v[36:37], v[42:43]
	v_fmac_f64_e32 v[46:47], v[38:39], v[40:41]
	v_add_f64 v[52:53], v[44:45], v[46:47]
	ds_read_b128 v[44:47], v2 offset:752
	s_waitcnt lgkmcnt(0)
	;; [unrolled: 5-line block ×4, first 2 shown]
	v_mul_f64 v[2:3], v[60:61], v[66:67]
	v_fmac_f64_e32 v[2:3], v[62:63], v[64:65]
	v_add_f64 v[68:69], v[68:69], v[2:3]
	v_mul_f64 v[2:3], v[6:7], v[22:23]
	v_fma_f64 v[2:3], v[4:5], v[20:21], -v[2:3]
	v_mul_f64 v[4:5], v[10:11], v[26:27]
	v_add_f64 v[2:3], v[2:3], 0
	v_fma_f64 v[4:5], v[8:9], v[24:25], -v[4:5]
	v_add_f64 v[2:3], v[2:3], v[4:5]
	v_mul_f64 v[4:5], v[14:15], v[30:31]
	v_fma_f64 v[4:5], v[12:13], v[28:29], -v[4:5]
	v_add_f64 v[2:3], v[2:3], v[4:5]
	v_mul_f64 v[4:5], v[18:19], v[34:35]
	;; [unrolled: 3-line block ×6, first 2 shown]
	v_fma_f64 v[4:5], v[60:61], v[64:65], -v[4:5]
	v_add_f64 v[6:7], v[2:3], v[4:5]
	scratch_load_dwordx4 v[2:5], off, off offset:256
	s_waitcnt vmcnt(0)
	v_add_f64 v[2:3], v[2:3], -v[6:7]
	v_add_f64 v[4:5], v[4:5], -v[68:69]
	scratch_store_dwordx4 off, v[2:5], off offset:256
	s_and_saveexec_b64 s[2:3], vcc
	s_cbranch_execz .LBB88_133
; %bb.132:
	scratch_load_dwordx4 v[2:5], off, s27
	v_mov_b32_e32 v6, 0
	v_mov_b32_e32 v7, v6
	;; [unrolled: 1-line block ×4, first 2 shown]
	scratch_store_dwordx4 off, v[6:9], off offset:240
	s_waitcnt vmcnt(1)
	ds_write_b128 v130, v[2:5]
.LBB88_133:
	s_or_b64 exec, exec, s[2:3]
	s_waitcnt lgkmcnt(0)
	; wave barrier
	scratch_load_dwordx4 v[4:7], off, off offset:256
	scratch_load_dwordx4 v[8:11], off, off offset:272
	;; [unrolled: 1-line block ×10, first 2 shown]
	v_mov_b32_e32 v2, 0
	ds_read_b128 v[44:47], v2 offset:656
	ds_read_b128 v[48:51], v2 offset:672
	;; [unrolled: 1-line block ×9, first 2 shown]
	v_cmp_lt_u32_e32 vcc, 14, v1
	s_waitcnt vmcnt(9) lgkmcnt(8)
	v_mul_f64 v[80:81], v[44:45], v[6:7]
	v_mul_f64 v[6:7], v[46:47], v[6:7]
	s_waitcnt vmcnt(8) lgkmcnt(7)
	v_mul_f64 v[82:83], v[48:49], v[10:11]
	s_waitcnt vmcnt(7) lgkmcnt(6)
	;; [unrolled: 2-line block ×3, first 2 shown]
	v_mul_f64 v[88:89], v[60:61], v[22:23]
	v_mul_f64 v[10:11], v[50:51], v[10:11]
	;; [unrolled: 1-line block ×4, first 2 shown]
	v_fmac_f64_e32 v[80:81], v[46:47], v[4:5]
	v_fma_f64 v[4:5], v[44:45], v[4:5], -v[6:7]
	v_fmac_f64_e32 v[82:83], v[50:51], v[8:9]
	v_fmac_f64_e32 v[84:85], v[54:55], v[12:13]
	v_fma_f64 v[6:7], v[48:49], v[8:9], -v[10:11]
	v_fma_f64 v[8:9], v[52:53], v[12:13], -v[14:15]
	;; [unrolled: 1-line block ×3, first 2 shown]
	v_add_f64 v[22:23], v[80:81], 0
	v_add_f64 v[4:5], v[4:5], 0
	v_mul_f64 v[86:87], v[56:57], v[18:19]
	v_mul_f64 v[18:19], v[58:59], v[18:19]
	v_add_f64 v[22:23], v[22:23], v[82:83]
	v_add_f64 v[4:5], v[4:5], v[6:7]
	v_fmac_f64_e32 v[86:87], v[58:59], v[16:17]
	v_fma_f64 v[10:11], v[56:57], v[16:17], -v[18:19]
	v_add_f64 v[6:7], v[22:23], v[84:85]
	v_add_f64 v[4:5], v[4:5], v[8:9]
	s_waitcnt vmcnt(4) lgkmcnt(3)
	v_mul_f64 v[90:91], v[64:65], v[26:27]
	v_mul_f64 v[26:27], v[66:67], v[26:27]
	v_fmac_f64_e32 v[88:89], v[62:63], v[20:21]
	v_add_f64 v[6:7], v[6:7], v[86:87]
	v_add_f64 v[4:5], v[4:5], v[10:11]
	s_waitcnt vmcnt(3) lgkmcnt(2)
	v_mul_f64 v[92:93], v[68:69], v[30:31]
	v_mul_f64 v[30:31], v[70:71], v[30:31]
	v_fmac_f64_e32 v[90:91], v[66:67], v[24:25]
	v_fma_f64 v[14:15], v[64:65], v[24:25], -v[26:27]
	v_add_f64 v[6:7], v[6:7], v[88:89]
	v_add_f64 v[4:5], v[4:5], v[12:13]
	s_waitcnt vmcnt(2) lgkmcnt(1)
	v_mul_f64 v[94:95], v[72:73], v[34:35]
	v_mul_f64 v[34:35], v[74:75], v[34:35]
	v_fmac_f64_e32 v[92:93], v[70:71], v[28:29]
	v_fma_f64 v[16:17], v[68:69], v[28:29], -v[30:31]
	;; [unrolled: 7-line block ×3, first 2 shown]
	v_add_f64 v[6:7], v[6:7], v[92:93]
	v_add_f64 v[4:5], v[4:5], v[16:17]
	v_fmac_f64_e32 v[96:97], v[78:79], v[36:37]
	v_fma_f64 v[20:21], v[76:77], v[36:37], -v[38:39]
	v_add_f64 v[6:7], v[6:7], v[94:95]
	v_add_f64 v[4:5], v[4:5], v[18:19]
	;; [unrolled: 1-line block ×4, first 2 shown]
	s_waitcnt vmcnt(0)
	v_add_f64 v[4:5], v[40:41], -v[4:5]
	v_add_f64 v[6:7], v[42:43], -v[6:7]
	scratch_store_dwordx4 off, v[4:7], off offset:240
	s_and_saveexec_b64 s[2:3], vcc
	s_cbranch_execz .LBB88_135
; %bb.134:
	scratch_load_dwordx4 v[6:9], off, s28
	v_mov_b32_e32 v3, v2
	v_mov_b32_e32 v4, v2
	;; [unrolled: 1-line block ×3, first 2 shown]
	scratch_store_dwordx4 off, v[2:5], off offset:224
	s_waitcnt vmcnt(1)
	ds_write_b128 v130, v[6:9]
.LBB88_135:
	s_or_b64 exec, exec, s[2:3]
	s_waitcnt lgkmcnt(0)
	; wave barrier
	scratch_load_dwordx4 v[4:7], off, off offset:240
	scratch_load_dwordx4 v[8:11], off, off offset:256
	;; [unrolled: 1-line block ×11, first 2 shown]
	ds_read_b128 v[48:51], v2 offset:640
	ds_read_b128 v[52:55], v2 offset:656
	;; [unrolled: 1-line block ×10, first 2 shown]
	v_cmp_lt_u32_e32 vcc, 13, v1
	s_waitcnt vmcnt(10) lgkmcnt(9)
	v_mul_f64 v[2:3], v[48:49], v[6:7]
	v_mul_f64 v[6:7], v[50:51], v[6:7]
	s_waitcnt vmcnt(9) lgkmcnt(8)
	v_mul_f64 v[88:89], v[52:53], v[10:11]
	v_mul_f64 v[10:11], v[54:55], v[10:11]
	v_fmac_f64_e32 v[2:3], v[50:51], v[4:5]
	v_fma_f64 v[4:5], v[48:49], v[4:5], -v[6:7]
	s_waitcnt vmcnt(8) lgkmcnt(7)
	v_mul_f64 v[90:91], v[56:57], v[14:15]
	v_mul_f64 v[14:15], v[58:59], v[14:15]
	v_fmac_f64_e32 v[88:89], v[54:55], v[8:9]
	v_fma_f64 v[6:7], v[52:53], v[8:9], -v[10:11]
	v_add_f64 v[2:3], v[2:3], 0
	v_add_f64 v[4:5], v[4:5], 0
	s_waitcnt vmcnt(7) lgkmcnt(6)
	v_mul_f64 v[92:93], v[60:61], v[18:19]
	v_mul_f64 v[18:19], v[62:63], v[18:19]
	v_fmac_f64_e32 v[90:91], v[58:59], v[12:13]
	v_fma_f64 v[8:9], v[56:57], v[12:13], -v[14:15]
	v_add_f64 v[2:3], v[2:3], v[88:89]
	v_add_f64 v[4:5], v[4:5], v[6:7]
	s_waitcnt vmcnt(6) lgkmcnt(5)
	v_mul_f64 v[94:95], v[64:65], v[22:23]
	v_mul_f64 v[22:23], v[66:67], v[22:23]
	v_fmac_f64_e32 v[92:93], v[62:63], v[16:17]
	v_fma_f64 v[10:11], v[60:61], v[16:17], -v[18:19]
	v_add_f64 v[2:3], v[2:3], v[90:91]
	v_add_f64 v[4:5], v[4:5], v[8:9]
	s_waitcnt vmcnt(5) lgkmcnt(4)
	v_mul_f64 v[96:97], v[68:69], v[26:27]
	v_mul_f64 v[26:27], v[70:71], v[26:27]
	v_fmac_f64_e32 v[94:95], v[66:67], v[20:21]
	v_fma_f64 v[12:13], v[64:65], v[20:21], -v[22:23]
	v_add_f64 v[2:3], v[2:3], v[92:93]
	v_add_f64 v[4:5], v[4:5], v[10:11]
	s_waitcnt vmcnt(4) lgkmcnt(3)
	v_mul_f64 v[98:99], v[72:73], v[30:31]
	v_mul_f64 v[30:31], v[74:75], v[30:31]
	v_fmac_f64_e32 v[96:97], v[70:71], v[24:25]
	v_fma_f64 v[14:15], v[68:69], v[24:25], -v[26:27]
	v_add_f64 v[2:3], v[2:3], v[94:95]
	v_add_f64 v[4:5], v[4:5], v[12:13]
	s_waitcnt vmcnt(3) lgkmcnt(2)
	v_mul_f64 v[100:101], v[76:77], v[34:35]
	v_mul_f64 v[34:35], v[78:79], v[34:35]
	v_fmac_f64_e32 v[98:99], v[74:75], v[28:29]
	v_fma_f64 v[16:17], v[72:73], v[28:29], -v[30:31]
	v_add_f64 v[2:3], v[2:3], v[96:97]
	v_add_f64 v[4:5], v[4:5], v[14:15]
	s_waitcnt vmcnt(2) lgkmcnt(1)
	v_mul_f64 v[102:103], v[80:81], v[38:39]
	v_mul_f64 v[38:39], v[82:83], v[38:39]
	v_fmac_f64_e32 v[100:101], v[78:79], v[32:33]
	v_fma_f64 v[18:19], v[76:77], v[32:33], -v[34:35]
	v_add_f64 v[2:3], v[2:3], v[98:99]
	v_add_f64 v[4:5], v[4:5], v[16:17]
	s_waitcnt vmcnt(1) lgkmcnt(0)
	v_mul_f64 v[104:105], v[84:85], v[42:43]
	v_mul_f64 v[42:43], v[86:87], v[42:43]
	v_fmac_f64_e32 v[102:103], v[82:83], v[36:37]
	v_fma_f64 v[20:21], v[80:81], v[36:37], -v[38:39]
	v_add_f64 v[2:3], v[2:3], v[100:101]
	v_add_f64 v[4:5], v[4:5], v[18:19]
	v_fmac_f64_e32 v[104:105], v[86:87], v[40:41]
	v_fma_f64 v[22:23], v[84:85], v[40:41], -v[42:43]
	v_add_f64 v[2:3], v[2:3], v[102:103]
	v_add_f64 v[4:5], v[4:5], v[20:21]
	;; [unrolled: 1-line block ×4, first 2 shown]
	s_waitcnt vmcnt(0)
	v_add_f64 v[2:3], v[44:45], -v[2:3]
	v_add_f64 v[4:5], v[46:47], -v[6:7]
	scratch_store_dwordx4 off, v[2:5], off offset:224
	s_and_saveexec_b64 s[2:3], vcc
	s_cbranch_execz .LBB88_137
; %bb.136:
	scratch_load_dwordx4 v[2:5], off, s29
	v_mov_b32_e32 v6, 0
	v_mov_b32_e32 v7, v6
	;; [unrolled: 1-line block ×4, first 2 shown]
	scratch_store_dwordx4 off, v[6:9], off offset:208
	s_waitcnt vmcnt(1)
	ds_write_b128 v130, v[2:5]
.LBB88_137:
	s_or_b64 exec, exec, s[2:3]
	v_mov_b32_e32 v2, 0
	s_waitcnt lgkmcnt(0)
	; wave barrier
	ds_read_b128 v[4:7], v2 offset:624
	ds_read_b128 v[8:11], v2 offset:640
	;; [unrolled: 1-line block ×4, first 2 shown]
	scratch_load_dwordx4 v[20:23], off, off offset:224
	scratch_load_dwordx4 v[40:43], off, off offset:288
	;; [unrolled: 1-line block ×5, first 2 shown]
	v_cmp_lt_u32_e32 vcc, 12, v1
	scratch_load_dwordx4 v[48:51], off, off offset:304
	scratch_load_dwordx4 v[56:59], off, off offset:320
	;; [unrolled: 1-line block ×3, first 2 shown]
	s_waitcnt vmcnt(7) lgkmcnt(3)
	v_mul_f64 v[24:25], v[4:5], v[22:23]
	v_fmac_f64_e32 v[24:25], v[6:7], v[20:21]
	v_add_f64 v[28:29], v[24:25], 0
	scratch_load_dwordx4 v[24:27], off, off offset:240
	v_mul_f64 v[6:7], v[6:7], v[22:23]
	v_fma_f64 v[4:5], v[4:5], v[20:21], -v[6:7]
	v_add_f64 v[4:5], v[4:5], 0
	s_waitcnt vmcnt(0) lgkmcnt(2)
	v_mul_f64 v[30:31], v[8:9], v[26:27]
	v_fmac_f64_e32 v[30:31], v[10:11], v[24:25]
	v_add_f64 v[32:33], v[28:29], v[30:31]
	scratch_load_dwordx4 v[28:31], off, off offset:256
	v_mul_f64 v[6:7], v[10:11], v[26:27]
	v_fma_f64 v[6:7], v[8:9], v[24:25], -v[6:7]
	v_add_f64 v[4:5], v[4:5], v[6:7]
	s_waitcnt vmcnt(0) lgkmcnt(1)
	v_mul_f64 v[34:35], v[12:13], v[30:31]
	v_fmac_f64_e32 v[34:35], v[14:15], v[28:29]
	v_add_f64 v[36:37], v[32:33], v[34:35]
	scratch_load_dwordx4 v[32:35], off, off offset:272
	v_mul_f64 v[6:7], v[14:15], v[30:31]
	v_fma_f64 v[6:7], v[12:13], v[28:29], -v[6:7]
	v_add_f64 v[4:5], v[4:5], v[6:7]
	s_waitcnt vmcnt(0) lgkmcnt(0)
	v_mul_f64 v[38:39], v[16:17], v[34:35]
	v_fmac_f64_e32 v[38:39], v[18:19], v[32:33]
	v_add_f64 v[44:45], v[36:37], v[38:39]
	ds_read_b128 v[36:39], v2 offset:688
	v_mul_f64 v[6:7], v[18:19], v[34:35]
	v_fma_f64 v[6:7], v[16:17], v[32:33], -v[6:7]
	v_add_f64 v[4:5], v[4:5], v[6:7]
	s_waitcnt lgkmcnt(0)
	v_mul_f64 v[46:47], v[36:37], v[42:43]
	v_fmac_f64_e32 v[46:47], v[38:39], v[40:41]
	v_add_f64 v[52:53], v[44:45], v[46:47]
	ds_read_b128 v[44:47], v2 offset:704
	v_mul_f64 v[6:7], v[38:39], v[42:43]
	v_fma_f64 v[6:7], v[36:37], v[40:41], -v[6:7]
	v_add_f64 v[4:5], v[4:5], v[6:7]
	s_waitcnt lgkmcnt(0)
	;; [unrolled: 8-line block ×7, first 2 shown]
	v_mul_f64 v[6:7], v[86:87], v[90:91]
	v_fma_f64 v[6:7], v[84:85], v[88:89], -v[6:7]
	v_add_f64 v[8:9], v[4:5], v[6:7]
	scratch_load_dwordx4 v[4:7], off, off offset:208
	v_mul_f64 v[94:95], v[84:85], v[90:91]
	v_fmac_f64_e32 v[94:95], v[86:87], v[88:89]
	v_add_f64 v[92:93], v[92:93], v[94:95]
	s_waitcnt vmcnt(0)
	v_add_f64 v[4:5], v[4:5], -v[8:9]
	v_add_f64 v[6:7], v[6:7], -v[92:93]
	scratch_store_dwordx4 off, v[4:7], off offset:208
	s_and_saveexec_b64 s[2:3], vcc
	s_cbranch_execz .LBB88_139
; %bb.138:
	scratch_load_dwordx4 v[6:9], off, s30
	v_mov_b32_e32 v3, v2
	v_mov_b32_e32 v4, v2
	;; [unrolled: 1-line block ×3, first 2 shown]
	scratch_store_dwordx4 off, v[2:5], off offset:192
	s_waitcnt vmcnt(1)
	ds_write_b128 v130, v[6:9]
.LBB88_139:
	s_or_b64 exec, exec, s[2:3]
	s_waitcnt lgkmcnt(0)
	; wave barrier
	ds_read_b128 v[4:7], v2 offset:608
	ds_read_b128 v[8:11], v2 offset:624
	;; [unrolled: 1-line block ×4, first 2 shown]
	scratch_load_dwordx4 v[20:23], off, off offset:208
	scratch_load_dwordx4 v[40:43], off, off offset:272
	;; [unrolled: 1-line block ×6, first 2 shown]
	v_cmp_lt_u32_e32 vcc, 11, v1
	scratch_load_dwordx4 v[48:51], off, off offset:288
	scratch_load_dwordx4 v[56:59], off, off offset:304
	;; [unrolled: 1-line block ×3, first 2 shown]
	s_waitcnt vmcnt(8) lgkmcnt(3)
	v_mul_f64 v[24:25], v[4:5], v[22:23]
	v_fmac_f64_e32 v[24:25], v[6:7], v[20:21]
	v_add_f64 v[28:29], v[24:25], 0
	scratch_load_dwordx4 v[24:27], off, off offset:224
	s_waitcnt vmcnt(0) lgkmcnt(2)
	v_mul_f64 v[30:31], v[8:9], v[26:27]
	v_fmac_f64_e32 v[30:31], v[10:11], v[24:25]
	v_add_f64 v[32:33], v[28:29], v[30:31]
	scratch_load_dwordx4 v[28:31], off, off offset:240
	;; [unrolled: 5-line block ×3, first 2 shown]
	s_waitcnt vmcnt(0) lgkmcnt(0)
	v_mul_f64 v[38:39], v[16:17], v[34:35]
	v_fmac_f64_e32 v[38:39], v[18:19], v[32:33]
	v_add_f64 v[44:45], v[36:37], v[38:39]
	ds_read_b128 v[36:39], v2 offset:672
	s_waitcnt lgkmcnt(0)
	v_mul_f64 v[46:47], v[36:37], v[42:43]
	v_fmac_f64_e32 v[46:47], v[38:39], v[40:41]
	v_add_f64 v[52:53], v[44:45], v[46:47]
	ds_read_b128 v[44:47], v2 offset:688
	s_waitcnt lgkmcnt(0)
	;; [unrolled: 5-line block ×8, first 2 shown]
	v_mul_f64 v[2:3], v[92:93], v[98:99]
	v_fmac_f64_e32 v[2:3], v[94:95], v[96:97]
	v_add_f64 v[100:101], v[100:101], v[2:3]
	v_mul_f64 v[2:3], v[6:7], v[22:23]
	v_fma_f64 v[2:3], v[4:5], v[20:21], -v[2:3]
	v_mul_f64 v[4:5], v[10:11], v[26:27]
	v_add_f64 v[2:3], v[2:3], 0
	v_fma_f64 v[4:5], v[8:9], v[24:25], -v[4:5]
	v_add_f64 v[2:3], v[2:3], v[4:5]
	v_mul_f64 v[4:5], v[14:15], v[30:31]
	v_fma_f64 v[4:5], v[12:13], v[28:29], -v[4:5]
	v_add_f64 v[2:3], v[2:3], v[4:5]
	v_mul_f64 v[4:5], v[18:19], v[34:35]
	;; [unrolled: 3-line block ×10, first 2 shown]
	v_fma_f64 v[4:5], v[92:93], v[96:97], -v[4:5]
	v_add_f64 v[6:7], v[2:3], v[4:5]
	scratch_load_dwordx4 v[2:5], off, off offset:192
	s_waitcnt vmcnt(0)
	v_add_f64 v[2:3], v[2:3], -v[6:7]
	v_add_f64 v[4:5], v[4:5], -v[100:101]
	scratch_store_dwordx4 off, v[2:5], off offset:192
	s_and_saveexec_b64 s[2:3], vcc
	s_cbranch_execz .LBB88_141
; %bb.140:
	scratch_load_dwordx4 v[2:5], off, s31
	v_mov_b32_e32 v6, 0
	v_mov_b32_e32 v7, v6
	;; [unrolled: 1-line block ×4, first 2 shown]
	scratch_store_dwordx4 off, v[6:9], off offset:176
	s_waitcnt vmcnt(1)
	ds_write_b128 v130, v[2:5]
.LBB88_141:
	s_or_b64 exec, exec, s[2:3]
	v_mov_b32_e32 v2, 0
	s_waitcnt lgkmcnt(0)
	; wave barrier
	ds_read_b128 v[4:7], v2 offset:592
	ds_read_b128 v[8:11], v2 offset:608
	;; [unrolled: 1-line block ×4, first 2 shown]
	scratch_load_dwordx4 v[20:23], off, off offset:192
	scratch_load_dwordx4 v[40:43], off, off offset:256
	;; [unrolled: 1-line block ×7, first 2 shown]
	v_cmp_lt_u32_e32 vcc, 10, v1
	scratch_load_dwordx4 v[48:51], off, off offset:272
	scratch_load_dwordx4 v[56:59], off, off offset:288
	scratch_load_dwordx4 v[64:67], off, off offset:304
	s_waitcnt vmcnt(9) lgkmcnt(3)
	v_mul_f64 v[24:25], v[4:5], v[22:23]
	v_fmac_f64_e32 v[24:25], v[6:7], v[20:21]
	v_add_f64 v[28:29], v[24:25], 0
	scratch_load_dwordx4 v[24:27], off, off offset:208
	v_mul_f64 v[6:7], v[6:7], v[22:23]
	v_fma_f64 v[4:5], v[4:5], v[20:21], -v[6:7]
	v_add_f64 v[4:5], v[4:5], 0
	s_waitcnt vmcnt(0) lgkmcnt(2)
	v_mul_f64 v[30:31], v[8:9], v[26:27]
	v_fmac_f64_e32 v[30:31], v[10:11], v[24:25]
	v_add_f64 v[32:33], v[28:29], v[30:31]
	scratch_load_dwordx4 v[28:31], off, off offset:224
	v_mul_f64 v[6:7], v[10:11], v[26:27]
	v_fma_f64 v[6:7], v[8:9], v[24:25], -v[6:7]
	v_add_f64 v[4:5], v[4:5], v[6:7]
	;; [unrolled: 8-line block ×3, first 2 shown]
	s_waitcnt vmcnt(0) lgkmcnt(0)
	v_mul_f64 v[38:39], v[16:17], v[34:35]
	v_fmac_f64_e32 v[38:39], v[18:19], v[32:33]
	v_add_f64 v[44:45], v[36:37], v[38:39]
	ds_read_b128 v[36:39], v2 offset:656
	v_mul_f64 v[6:7], v[18:19], v[34:35]
	v_fma_f64 v[6:7], v[16:17], v[32:33], -v[6:7]
	v_add_f64 v[4:5], v[4:5], v[6:7]
	s_waitcnt lgkmcnt(0)
	v_mul_f64 v[46:47], v[36:37], v[42:43]
	v_fmac_f64_e32 v[46:47], v[38:39], v[40:41]
	v_add_f64 v[52:53], v[44:45], v[46:47]
	ds_read_b128 v[44:47], v2 offset:672
	v_mul_f64 v[6:7], v[38:39], v[42:43]
	v_fma_f64 v[6:7], v[36:37], v[40:41], -v[6:7]
	v_add_f64 v[4:5], v[4:5], v[6:7]
	s_waitcnt lgkmcnt(0)
	;; [unrolled: 8-line block ×9, first 2 shown]
	v_mul_f64 v[6:7], v[102:103], v[106:107]
	v_fma_f64 v[6:7], v[100:101], v[104:105], -v[6:7]
	v_add_f64 v[8:9], v[4:5], v[6:7]
	scratch_load_dwordx4 v[4:7], off, off offset:176
	v_mul_f64 v[110:111], v[100:101], v[106:107]
	v_fmac_f64_e32 v[110:111], v[102:103], v[104:105]
	v_add_f64 v[108:109], v[108:109], v[110:111]
	s_waitcnt vmcnt(0)
	v_add_f64 v[4:5], v[4:5], -v[8:9]
	v_add_f64 v[6:7], v[6:7], -v[108:109]
	scratch_store_dwordx4 off, v[4:7], off offset:176
	s_and_saveexec_b64 s[2:3], vcc
	s_cbranch_execz .LBB88_143
; %bb.142:
	scratch_load_dwordx4 v[6:9], off, s33
	v_mov_b32_e32 v3, v2
	v_mov_b32_e32 v4, v2
	;; [unrolled: 1-line block ×3, first 2 shown]
	scratch_store_dwordx4 off, v[2:5], off offset:160
	s_waitcnt vmcnt(1)
	ds_write_b128 v130, v[6:9]
.LBB88_143:
	s_or_b64 exec, exec, s[2:3]
	s_waitcnt lgkmcnt(0)
	; wave barrier
	scratch_load_dwordx4 v[8:11], off, off offset:176
	scratch_load_dwordx4 v[4:7], off, off offset:192
	;; [unrolled: 1-line block ×14, first 2 shown]
	ds_read_b128 v[60:63], v2 offset:576
	ds_read_b128 v[64:67], v2 offset:592
	;; [unrolled: 1-line block ×14, first 2 shown]
	scratch_load_dwordx4 v[116:119], off, off offset:160
	v_cmp_lt_u32_e32 vcc, 9, v1
	s_waitcnt vmcnt(14) lgkmcnt(13)
	v_mul_f64 v[2:3], v[60:61], v[10:11]
	s_waitcnt vmcnt(13) lgkmcnt(12)
	v_mul_f64 v[120:121], v[64:65], v[6:7]
	v_fmac_f64_e32 v[2:3], v[62:63], v[8:9]
	s_waitcnt vmcnt(12) lgkmcnt(11)
	v_mul_f64 v[122:123], v[68:69], v[14:15]
	v_fmac_f64_e32 v[120:121], v[66:67], v[4:5]
	v_add_f64 v[2:3], v[2:3], 0
	s_waitcnt vmcnt(11) lgkmcnt(10)
	v_mul_f64 v[124:125], v[72:73], v[18:19]
	v_fmac_f64_e32 v[122:123], v[70:71], v[12:13]
	v_add_f64 v[2:3], v[2:3], v[120:121]
	;; [unrolled: 4-line block ×4, first 2 shown]
	s_waitcnt vmcnt(8) lgkmcnt(7)
	v_mul_f64 v[132:133], v[84:85], v[30:31]
	v_mul_f64 v[10:11], v[62:63], v[10:11]
	v_fmac_f64_e32 v[128:129], v[82:83], v[24:25]
	v_add_f64 v[2:3], v[2:3], v[126:127]
	s_waitcnt vmcnt(7) lgkmcnt(6)
	v_mul_f64 v[134:135], v[88:89], v[34:35]
	v_mul_f64 v[6:7], v[66:67], v[6:7]
	v_fma_f64 v[8:9], v[60:61], v[8:9], -v[10:11]
	v_fmac_f64_e32 v[132:133], v[86:87], v[28:29]
	v_add_f64 v[2:3], v[2:3], v[128:129]
	s_waitcnt vmcnt(6) lgkmcnt(5)
	v_mul_f64 v[136:137], v[92:93], v[38:39]
	v_mul_f64 v[14:15], v[70:71], v[14:15]
	v_fmac_f64_e32 v[134:135], v[90:91], v[32:33]
	v_fma_f64 v[4:5], v[64:65], v[4:5], -v[6:7]
	v_add_f64 v[8:9], v[8:9], 0
	v_add_f64 v[2:3], v[2:3], v[132:133]
	s_waitcnt vmcnt(5) lgkmcnt(4)
	v_mul_f64 v[138:139], v[96:97], v[42:43]
	v_mul_f64 v[18:19], v[74:75], v[18:19]
	v_fmac_f64_e32 v[136:137], v[94:95], v[36:37]
	v_fma_f64 v[6:7], v[68:69], v[12:13], -v[14:15]
	v_add_f64 v[4:5], v[8:9], v[4:5]
	;; [unrolled: 7-line block ×6, first 2 shown]
	v_add_f64 v[2:3], v[2:3], v[142:143]
	v_fmac_f64_e32 v[146:147], v[114:115], v[56:57]
	v_fma_f64 v[18:19], v[88:89], v[32:33], -v[34:35]
	v_add_f64 v[4:5], v[4:5], v[16:17]
	v_add_f64 v[2:3], v[2:3], v[144:145]
	;; [unrolled: 1-line block ×4, first 2 shown]
	v_mul_f64 v[4:5], v[94:95], v[38:39]
	v_fma_f64 v[4:5], v[92:93], v[36:37], -v[4:5]
	v_add_f64 v[2:3], v[2:3], v[4:5]
	v_mul_f64 v[4:5], v[98:99], v[42:43]
	v_fma_f64 v[4:5], v[96:97], v[40:41], -v[4:5]
	v_add_f64 v[2:3], v[2:3], v[4:5]
	;; [unrolled: 3-line block ×6, first 2 shown]
	s_waitcnt vmcnt(0)
	v_add_f64 v[2:3], v[116:117], -v[2:3]
	v_add_f64 v[4:5], v[118:119], -v[6:7]
	scratch_store_dwordx4 off, v[2:5], off offset:160
	s_and_saveexec_b64 s[2:3], vcc
	s_cbranch_execz .LBB88_145
; %bb.144:
	scratch_load_dwordx4 v[2:5], off, s34
	v_mov_b32_e32 v6, 0
	v_mov_b32_e32 v7, v6
	;; [unrolled: 1-line block ×4, first 2 shown]
	scratch_store_dwordx4 off, v[6:9], off offset:144
	s_waitcnt vmcnt(1)
	ds_write_b128 v130, v[2:5]
.LBB88_145:
	s_or_b64 exec, exec, s[2:3]
	s_waitcnt lgkmcnt(0)
	; wave barrier
	scratch_load_dwordx4 v[4:7], off, off offset:160
	scratch_load_dwordx4 v[8:11], off, off offset:176
	;; [unrolled: 1-line block ×16, first 2 shown]
	v_mov_b32_e32 v2, 0
	ds_read_b128 v[68:71], v2 offset:560
	ds_read_b128 v[72:75], v2 offset:576
	;; [unrolled: 1-line block ×15, first 2 shown]
	v_cmp_lt_u32_e32 vcc, 8, v1
	s_waitcnt vmcnt(15) lgkmcnt(14)
	v_mul_f64 v[128:129], v[68:69], v[6:7]
	v_mul_f64 v[6:7], v[70:71], v[6:7]
	s_waitcnt vmcnt(14) lgkmcnt(13)
	v_mul_f64 v[132:133], v[72:73], v[10:11]
	v_mul_f64 v[10:11], v[74:75], v[10:11]
	v_fmac_f64_e32 v[128:129], v[70:71], v[4:5]
	v_fma_f64 v[4:5], v[68:69], v[4:5], -v[6:7]
	s_waitcnt vmcnt(13) lgkmcnt(12)
	v_mul_f64 v[134:135], v[76:77], v[14:15]
	v_mul_f64 v[14:15], v[78:79], v[14:15]
	v_fma_f64 v[6:7], v[72:73], v[8:9], -v[10:11]
	v_add_f64 v[4:5], v[4:5], 0
	s_waitcnt vmcnt(12) lgkmcnt(11)
	v_mul_f64 v[136:137], v[80:81], v[18:19]
	v_mul_f64 v[18:19], v[82:83], v[18:19]
	v_fmac_f64_e32 v[132:133], v[74:75], v[8:9]
	v_fma_f64 v[8:9], v[76:77], v[12:13], -v[14:15]
	v_add_f64 v[4:5], v[4:5], v[6:7]
	s_waitcnt vmcnt(11) lgkmcnt(10)
	v_mul_f64 v[138:139], v[84:85], v[22:23]
	v_mul_f64 v[22:23], v[86:87], v[22:23]
	v_fma_f64 v[10:11], v[80:81], v[16:17], -v[18:19]
	v_add_f64 v[4:5], v[4:5], v[8:9]
	s_waitcnt vmcnt(10) lgkmcnt(9)
	v_mul_f64 v[140:141], v[88:89], v[26:27]
	v_mul_f64 v[26:27], v[90:91], v[26:27]
	v_fmac_f64_e32 v[134:135], v[78:79], v[12:13]
	v_fma_f64 v[12:13], v[84:85], v[20:21], -v[22:23]
	v_add_f64 v[4:5], v[4:5], v[10:11]
	v_fma_f64 v[14:15], v[88:89], v[24:25], -v[26:27]
	v_add_f64 v[4:5], v[4:5], v[12:13]
	s_waitcnt vmcnt(9) lgkmcnt(8)
	v_mul_f64 v[8:9], v[94:95], v[30:31]
	v_add_f64 v[4:5], v[4:5], v[14:15]
	v_fma_f64 v[8:9], v[92:93], v[28:29], -v[8:9]
	v_add_f64 v[4:5], v[4:5], v[8:9]
	s_waitcnt vmcnt(8) lgkmcnt(7)
	v_mul_f64 v[8:9], v[98:99], v[34:35]
	v_fma_f64 v[8:9], v[96:97], v[32:33], -v[8:9]
	v_fmac_f64_e32 v[136:137], v[82:83], v[16:17]
	v_add_f64 v[16:17], v[128:129], 0
	v_add_f64 v[4:5], v[4:5], v[8:9]
	s_waitcnt vmcnt(7) lgkmcnt(6)
	v_mul_f64 v[8:9], v[102:103], v[38:39]
	v_add_f64 v[16:17], v[16:17], v[132:133]
	v_fma_f64 v[8:9], v[100:101], v[36:37], -v[8:9]
	v_add_f64 v[6:7], v[16:17], v[134:135]
	v_add_f64 v[4:5], v[4:5], v[8:9]
	s_waitcnt vmcnt(6) lgkmcnt(5)
	v_mul_f64 v[8:9], v[106:107], v[42:43]
	v_fmac_f64_e32 v[138:139], v[86:87], v[20:21]
	v_add_f64 v[6:7], v[6:7], v[136:137]
	v_fma_f64 v[8:9], v[104:105], v[40:41], -v[8:9]
	v_mul_f64 v[142:143], v[92:93], v[30:31]
	v_fmac_f64_e32 v[140:141], v[90:91], v[24:25]
	v_add_f64 v[6:7], v[6:7], v[138:139]
	v_add_f64 v[4:5], v[4:5], v[8:9]
	s_waitcnt vmcnt(5) lgkmcnt(4)
	v_mul_f64 v[8:9], v[110:111], v[46:47]
	v_mul_f64 v[144:145], v[96:97], v[34:35]
	v_fmac_f64_e32 v[142:143], v[94:95], v[28:29]
	v_add_f64 v[6:7], v[6:7], v[140:141]
	v_fma_f64 v[8:9], v[108:109], v[44:45], -v[8:9]
	v_mul_f64 v[146:147], v[100:101], v[38:39]
	v_fmac_f64_e32 v[144:145], v[98:99], v[32:33]
	v_add_f64 v[6:7], v[6:7], v[142:143]
	v_add_f64 v[4:5], v[4:5], v[8:9]
	s_waitcnt vmcnt(4) lgkmcnt(3)
	v_mul_f64 v[8:9], v[114:115], v[50:51]
	;; [unrolled: 10-line block ×4, first 2 shown]
	v_mul_f64 v[206:207], v[120:121], v[58:59]
	v_fmac_f64_e32 v[204:205], v[118:119], v[52:53]
	v_add_f64 v[6:7], v[6:7], v[202:203]
	v_fma_f64 v[8:9], v[120:121], v[56:57], -v[8:9]
	s_waitcnt vmcnt(1) lgkmcnt(0)
	v_mul_f64 v[208:209], v[124:125], v[62:63]
	v_fmac_f64_e32 v[206:207], v[122:123], v[56:57]
	v_add_f64 v[6:7], v[6:7], v[204:205]
	v_add_f64 v[4:5], v[4:5], v[8:9]
	v_mul_f64 v[8:9], v[126:127], v[62:63]
	v_fmac_f64_e32 v[208:209], v[126:127], v[60:61]
	v_add_f64 v[6:7], v[6:7], v[206:207]
	v_fma_f64 v[8:9], v[124:125], v[60:61], -v[8:9]
	v_add_f64 v[6:7], v[6:7], v[208:209]
	v_add_f64 v[4:5], v[4:5], v[8:9]
	s_waitcnt vmcnt(0)
	v_add_f64 v[4:5], v[64:65], -v[4:5]
	v_add_f64 v[6:7], v[66:67], -v[6:7]
	scratch_store_dwordx4 off, v[4:7], off offset:144
	s_and_saveexec_b64 s[2:3], vcc
	s_cbranch_execz .LBB88_147
; %bb.146:
	scratch_load_dwordx4 v[6:9], off, s35
	v_mov_b32_e32 v3, v2
	v_mov_b32_e32 v4, v2
	;; [unrolled: 1-line block ×3, first 2 shown]
	scratch_store_dwordx4 off, v[2:5], off offset:128
	s_waitcnt vmcnt(1)
	ds_write_b128 v130, v[6:9]
.LBB88_147:
	s_or_b64 exec, exec, s[2:3]
	s_waitcnt lgkmcnt(0)
	; wave barrier
	scratch_load_dwordx4 v[4:7], off, off offset:144
	scratch_load_dwordx4 v[8:11], off, off offset:160
	;; [unrolled: 1-line block ×16, first 2 shown]
	ds_read_b128 v[68:71], v2 offset:544
	ds_read_b128 v[72:75], v2 offset:560
	;; [unrolled: 1-line block ×16, first 2 shown]
	scratch_load_dwordx4 v[136:139], off, off offset:128
	v_cmp_lt_u32_e32 vcc, 7, v1
	s_waitcnt vmcnt(16) lgkmcnt(14)
	v_mul_f64 v[2:3], v[68:69], v[6:7]
	s_waitcnt vmcnt(15)
	v_mul_f64 v[128:129], v[72:73], v[10:11]
	v_fmac_f64_e32 v[2:3], v[70:71], v[4:5]
	s_waitcnt vmcnt(14) lgkmcnt(13)
	v_mul_f64 v[140:141], v[76:77], v[14:15]
	v_fmac_f64_e32 v[128:129], v[74:75], v[8:9]
	v_add_f64 v[2:3], v[2:3], 0
	s_waitcnt vmcnt(13) lgkmcnt(12)
	v_mul_f64 v[142:143], v[80:81], v[18:19]
	v_fmac_f64_e32 v[140:141], v[78:79], v[12:13]
	v_add_f64 v[2:3], v[2:3], v[128:129]
	;; [unrolled: 4-line block ×10, first 2 shown]
	s_waitcnt vmcnt(4) lgkmcnt(3)
	v_mul_f64 v[210:211], v[116:117], v[54:55]
	v_mul_f64 v[6:7], v[70:71], v[6:7]
	v_fmac_f64_e32 v[208:209], v[114:115], v[48:49]
	v_add_f64 v[2:3], v[2:3], v[206:207]
	s_waitcnt vmcnt(3) lgkmcnt(2)
	v_mul_f64 v[212:213], v[120:121], v[58:59]
	v_mul_f64 v[10:11], v[74:75], v[10:11]
	v_fmac_f64_e32 v[210:211], v[118:119], v[52:53]
	v_fma_f64 v[4:5], v[68:69], v[4:5], -v[6:7]
	v_add_f64 v[2:3], v[2:3], v[208:209]
	s_waitcnt vmcnt(2) lgkmcnt(1)
	v_mul_f64 v[214:215], v[124:125], v[62:63]
	v_mul_f64 v[14:15], v[78:79], v[14:15]
	v_fmac_f64_e32 v[212:213], v[122:123], v[56:57]
	v_fma_f64 v[6:7], v[72:73], v[8:9], -v[10:11]
	v_add_f64 v[4:5], v[4:5], 0
	v_add_f64 v[2:3], v[2:3], v[210:211]
	s_waitcnt vmcnt(1) lgkmcnt(0)
	v_mul_f64 v[216:217], v[132:133], v[66:67]
	v_mul_f64 v[18:19], v[82:83], v[18:19]
	v_fmac_f64_e32 v[214:215], v[126:127], v[60:61]
	v_fma_f64 v[8:9], v[76:77], v[12:13], -v[14:15]
	v_add_f64 v[4:5], v[4:5], v[6:7]
	v_add_f64 v[2:3], v[2:3], v[212:213]
	v_mul_f64 v[26:27], v[86:87], v[26:27]
	v_fmac_f64_e32 v[216:217], v[134:135], v[64:65]
	v_fma_f64 v[10:11], v[80:81], v[16:17], -v[18:19]
	v_add_f64 v[4:5], v[4:5], v[8:9]
	v_add_f64 v[2:3], v[2:3], v[214:215]
	v_fma_f64 v[12:13], v[84:85], v[24:25], -v[26:27]
	v_add_f64 v[4:5], v[4:5], v[10:11]
	v_add_f64 v[6:7], v[2:3], v[216:217]
	v_mul_f64 v[2:3], v[90:91], v[22:23]
	v_add_f64 v[4:5], v[4:5], v[12:13]
	v_fma_f64 v[2:3], v[88:89], v[20:21], -v[2:3]
	v_add_f64 v[2:3], v[4:5], v[2:3]
	v_mul_f64 v[4:5], v[94:95], v[30:31]
	v_fma_f64 v[4:5], v[92:93], v[28:29], -v[4:5]
	v_add_f64 v[2:3], v[2:3], v[4:5]
	v_mul_f64 v[4:5], v[98:99], v[34:35]
	;; [unrolled: 3-line block ×10, first 2 shown]
	v_fma_f64 v[4:5], v[132:133], v[64:65], -v[4:5]
	v_add_f64 v[2:3], v[2:3], v[4:5]
	s_waitcnt vmcnt(0)
	v_add_f64 v[2:3], v[136:137], -v[2:3]
	v_add_f64 v[4:5], v[138:139], -v[6:7]
	scratch_store_dwordx4 off, v[2:5], off offset:128
	s_and_saveexec_b64 s[2:3], vcc
	s_cbranch_execz .LBB88_149
; %bb.148:
	scratch_load_dwordx4 v[2:5], off, s36
	v_mov_b32_e32 v6, 0
	v_mov_b32_e32 v7, v6
	v_mov_b32_e32 v8, v6
	v_mov_b32_e32 v9, v6
	scratch_store_dwordx4 off, v[6:9], off offset:112
	s_waitcnt vmcnt(1)
	ds_write_b128 v130, v[2:5]
.LBB88_149:
	s_or_b64 exec, exec, s[2:3]
	s_waitcnt lgkmcnt(0)
	; wave barrier
	scratch_load_dwordx4 v[4:7], off, off offset:128
	scratch_load_dwordx4 v[8:11], off, off offset:144
	;; [unrolled: 1-line block ×18, first 2 shown]
	v_mov_b32_e32 v2, 0
	ds_read_b128 v[76:79], v2 offset:528
	ds_read_b128 v[80:83], v2 offset:544
	;; [unrolled: 1-line block ×17, first 2 shown]
	v_cmp_lt_u32_e32 vcc, 6, v1
	s_waitcnt vmcnt(17) lgkmcnt(14)
	v_mul_f64 v[128:129], v[76:77], v[6:7]
	v_mul_f64 v[6:7], v[78:79], v[6:7]
	s_waitcnt vmcnt(16)
	v_mul_f64 v[198:199], v[80:81], v[10:11]
	v_mul_f64 v[10:11], v[82:83], v[10:11]
	v_fmac_f64_e32 v[128:129], v[78:79], v[4:5]
	v_fma_f64 v[4:5], v[76:77], v[4:5], -v[6:7]
	s_waitcnt vmcnt(15)
	v_mul_f64 v[200:201], v[84:85], v[18:19]
	v_mul_f64 v[18:19], v[86:87], v[18:19]
	v_fma_f64 v[6:7], v[80:81], v[8:9], -v[10:11]
	v_add_f64 v[4:5], v[4:5], 0
	s_waitcnt vmcnt(14) lgkmcnt(13)
	v_mul_f64 v[202:203], v[88:89], v[14:15]
	v_mul_f64 v[14:15], v[90:91], v[14:15]
	v_fmac_f64_e32 v[198:199], v[82:83], v[8:9]
	v_fma_f64 v[8:9], v[84:85], v[16:17], -v[18:19]
	v_add_f64 v[4:5], v[4:5], v[6:7]
	v_add_f64 v[4:5], v[4:5], v[8:9]
	v_fma_f64 v[8:9], v[88:89], v[12:13], -v[14:15]
	v_add_f64 v[4:5], v[4:5], v[8:9]
	s_waitcnt vmcnt(13) lgkmcnt(12)
	v_mul_f64 v[8:9], v[94:95], v[22:23]
	v_fma_f64 v[8:9], v[92:93], v[20:21], -v[8:9]
	v_add_f64 v[4:5], v[4:5], v[8:9]
	s_waitcnt vmcnt(12) lgkmcnt(11)
	v_mul_f64 v[8:9], v[98:99], v[26:27]
	;; [unrolled: 4-line block ×5, first 2 shown]
	v_fma_f64 v[8:9], v[108:109], v[36:37], -v[8:9]
	v_add_f64 v[10:11], v[128:129], 0
	v_add_f64 v[4:5], v[4:5], v[8:9]
	s_waitcnt vmcnt(8) lgkmcnt(7)
	v_mul_f64 v[8:9], v[114:115], v[42:43]
	v_fmac_f64_e32 v[200:201], v[86:87], v[16:17]
	v_add_f64 v[10:11], v[10:11], v[198:199]
	v_fma_f64 v[8:9], v[112:113], v[40:41], -v[8:9]
	v_mul_f64 v[204:205], v[92:93], v[22:23]
	v_fmac_f64_e32 v[202:203], v[90:91], v[12:13]
	v_add_f64 v[6:7], v[10:11], v[200:201]
	v_add_f64 v[4:5], v[4:5], v[8:9]
	s_waitcnt vmcnt(7) lgkmcnt(6)
	v_mul_f64 v[8:9], v[118:119], v[46:47]
	v_mul_f64 v[206:207], v[96:97], v[26:27]
	v_fmac_f64_e32 v[204:205], v[94:95], v[20:21]
	v_add_f64 v[6:7], v[6:7], v[202:203]
	v_fma_f64 v[8:9], v[116:117], v[44:45], -v[8:9]
	v_mul_f64 v[208:209], v[100:101], v[30:31]
	v_fmac_f64_e32 v[206:207], v[98:99], v[24:25]
	v_add_f64 v[6:7], v[6:7], v[204:205]
	v_add_f64 v[4:5], v[4:5], v[8:9]
	s_waitcnt vmcnt(6) lgkmcnt(5)
	v_mul_f64 v[8:9], v[122:123], v[50:51]
	;; [unrolled: 10-line block ×6, first 2 shown]
	v_mul_f64 v[226:227], v[140:141], v[66:67]
	v_fmac_f64_e32 v[224:225], v[138:139], v[60:61]
	v_add_f64 v[6:7], v[6:7], v[222:223]
	v_fma_f64 v[8:9], v[140:141], v[64:65], -v[8:9]
	s_waitcnt vmcnt(1) lgkmcnt(0)
	v_mul_f64 v[228:229], v[144:145], v[70:71]
	v_fmac_f64_e32 v[226:227], v[142:143], v[64:65]
	v_add_f64 v[6:7], v[6:7], v[224:225]
	v_add_f64 v[4:5], v[4:5], v[8:9]
	v_mul_f64 v[8:9], v[146:147], v[70:71]
	v_fmac_f64_e32 v[228:229], v[146:147], v[68:69]
	v_add_f64 v[6:7], v[6:7], v[226:227]
	v_fma_f64 v[8:9], v[144:145], v[68:69], -v[8:9]
	v_add_f64 v[6:7], v[6:7], v[228:229]
	v_add_f64 v[4:5], v[4:5], v[8:9]
	s_waitcnt vmcnt(0)
	v_add_f64 v[4:5], v[72:73], -v[4:5]
	v_add_f64 v[6:7], v[74:75], -v[6:7]
	scratch_store_dwordx4 off, v[4:7], off offset:112
	s_and_saveexec_b64 s[2:3], vcc
	s_cbranch_execz .LBB88_151
; %bb.150:
	scratch_load_dwordx4 v[6:9], off, s37
	v_mov_b32_e32 v3, v2
	v_mov_b32_e32 v4, v2
	;; [unrolled: 1-line block ×3, first 2 shown]
	scratch_store_dwordx4 off, v[2:5], off offset:96
	s_waitcnt vmcnt(1)
	ds_write_b128 v130, v[6:9]
.LBB88_151:
	s_or_b64 exec, exec, s[2:3]
	s_waitcnt lgkmcnt(0)
	; wave barrier
	scratch_load_dwordx4 v[4:7], off, off offset:112
	scratch_load_dwordx4 v[12:15], off, off offset:128
	;; [unrolled: 1-line block ×18, first 2 shown]
	ds_read_b128 v[76:79], v2 offset:512
	ds_read_b128 v[80:83], v2 offset:528
	;; [unrolled: 1-line block ×18, first 2 shown]
	scratch_load_dwordx4 v[202:205], off, off offset:96
	v_cmp_lt_u32_e32 vcc, 5, v1
	s_waitcnt vmcnt(18) lgkmcnt(14)
	v_mul_f64 v[2:3], v[76:77], v[6:7]
	s_waitcnt vmcnt(17)
	v_mul_f64 v[128:129], v[80:81], v[14:15]
	v_fmac_f64_e32 v[2:3], v[78:79], v[4:5]
	s_waitcnt vmcnt(16)
	v_mul_f64 v[206:207], v[84:85], v[10:11]
	v_fmac_f64_e32 v[128:129], v[82:83], v[12:13]
	v_add_f64 v[2:3], v[2:3], 0
	s_waitcnt vmcnt(15)
	v_mul_f64 v[208:209], v[88:89], v[18:19]
	v_fmac_f64_e32 v[206:207], v[86:87], v[8:9]
	v_add_f64 v[2:3], v[2:3], v[128:129]
	s_waitcnt vmcnt(14) lgkmcnt(13)
	v_mul_f64 v[210:211], v[92:93], v[22:23]
	v_fmac_f64_e32 v[208:209], v[90:91], v[16:17]
	v_add_f64 v[2:3], v[2:3], v[206:207]
	s_waitcnt vmcnt(13) lgkmcnt(12)
	;; [unrolled: 4-line block ×13, first 2 shown]
	v_mul_f64 v[234:235], v[144:145], v[70:71]
	v_mul_f64 v[6:7], v[78:79], v[6:7]
	v_fmac_f64_e32 v[232:233], v[142:143], v[64:65]
	v_add_f64 v[2:3], v[2:3], v[230:231]
	s_waitcnt vmcnt(1) lgkmcnt(0)
	v_mul_f64 v[236:237], v[198:199], v[74:75]
	v_mul_f64 v[14:15], v[82:83], v[14:15]
	v_fmac_f64_e32 v[234:235], v[146:147], v[68:69]
	v_fma_f64 v[4:5], v[76:77], v[4:5], -v[6:7]
	v_add_f64 v[2:3], v[2:3], v[232:233]
	v_mul_f64 v[10:11], v[86:87], v[10:11]
	v_fmac_f64_e32 v[236:237], v[200:201], v[72:73]
	v_fma_f64 v[6:7], v[80:81], v[12:13], -v[14:15]
	v_add_f64 v[4:5], v[4:5], 0
	v_add_f64 v[2:3], v[2:3], v[234:235]
	;; [unrolled: 1-line block ×4, first 2 shown]
	v_fma_f64 v[2:3], v[84:85], v[8:9], -v[10:11]
	v_add_f64 v[2:3], v[4:5], v[2:3]
	v_mul_f64 v[4:5], v[90:91], v[18:19]
	v_fma_f64 v[4:5], v[88:89], v[16:17], -v[4:5]
	v_add_f64 v[2:3], v[2:3], v[4:5]
	v_mul_f64 v[4:5], v[94:95], v[22:23]
	;; [unrolled: 3-line block ×15, first 2 shown]
	v_fma_f64 v[4:5], v[198:199], v[72:73], -v[4:5]
	v_add_f64 v[2:3], v[2:3], v[4:5]
	s_waitcnt vmcnt(0)
	v_add_f64 v[2:3], v[202:203], -v[2:3]
	v_add_f64 v[4:5], v[204:205], -v[6:7]
	scratch_store_dwordx4 off, v[2:5], off offset:96
	s_and_saveexec_b64 s[2:3], vcc
	s_cbranch_execz .LBB88_153
; %bb.152:
	scratch_load_dwordx4 v[2:5], off, s38
	v_mov_b32_e32 v6, 0
	v_mov_b32_e32 v7, v6
	;; [unrolled: 1-line block ×4, first 2 shown]
	scratch_store_dwordx4 off, v[6:9], off offset:80
	s_waitcnt vmcnt(1)
	ds_write_b128 v130, v[2:5]
.LBB88_153:
	s_or_b64 exec, exec, s[2:3]
	s_waitcnt lgkmcnt(0)
	; wave barrier
	scratch_load_dwordx4 v[8:11], off, off offset:96
	scratch_load_dwordx4 v[4:7], off, off offset:112
	;; [unrolled: 1-line block ×20, first 2 shown]
	v_mov_b32_e32 v2, 0
	ds_read_b128 v[84:87], v2 offset:496
	ds_read_b128 v[88:91], v2 offset:512
	;; [unrolled: 1-line block ×19, first 2 shown]
	v_cmp_lt_u32_e32 vcc, 4, v1
	s_waitcnt vmcnt(19) lgkmcnt(14)
	v_mul_f64 v[128:129], v[84:85], v[10:11]
	v_mul_f64 v[10:11], v[86:87], v[10:11]
	s_waitcnt vmcnt(18)
	v_mul_f64 v[214:215], v[88:89], v[6:7]
	v_fmac_f64_e32 v[128:129], v[86:87], v[8:9]
	v_fma_f64 v[8:9], v[84:85], v[8:9], -v[10:11]
	v_mul_f64 v[6:7], v[90:91], v[6:7]
	v_fmac_f64_e32 v[214:215], v[90:91], v[4:5]
	v_add_f64 v[8:9], v[8:9], 0
	v_fma_f64 v[4:5], v[88:89], v[4:5], -v[6:7]
	s_waitcnt vmcnt(17)
	v_mul_f64 v[6:7], v[94:95], v[14:15]
	v_add_f64 v[4:5], v[8:9], v[4:5]
	v_fma_f64 v[6:7], v[92:93], v[12:13], -v[6:7]
	v_add_f64 v[4:5], v[4:5], v[6:7]
	s_waitcnt vmcnt(16)
	v_mul_f64 v[6:7], v[98:99], v[18:19]
	v_fma_f64 v[6:7], v[96:97], v[16:17], -v[6:7]
	v_add_f64 v[4:5], v[4:5], v[6:7]
	s_waitcnt vmcnt(15)
	v_mul_f64 v[6:7], v[102:103], v[22:23]
	v_fma_f64 v[6:7], v[100:101], v[20:21], -v[6:7]
	v_add_f64 v[4:5], v[4:5], v[6:7]
	s_waitcnt vmcnt(14) lgkmcnt(13)
	v_mul_f64 v[6:7], v[106:107], v[26:27]
	v_fma_f64 v[6:7], v[104:105], v[24:25], -v[6:7]
	v_add_f64 v[4:5], v[4:5], v[6:7]
	s_waitcnt vmcnt(13) lgkmcnt(12)
	;; [unrolled: 4-line block ×5, first 2 shown]
	v_mul_f64 v[6:7], v[122:123], v[42:43]
	v_fma_f64 v[6:7], v[120:121], v[40:41], -v[6:7]
	v_mul_f64 v[216:217], v[92:93], v[14:15]
	v_add_f64 v[10:11], v[128:129], 0
	v_add_f64 v[4:5], v[4:5], v[6:7]
	s_waitcnt vmcnt(9) lgkmcnt(8)
	v_mul_f64 v[6:7], v[126:127], v[46:47]
	v_mul_f64 v[218:219], v[96:97], v[18:19]
	v_fmac_f64_e32 v[216:217], v[94:95], v[12:13]
	v_add_f64 v[10:11], v[10:11], v[214:215]
	v_fma_f64 v[6:7], v[124:125], v[44:45], -v[6:7]
	v_mul_f64 v[220:221], v[100:101], v[22:23]
	v_fmac_f64_e32 v[218:219], v[98:99], v[16:17]
	v_add_f64 v[10:11], v[10:11], v[216:217]
	v_add_f64 v[4:5], v[4:5], v[6:7]
	s_waitcnt vmcnt(8) lgkmcnt(7)
	v_mul_f64 v[6:7], v[134:135], v[50:51]
	v_mul_f64 v[222:223], v[104:105], v[26:27]
	v_fmac_f64_e32 v[220:221], v[102:103], v[20:21]
	v_add_f64 v[10:11], v[10:11], v[218:219]
	v_fma_f64 v[6:7], v[132:133], v[48:49], -v[6:7]
	v_mul_f64 v[224:225], v[108:109], v[30:31]
	v_fmac_f64_e32 v[222:223], v[106:107], v[24:25]
	;; [unrolled: 10-line block ×7, first 2 shown]
	v_add_f64 v[10:11], v[10:11], v[240:241]
	v_add_f64 v[4:5], v[4:5], v[6:7]
	s_waitcnt vmcnt(2) lgkmcnt(1)
	v_mul_f64 v[6:7], v[208:209], v[74:75]
	v_mul_f64 v[246:247], v[206:207], v[74:75]
	v_fmac_f64_e32 v[244:245], v[204:205], v[68:69]
	v_add_f64 v[10:11], v[10:11], v[242:243]
	v_fma_f64 v[6:7], v[206:207], v[72:73], -v[6:7]
	s_waitcnt vmcnt(1) lgkmcnt(0)
	v_mul_f64 v[248:249], v[210:211], v[78:79]
	v_fmac_f64_e32 v[246:247], v[208:209], v[72:73]
	v_add_f64 v[10:11], v[10:11], v[244:245]
	v_add_f64 v[4:5], v[4:5], v[6:7]
	v_mul_f64 v[6:7], v[212:213], v[78:79]
	v_fmac_f64_e32 v[248:249], v[212:213], v[76:77]
	v_add_f64 v[10:11], v[10:11], v[246:247]
	v_fma_f64 v[6:7], v[210:211], v[76:77], -v[6:7]
	v_add_f64 v[10:11], v[10:11], v[248:249]
	v_add_f64 v[4:5], v[4:5], v[6:7]
	s_waitcnt vmcnt(0)
	v_add_f64 v[4:5], v[80:81], -v[4:5]
	v_add_f64 v[6:7], v[82:83], -v[10:11]
	scratch_store_dwordx4 off, v[4:7], off offset:80
	s_and_saveexec_b64 s[2:3], vcc
	s_cbranch_execz .LBB88_155
; %bb.154:
	scratch_load_dwordx4 v[6:9], off, s39
	v_mov_b32_e32 v3, v2
	v_mov_b32_e32 v4, v2
	;; [unrolled: 1-line block ×3, first 2 shown]
	scratch_store_dwordx4 off, v[2:5], off offset:64
	s_waitcnt vmcnt(1)
	ds_write_b128 v130, v[6:9]
.LBB88_155:
	s_or_b64 exec, exec, s[2:3]
	s_waitcnt lgkmcnt(0)
	; wave barrier
	ds_read_b128 v[16:19], v2 offset:480
	ds_read_b128 v[12:15], v2 offset:496
	;; [unrolled: 1-line block ×4, first 2 shown]
	scratch_load_dwordx4 v[20:23], off, off offset:80
	scratch_load_dwordx4 v[40:43], off, off offset:144
	scratch_load_dwordx4 v[72:75], off, off offset:208
	scratch_load_dwordx4 v[80:83], off, off offset:224
	scratch_load_dwordx4 v[88:91], off, off offset:240
	scratch_load_dwordx4 v[98:101], off, off offset:256
	scratch_load_dwordx4 v[106:109], off, off offset:272
	scratch_load_dwordx4 v[114:117], off, off offset:288
	scratch_load_dwordx4 v[122:125], off, off offset:304
	scratch_load_dwordx4 v[132:135], off, off offset:320
	scratch_load_dwordx4 v[140:143], off, off offset:336
	scratch_load_dwordx4 v[198:201], off, off offset:352
	scratch_load_dwordx4 v[206:209], off, off offset:368
	scratch_load_dwordx4 v[214:217], off, off offset:384
	v_cmp_lt_u32_e32 vcc, 3, v1
	scratch_load_dwordx4 v[48:51], off, off offset:160
	scratch_load_dwordx4 v[56:59], off, off offset:176
	scratch_load_dwordx4 v[64:67], off, off offset:192
	s_waitcnt vmcnt(16) lgkmcnt(3)
	v_mul_f64 v[24:25], v[16:17], v[22:23]
	v_fmac_f64_e32 v[24:25], v[18:19], v[20:21]
	v_add_f64 v[28:29], v[24:25], 0
	scratch_load_dwordx4 v[24:27], off, off offset:96
	s_waitcnt vmcnt(0) lgkmcnt(2)
	v_mul_f64 v[30:31], v[12:13], v[26:27]
	v_fmac_f64_e32 v[30:31], v[14:15], v[24:25]
	v_add_f64 v[32:33], v[28:29], v[30:31]
	scratch_load_dwordx4 v[28:31], off, off offset:112
	v_mul_f64 v[14:15], v[14:15], v[26:27]
	v_fma_f64 v[12:13], v[12:13], v[24:25], -v[14:15]
	s_waitcnt vmcnt(0) lgkmcnt(1)
	v_mul_f64 v[34:35], v[8:9], v[30:31]
	v_fmac_f64_e32 v[34:35], v[10:11], v[28:29]
	v_add_f64 v[36:37], v[32:33], v[34:35]
	scratch_load_dwordx4 v[32:35], off, off offset:128
	v_mul_f64 v[10:11], v[10:11], v[30:31]
	v_fma_f64 v[8:9], v[8:9], v[28:29], -v[10:11]
	s_waitcnt vmcnt(0) lgkmcnt(0)
	v_mul_f64 v[38:39], v[4:5], v[34:35]
	v_fmac_f64_e32 v[38:39], v[6:7], v[32:33]
	v_add_f64 v[44:45], v[36:37], v[38:39]
	ds_read_b128 v[36:39], v2 offset:544
	v_mul_f64 v[6:7], v[6:7], v[34:35]
	v_fma_f64 v[4:5], v[4:5], v[32:33], -v[6:7]
	s_waitcnt lgkmcnt(0)
	v_mul_f64 v[46:47], v[36:37], v[42:43]
	v_fmac_f64_e32 v[46:47], v[38:39], v[40:41]
	v_add_f64 v[52:53], v[44:45], v[46:47]
	ds_read_b128 v[44:47], v2 offset:560
	s_waitcnt lgkmcnt(0)
	v_mul_f64 v[54:55], v[44:45], v[50:51]
	v_fmac_f64_e32 v[54:55], v[46:47], v[48:49]
	v_add_f64 v[60:61], v[52:53], v[54:55]
	ds_read_b128 v[52:55], v2 offset:576
	s_waitcnt lgkmcnt(0)
	v_mul_f64 v[62:63], v[52:53], v[58:59]
	v_fmac_f64_e32 v[62:63], v[54:55], v[56:57]
	v_add_f64 v[68:69], v[60:61], v[62:63]
	ds_read_b128 v[60:63], v2 offset:592
	s_waitcnt lgkmcnt(0)
	v_mul_f64 v[70:71], v[60:61], v[66:67]
	v_fmac_f64_e32 v[70:71], v[62:63], v[64:65]
	v_add_f64 v[76:77], v[68:69], v[70:71]
	ds_read_b128 v[68:71], v2 offset:608
	s_waitcnt lgkmcnt(0)
	v_mul_f64 v[78:79], v[68:69], v[74:75]
	v_fmac_f64_e32 v[78:79], v[70:71], v[72:73]
	v_add_f64 v[84:85], v[76:77], v[78:79]
	ds_read_b128 v[76:79], v2 offset:624
	s_waitcnt lgkmcnt(0)
	v_mul_f64 v[86:87], v[76:77], v[82:83]
	v_fmac_f64_e32 v[86:87], v[78:79], v[80:81]
	v_add_f64 v[92:93], v[84:85], v[86:87]
	ds_read_b128 v[84:87], v2 offset:640
	s_waitcnt lgkmcnt(0)
	v_mul_f64 v[94:95], v[84:85], v[90:91]
	v_fmac_f64_e32 v[94:95], v[86:87], v[88:89]
	v_add_f64 v[96:97], v[92:93], v[94:95]
	ds_read_b128 v[92:95], v2 offset:656
	s_waitcnt lgkmcnt(0)
	v_mul_f64 v[102:103], v[92:93], v[100:101]
	v_fmac_f64_e32 v[102:103], v[94:95], v[98:99]
	v_add_f64 v[96:97], v[96:97], v[102:103]
	ds_read_b128 v[102:105], v2 offset:672
	s_waitcnt lgkmcnt(0)
	v_mul_f64 v[110:111], v[102:103], v[108:109]
	v_fmac_f64_e32 v[110:111], v[104:105], v[106:107]
	v_add_f64 v[96:97], v[96:97], v[110:111]
	ds_read_b128 v[110:113], v2 offset:688
	s_waitcnt lgkmcnt(0)
	v_mul_f64 v[118:119], v[110:111], v[116:117]
	v_fmac_f64_e32 v[118:119], v[112:113], v[114:115]
	v_add_f64 v[96:97], v[96:97], v[118:119]
	ds_read_b128 v[118:121], v2 offset:704
	s_waitcnt lgkmcnt(0)
	v_mul_f64 v[126:127], v[118:119], v[124:125]
	v_fmac_f64_e32 v[126:127], v[120:121], v[122:123]
	v_add_f64 v[96:97], v[96:97], v[126:127]
	ds_read_b128 v[126:129], v2 offset:720
	s_waitcnt lgkmcnt(0)
	v_mul_f64 v[136:137], v[126:127], v[134:135]
	v_fmac_f64_e32 v[136:137], v[128:129], v[132:133]
	v_add_f64 v[96:97], v[96:97], v[136:137]
	ds_read_b128 v[136:139], v2 offset:736
	s_waitcnt lgkmcnt(0)
	v_mul_f64 v[144:145], v[136:137], v[142:143]
	v_fmac_f64_e32 v[144:145], v[138:139], v[140:141]
	v_add_f64 v[96:97], v[96:97], v[144:145]
	ds_read_b128 v[144:147], v2 offset:752
	s_waitcnt lgkmcnt(0)
	v_mul_f64 v[202:203], v[144:145], v[200:201]
	v_fmac_f64_e32 v[202:203], v[146:147], v[198:199]
	v_add_f64 v[96:97], v[96:97], v[202:203]
	ds_read_b128 v[202:205], v2 offset:768
	s_waitcnt lgkmcnt(0)
	v_mul_f64 v[210:211], v[202:203], v[208:209]
	v_fmac_f64_e32 v[210:211], v[204:205], v[206:207]
	v_add_f64 v[96:97], v[96:97], v[210:211]
	ds_read_b128 v[210:213], v2 offset:784
	s_waitcnt lgkmcnt(0)
	v_mul_f64 v[2:3], v[210:211], v[216:217]
	v_fmac_f64_e32 v[2:3], v[212:213], v[214:215]
	v_add_f64 v[96:97], v[96:97], v[2:3]
	v_mul_f64 v[2:3], v[18:19], v[22:23]
	v_fma_f64 v[2:3], v[16:17], v[20:21], -v[2:3]
	v_add_f64 v[2:3], v[2:3], 0
	v_add_f64 v[2:3], v[2:3], v[12:13]
	;; [unrolled: 1-line block ×4, first 2 shown]
	v_mul_f64 v[4:5], v[38:39], v[42:43]
	v_fma_f64 v[4:5], v[36:37], v[40:41], -v[4:5]
	v_add_f64 v[2:3], v[2:3], v[4:5]
	v_mul_f64 v[4:5], v[46:47], v[50:51]
	v_fma_f64 v[4:5], v[44:45], v[48:49], -v[4:5]
	v_add_f64 v[2:3], v[2:3], v[4:5]
	;; [unrolled: 3-line block ×16, first 2 shown]
	scratch_load_dwordx4 v[2:5], off, off offset:64
	s_waitcnt vmcnt(0)
	v_add_f64 v[2:3], v[2:3], -v[6:7]
	v_add_f64 v[4:5], v[4:5], -v[96:97]
	scratch_store_dwordx4 off, v[2:5], off offset:64
	s_and_saveexec_b64 s[2:3], vcc
	s_cbranch_execz .LBB88_157
; %bb.156:
	scratch_load_dwordx4 v[2:5], off, s40
	v_mov_b32_e32 v6, 0
	v_mov_b32_e32 v7, v6
	v_mov_b32_e32 v8, v6
	v_mov_b32_e32 v9, v6
	scratch_store_dwordx4 off, v[6:9], off offset:48
	s_waitcnt vmcnt(1)
	ds_write_b128 v130, v[2:5]
.LBB88_157:
	s_or_b64 exec, exec, s[2:3]
	v_mov_b32_e32 v2, 0
	s_waitcnt lgkmcnt(0)
	; wave barrier
	ds_read_b128 v[16:19], v2 offset:464
	ds_read_b128 v[12:15], v2 offset:480
	;; [unrolled: 1-line block ×4, first 2 shown]
	scratch_load_dwordx4 v[20:23], off, off offset:64
	scratch_load_dwordx4 v[40:43], off, off offset:128
	;; [unrolled: 1-line block ×15, first 2 shown]
	v_cmp_lt_u32_e32 vcc, 2, v1
	scratch_load_dwordx4 v[48:51], off, off offset:144
	scratch_load_dwordx4 v[56:59], off, off offset:160
	scratch_load_dwordx4 v[64:67], off, off offset:176
	s_waitcnt vmcnt(17) lgkmcnt(3)
	v_mul_f64 v[24:25], v[16:17], v[22:23]
	v_fmac_f64_e32 v[24:25], v[18:19], v[20:21]
	v_add_f64 v[28:29], v[24:25], 0
	scratch_load_dwordx4 v[24:27], off, off offset:80
	v_mul_f64 v[18:19], v[18:19], v[22:23]
	v_fma_f64 v[16:17], v[16:17], v[20:21], -v[18:19]
	v_add_f64 v[16:17], v[16:17], 0
	s_waitcnt vmcnt(0) lgkmcnt(2)
	v_mul_f64 v[30:31], v[12:13], v[26:27]
	v_fmac_f64_e32 v[30:31], v[14:15], v[24:25]
	v_add_f64 v[32:33], v[28:29], v[30:31]
	scratch_load_dwordx4 v[28:31], off, off offset:96
	v_mul_f64 v[14:15], v[14:15], v[26:27]
	v_fma_f64 v[12:13], v[12:13], v[24:25], -v[14:15]
	v_add_f64 v[12:13], v[16:17], v[12:13]
	;; [unrolled: 8-line block ×3, first 2 shown]
	s_waitcnt vmcnt(0) lgkmcnt(0)
	v_mul_f64 v[38:39], v[4:5], v[34:35]
	v_fmac_f64_e32 v[38:39], v[6:7], v[32:33]
	v_add_f64 v[44:45], v[36:37], v[38:39]
	ds_read_b128 v[36:39], v2 offset:528
	v_mul_f64 v[6:7], v[6:7], v[34:35]
	v_fma_f64 v[4:5], v[4:5], v[32:33], -v[6:7]
	v_add_f64 v[4:5], v[8:9], v[4:5]
	s_waitcnt lgkmcnt(0)
	v_mul_f64 v[46:47], v[36:37], v[42:43]
	v_fmac_f64_e32 v[46:47], v[38:39], v[40:41]
	v_add_f64 v[52:53], v[44:45], v[46:47]
	ds_read_b128 v[44:47], v2 offset:544
	v_mul_f64 v[6:7], v[38:39], v[42:43]
	v_fma_f64 v[6:7], v[36:37], v[40:41], -v[6:7]
	v_add_f64 v[4:5], v[4:5], v[6:7]
	s_waitcnt lgkmcnt(0)
	;; [unrolled: 8-line block ×17, first 2 shown]
	v_mul_f64 v[6:7], v[220:221], v[224:225]
	v_fma_f64 v[6:7], v[218:219], v[222:223], -v[6:7]
	v_add_f64 v[8:9], v[4:5], v[6:7]
	scratch_load_dwordx4 v[4:7], off, off offset:48
	v_mul_f64 v[226:227], v[218:219], v[224:225]
	v_fmac_f64_e32 v[226:227], v[220:221], v[222:223]
	v_add_f64 v[104:105], v[104:105], v[226:227]
	s_waitcnt vmcnt(0)
	v_add_f64 v[4:5], v[4:5], -v[8:9]
	v_add_f64 v[6:7], v[6:7], -v[104:105]
	scratch_store_dwordx4 off, v[4:7], off offset:48
	s_and_saveexec_b64 s[2:3], vcc
	s_cbranch_execz .LBB88_159
; %bb.158:
	scratch_load_dwordx4 v[6:9], off, s41
	v_mov_b32_e32 v3, v2
	v_mov_b32_e32 v4, v2
	;; [unrolled: 1-line block ×3, first 2 shown]
	scratch_store_dwordx4 off, v[2:5], off offset:32
	s_waitcnt vmcnt(1)
	ds_write_b128 v130, v[6:9]
.LBB88_159:
	s_or_b64 exec, exec, s[2:3]
	s_waitcnt lgkmcnt(0)
	; wave barrier
	ds_read_b128 v[16:19], v2 offset:448
	ds_read_b128 v[12:15], v2 offset:464
	ds_read_b128 v[8:11], v2 offset:480
	ds_read_b128 v[4:7], v2 offset:496
	scratch_load_dwordx4 v[20:23], off, off offset:48
	scratch_load_dwordx4 v[40:43], off, off offset:112
	scratch_load_dwordx4 v[72:75], off, off offset:176
	scratch_load_dwordx4 v[80:83], off, off offset:192
	scratch_load_dwordx4 v[88:91], off, off offset:208
	scratch_load_dwordx4 v[96:99], off, off offset:224
	scratch_load_dwordx4 v[104:107], off, off offset:240
	scratch_load_dwordx4 v[112:115], off, off offset:256
	scratch_load_dwordx4 v[122:125], off, off offset:272
	scratch_load_dwordx4 v[132:135], off, off offset:288
	scratch_load_dwordx4 v[140:143], off, off offset:304
	scratch_load_dwordx4 v[198:201], off, off offset:320
	scratch_load_dwordx4 v[206:209], off, off offset:336
	scratch_load_dwordx4 v[214:217], off, off offset:352
	scratch_load_dwordx4 v[222:225], off, off offset:368
	scratch_load_dwordx4 v[230:233], off, off offset:384
	v_cmp_lt_u32_e32 vcc, 1, v1
	scratch_load_dwordx4 v[48:51], off, off offset:128
	scratch_load_dwordx4 v[56:59], off, off offset:144
	;; [unrolled: 1-line block ×3, first 2 shown]
	s_waitcnt vmcnt(18) lgkmcnt(3)
	v_mul_f64 v[24:25], v[16:17], v[22:23]
	v_fmac_f64_e32 v[24:25], v[18:19], v[20:21]
	v_add_f64 v[28:29], v[24:25], 0
	scratch_load_dwordx4 v[24:27], off, off offset:64
	s_waitcnt vmcnt(0) lgkmcnt(2)
	v_mul_f64 v[30:31], v[12:13], v[26:27]
	v_fmac_f64_e32 v[30:31], v[14:15], v[24:25]
	v_add_f64 v[32:33], v[28:29], v[30:31]
	scratch_load_dwordx4 v[28:31], off, off offset:80
	v_mul_f64 v[14:15], v[14:15], v[26:27]
	v_fma_f64 v[12:13], v[12:13], v[24:25], -v[14:15]
	s_waitcnt vmcnt(0) lgkmcnt(1)
	v_mul_f64 v[34:35], v[8:9], v[30:31]
	v_fmac_f64_e32 v[34:35], v[10:11], v[28:29]
	v_add_f64 v[36:37], v[32:33], v[34:35]
	scratch_load_dwordx4 v[32:35], off, off offset:96
	v_mul_f64 v[10:11], v[10:11], v[30:31]
	v_fma_f64 v[8:9], v[8:9], v[28:29], -v[10:11]
	s_waitcnt vmcnt(0) lgkmcnt(0)
	v_mul_f64 v[38:39], v[4:5], v[34:35]
	v_fmac_f64_e32 v[38:39], v[6:7], v[32:33]
	v_add_f64 v[44:45], v[36:37], v[38:39]
	ds_read_b128 v[36:39], v2 offset:512
	v_mul_f64 v[6:7], v[6:7], v[34:35]
	v_fma_f64 v[4:5], v[4:5], v[32:33], -v[6:7]
	s_waitcnt lgkmcnt(0)
	v_mul_f64 v[46:47], v[36:37], v[42:43]
	v_fmac_f64_e32 v[46:47], v[38:39], v[40:41]
	v_add_f64 v[52:53], v[44:45], v[46:47]
	ds_read_b128 v[44:47], v2 offset:528
	s_waitcnt lgkmcnt(0)
	v_mul_f64 v[54:55], v[44:45], v[50:51]
	v_fmac_f64_e32 v[54:55], v[46:47], v[48:49]
	v_add_f64 v[60:61], v[52:53], v[54:55]
	ds_read_b128 v[52:55], v2 offset:544
	;; [unrolled: 5-line block ×17, first 2 shown]
	s_waitcnt lgkmcnt(0)
	v_mul_f64 v[2:3], v[226:227], v[232:233]
	v_fmac_f64_e32 v[2:3], v[228:229], v[230:231]
	v_add_f64 v[120:121], v[120:121], v[2:3]
	v_mul_f64 v[2:3], v[18:19], v[22:23]
	v_fma_f64 v[2:3], v[16:17], v[20:21], -v[2:3]
	v_add_f64 v[2:3], v[2:3], 0
	v_add_f64 v[2:3], v[2:3], v[12:13]
	;; [unrolled: 1-line block ×4, first 2 shown]
	v_mul_f64 v[4:5], v[38:39], v[42:43]
	v_fma_f64 v[4:5], v[36:37], v[40:41], -v[4:5]
	v_add_f64 v[2:3], v[2:3], v[4:5]
	v_mul_f64 v[4:5], v[46:47], v[50:51]
	v_fma_f64 v[4:5], v[44:45], v[48:49], -v[4:5]
	v_add_f64 v[2:3], v[2:3], v[4:5]
	;; [unrolled: 3-line block ×18, first 2 shown]
	scratch_load_dwordx4 v[2:5], off, off offset:32
	s_waitcnt vmcnt(0)
	v_add_f64 v[2:3], v[2:3], -v[6:7]
	v_add_f64 v[4:5], v[4:5], -v[120:121]
	scratch_store_dwordx4 off, v[2:5], off offset:32
	s_and_saveexec_b64 s[2:3], vcc
	s_cbranch_execz .LBB88_161
; %bb.160:
	scratch_load_dwordx4 v[2:5], off, s42
	v_mov_b32_e32 v6, 0
	v_mov_b32_e32 v7, v6
	;; [unrolled: 1-line block ×4, first 2 shown]
	scratch_store_dwordx4 off, v[6:9], off offset:16
	s_waitcnt vmcnt(1)
	ds_write_b128 v130, v[2:5]
.LBB88_161:
	s_or_b64 exec, exec, s[2:3]
	v_mov_b32_e32 v2, 0
	s_waitcnt lgkmcnt(0)
	; wave barrier
	ds_read_b128 v[16:19], v2 offset:432
	ds_read_b128 v[12:15], v2 offset:448
	;; [unrolled: 1-line block ×4, first 2 shown]
	scratch_load_dwordx4 v[20:23], off, off offset:32
	scratch_load_dwordx4 v[40:43], off, off offset:96
	;; [unrolled: 1-line block ×17, first 2 shown]
	v_cmp_ne_u32_e32 vcc, 0, v1
	scratch_load_dwordx4 v[48:51], off, off offset:112
	scratch_load_dwordx4 v[56:59], off, off offset:128
	;; [unrolled: 1-line block ×3, first 2 shown]
	s_waitcnt vmcnt(19) lgkmcnt(3)
	v_mul_f64 v[24:25], v[16:17], v[22:23]
	v_fmac_f64_e32 v[24:25], v[18:19], v[20:21]
	v_add_f64 v[28:29], v[24:25], 0
	scratch_load_dwordx4 v[24:27], off, off offset:48
	v_mul_f64 v[18:19], v[18:19], v[22:23]
	v_fma_f64 v[16:17], v[16:17], v[20:21], -v[18:19]
	v_add_f64 v[16:17], v[16:17], 0
	s_waitcnt vmcnt(0) lgkmcnt(2)
	v_mul_f64 v[30:31], v[12:13], v[26:27]
	v_fmac_f64_e32 v[30:31], v[14:15], v[24:25]
	v_add_f64 v[32:33], v[28:29], v[30:31]
	scratch_load_dwordx4 v[28:31], off, off offset:64
	v_mul_f64 v[14:15], v[14:15], v[26:27]
	v_fma_f64 v[12:13], v[12:13], v[24:25], -v[14:15]
	v_add_f64 v[12:13], v[16:17], v[12:13]
	s_waitcnt vmcnt(0) lgkmcnt(1)
	v_mul_f64 v[34:35], v[8:9], v[30:31]
	v_fmac_f64_e32 v[34:35], v[10:11], v[28:29]
	v_add_f64 v[36:37], v[32:33], v[34:35]
	scratch_load_dwordx4 v[32:35], off, off offset:80
	v_mul_f64 v[10:11], v[10:11], v[30:31]
	v_fma_f64 v[8:9], v[8:9], v[28:29], -v[10:11]
	v_add_f64 v[8:9], v[12:13], v[8:9]
	s_waitcnt vmcnt(0) lgkmcnt(0)
	v_mul_f64 v[38:39], v[4:5], v[34:35]
	v_fmac_f64_e32 v[38:39], v[6:7], v[32:33]
	v_add_f64 v[44:45], v[36:37], v[38:39]
	ds_read_b128 v[36:39], v2 offset:496
	v_mul_f64 v[6:7], v[6:7], v[34:35]
	v_fma_f64 v[4:5], v[4:5], v[32:33], -v[6:7]
	v_add_f64 v[4:5], v[8:9], v[4:5]
	s_waitcnt lgkmcnt(0)
	v_mul_f64 v[46:47], v[36:37], v[42:43]
	v_fmac_f64_e32 v[46:47], v[38:39], v[40:41]
	v_add_f64 v[52:53], v[44:45], v[46:47]
	ds_read_b128 v[44:47], v2 offset:512
	v_mul_f64 v[6:7], v[38:39], v[42:43]
	v_fma_f64 v[6:7], v[36:37], v[40:41], -v[6:7]
	v_add_f64 v[4:5], v[4:5], v[6:7]
	s_waitcnt lgkmcnt(0)
	;; [unrolled: 8-line block ×19, first 2 shown]
	v_mul_f64 v[6:7], v[236:237], v[240:241]
	v_fma_f64 v[6:7], v[234:235], v[238:239], -v[6:7]
	v_add_f64 v[8:9], v[4:5], v[6:7]
	scratch_load_dwordx4 v[4:7], off, off offset:16
	v_mul_f64 v[242:243], v[234:235], v[240:241]
	v_fmac_f64_e32 v[242:243], v[236:237], v[238:239]
	v_add_f64 v[128:129], v[128:129], v[242:243]
	s_waitcnt vmcnt(0)
	v_add_f64 v[4:5], v[4:5], -v[8:9]
	v_add_f64 v[6:7], v[6:7], -v[128:129]
	scratch_store_dwordx4 off, v[4:7], off offset:16
	s_and_saveexec_b64 s[2:3], vcc
	s_cbranch_execz .LBB88_163
; %bb.162:
	scratch_load_dwordx4 v[6:9], off, off
	v_mov_b32_e32 v3, v2
	v_mov_b32_e32 v4, v2
	;; [unrolled: 1-line block ×3, first 2 shown]
	scratch_store_dwordx4 off, v[2:5], off
	s_waitcnt vmcnt(1)
	ds_write_b128 v130, v[6:9]
.LBB88_163:
	s_or_b64 exec, exec, s[2:3]
	s_waitcnt lgkmcnt(0)
	; wave barrier
	ds_read_b128 v[16:19], v2 offset:416
	ds_read_b128 v[12:15], v2 offset:432
	;; [unrolled: 1-line block ×4, first 2 shown]
	scratch_load_dwordx4 v[20:23], off, off offset:16
	scratch_load_dwordx4 v[40:43], off, off offset:80
	;; [unrolled: 1-line block ×18, first 2 shown]
	s_and_b64 vcc, exec, s[14:15]
	scratch_load_dwordx4 v[48:51], off, off offset:96
	scratch_load_dwordx4 v[56:59], off, off offset:112
	;; [unrolled: 1-line block ×3, first 2 shown]
	s_waitcnt vmcnt(20) lgkmcnt(3)
	v_mul_f64 v[24:25], v[16:17], v[22:23]
	v_fmac_f64_e32 v[24:25], v[18:19], v[20:21]
	v_add_f64 v[28:29], v[24:25], 0
	scratch_load_dwordx4 v[24:27], off, off offset:32
	s_waitcnt vmcnt(0) lgkmcnt(2)
	v_mul_f64 v[30:31], v[12:13], v[26:27]
	v_fmac_f64_e32 v[30:31], v[14:15], v[24:25]
	v_add_f64 v[32:33], v[28:29], v[30:31]
	scratch_load_dwordx4 v[28:31], off, off offset:48
	v_mul_f64 v[14:15], v[14:15], v[26:27]
	v_fma_f64 v[12:13], v[12:13], v[24:25], -v[14:15]
	s_waitcnt vmcnt(0) lgkmcnt(1)
	v_mul_f64 v[34:35], v[8:9], v[30:31]
	v_fmac_f64_e32 v[34:35], v[10:11], v[28:29]
	v_add_f64 v[36:37], v[32:33], v[34:35]
	scratch_load_dwordx4 v[32:35], off, off offset:64
	v_mul_f64 v[10:11], v[10:11], v[30:31]
	v_fma_f64 v[8:9], v[8:9], v[28:29], -v[10:11]
	s_waitcnt vmcnt(0) lgkmcnt(0)
	v_mul_f64 v[38:39], v[4:5], v[34:35]
	v_fmac_f64_e32 v[38:39], v[6:7], v[32:33]
	v_add_f64 v[44:45], v[36:37], v[38:39]
	ds_read_b128 v[36:39], v2 offset:480
	v_mul_f64 v[6:7], v[6:7], v[34:35]
	v_fma_f64 v[4:5], v[4:5], v[32:33], -v[6:7]
	s_waitcnt lgkmcnt(0)
	v_mul_f64 v[46:47], v[36:37], v[42:43]
	v_fmac_f64_e32 v[46:47], v[38:39], v[40:41]
	v_add_f64 v[52:53], v[44:45], v[46:47]
	ds_read_b128 v[44:47], v2 offset:496
	s_waitcnt lgkmcnt(0)
	v_mul_f64 v[54:55], v[44:45], v[50:51]
	v_fmac_f64_e32 v[54:55], v[46:47], v[48:49]
	v_add_f64 v[60:61], v[52:53], v[54:55]
	ds_read_b128 v[52:55], v2 offset:512
	;; [unrolled: 5-line block ×19, first 2 shown]
	s_waitcnt lgkmcnt(0)
	v_mul_f64 v[2:3], v[240:241], v[246:247]
	v_fmac_f64_e32 v[2:3], v[242:243], v[244:245]
	v_add_f64 v[198:199], v[198:199], v[2:3]
	v_mul_f64 v[2:3], v[18:19], v[22:23]
	v_fma_f64 v[2:3], v[16:17], v[20:21], -v[2:3]
	v_add_f64 v[2:3], v[2:3], 0
	v_add_f64 v[2:3], v[2:3], v[12:13]
	v_add_f64 v[2:3], v[2:3], v[8:9]
	v_add_f64 v[2:3], v[2:3], v[4:5]
	v_mul_f64 v[4:5], v[38:39], v[42:43]
	v_fma_f64 v[4:5], v[36:37], v[40:41], -v[4:5]
	v_add_f64 v[2:3], v[2:3], v[4:5]
	v_mul_f64 v[4:5], v[46:47], v[50:51]
	v_fma_f64 v[4:5], v[44:45], v[48:49], -v[4:5]
	v_add_f64 v[2:3], v[2:3], v[4:5]
	;; [unrolled: 3-line block ×20, first 2 shown]
	scratch_load_dwordx4 v[2:5], off, off
	s_waitcnt vmcnt(0)
	v_add_f64 v[2:3], v[2:3], -v[6:7]
	v_add_f64 v[4:5], v[4:5], -v[198:199]
	scratch_store_dwordx4 off, v[2:5], off
	s_cbranch_vccz .LBB88_212
; %bb.164:
	s_nop 0
	v_mov_b32_e32 v2, 0
	global_load_dword v3, v2, s[12:13] offset:92
	s_load_dwordx2 s[2:3], s[0:1], 0x4
	v_bfe_u32 v4, v0, 10, 10
	v_bfe_u32 v0, v0, 20, 10
	s_waitcnt lgkmcnt(0)
	s_lshr_b32 s0, s2, 16
	s_mul_i32 s0, s0, s3
	v_mul_u32_u24_e32 v1, s0, v1
	v_mul_u32_u24_e32 v4, s3, v4
	v_add3_u32 v0, v1, v4, v0
	v_mov_b32_e32 v1, 0x328
	v_lshl_add_u32 v0, v0, 4, v1
	s_waitcnt vmcnt(0)
	v_readfirstlane_b32 s0, v3
	s_add_i32 s0, s0, -1
	s_cmp_lg_u32 s0, 23
	s_cbranch_scc0 .LBB88_166
; %bb.165:
	s_lshl_b32 s0, s0, 4
	scratch_load_dwordx4 v[4:7], off, s19
	scratch_load_dwordx4 v[8:11], off, s0
	s_waitcnt vmcnt(1)
	ds_write2_b64 v0, v[4:5], v[6:7] offset1:1
	s_waitcnt vmcnt(0)
	scratch_store_dwordx4 off, v[8:11], s19
	scratch_store_dwordx4 off, v[4:7], s0
.LBB88_166:
	global_load_dword v1, v2, s[12:13] offset:88
	s_waitcnt vmcnt(0)
	v_readfirstlane_b32 s0, v1
	s_add_i32 s0, s0, -1
	s_cmp_eq_u32 s0, 22
	s_cbranch_scc1 .LBB88_168
; %bb.167:
	s_lshl_b32 s0, s0, 4
	scratch_load_dwordx4 v[2:5], off, s20
	scratch_load_dwordx4 v[6:9], off, s0
	s_waitcnt vmcnt(1)
	ds_write2_b64 v0, v[2:3], v[4:5] offset1:1
	s_waitcnt vmcnt(0)
	scratch_store_dwordx4 off, v[6:9], s20
	scratch_store_dwordx4 off, v[2:5], s0
.LBB88_168:
	v_mov_b32_e32 v1, 0
	global_load_dword v2, v1, s[12:13] offset:84
	s_waitcnt vmcnt(0)
	v_readfirstlane_b32 s0, v2
	s_add_i32 s0, s0, -1
	s_cmp_eq_u32 s0, 21
	s_cbranch_scc1 .LBB88_170
; %bb.169:
	s_lshl_b32 s0, s0, 4
	scratch_load_dwordx4 v[2:5], off, s21
	scratch_load_dwordx4 v[6:9], off, s0
	s_waitcnt vmcnt(1)
	ds_write2_b64 v0, v[2:3], v[4:5] offset1:1
	s_waitcnt vmcnt(0)
	scratch_store_dwordx4 off, v[6:9], s21
	scratch_store_dwordx4 off, v[2:5], s0
.LBB88_170:
	global_load_dword v1, v1, s[12:13] offset:80
	s_waitcnt vmcnt(0)
	v_readfirstlane_b32 s0, v1
	s_add_i32 s0, s0, -1
	s_cmp_eq_u32 s0, 20
	s_cbranch_scc1 .LBB88_172
; %bb.171:
	s_lshl_b32 s0, s0, 4
	scratch_load_dwordx4 v[2:5], off, s22
	scratch_load_dwordx4 v[6:9], off, s0
	s_waitcnt vmcnt(1)
	ds_write2_b64 v0, v[2:3], v[4:5] offset1:1
	s_waitcnt vmcnt(0)
	scratch_store_dwordx4 off, v[6:9], s22
	scratch_store_dwordx4 off, v[2:5], s0
.LBB88_172:
	v_mov_b32_e32 v1, 0
	global_load_dword v2, v1, s[12:13] offset:76
	s_waitcnt vmcnt(0)
	v_readfirstlane_b32 s0, v2
	s_add_i32 s0, s0, -1
	s_cmp_eq_u32 s0, 19
	s_cbranch_scc1 .LBB88_174
; %bb.173:
	s_lshl_b32 s0, s0, 4
	scratch_load_dwordx4 v[2:5], off, s23
	scratch_load_dwordx4 v[6:9], off, s0
	s_waitcnt vmcnt(1)
	ds_write2_b64 v0, v[2:3], v[4:5] offset1:1
	s_waitcnt vmcnt(0)
	scratch_store_dwordx4 off, v[6:9], s23
	scratch_store_dwordx4 off, v[2:5], s0
.LBB88_174:
	;; [unrolled: 33-line block ×11, first 2 shown]
	global_load_dword v1, v1, s[12:13]
	s_waitcnt vmcnt(0)
	v_readfirstlane_b32 s0, v1
	s_add_i32 s0, s0, -1
	s_cmp_eq_u32 s0, 0
	s_cbranch_scc1 .LBB88_212
; %bb.211:
	s_lshl_b32 s0, s0, 4
	scratch_load_dwordx4 v[2:5], off, off
	scratch_load_dwordx4 v[6:9], off, s0
	s_waitcnt vmcnt(1)
	ds_write2_b64 v0, v[2:3], v[4:5] offset1:1
	s_waitcnt vmcnt(0)
	scratch_store_dwordx4 off, v[6:9], off
	scratch_store_dwordx4 off, v[2:5], s0
.LBB88_212:
	scratch_load_dwordx4 v[0:3], off, off
	s_waitcnt vmcnt(0)
	flat_store_dwordx4 v[148:149], v[0:3]
	scratch_load_dwordx4 v[0:3], off, s42
	s_waitcnt vmcnt(0)
	flat_store_dwordx4 v[150:151], v[0:3]
	scratch_load_dwordx4 v[0:3], off, s41
	;; [unrolled: 3-line block ×24, first 2 shown]
	s_waitcnt vmcnt(0)
	flat_store_dwordx4 v[196:197], v[0:3]
	s_endpgm
	.section	.rodata,"a",@progbits
	.p2align	6, 0x0
	.amdhsa_kernel _ZN9rocsolver6v33100L18getri_kernel_smallILi25E19rocblas_complex_numIdEPKPS3_EEvT1_iilPiilS8_bb
		.amdhsa_group_segment_fixed_size 1832
		.amdhsa_private_segment_fixed_size 416
		.amdhsa_kernarg_size 60
		.amdhsa_user_sgpr_count 4
		.amdhsa_user_sgpr_dispatch_ptr 1
		.amdhsa_user_sgpr_queue_ptr 0
		.amdhsa_user_sgpr_kernarg_segment_ptr 1
		.amdhsa_user_sgpr_dispatch_id 0
		.amdhsa_user_sgpr_kernarg_preload_length 0
		.amdhsa_user_sgpr_kernarg_preload_offset 0
		.amdhsa_user_sgpr_private_segment_size 0
		.amdhsa_uses_dynamic_stack 0
		.amdhsa_enable_private_segment 1
		.amdhsa_system_sgpr_workgroup_id_x 1
		.amdhsa_system_sgpr_workgroup_id_y 0
		.amdhsa_system_sgpr_workgroup_id_z 0
		.amdhsa_system_sgpr_workgroup_info 0
		.amdhsa_system_vgpr_workitem_id 2
		.amdhsa_next_free_vgpr 250
		.amdhsa_next_free_sgpr 49
		.amdhsa_accum_offset 252
		.amdhsa_reserve_vcc 1
		.amdhsa_float_round_mode_32 0
		.amdhsa_float_round_mode_16_64 0
		.amdhsa_float_denorm_mode_32 3
		.amdhsa_float_denorm_mode_16_64 3
		.amdhsa_dx10_clamp 1
		.amdhsa_ieee_mode 1
		.amdhsa_fp16_overflow 0
		.amdhsa_tg_split 0
		.amdhsa_exception_fp_ieee_invalid_op 0
		.amdhsa_exception_fp_denorm_src 0
		.amdhsa_exception_fp_ieee_div_zero 0
		.amdhsa_exception_fp_ieee_overflow 0
		.amdhsa_exception_fp_ieee_underflow 0
		.amdhsa_exception_fp_ieee_inexact 0
		.amdhsa_exception_int_div_zero 0
	.end_amdhsa_kernel
	.section	.text._ZN9rocsolver6v33100L18getri_kernel_smallILi25E19rocblas_complex_numIdEPKPS3_EEvT1_iilPiilS8_bb,"axG",@progbits,_ZN9rocsolver6v33100L18getri_kernel_smallILi25E19rocblas_complex_numIdEPKPS3_EEvT1_iilPiilS8_bb,comdat
.Lfunc_end88:
	.size	_ZN9rocsolver6v33100L18getri_kernel_smallILi25E19rocblas_complex_numIdEPKPS3_EEvT1_iilPiilS8_bb, .Lfunc_end88-_ZN9rocsolver6v33100L18getri_kernel_smallILi25E19rocblas_complex_numIdEPKPS3_EEvT1_iilPiilS8_bb
                                        ; -- End function
	.set _ZN9rocsolver6v33100L18getri_kernel_smallILi25E19rocblas_complex_numIdEPKPS3_EEvT1_iilPiilS8_bb.num_vgpr, 250
	.set _ZN9rocsolver6v33100L18getri_kernel_smallILi25E19rocblas_complex_numIdEPKPS3_EEvT1_iilPiilS8_bb.num_agpr, 0
	.set _ZN9rocsolver6v33100L18getri_kernel_smallILi25E19rocblas_complex_numIdEPKPS3_EEvT1_iilPiilS8_bb.numbered_sgpr, 49
	.set _ZN9rocsolver6v33100L18getri_kernel_smallILi25E19rocblas_complex_numIdEPKPS3_EEvT1_iilPiilS8_bb.num_named_barrier, 0
	.set _ZN9rocsolver6v33100L18getri_kernel_smallILi25E19rocblas_complex_numIdEPKPS3_EEvT1_iilPiilS8_bb.private_seg_size, 416
	.set _ZN9rocsolver6v33100L18getri_kernel_smallILi25E19rocblas_complex_numIdEPKPS3_EEvT1_iilPiilS8_bb.uses_vcc, 1
	.set _ZN9rocsolver6v33100L18getri_kernel_smallILi25E19rocblas_complex_numIdEPKPS3_EEvT1_iilPiilS8_bb.uses_flat_scratch, 0
	.set _ZN9rocsolver6v33100L18getri_kernel_smallILi25E19rocblas_complex_numIdEPKPS3_EEvT1_iilPiilS8_bb.has_dyn_sized_stack, 0
	.set _ZN9rocsolver6v33100L18getri_kernel_smallILi25E19rocblas_complex_numIdEPKPS3_EEvT1_iilPiilS8_bb.has_recursion, 0
	.set _ZN9rocsolver6v33100L18getri_kernel_smallILi25E19rocblas_complex_numIdEPKPS3_EEvT1_iilPiilS8_bb.has_indirect_call, 0
	.section	.AMDGPU.csdata,"",@progbits
; Kernel info:
; codeLenInByte = 31296
; TotalNumSgprs: 55
; NumVgprs: 250
; NumAgprs: 0
; TotalNumVgprs: 250
; ScratchSize: 416
; MemoryBound: 0
; FloatMode: 240
; IeeeMode: 1
; LDSByteSize: 1832 bytes/workgroup (compile time only)
; SGPRBlocks: 6
; VGPRBlocks: 31
; NumSGPRsForWavesPerEU: 55
; NumVGPRsForWavesPerEU: 250
; AccumOffset: 252
; Occupancy: 2
; WaveLimiterHint : 1
; COMPUTE_PGM_RSRC2:SCRATCH_EN: 1
; COMPUTE_PGM_RSRC2:USER_SGPR: 4
; COMPUTE_PGM_RSRC2:TRAP_HANDLER: 0
; COMPUTE_PGM_RSRC2:TGID_X_EN: 1
; COMPUTE_PGM_RSRC2:TGID_Y_EN: 0
; COMPUTE_PGM_RSRC2:TGID_Z_EN: 0
; COMPUTE_PGM_RSRC2:TIDIG_COMP_CNT: 2
; COMPUTE_PGM_RSRC3_GFX90A:ACCUM_OFFSET: 62
; COMPUTE_PGM_RSRC3_GFX90A:TG_SPLIT: 0
	.section	.text._ZN9rocsolver6v33100L18getri_kernel_smallILi26E19rocblas_complex_numIdEPKPS3_EEvT1_iilPiilS8_bb,"axG",@progbits,_ZN9rocsolver6v33100L18getri_kernel_smallILi26E19rocblas_complex_numIdEPKPS3_EEvT1_iilPiilS8_bb,comdat
	.globl	_ZN9rocsolver6v33100L18getri_kernel_smallILi26E19rocblas_complex_numIdEPKPS3_EEvT1_iilPiilS8_bb ; -- Begin function _ZN9rocsolver6v33100L18getri_kernel_smallILi26E19rocblas_complex_numIdEPKPS3_EEvT1_iilPiilS8_bb
	.p2align	8
	.type	_ZN9rocsolver6v33100L18getri_kernel_smallILi26E19rocblas_complex_numIdEPKPS3_EEvT1_iilPiilS8_bb,@function
_ZN9rocsolver6v33100L18getri_kernel_smallILi26E19rocblas_complex_numIdEPKPS3_EEvT1_iilPiilS8_bb: ; @_ZN9rocsolver6v33100L18getri_kernel_smallILi26E19rocblas_complex_numIdEPKPS3_EEvT1_iilPiilS8_bb
; %bb.0:
	v_and_b32_e32 v1, 0x3ff, v0
	v_cmp_gt_u32_e32 vcc, 26, v1
	s_and_saveexec_b64 s[6:7], vcc
	s_cbranch_execz .LBB89_118
; %bb.1:
	s_load_dword s18, s[2:3], 0x38
	s_load_dwordx2 s[6:7], s[2:3], 0x0
	s_load_dwordx4 s[8:11], s[2:3], 0x28
	s_waitcnt lgkmcnt(0)
	s_bitcmp1_b32 s18, 8
	s_cselect_b64 s[14:15], -1, 0
	s_ashr_i32 s5, s4, 31
	s_lshl_b64 s[12:13], s[4:5], 3
	s_add_u32 s6, s6, s12
	s_addc_u32 s7, s7, s13
	s_load_dwordx2 s[16:17], s[6:7], 0x0
	s_bfe_u32 s6, s18, 0x10008
	s_cmp_eq_u32 s6, 0
                                        ; implicit-def: $sgpr12_sgpr13
	s_cbranch_scc1 .LBB89_3
; %bb.2:
	s_load_dword s6, s[2:3], 0x20
	s_load_dwordx2 s[12:13], s[2:3], 0x18
	s_mul_i32 s7, s8, s5
	s_mul_hi_u32 s18, s8, s4
	s_add_i32 s18, s18, s7
	s_mul_i32 s9, s9, s4
	s_add_i32 s9, s18, s9
	s_mul_i32 s8, s8, s4
	s_waitcnt lgkmcnt(0)
	s_ashr_i32 s7, s6, 31
	s_lshl_b64 s[8:9], s[8:9], 2
	s_add_u32 s8, s12, s8
	s_addc_u32 s9, s13, s9
	s_lshl_b64 s[6:7], s[6:7], 2
	s_add_u32 s12, s8, s6
	s_addc_u32 s13, s9, s7
.LBB89_3:
	s_load_dwordx2 s[6:7], s[2:3], 0x8
	s_load_dword s8, s[2:3], 0x38
	v_lshlrev_b32_e32 v14, 4, v1
	v_mov_b32_e32 v15, 0
	s_movk_i32 s44, 0x130
	s_waitcnt lgkmcnt(0)
	s_ashr_i32 s3, s6, 31
	s_mov_b32 s2, s6
	s_lshl_b64 s[2:3], s[2:3], 4
	s_add_u32 s2, s16, s2
	s_addc_u32 s3, s17, s3
	v_lshl_add_u64 v[148:149], s[2:3], 0, v[14:15]
	flat_load_dwordx4 v[2:5], v[148:149]
	s_mov_b32 s16, s7
	s_ashr_i32 s17, s7, 31
	v_lshl_add_u64 v[6:7], s[16:17], 4, v[148:149]
	v_accvgpr_write_b32 a0, v6
	s_add_i32 s6, s7, s7
	v_accvgpr_write_b32 a1, v7
	s_movk_i32 s45, 0x140
	s_movk_i32 s46, 0x150
	;; [unrolled: 1-line block ×20, first 2 shown]
	s_mov_b32 s43, 16
	s_mov_b32 s42, 32
	;; [unrolled: 1-line block ×11, first 2 shown]
	s_bitcmp0_b32 s8, 0
	s_waitcnt vmcnt(0) lgkmcnt(0)
	scratch_store_dwordx4 off, v[2:5], off
	flat_load_dwordx4 v[2:5], v[6:7]
	v_add_u32_e32 v6, s6, v1
	v_ashrrev_i32_e32 v7, 31, v6
	v_lshl_add_u64 v[8:9], v[6:7], 4, s[2:3]
	v_add_u32_e32 v6, s7, v6
	v_ashrrev_i32_e32 v7, 31, v6
	v_lshl_add_u64 v[154:155], v[6:7], 4, s[2:3]
	;; [unrolled: 3-line block ×24, first 2 shown]
	v_accvgpr_write_b32 a2, v8
	v_accvgpr_write_b32 a3, v9
	s_mov_b64 s[6:7], -1
	s_waitcnt vmcnt(0) lgkmcnt(0)
	scratch_store_dwordx4 off, v[2:5], off offset:16
	flat_load_dwordx4 v[2:5], v[8:9]
	s_waitcnt vmcnt(0) lgkmcnt(0)
	scratch_store_dwordx4 off, v[2:5], off offset:32
	flat_load_dwordx4 v[2:5], v[154:155]
	;; [unrolled: 3-line block ×24, first 2 shown]
	s_waitcnt vmcnt(0) lgkmcnt(0)
	scratch_store_dwordx4 off, v[2:5], off offset:400
	s_cbranch_scc1 .LBB89_116
; %bb.4:
	v_cmp_eq_u32_e64 s[2:3], 0, v1
	s_and_saveexec_b64 s[6:7], s[2:3]
; %bb.5:
	v_mov_b32_e32 v2, 0
	ds_write_b32 v2, v2 offset:832
; %bb.6:
	s_or_b64 exec, exec, s[6:7]
	s_waitcnt lgkmcnt(0)
	; wave barrier
	scratch_load_dwordx4 v[2:5], v14, off
	s_waitcnt vmcnt(0)
	v_cmp_eq_f64_e32 vcc, 0, v[2:3]
	v_cmp_eq_f64_e64 s[6:7], 0, v[4:5]
	s_and_b64 s[6:7], vcc, s[6:7]
	s_and_saveexec_b64 s[8:9], s[6:7]
	s_cbranch_execz .LBB89_10
; %bb.7:
	v_mov_b32_e32 v2, 0
	ds_read_b32 v4, v2 offset:832
	v_add_u32_e32 v3, 1, v1
	s_waitcnt lgkmcnt(0)
	v_readfirstlane_b32 s6, v4
	s_cmp_eq_u32 s6, 0
	s_cselect_b64 s[16:17], -1, 0
	v_cmp_gt_i32_e32 vcc, s6, v3
	s_or_b64 s[16:17], s[16:17], vcc
	s_and_b64 exec, exec, s[16:17]
	s_cbranch_execz .LBB89_10
; %bb.8:
	s_mov_b64 s[16:17], 0
	v_mov_b32_e32 v4, s6
.LBB89_9:                               ; =>This Inner Loop Header: Depth=1
	ds_cmpst_rtn_b32 v4, v2, v4, v3 offset:832
	s_waitcnt lgkmcnt(0)
	v_cmp_ne_u32_e32 vcc, 0, v4
	v_cmp_le_i32_e64 s[6:7], v4, v3
	s_and_b64 s[6:7], vcc, s[6:7]
	s_and_b64 s[6:7], exec, s[6:7]
	s_or_b64 s[16:17], s[6:7], s[16:17]
	s_andn2_b64 exec, exec, s[16:17]
	s_cbranch_execnz .LBB89_9
.LBB89_10:
	s_or_b64 exec, exec, s[8:9]
	v_mov_b32_e32 v3, 0
	; wave barrier
	ds_read_b32 v2, v3 offset:832
	s_and_saveexec_b64 s[6:7], s[2:3]
	s_cbranch_execz .LBB89_12
; %bb.11:
	s_lshl_b64 s[8:9], s[4:5], 2
	s_add_u32 s8, s10, s8
	s_addc_u32 s9, s11, s9
	s_waitcnt lgkmcnt(0)
	global_store_dword v3, v2, s[8:9]
.LBB89_12:
	s_or_b64 exec, exec, s[6:7]
	s_waitcnt lgkmcnt(0)
	v_cmp_ne_u32_e32 vcc, 0, v2
	s_mov_b64 s[6:7], 0
	s_cbranch_vccnz .LBB89_116
; %bb.13:
	v_mov_b32_e32 v15, v14
	scratch_load_dwordx4 v[2:5], v15, off
                                        ; implicit-def: $vgpr6_vgpr7
                                        ; implicit-def: $vgpr10_vgpr11
	s_waitcnt vmcnt(0)
	v_cmp_ngt_f64_e64 s[6:7], |v[2:3]|, |v[4:5]|
	s_and_saveexec_b64 s[8:9], s[6:7]
	s_xor_b64 s[6:7], exec, s[8:9]
	s_cbranch_execz .LBB89_15
; %bb.14:
	v_div_scale_f64 v[6:7], s[8:9], v[4:5], v[4:5], v[2:3]
	v_rcp_f64_e32 v[8:9], v[6:7]
	v_div_scale_f64 v[10:11], vcc, v[2:3], v[4:5], v[2:3]
	v_fma_f64 v[12:13], -v[6:7], v[8:9], 1.0
	v_fmac_f64_e32 v[8:9], v[8:9], v[12:13]
	v_fma_f64 v[12:13], -v[6:7], v[8:9], 1.0
	v_fmac_f64_e32 v[8:9], v[8:9], v[12:13]
	v_mul_f64 v[12:13], v[10:11], v[8:9]
	v_fma_f64 v[6:7], -v[6:7], v[12:13], v[10:11]
	v_div_fmas_f64 v[6:7], v[6:7], v[8:9], v[12:13]
	v_div_fixup_f64 v[6:7], v[6:7], v[4:5], v[2:3]
	v_fmac_f64_e32 v[4:5], v[2:3], v[6:7]
	v_div_scale_f64 v[2:3], s[8:9], v[4:5], v[4:5], 1.0
	v_rcp_f64_e32 v[8:9], v[2:3]
	s_nop 0
	v_fma_f64 v[10:11], -v[2:3], v[8:9], 1.0
	v_fmac_f64_e32 v[8:9], v[8:9], v[10:11]
	v_fma_f64 v[10:11], -v[2:3], v[8:9], 1.0
	v_fmac_f64_e32 v[8:9], v[8:9], v[10:11]
	v_div_scale_f64 v[10:11], vcc, 1.0, v[4:5], 1.0
	v_mul_f64 v[12:13], v[10:11], v[8:9]
	v_fma_f64 v[2:3], -v[2:3], v[12:13], v[10:11]
	s_nop 1
	v_div_fmas_f64 v[2:3], v[2:3], v[8:9], v[12:13]
	v_div_fixup_f64 v[8:9], v[2:3], v[4:5], 1.0
	v_mul_f64 v[6:7], v[6:7], v[8:9]
	v_xor_b32_e32 v9, 0x80000000, v9
	v_xor_b32_e32 v11, 0x80000000, v7
	v_mov_b32_e32 v10, v6
                                        ; implicit-def: $vgpr2_vgpr3
.LBB89_15:
	s_andn2_saveexec_b64 s[6:7], s[6:7]
	s_cbranch_execz .LBB89_17
; %bb.16:
	v_div_scale_f64 v[6:7], s[8:9], v[2:3], v[2:3], v[4:5]
	v_rcp_f64_e32 v[8:9], v[6:7]
	v_div_scale_f64 v[10:11], vcc, v[4:5], v[2:3], v[4:5]
	v_fma_f64 v[12:13], -v[6:7], v[8:9], 1.0
	v_fmac_f64_e32 v[8:9], v[8:9], v[12:13]
	v_fma_f64 v[12:13], -v[6:7], v[8:9], 1.0
	v_fmac_f64_e32 v[8:9], v[8:9], v[12:13]
	v_mul_f64 v[12:13], v[10:11], v[8:9]
	v_fma_f64 v[6:7], -v[6:7], v[12:13], v[10:11]
	v_div_fmas_f64 v[6:7], v[6:7], v[8:9], v[12:13]
	v_div_fixup_f64 v[8:9], v[6:7], v[2:3], v[4:5]
	v_fmac_f64_e32 v[2:3], v[4:5], v[8:9]
	v_div_scale_f64 v[4:5], s[8:9], v[2:3], v[2:3], 1.0
	v_rcp_f64_e32 v[6:7], v[4:5]
	s_nop 0
	v_fma_f64 v[10:11], -v[4:5], v[6:7], 1.0
	v_fmac_f64_e32 v[6:7], v[6:7], v[10:11]
	v_fma_f64 v[10:11], -v[4:5], v[6:7], 1.0
	v_fmac_f64_e32 v[6:7], v[6:7], v[10:11]
	v_div_scale_f64 v[10:11], vcc, 1.0, v[2:3], 1.0
	v_mul_f64 v[12:13], v[10:11], v[6:7]
	v_fma_f64 v[4:5], -v[4:5], v[12:13], v[10:11]
	s_nop 1
	v_div_fmas_f64 v[4:5], v[4:5], v[6:7], v[12:13]
	v_div_fixup_f64 v[6:7], v[4:5], v[2:3], 1.0
	v_xor_b32_e32 v11, 0x80000000, v7
	v_mov_b32_e32 v10, v6
	v_mul_f64 v[8:9], v[8:9], -v[6:7]
.LBB89_17:
	s_or_b64 exec, exec, s[6:7]
	scratch_store_dwordx4 v15, v[6:9], off
	scratch_load_dwordx4 v[2:5], off, s43
	v_xor_b32_e32 v13, 0x80000000, v9
	v_mov_b32_e32 v12, v8
	v_add_u32_e32 v6, 0x1a0, v14
	ds_write_b128 v14, v[10:13]
	s_waitcnt vmcnt(0)
	ds_write_b128 v14, v[2:5] offset:416
	s_waitcnt lgkmcnt(0)
	; wave barrier
	s_and_saveexec_b64 s[6:7], s[2:3]
	s_cbranch_execz .LBB89_19
; %bb.18:
	scratch_load_dwordx4 v[2:5], v15, off
	ds_read_b128 v[8:11], v6
	v_mov_b32_e32 v7, 0
	ds_read_b128 v[16:19], v7 offset:16
	s_waitcnt vmcnt(0) lgkmcnt(1)
	v_mul_f64 v[12:13], v[10:11], v[4:5]
	v_mul_f64 v[4:5], v[8:9], v[4:5]
	v_fma_f64 v[8:9], v[8:9], v[2:3], -v[12:13]
	v_fmac_f64_e32 v[4:5], v[10:11], v[2:3]
	v_add_f64 v[2:3], v[8:9], 0
	v_add_f64 v[8:9], v[4:5], 0
	s_waitcnt lgkmcnt(0)
	v_mul_f64 v[10:11], v[8:9], v[18:19]
	v_mul_f64 v[4:5], v[2:3], v[18:19]
	v_fma_f64 v[2:3], v[2:3], v[16:17], -v[10:11]
	v_fmac_f64_e32 v[4:5], v[8:9], v[16:17]
	scratch_store_dwordx4 off, v[2:5], off offset:16
.LBB89_19:
	s_or_b64 exec, exec, s[6:7]
	; wave barrier
	scratch_load_dwordx4 v[2:5], off, s42
	v_cmp_gt_u32_e32 vcc, 2, v1
	s_waitcnt vmcnt(0)
	ds_write_b128 v6, v[2:5]
	s_waitcnt lgkmcnt(0)
	; wave barrier
	s_and_saveexec_b64 s[6:7], vcc
	s_cbranch_execz .LBB89_23
; %bb.20:
	scratch_load_dwordx4 v[2:5], v15, off
	ds_read_b128 v[8:11], v6
	s_waitcnt vmcnt(0) lgkmcnt(0)
	v_mul_f64 v[12:13], v[10:11], v[4:5]
	v_mul_f64 v[16:17], v[8:9], v[4:5]
	v_fma_f64 v[4:5], v[8:9], v[2:3], -v[12:13]
	v_fmac_f64_e32 v[16:17], v[10:11], v[2:3]
	v_add_f64 v[4:5], v[4:5], 0
	v_add_f64 v[2:3], v[16:17], 0
	s_and_saveexec_b64 s[8:9], s[2:3]
	s_cbranch_execz .LBB89_22
; %bb.21:
	scratch_load_dwordx4 v[8:11], off, off offset:16
	v_mov_b32_e32 v7, 0
	ds_read_b128 v[16:19], v7 offset:432
	s_waitcnt vmcnt(0) lgkmcnt(0)
	v_mul_f64 v[12:13], v[16:17], v[10:11]
	v_mul_f64 v[10:11], v[18:19], v[10:11]
	v_fmac_f64_e32 v[12:13], v[18:19], v[8:9]
	v_fma_f64 v[8:9], v[16:17], v[8:9], -v[10:11]
	v_add_f64 v[2:3], v[2:3], v[12:13]
	v_add_f64 v[4:5], v[4:5], v[8:9]
.LBB89_22:
	s_or_b64 exec, exec, s[8:9]
	v_mov_b32_e32 v7, 0
	ds_read_b128 v[8:11], v7 offset:32
	s_waitcnt lgkmcnt(0)
	v_mul_f64 v[16:17], v[2:3], v[10:11]
	v_mul_f64 v[12:13], v[4:5], v[10:11]
	v_fma_f64 v[10:11], v[4:5], v[8:9], -v[16:17]
	v_fmac_f64_e32 v[12:13], v[2:3], v[8:9]
	scratch_store_dwordx4 off, v[10:13], off offset:32
.LBB89_23:
	s_or_b64 exec, exec, s[6:7]
	; wave barrier
	scratch_load_dwordx4 v[2:5], off, s41
	v_cmp_gt_u32_e32 vcc, 3, v1
	v_add_u32_e32 v7, -1, v1
	s_waitcnt vmcnt(0)
	ds_write_b128 v6, v[2:5]
	s_waitcnt lgkmcnt(0)
	; wave barrier
	s_and_saveexec_b64 s[2:3], vcc
	s_cbranch_execz .LBB89_27
; %bb.24:
	v_add_u32_e32 v8, -1, v1
	v_add_u32_e32 v9, 0x1a0, v14
	v_mov_b32_e32 v10, v14
	v_mov_b64_e32 v[2:3], 0
	s_mov_b64 s[6:7], 0
	v_mov_b64_e32 v[4:5], 0
.LBB89_25:                              ; =>This Inner Loop Header: Depth=1
	scratch_load_dwordx4 v[16:19], v10, off
	ds_read_b128 v[20:23], v9
	v_add_u32_e32 v8, 1, v8
	v_cmp_lt_u32_e32 vcc, 1, v8
	v_add_u32_e32 v9, 16, v9
	v_add_u32_e32 v10, 16, v10
	s_or_b64 s[6:7], vcc, s[6:7]
	s_waitcnt vmcnt(0) lgkmcnt(0)
	v_mul_f64 v[12:13], v[22:23], v[18:19]
	v_mul_f64 v[18:19], v[20:21], v[18:19]
	v_fma_f64 v[12:13], v[20:21], v[16:17], -v[12:13]
	v_fmac_f64_e32 v[18:19], v[22:23], v[16:17]
	v_add_f64 v[4:5], v[4:5], v[12:13]
	v_add_f64 v[2:3], v[2:3], v[18:19]
	s_andn2_b64 exec, exec, s[6:7]
	s_cbranch_execnz .LBB89_25
; %bb.26:
	s_or_b64 exec, exec, s[6:7]
	v_mov_b32_e32 v8, 0
	ds_read_b128 v[8:11], v8 offset:48
	s_waitcnt lgkmcnt(0)
	v_mul_f64 v[16:17], v[2:3], v[10:11]
	v_mul_f64 v[12:13], v[4:5], v[10:11]
	v_fma_f64 v[10:11], v[4:5], v[8:9], -v[16:17]
	v_fmac_f64_e32 v[12:13], v[2:3], v[8:9]
	scratch_store_dwordx4 off, v[10:13], off offset:48
.LBB89_27:
	s_or_b64 exec, exec, s[2:3]
	; wave barrier
	scratch_load_dwordx4 v[2:5], off, s40
	v_cmp_gt_u32_e32 vcc, 4, v1
	s_waitcnt vmcnt(0)
	ds_write_b128 v6, v[2:5]
	s_waitcnt lgkmcnt(0)
	; wave barrier
	s_and_saveexec_b64 s[2:3], vcc
	s_cbranch_execz .LBB89_31
; %bb.28:
	v_add_u32_e32 v8, -1, v1
	v_add_u32_e32 v9, 0x1a0, v14
	v_mov_b32_e32 v10, v14
	v_mov_b64_e32 v[2:3], 0
	s_mov_b64 s[6:7], 0
	v_mov_b64_e32 v[4:5], 0
.LBB89_29:                              ; =>This Inner Loop Header: Depth=1
	scratch_load_dwordx4 v[16:19], v10, off
	ds_read_b128 v[20:23], v9
	v_add_u32_e32 v8, 1, v8
	v_cmp_lt_u32_e32 vcc, 2, v8
	v_add_u32_e32 v9, 16, v9
	v_add_u32_e32 v10, 16, v10
	s_or_b64 s[6:7], vcc, s[6:7]
	s_waitcnt vmcnt(0) lgkmcnt(0)
	v_mul_f64 v[12:13], v[22:23], v[18:19]
	v_mul_f64 v[18:19], v[20:21], v[18:19]
	v_fma_f64 v[12:13], v[20:21], v[16:17], -v[12:13]
	v_fmac_f64_e32 v[18:19], v[22:23], v[16:17]
	v_add_f64 v[4:5], v[4:5], v[12:13]
	v_add_f64 v[2:3], v[2:3], v[18:19]
	s_andn2_b64 exec, exec, s[6:7]
	s_cbranch_execnz .LBB89_29
; %bb.30:
	s_or_b64 exec, exec, s[6:7]
	v_mov_b32_e32 v8, 0
	ds_read_b128 v[8:11], v8 offset:64
	s_waitcnt lgkmcnt(0)
	v_mul_f64 v[16:17], v[2:3], v[10:11]
	v_mul_f64 v[12:13], v[4:5], v[10:11]
	v_fma_f64 v[10:11], v[4:5], v[8:9], -v[16:17]
	v_fmac_f64_e32 v[12:13], v[2:3], v[8:9]
	scratch_store_dwordx4 off, v[10:13], off offset:64
.LBB89_31:
	s_or_b64 exec, exec, s[2:3]
	; wave barrier
	scratch_load_dwordx4 v[2:5], off, s39
	v_cmp_gt_u32_e32 vcc, 5, v1
	;; [unrolled: 45-line block ×19, first 2 shown]
	s_waitcnt vmcnt(0)
	ds_write_b128 v6, v[2:5]
	s_waitcnt lgkmcnt(0)
	; wave barrier
	s_and_saveexec_b64 s[2:3], vcc
	s_cbranch_execz .LBB89_103
; %bb.100:
	v_add_u32_e32 v8, -1, v1
	v_add_u32_e32 v9, 0x1a0, v14
	v_mov_b32_e32 v10, v14
	v_mov_b64_e32 v[2:3], 0
	s_mov_b64 s[6:7], 0
	v_mov_b64_e32 v[4:5], 0
.LBB89_101:                             ; =>This Inner Loop Header: Depth=1
	scratch_load_dwordx4 v[16:19], v10, off
	ds_read_b128 v[20:23], v9
	v_add_u32_e32 v8, 1, v8
	v_cmp_lt_u32_e32 vcc, 20, v8
	v_add_u32_e32 v9, 16, v9
	v_add_u32_e32 v10, 16, v10
	s_or_b64 s[6:7], vcc, s[6:7]
	s_waitcnt vmcnt(0) lgkmcnt(0)
	v_mul_f64 v[12:13], v[22:23], v[18:19]
	v_mul_f64 v[18:19], v[20:21], v[18:19]
	v_fma_f64 v[12:13], v[20:21], v[16:17], -v[12:13]
	v_fmac_f64_e32 v[18:19], v[22:23], v[16:17]
	v_add_f64 v[4:5], v[4:5], v[12:13]
	v_add_f64 v[2:3], v[2:3], v[18:19]
	s_andn2_b64 exec, exec, s[6:7]
	s_cbranch_execnz .LBB89_101
; %bb.102:
	s_or_b64 exec, exec, s[6:7]
	v_mov_b32_e32 v8, 0
	ds_read_b128 v[8:11], v8 offset:352
	s_waitcnt lgkmcnt(0)
	v_mul_f64 v[16:17], v[2:3], v[10:11]
	v_mul_f64 v[12:13], v[4:5], v[10:11]
	v_fma_f64 v[10:11], v[4:5], v[8:9], -v[16:17]
	v_fmac_f64_e32 v[12:13], v[2:3], v[8:9]
	scratch_store_dwordx4 off, v[10:13], off offset:352
.LBB89_103:
	s_or_b64 exec, exec, s[2:3]
	; wave barrier
	scratch_load_dwordx4 v[2:5], off, s20
	v_cmp_gt_u32_e32 vcc, 23, v1
	s_waitcnt vmcnt(0)
	ds_write_b128 v6, v[2:5]
	s_waitcnt lgkmcnt(0)
	; wave barrier
	s_and_saveexec_b64 s[2:3], vcc
	s_cbranch_execz .LBB89_107
; %bb.104:
	v_add_u32_e32 v8, -1, v1
	v_add_u32_e32 v9, 0x1a0, v14
	v_mov_b32_e32 v10, v14
	v_mov_b64_e32 v[2:3], 0
	s_mov_b64 s[6:7], 0
	v_mov_b64_e32 v[4:5], 0
.LBB89_105:                             ; =>This Inner Loop Header: Depth=1
	scratch_load_dwordx4 v[16:19], v10, off
	ds_read_b128 v[20:23], v9
	v_add_u32_e32 v8, 1, v8
	v_cmp_lt_u32_e32 vcc, 21, v8
	v_add_u32_e32 v9, 16, v9
	v_add_u32_e32 v10, 16, v10
	s_or_b64 s[6:7], vcc, s[6:7]
	s_waitcnt vmcnt(0) lgkmcnt(0)
	v_mul_f64 v[12:13], v[22:23], v[18:19]
	v_mul_f64 v[18:19], v[20:21], v[18:19]
	v_fma_f64 v[12:13], v[20:21], v[16:17], -v[12:13]
	v_fmac_f64_e32 v[18:19], v[22:23], v[16:17]
	v_add_f64 v[4:5], v[4:5], v[12:13]
	v_add_f64 v[2:3], v[2:3], v[18:19]
	s_andn2_b64 exec, exec, s[6:7]
	s_cbranch_execnz .LBB89_105
; %bb.106:
	s_or_b64 exec, exec, s[6:7]
	v_mov_b32_e32 v8, 0
	ds_read_b128 v[8:11], v8 offset:368
	s_waitcnt lgkmcnt(0)
	v_mul_f64 v[16:17], v[2:3], v[10:11]
	v_mul_f64 v[12:13], v[4:5], v[10:11]
	v_fma_f64 v[10:11], v[4:5], v[8:9], -v[16:17]
	v_fmac_f64_e32 v[12:13], v[2:3], v[8:9]
	scratch_store_dwordx4 off, v[10:13], off offset:368
.LBB89_107:
	s_or_b64 exec, exec, s[2:3]
	; wave barrier
	scratch_load_dwordx4 v[2:5], off, s19
	v_cmp_gt_u32_e32 vcc, 24, v1
	s_waitcnt vmcnt(0)
	ds_write_b128 v6, v[2:5]
	s_waitcnt lgkmcnt(0)
	; wave barrier
	s_and_saveexec_b64 s[2:3], vcc
	s_cbranch_execz .LBB89_111
; %bb.108:
	v_add_u32_e32 v8, -1, v1
	v_add_u32_e32 v9, 0x1a0, v14
	v_mov_b32_e32 v10, v14
	v_mov_b64_e32 v[2:3], 0
	s_mov_b64 s[6:7], 0
	v_mov_b64_e32 v[4:5], 0
.LBB89_109:                             ; =>This Inner Loop Header: Depth=1
	scratch_load_dwordx4 v[16:19], v10, off
	ds_read_b128 v[20:23], v9
	v_add_u32_e32 v8, 1, v8
	v_cmp_lt_u32_e32 vcc, 22, v8
	v_add_u32_e32 v9, 16, v9
	v_add_u32_e32 v10, 16, v10
	s_or_b64 s[6:7], vcc, s[6:7]
	s_waitcnt vmcnt(0) lgkmcnt(0)
	v_mul_f64 v[12:13], v[22:23], v[18:19]
	v_mul_f64 v[18:19], v[20:21], v[18:19]
	v_fma_f64 v[12:13], v[20:21], v[16:17], -v[12:13]
	v_fmac_f64_e32 v[18:19], v[22:23], v[16:17]
	v_add_f64 v[4:5], v[4:5], v[12:13]
	v_add_f64 v[2:3], v[2:3], v[18:19]
	s_andn2_b64 exec, exec, s[6:7]
	s_cbranch_execnz .LBB89_109
; %bb.110:
	s_or_b64 exec, exec, s[6:7]
	v_mov_b32_e32 v8, 0
	ds_read_b128 v[8:11], v8 offset:384
	s_waitcnt lgkmcnt(0)
	v_mul_f64 v[16:17], v[2:3], v[10:11]
	v_mul_f64 v[12:13], v[4:5], v[10:11]
	v_fma_f64 v[10:11], v[4:5], v[8:9], -v[16:17]
	v_fmac_f64_e32 v[12:13], v[2:3], v[8:9]
	scratch_store_dwordx4 off, v[10:13], off offset:384
.LBB89_111:
	s_or_b64 exec, exec, s[2:3]
	; wave barrier
	scratch_load_dwordx4 v[2:5], off, s18
	v_cmp_ne_u32_e32 vcc, 25, v1
	s_waitcnt vmcnt(0)
	ds_write_b128 v6, v[2:5]
	s_waitcnt lgkmcnt(0)
	; wave barrier
	s_and_saveexec_b64 s[2:3], vcc
	s_cbranch_execz .LBB89_115
; %bb.112:
	v_add_u32_e32 v6, 0x1a0, v14
	v_mov_b32_e32 v8, v14
	v_mov_b64_e32 v[2:3], 0
	s_mov_b64 s[6:7], 0
	v_mov_b64_e32 v[4:5], 0
.LBB89_113:                             ; =>This Inner Loop Header: Depth=1
	scratch_load_dwordx4 v[10:13], v8, off
	ds_read_b128 v[14:17], v6
	v_add_u32_e32 v7, 1, v7
	v_cmp_lt_u32_e32 vcc, 23, v7
	v_add_u32_e32 v6, 16, v6
	v_add_u32_e32 v8, 16, v8
	s_or_b64 s[6:7], vcc, s[6:7]
	s_waitcnt vmcnt(0) lgkmcnt(0)
	v_mul_f64 v[18:19], v[16:17], v[12:13]
	v_mul_f64 v[12:13], v[14:15], v[12:13]
	v_fma_f64 v[14:15], v[14:15], v[10:11], -v[18:19]
	v_fmac_f64_e32 v[12:13], v[16:17], v[10:11]
	v_add_f64 v[4:5], v[4:5], v[14:15]
	v_add_f64 v[2:3], v[2:3], v[12:13]
	s_andn2_b64 exec, exec, s[6:7]
	s_cbranch_execnz .LBB89_113
; %bb.114:
	s_or_b64 exec, exec, s[6:7]
	v_mov_b32_e32 v6, 0
	ds_read_b128 v[6:9], v6 offset:400
	s_waitcnt lgkmcnt(0)
	v_mul_f64 v[12:13], v[2:3], v[8:9]
	v_mul_f64 v[10:11], v[4:5], v[8:9]
	v_fma_f64 v[8:9], v[4:5], v[6:7], -v[12:13]
	v_fmac_f64_e32 v[10:11], v[2:3], v[6:7]
	scratch_store_dwordx4 off, v[8:11], off offset:400
.LBB89_115:
	s_or_b64 exec, exec, s[2:3]
	s_mov_b64 s[6:7], -1
	; wave barrier
.LBB89_116:
	s_and_b64 vcc, exec, s[6:7]
	s_cbranch_vccz .LBB89_118
; %bb.117:
	s_lshl_b64 s[2:3], s[4:5], 2
	s_add_u32 s2, s10, s2
	s_addc_u32 s3, s11, s3
	v_mov_b32_e32 v2, 0
	global_load_dword v2, v2, s[2:3]
	s_waitcnt vmcnt(0)
	v_cmp_ne_u32_e32 vcc, 0, v2
	s_cbranch_vccz .LBB89_119
.LBB89_118:
	s_endpgm
.LBB89_119:
	v_mov_b32_e32 v2, 0x1a0
	v_lshl_add_u32 v202, v1, 4, v2
	v_cmp_eq_u32_e32 vcc, 25, v1
	s_and_saveexec_b64 s[2:3], vcc
	s_cbranch_execz .LBB89_121
; %bb.120:
	scratch_load_dwordx4 v[2:5], off, s19
	v_mov_b32_e32 v6, 0
	v_mov_b32_e32 v7, v6
	;; [unrolled: 1-line block ×4, first 2 shown]
	scratch_store_dwordx4 off, v[6:9], off offset:384
	s_waitcnt vmcnt(1)
	ds_write_b128 v202, v[2:5]
.LBB89_121:
	s_or_b64 exec, exec, s[2:3]
	s_waitcnt lgkmcnt(0)
	; wave barrier
	scratch_load_dwordx4 v[4:7], off, off offset:400
	scratch_load_dwordx4 v[8:11], off, off offset:384
	v_mov_b32_e32 v2, 0
	ds_read_b128 v[12:15], v2 offset:816
	v_cmp_lt_u32_e32 vcc, 23, v1
	s_waitcnt vmcnt(1) lgkmcnt(0)
	v_mul_f64 v[16:17], v[12:13], v[6:7]
	v_mul_f64 v[6:7], v[14:15], v[6:7]
	v_fmac_f64_e32 v[16:17], v[14:15], v[4:5]
	v_fma_f64 v[4:5], v[12:13], v[4:5], -v[6:7]
	v_add_f64 v[6:7], v[16:17], 0
	v_add_f64 v[4:5], v[4:5], 0
	s_waitcnt vmcnt(0)
	v_add_f64 v[4:5], v[8:9], -v[4:5]
	v_add_f64 v[6:7], v[10:11], -v[6:7]
	scratch_store_dwordx4 off, v[4:7], off offset:384
	s_and_saveexec_b64 s[2:3], vcc
	s_cbranch_execz .LBB89_123
; %bb.122:
	scratch_load_dwordx4 v[6:9], off, s20
	v_mov_b32_e32 v3, v2
	v_mov_b32_e32 v4, v2
	;; [unrolled: 1-line block ×3, first 2 shown]
	scratch_store_dwordx4 off, v[2:5], off offset:368
	s_waitcnt vmcnt(1)
	ds_write_b128 v202, v[6:9]
.LBB89_123:
	s_or_b64 exec, exec, s[2:3]
	s_waitcnt lgkmcnt(0)
	; wave barrier
	scratch_load_dwordx4 v[4:7], off, off offset:384
	scratch_load_dwordx4 v[8:11], off, off offset:400
	;; [unrolled: 1-line block ×3, first 2 shown]
	ds_read_b128 v[16:19], v2 offset:800
	ds_read_b128 v[20:23], v2 offset:816
	v_cmp_lt_u32_e32 vcc, 22, v1
	s_waitcnt vmcnt(2) lgkmcnt(1)
	v_mul_f64 v[2:3], v[16:17], v[6:7]
	v_mul_f64 v[6:7], v[18:19], v[6:7]
	s_waitcnt vmcnt(1) lgkmcnt(0)
	v_mul_f64 v[24:25], v[20:21], v[10:11]
	v_mul_f64 v[10:11], v[22:23], v[10:11]
	v_fmac_f64_e32 v[2:3], v[18:19], v[4:5]
	v_fma_f64 v[4:5], v[16:17], v[4:5], -v[6:7]
	v_fmac_f64_e32 v[24:25], v[22:23], v[8:9]
	v_fma_f64 v[6:7], v[20:21], v[8:9], -v[10:11]
	v_add_f64 v[2:3], v[2:3], 0
	v_add_f64 v[4:5], v[4:5], 0
	;; [unrolled: 1-line block ×4, first 2 shown]
	s_waitcnt vmcnt(0)
	v_add_f64 v[2:3], v[12:13], -v[2:3]
	v_add_f64 v[4:5], v[14:15], -v[8:9]
	scratch_store_dwordx4 off, v[2:5], off offset:368
	s_and_saveexec_b64 s[2:3], vcc
	s_cbranch_execz .LBB89_125
; %bb.124:
	scratch_load_dwordx4 v[2:5], off, s21
	v_mov_b32_e32 v6, 0
	v_mov_b32_e32 v7, v6
	;; [unrolled: 1-line block ×4, first 2 shown]
	scratch_store_dwordx4 off, v[6:9], off offset:352
	s_waitcnt vmcnt(1)
	ds_write_b128 v202, v[2:5]
.LBB89_125:
	s_or_b64 exec, exec, s[2:3]
	s_waitcnt lgkmcnt(0)
	; wave barrier
	scratch_load_dwordx4 v[4:7], off, off offset:368
	scratch_load_dwordx4 v[8:11], off, off offset:384
	;; [unrolled: 1-line block ×4, first 2 shown]
	v_mov_b32_e32 v2, 0
	ds_read_b128 v[20:23], v2 offset:784
	ds_read_b128 v[24:27], v2 offset:800
	ds_read_b128 v[28:31], v2 offset:816
	v_cmp_lt_u32_e32 vcc, 21, v1
	s_waitcnt vmcnt(3) lgkmcnt(2)
	v_mul_f64 v[32:33], v[20:21], v[6:7]
	v_mul_f64 v[6:7], v[22:23], v[6:7]
	s_waitcnt vmcnt(2) lgkmcnt(1)
	v_mul_f64 v[34:35], v[24:25], v[10:11]
	v_mul_f64 v[10:11], v[26:27], v[10:11]
	v_fmac_f64_e32 v[32:33], v[22:23], v[4:5]
	v_fma_f64 v[4:5], v[20:21], v[4:5], -v[6:7]
	s_waitcnt vmcnt(1) lgkmcnt(0)
	v_mul_f64 v[36:37], v[28:29], v[14:15]
	v_mul_f64 v[14:15], v[30:31], v[14:15]
	v_fmac_f64_e32 v[34:35], v[26:27], v[8:9]
	v_fma_f64 v[6:7], v[24:25], v[8:9], -v[10:11]
	v_add_f64 v[10:11], v[32:33], 0
	v_add_f64 v[4:5], v[4:5], 0
	v_fmac_f64_e32 v[36:37], v[30:31], v[12:13]
	v_fma_f64 v[8:9], v[28:29], v[12:13], -v[14:15]
	v_add_f64 v[10:11], v[10:11], v[34:35]
	v_add_f64 v[4:5], v[4:5], v[6:7]
	;; [unrolled: 1-line block ×4, first 2 shown]
	s_waitcnt vmcnt(0)
	v_add_f64 v[4:5], v[16:17], -v[4:5]
	v_add_f64 v[6:7], v[18:19], -v[6:7]
	scratch_store_dwordx4 off, v[4:7], off offset:352
	s_and_saveexec_b64 s[2:3], vcc
	s_cbranch_execz .LBB89_127
; %bb.126:
	scratch_load_dwordx4 v[6:9], off, s22
	v_mov_b32_e32 v3, v2
	v_mov_b32_e32 v4, v2
	;; [unrolled: 1-line block ×3, first 2 shown]
	scratch_store_dwordx4 off, v[2:5], off offset:336
	s_waitcnt vmcnt(1)
	ds_write_b128 v202, v[6:9]
.LBB89_127:
	s_or_b64 exec, exec, s[2:3]
	s_waitcnt lgkmcnt(0)
	; wave barrier
	scratch_load_dwordx4 v[4:7], off, off offset:352
	scratch_load_dwordx4 v[8:11], off, off offset:368
	;; [unrolled: 1-line block ×5, first 2 shown]
	ds_read_b128 v[24:27], v2 offset:768
	ds_read_b128 v[28:31], v2 offset:784
	ds_read_b128 v[32:35], v2 offset:800
	ds_read_b128 v[36:39], v2 offset:816
	v_cmp_lt_u32_e32 vcc, 20, v1
	s_waitcnt vmcnt(4) lgkmcnt(3)
	v_mul_f64 v[2:3], v[24:25], v[6:7]
	v_mul_f64 v[6:7], v[26:27], v[6:7]
	s_waitcnt vmcnt(3) lgkmcnt(2)
	v_mul_f64 v[40:41], v[28:29], v[10:11]
	v_mul_f64 v[10:11], v[30:31], v[10:11]
	v_fmac_f64_e32 v[2:3], v[26:27], v[4:5]
	v_fma_f64 v[4:5], v[24:25], v[4:5], -v[6:7]
	s_waitcnt vmcnt(2) lgkmcnt(1)
	v_mul_f64 v[42:43], v[32:33], v[14:15]
	v_mul_f64 v[14:15], v[34:35], v[14:15]
	v_fmac_f64_e32 v[40:41], v[30:31], v[8:9]
	v_fma_f64 v[6:7], v[28:29], v[8:9], -v[10:11]
	v_add_f64 v[2:3], v[2:3], 0
	v_add_f64 v[4:5], v[4:5], 0
	s_waitcnt vmcnt(1) lgkmcnt(0)
	v_mul_f64 v[44:45], v[36:37], v[18:19]
	v_mul_f64 v[18:19], v[38:39], v[18:19]
	v_fmac_f64_e32 v[42:43], v[34:35], v[12:13]
	v_fma_f64 v[8:9], v[32:33], v[12:13], -v[14:15]
	v_add_f64 v[2:3], v[2:3], v[40:41]
	v_add_f64 v[4:5], v[4:5], v[6:7]
	v_fmac_f64_e32 v[44:45], v[38:39], v[16:17]
	v_fma_f64 v[10:11], v[36:37], v[16:17], -v[18:19]
	v_add_f64 v[2:3], v[2:3], v[42:43]
	v_add_f64 v[4:5], v[4:5], v[8:9]
	;; [unrolled: 1-line block ×4, first 2 shown]
	s_waitcnt vmcnt(0)
	v_add_f64 v[2:3], v[20:21], -v[2:3]
	v_add_f64 v[4:5], v[22:23], -v[6:7]
	scratch_store_dwordx4 off, v[2:5], off offset:336
	s_and_saveexec_b64 s[2:3], vcc
	s_cbranch_execz .LBB89_129
; %bb.128:
	scratch_load_dwordx4 v[2:5], off, s23
	v_mov_b32_e32 v6, 0
	v_mov_b32_e32 v7, v6
	;; [unrolled: 1-line block ×4, first 2 shown]
	scratch_store_dwordx4 off, v[6:9], off offset:320
	s_waitcnt vmcnt(1)
	ds_write_b128 v202, v[2:5]
.LBB89_129:
	s_or_b64 exec, exec, s[2:3]
	s_waitcnt lgkmcnt(0)
	; wave barrier
	scratch_load_dwordx4 v[4:7], off, off offset:336
	scratch_load_dwordx4 v[8:11], off, off offset:352
	;; [unrolled: 1-line block ×6, first 2 shown]
	v_mov_b32_e32 v2, 0
	ds_read_b128 v[28:31], v2 offset:752
	ds_read_b128 v[32:35], v2 offset:768
	;; [unrolled: 1-line block ×5, first 2 shown]
	v_cmp_lt_u32_e32 vcc, 19, v1
	s_waitcnt vmcnt(5) lgkmcnt(4)
	v_mul_f64 v[48:49], v[28:29], v[6:7]
	v_mul_f64 v[6:7], v[30:31], v[6:7]
	s_waitcnt vmcnt(4) lgkmcnt(3)
	v_mul_f64 v[50:51], v[32:33], v[10:11]
	s_waitcnt vmcnt(3) lgkmcnt(2)
	v_mul_f64 v[52:53], v[36:37], v[14:15]
	v_mul_f64 v[10:11], v[34:35], v[10:11]
	;; [unrolled: 1-line block ×3, first 2 shown]
	v_fmac_f64_e32 v[48:49], v[30:31], v[4:5]
	v_fma_f64 v[4:5], v[28:29], v[4:5], -v[6:7]
	v_fmac_f64_e32 v[50:51], v[34:35], v[8:9]
	v_fma_f64 v[6:7], v[32:33], v[8:9], -v[10:11]
	v_fma_f64 v[8:9], v[36:37], v[12:13], -v[14:15]
	v_add_f64 v[14:15], v[48:49], 0
	v_add_f64 v[4:5], v[4:5], 0
	s_waitcnt vmcnt(2) lgkmcnt(1)
	v_mul_f64 v[54:55], v[40:41], v[18:19]
	v_mul_f64 v[18:19], v[42:43], v[18:19]
	v_fmac_f64_e32 v[52:53], v[38:39], v[12:13]
	v_add_f64 v[14:15], v[14:15], v[50:51]
	v_add_f64 v[4:5], v[4:5], v[6:7]
	s_waitcnt vmcnt(1) lgkmcnt(0)
	v_mul_f64 v[56:57], v[44:45], v[22:23]
	v_mul_f64 v[22:23], v[46:47], v[22:23]
	v_fmac_f64_e32 v[54:55], v[42:43], v[16:17]
	v_fma_f64 v[10:11], v[40:41], v[16:17], -v[18:19]
	v_add_f64 v[6:7], v[14:15], v[52:53]
	v_add_f64 v[4:5], v[4:5], v[8:9]
	v_fmac_f64_e32 v[56:57], v[46:47], v[20:21]
	v_fma_f64 v[12:13], v[44:45], v[20:21], -v[22:23]
	v_add_f64 v[6:7], v[6:7], v[54:55]
	v_add_f64 v[4:5], v[4:5], v[10:11]
	;; [unrolled: 1-line block ×4, first 2 shown]
	s_waitcnt vmcnt(0)
	v_add_f64 v[4:5], v[24:25], -v[4:5]
	v_add_f64 v[6:7], v[26:27], -v[6:7]
	scratch_store_dwordx4 off, v[4:7], off offset:320
	s_and_saveexec_b64 s[2:3], vcc
	s_cbranch_execz .LBB89_131
; %bb.130:
	scratch_load_dwordx4 v[6:9], off, s24
	v_mov_b32_e32 v3, v2
	v_mov_b32_e32 v4, v2
	;; [unrolled: 1-line block ×3, first 2 shown]
	scratch_store_dwordx4 off, v[2:5], off offset:304
	s_waitcnt vmcnt(1)
	ds_write_b128 v202, v[6:9]
.LBB89_131:
	s_or_b64 exec, exec, s[2:3]
	s_waitcnt lgkmcnt(0)
	; wave barrier
	scratch_load_dwordx4 v[4:7], off, off offset:320
	scratch_load_dwordx4 v[8:11], off, off offset:336
	;; [unrolled: 1-line block ×7, first 2 shown]
	ds_read_b128 v[32:35], v2 offset:736
	ds_read_b128 v[36:39], v2 offset:752
	;; [unrolled: 1-line block ×6, first 2 shown]
	v_cmp_lt_u32_e32 vcc, 18, v1
	s_waitcnt vmcnt(6) lgkmcnt(5)
	v_mul_f64 v[2:3], v[32:33], v[6:7]
	v_mul_f64 v[6:7], v[34:35], v[6:7]
	s_waitcnt vmcnt(5) lgkmcnt(4)
	v_mul_f64 v[56:57], v[36:37], v[10:11]
	v_mul_f64 v[10:11], v[38:39], v[10:11]
	v_fmac_f64_e32 v[2:3], v[34:35], v[4:5]
	v_fma_f64 v[4:5], v[32:33], v[4:5], -v[6:7]
	s_waitcnt vmcnt(4) lgkmcnt(3)
	v_mul_f64 v[58:59], v[40:41], v[14:15]
	v_mul_f64 v[14:15], v[42:43], v[14:15]
	v_fmac_f64_e32 v[56:57], v[38:39], v[8:9]
	v_fma_f64 v[6:7], v[36:37], v[8:9], -v[10:11]
	v_add_f64 v[2:3], v[2:3], 0
	v_add_f64 v[4:5], v[4:5], 0
	s_waitcnt vmcnt(3) lgkmcnt(2)
	v_mul_f64 v[60:61], v[44:45], v[18:19]
	v_mul_f64 v[18:19], v[46:47], v[18:19]
	v_fmac_f64_e32 v[58:59], v[42:43], v[12:13]
	v_fma_f64 v[8:9], v[40:41], v[12:13], -v[14:15]
	v_add_f64 v[2:3], v[2:3], v[56:57]
	v_add_f64 v[4:5], v[4:5], v[6:7]
	;; [unrolled: 7-line block ×4, first 2 shown]
	v_fmac_f64_e32 v[64:65], v[54:55], v[24:25]
	v_fma_f64 v[14:15], v[52:53], v[24:25], -v[26:27]
	v_add_f64 v[2:3], v[2:3], v[62:63]
	v_add_f64 v[4:5], v[4:5], v[12:13]
	;; [unrolled: 1-line block ×4, first 2 shown]
	s_waitcnt vmcnt(0)
	v_add_f64 v[2:3], v[28:29], -v[2:3]
	v_add_f64 v[4:5], v[30:31], -v[6:7]
	scratch_store_dwordx4 off, v[2:5], off offset:304
	s_and_saveexec_b64 s[2:3], vcc
	s_cbranch_execz .LBB89_133
; %bb.132:
	scratch_load_dwordx4 v[2:5], off, s25
	v_mov_b32_e32 v6, 0
	v_mov_b32_e32 v7, v6
	;; [unrolled: 1-line block ×4, first 2 shown]
	scratch_store_dwordx4 off, v[6:9], off offset:288
	s_waitcnt vmcnt(1)
	ds_write_b128 v202, v[2:5]
.LBB89_133:
	s_or_b64 exec, exec, s[2:3]
	v_mov_b32_e32 v2, 0
	s_waitcnt lgkmcnt(0)
	; wave barrier
	ds_read_b128 v[4:7], v2 offset:720
	ds_read_b128 v[8:11], v2 offset:736
	;; [unrolled: 1-line block ×4, first 2 shown]
	scratch_load_dwordx4 v[20:23], off, off offset:304
	scratch_load_dwordx4 v[40:43], off, off offset:368
	v_cmp_lt_u32_e32 vcc, 17, v1
	scratch_load_dwordx4 v[48:51], off, off offset:384
	scratch_load_dwordx4 v[56:59], off, off offset:400
	s_waitcnt vmcnt(3) lgkmcnt(3)
	v_mul_f64 v[24:25], v[4:5], v[22:23]
	v_fmac_f64_e32 v[24:25], v[6:7], v[20:21]
	v_add_f64 v[28:29], v[24:25], 0
	scratch_load_dwordx4 v[24:27], off, off offset:320
	v_mul_f64 v[6:7], v[6:7], v[22:23]
	v_fma_f64 v[4:5], v[4:5], v[20:21], -v[6:7]
	v_add_f64 v[4:5], v[4:5], 0
	s_waitcnt vmcnt(0) lgkmcnt(2)
	v_mul_f64 v[30:31], v[8:9], v[26:27]
	v_fmac_f64_e32 v[30:31], v[10:11], v[24:25]
	v_add_f64 v[32:33], v[28:29], v[30:31]
	scratch_load_dwordx4 v[28:31], off, off offset:336
	v_mul_f64 v[6:7], v[10:11], v[26:27]
	v_fma_f64 v[6:7], v[8:9], v[24:25], -v[6:7]
	v_add_f64 v[4:5], v[4:5], v[6:7]
	s_waitcnt vmcnt(0) lgkmcnt(1)
	v_mul_f64 v[34:35], v[12:13], v[30:31]
	v_fmac_f64_e32 v[34:35], v[14:15], v[28:29]
	v_add_f64 v[36:37], v[32:33], v[34:35]
	scratch_load_dwordx4 v[32:35], off, off offset:352
	v_mul_f64 v[6:7], v[14:15], v[30:31]
	v_fma_f64 v[6:7], v[12:13], v[28:29], -v[6:7]
	v_add_f64 v[4:5], v[4:5], v[6:7]
	s_waitcnt vmcnt(0) lgkmcnt(0)
	v_mul_f64 v[38:39], v[16:17], v[34:35]
	v_fmac_f64_e32 v[38:39], v[18:19], v[32:33]
	v_add_f64 v[44:45], v[36:37], v[38:39]
	ds_read_b128 v[36:39], v2 offset:784
	v_mul_f64 v[6:7], v[18:19], v[34:35]
	v_fma_f64 v[6:7], v[16:17], v[32:33], -v[6:7]
	v_add_f64 v[4:5], v[4:5], v[6:7]
	s_waitcnt lgkmcnt(0)
	v_mul_f64 v[46:47], v[36:37], v[42:43]
	v_fmac_f64_e32 v[46:47], v[38:39], v[40:41]
	v_add_f64 v[52:53], v[44:45], v[46:47]
	ds_read_b128 v[44:47], v2 offset:800
	v_mul_f64 v[6:7], v[38:39], v[42:43]
	v_fma_f64 v[6:7], v[36:37], v[40:41], -v[6:7]
	v_add_f64 v[4:5], v[4:5], v[6:7]
	s_waitcnt lgkmcnt(0)
	;; [unrolled: 8-line block ×3, first 2 shown]
	v_mul_f64 v[6:7], v[54:55], v[58:59]
	v_fma_f64 v[6:7], v[52:53], v[56:57], -v[6:7]
	v_add_f64 v[8:9], v[4:5], v[6:7]
	scratch_load_dwordx4 v[4:7], off, off offset:288
	v_mul_f64 v[62:63], v[52:53], v[58:59]
	v_fmac_f64_e32 v[62:63], v[54:55], v[56:57]
	v_add_f64 v[60:61], v[60:61], v[62:63]
	s_waitcnt vmcnt(0)
	v_add_f64 v[4:5], v[4:5], -v[8:9]
	v_add_f64 v[6:7], v[6:7], -v[60:61]
	scratch_store_dwordx4 off, v[4:7], off offset:288
	s_and_saveexec_b64 s[2:3], vcc
	s_cbranch_execz .LBB89_135
; %bb.134:
	scratch_load_dwordx4 v[6:9], off, s26
	v_mov_b32_e32 v3, v2
	v_mov_b32_e32 v4, v2
	;; [unrolled: 1-line block ×3, first 2 shown]
	scratch_store_dwordx4 off, v[2:5], off offset:272
	s_waitcnt vmcnt(1)
	ds_write_b128 v202, v[6:9]
.LBB89_135:
	s_or_b64 exec, exec, s[2:3]
	s_waitcnt lgkmcnt(0)
	; wave barrier
	ds_read_b128 v[4:7], v2 offset:704
	ds_read_b128 v[8:11], v2 offset:720
	;; [unrolled: 1-line block ×4, first 2 shown]
	scratch_load_dwordx4 v[20:23], off, off offset:288
	scratch_load_dwordx4 v[40:43], off, off offset:352
	v_cmp_lt_u32_e32 vcc, 16, v1
	scratch_load_dwordx4 v[48:51], off, off offset:368
	scratch_load_dwordx4 v[56:59], off, off offset:384
	;; [unrolled: 1-line block ×3, first 2 shown]
	s_waitcnt vmcnt(4) lgkmcnt(3)
	v_mul_f64 v[24:25], v[4:5], v[22:23]
	v_fmac_f64_e32 v[24:25], v[6:7], v[20:21]
	v_add_f64 v[28:29], v[24:25], 0
	scratch_load_dwordx4 v[24:27], off, off offset:304
	s_waitcnt vmcnt(0) lgkmcnt(2)
	v_mul_f64 v[30:31], v[8:9], v[26:27]
	v_fmac_f64_e32 v[30:31], v[10:11], v[24:25]
	v_add_f64 v[32:33], v[28:29], v[30:31]
	scratch_load_dwordx4 v[28:31], off, off offset:320
	;; [unrolled: 5-line block ×3, first 2 shown]
	s_waitcnt vmcnt(0) lgkmcnt(0)
	v_mul_f64 v[38:39], v[16:17], v[34:35]
	v_fmac_f64_e32 v[38:39], v[18:19], v[32:33]
	v_add_f64 v[44:45], v[36:37], v[38:39]
	ds_read_b128 v[36:39], v2 offset:768
	s_waitcnt lgkmcnt(0)
	v_mul_f64 v[46:47], v[36:37], v[42:43]
	v_fmac_f64_e32 v[46:47], v[38:39], v[40:41]
	v_add_f64 v[52:53], v[44:45], v[46:47]
	ds_read_b128 v[44:47], v2 offset:784
	s_waitcnt lgkmcnt(0)
	;; [unrolled: 5-line block ×4, first 2 shown]
	v_mul_f64 v[2:3], v[60:61], v[66:67]
	v_fmac_f64_e32 v[2:3], v[62:63], v[64:65]
	v_add_f64 v[68:69], v[68:69], v[2:3]
	v_mul_f64 v[2:3], v[6:7], v[22:23]
	v_fma_f64 v[2:3], v[4:5], v[20:21], -v[2:3]
	v_mul_f64 v[4:5], v[10:11], v[26:27]
	v_add_f64 v[2:3], v[2:3], 0
	v_fma_f64 v[4:5], v[8:9], v[24:25], -v[4:5]
	v_add_f64 v[2:3], v[2:3], v[4:5]
	v_mul_f64 v[4:5], v[14:15], v[30:31]
	v_fma_f64 v[4:5], v[12:13], v[28:29], -v[4:5]
	v_add_f64 v[2:3], v[2:3], v[4:5]
	v_mul_f64 v[4:5], v[18:19], v[34:35]
	;; [unrolled: 3-line block ×6, first 2 shown]
	v_fma_f64 v[4:5], v[60:61], v[64:65], -v[4:5]
	v_add_f64 v[6:7], v[2:3], v[4:5]
	scratch_load_dwordx4 v[2:5], off, off offset:272
	s_waitcnt vmcnt(0)
	v_add_f64 v[2:3], v[2:3], -v[6:7]
	v_add_f64 v[4:5], v[4:5], -v[68:69]
	scratch_store_dwordx4 off, v[2:5], off offset:272
	s_and_saveexec_b64 s[2:3], vcc
	s_cbranch_execz .LBB89_137
; %bb.136:
	scratch_load_dwordx4 v[2:5], off, s27
	v_mov_b32_e32 v6, 0
	v_mov_b32_e32 v7, v6
	;; [unrolled: 1-line block ×4, first 2 shown]
	scratch_store_dwordx4 off, v[6:9], off offset:256
	s_waitcnt vmcnt(1)
	ds_write_b128 v202, v[2:5]
.LBB89_137:
	s_or_b64 exec, exec, s[2:3]
	s_waitcnt lgkmcnt(0)
	; wave barrier
	scratch_load_dwordx4 v[4:7], off, off offset:272
	scratch_load_dwordx4 v[8:11], off, off offset:288
	;; [unrolled: 1-line block ×10, first 2 shown]
	v_mov_b32_e32 v2, 0
	ds_read_b128 v[44:47], v2 offset:688
	ds_read_b128 v[48:51], v2 offset:704
	;; [unrolled: 1-line block ×9, first 2 shown]
	v_cmp_lt_u32_e32 vcc, 15, v1
	s_waitcnt vmcnt(9) lgkmcnt(8)
	v_mul_f64 v[80:81], v[44:45], v[6:7]
	v_mul_f64 v[6:7], v[46:47], v[6:7]
	s_waitcnt vmcnt(8) lgkmcnt(7)
	v_mul_f64 v[82:83], v[48:49], v[10:11]
	s_waitcnt vmcnt(7) lgkmcnt(6)
	v_mul_f64 v[84:85], v[52:53], v[14:15]
	s_waitcnt vmcnt(5) lgkmcnt(4)
	v_mul_f64 v[88:89], v[60:61], v[22:23]
	v_mul_f64 v[10:11], v[50:51], v[10:11]
	;; [unrolled: 1-line block ×4, first 2 shown]
	v_fmac_f64_e32 v[80:81], v[46:47], v[4:5]
	v_fma_f64 v[4:5], v[44:45], v[4:5], -v[6:7]
	v_fmac_f64_e32 v[82:83], v[50:51], v[8:9]
	v_fmac_f64_e32 v[84:85], v[54:55], v[12:13]
	v_fma_f64 v[6:7], v[48:49], v[8:9], -v[10:11]
	v_fma_f64 v[8:9], v[52:53], v[12:13], -v[14:15]
	;; [unrolled: 1-line block ×3, first 2 shown]
	v_add_f64 v[22:23], v[80:81], 0
	v_add_f64 v[4:5], v[4:5], 0
	v_mul_f64 v[86:87], v[56:57], v[18:19]
	v_mul_f64 v[18:19], v[58:59], v[18:19]
	v_add_f64 v[22:23], v[22:23], v[82:83]
	v_add_f64 v[4:5], v[4:5], v[6:7]
	v_fmac_f64_e32 v[86:87], v[58:59], v[16:17]
	v_fma_f64 v[10:11], v[56:57], v[16:17], -v[18:19]
	v_add_f64 v[6:7], v[22:23], v[84:85]
	v_add_f64 v[4:5], v[4:5], v[8:9]
	s_waitcnt vmcnt(4) lgkmcnt(3)
	v_mul_f64 v[90:91], v[64:65], v[26:27]
	v_mul_f64 v[26:27], v[66:67], v[26:27]
	v_fmac_f64_e32 v[88:89], v[62:63], v[20:21]
	v_add_f64 v[6:7], v[6:7], v[86:87]
	v_add_f64 v[4:5], v[4:5], v[10:11]
	s_waitcnt vmcnt(3) lgkmcnt(2)
	v_mul_f64 v[92:93], v[68:69], v[30:31]
	v_mul_f64 v[30:31], v[70:71], v[30:31]
	v_fmac_f64_e32 v[90:91], v[66:67], v[24:25]
	v_fma_f64 v[14:15], v[64:65], v[24:25], -v[26:27]
	v_add_f64 v[6:7], v[6:7], v[88:89]
	v_add_f64 v[4:5], v[4:5], v[12:13]
	s_waitcnt vmcnt(2) lgkmcnt(1)
	v_mul_f64 v[94:95], v[72:73], v[34:35]
	v_mul_f64 v[34:35], v[74:75], v[34:35]
	v_fmac_f64_e32 v[92:93], v[70:71], v[28:29]
	v_fma_f64 v[16:17], v[68:69], v[28:29], -v[30:31]
	;; [unrolled: 7-line block ×3, first 2 shown]
	v_add_f64 v[6:7], v[6:7], v[92:93]
	v_add_f64 v[4:5], v[4:5], v[16:17]
	v_fmac_f64_e32 v[96:97], v[78:79], v[36:37]
	v_fma_f64 v[20:21], v[76:77], v[36:37], -v[38:39]
	v_add_f64 v[6:7], v[6:7], v[94:95]
	v_add_f64 v[4:5], v[4:5], v[18:19]
	;; [unrolled: 1-line block ×4, first 2 shown]
	s_waitcnt vmcnt(0)
	v_add_f64 v[4:5], v[40:41], -v[4:5]
	v_add_f64 v[6:7], v[42:43], -v[6:7]
	scratch_store_dwordx4 off, v[4:7], off offset:256
	s_and_saveexec_b64 s[2:3], vcc
	s_cbranch_execz .LBB89_139
; %bb.138:
	scratch_load_dwordx4 v[6:9], off, s28
	v_mov_b32_e32 v3, v2
	v_mov_b32_e32 v4, v2
	;; [unrolled: 1-line block ×3, first 2 shown]
	scratch_store_dwordx4 off, v[2:5], off offset:240
	s_waitcnt vmcnt(1)
	ds_write_b128 v202, v[6:9]
.LBB89_139:
	s_or_b64 exec, exec, s[2:3]
	s_waitcnt lgkmcnt(0)
	; wave barrier
	scratch_load_dwordx4 v[4:7], off, off offset:256
	scratch_load_dwordx4 v[8:11], off, off offset:272
	;; [unrolled: 1-line block ×11, first 2 shown]
	ds_read_b128 v[48:51], v2 offset:672
	ds_read_b128 v[52:55], v2 offset:688
	;; [unrolled: 1-line block ×10, first 2 shown]
	v_cmp_lt_u32_e32 vcc, 14, v1
	s_waitcnt vmcnt(10) lgkmcnt(9)
	v_mul_f64 v[2:3], v[48:49], v[6:7]
	v_mul_f64 v[6:7], v[50:51], v[6:7]
	s_waitcnt vmcnt(9) lgkmcnt(8)
	v_mul_f64 v[88:89], v[52:53], v[10:11]
	v_mul_f64 v[10:11], v[54:55], v[10:11]
	v_fmac_f64_e32 v[2:3], v[50:51], v[4:5]
	v_fma_f64 v[4:5], v[48:49], v[4:5], -v[6:7]
	s_waitcnt vmcnt(8) lgkmcnt(7)
	v_mul_f64 v[90:91], v[56:57], v[14:15]
	v_mul_f64 v[14:15], v[58:59], v[14:15]
	v_fmac_f64_e32 v[88:89], v[54:55], v[8:9]
	v_fma_f64 v[6:7], v[52:53], v[8:9], -v[10:11]
	v_add_f64 v[2:3], v[2:3], 0
	v_add_f64 v[4:5], v[4:5], 0
	s_waitcnt vmcnt(7) lgkmcnt(6)
	v_mul_f64 v[92:93], v[60:61], v[18:19]
	v_mul_f64 v[18:19], v[62:63], v[18:19]
	v_fmac_f64_e32 v[90:91], v[58:59], v[12:13]
	v_fma_f64 v[8:9], v[56:57], v[12:13], -v[14:15]
	v_add_f64 v[2:3], v[2:3], v[88:89]
	v_add_f64 v[4:5], v[4:5], v[6:7]
	;; [unrolled: 7-line block ×8, first 2 shown]
	v_fmac_f64_e32 v[104:105], v[86:87], v[40:41]
	v_fma_f64 v[22:23], v[84:85], v[40:41], -v[42:43]
	v_add_f64 v[2:3], v[2:3], v[102:103]
	v_add_f64 v[4:5], v[4:5], v[20:21]
	;; [unrolled: 1-line block ×4, first 2 shown]
	s_waitcnt vmcnt(0)
	v_add_f64 v[2:3], v[44:45], -v[2:3]
	v_add_f64 v[4:5], v[46:47], -v[6:7]
	scratch_store_dwordx4 off, v[2:5], off offset:240
	s_and_saveexec_b64 s[2:3], vcc
	s_cbranch_execz .LBB89_141
; %bb.140:
	scratch_load_dwordx4 v[2:5], off, s29
	v_mov_b32_e32 v6, 0
	v_mov_b32_e32 v7, v6
	;; [unrolled: 1-line block ×4, first 2 shown]
	scratch_store_dwordx4 off, v[6:9], off offset:224
	s_waitcnt vmcnt(1)
	ds_write_b128 v202, v[2:5]
.LBB89_141:
	s_or_b64 exec, exec, s[2:3]
	v_mov_b32_e32 v2, 0
	s_waitcnt lgkmcnt(0)
	; wave barrier
	ds_read_b128 v[4:7], v2 offset:656
	ds_read_b128 v[8:11], v2 offset:672
	;; [unrolled: 1-line block ×4, first 2 shown]
	scratch_load_dwordx4 v[20:23], off, off offset:240
	scratch_load_dwordx4 v[40:43], off, off offset:304
	;; [unrolled: 1-line block ×5, first 2 shown]
	v_cmp_lt_u32_e32 vcc, 13, v1
	scratch_load_dwordx4 v[48:51], off, off offset:320
	scratch_load_dwordx4 v[56:59], off, off offset:336
	scratch_load_dwordx4 v[64:67], off, off offset:352
	s_waitcnt vmcnt(7) lgkmcnt(3)
	v_mul_f64 v[24:25], v[4:5], v[22:23]
	v_fmac_f64_e32 v[24:25], v[6:7], v[20:21]
	v_add_f64 v[28:29], v[24:25], 0
	scratch_load_dwordx4 v[24:27], off, off offset:256
	v_mul_f64 v[6:7], v[6:7], v[22:23]
	v_fma_f64 v[4:5], v[4:5], v[20:21], -v[6:7]
	v_add_f64 v[4:5], v[4:5], 0
	s_waitcnt vmcnt(0) lgkmcnt(2)
	v_mul_f64 v[30:31], v[8:9], v[26:27]
	v_fmac_f64_e32 v[30:31], v[10:11], v[24:25]
	v_add_f64 v[32:33], v[28:29], v[30:31]
	scratch_load_dwordx4 v[28:31], off, off offset:272
	v_mul_f64 v[6:7], v[10:11], v[26:27]
	v_fma_f64 v[6:7], v[8:9], v[24:25], -v[6:7]
	v_add_f64 v[4:5], v[4:5], v[6:7]
	;; [unrolled: 8-line block ×3, first 2 shown]
	s_waitcnt vmcnt(0) lgkmcnt(0)
	v_mul_f64 v[38:39], v[16:17], v[34:35]
	v_fmac_f64_e32 v[38:39], v[18:19], v[32:33]
	v_add_f64 v[44:45], v[36:37], v[38:39]
	ds_read_b128 v[36:39], v2 offset:720
	v_mul_f64 v[6:7], v[18:19], v[34:35]
	v_fma_f64 v[6:7], v[16:17], v[32:33], -v[6:7]
	v_add_f64 v[4:5], v[4:5], v[6:7]
	s_waitcnt lgkmcnt(0)
	v_mul_f64 v[46:47], v[36:37], v[42:43]
	v_fmac_f64_e32 v[46:47], v[38:39], v[40:41]
	v_add_f64 v[52:53], v[44:45], v[46:47]
	ds_read_b128 v[44:47], v2 offset:736
	v_mul_f64 v[6:7], v[38:39], v[42:43]
	v_fma_f64 v[6:7], v[36:37], v[40:41], -v[6:7]
	v_add_f64 v[4:5], v[4:5], v[6:7]
	s_waitcnt lgkmcnt(0)
	;; [unrolled: 8-line block ×7, first 2 shown]
	v_mul_f64 v[6:7], v[86:87], v[90:91]
	v_fma_f64 v[6:7], v[84:85], v[88:89], -v[6:7]
	v_add_f64 v[8:9], v[4:5], v[6:7]
	scratch_load_dwordx4 v[4:7], off, off offset:224
	v_mul_f64 v[94:95], v[84:85], v[90:91]
	v_fmac_f64_e32 v[94:95], v[86:87], v[88:89]
	v_add_f64 v[92:93], v[92:93], v[94:95]
	s_waitcnt vmcnt(0)
	v_add_f64 v[4:5], v[4:5], -v[8:9]
	v_add_f64 v[6:7], v[6:7], -v[92:93]
	scratch_store_dwordx4 off, v[4:7], off offset:224
	s_and_saveexec_b64 s[2:3], vcc
	s_cbranch_execz .LBB89_143
; %bb.142:
	scratch_load_dwordx4 v[6:9], off, s30
	v_mov_b32_e32 v3, v2
	v_mov_b32_e32 v4, v2
	;; [unrolled: 1-line block ×3, first 2 shown]
	scratch_store_dwordx4 off, v[2:5], off offset:208
	s_waitcnt vmcnt(1)
	ds_write_b128 v202, v[6:9]
.LBB89_143:
	s_or_b64 exec, exec, s[2:3]
	s_waitcnt lgkmcnt(0)
	; wave barrier
	ds_read_b128 v[4:7], v2 offset:640
	ds_read_b128 v[8:11], v2 offset:656
	;; [unrolled: 1-line block ×4, first 2 shown]
	scratch_load_dwordx4 v[20:23], off, off offset:224
	scratch_load_dwordx4 v[40:43], off, off offset:288
	;; [unrolled: 1-line block ×6, first 2 shown]
	v_cmp_lt_u32_e32 vcc, 12, v1
	scratch_load_dwordx4 v[48:51], off, off offset:304
	scratch_load_dwordx4 v[56:59], off, off offset:320
	;; [unrolled: 1-line block ×3, first 2 shown]
	s_waitcnt vmcnt(8) lgkmcnt(3)
	v_mul_f64 v[24:25], v[4:5], v[22:23]
	v_fmac_f64_e32 v[24:25], v[6:7], v[20:21]
	v_add_f64 v[28:29], v[24:25], 0
	scratch_load_dwordx4 v[24:27], off, off offset:240
	s_waitcnt vmcnt(0) lgkmcnt(2)
	v_mul_f64 v[30:31], v[8:9], v[26:27]
	v_fmac_f64_e32 v[30:31], v[10:11], v[24:25]
	v_add_f64 v[32:33], v[28:29], v[30:31]
	scratch_load_dwordx4 v[28:31], off, off offset:256
	;; [unrolled: 5-line block ×3, first 2 shown]
	s_waitcnt vmcnt(0) lgkmcnt(0)
	v_mul_f64 v[38:39], v[16:17], v[34:35]
	v_fmac_f64_e32 v[38:39], v[18:19], v[32:33]
	v_add_f64 v[44:45], v[36:37], v[38:39]
	ds_read_b128 v[36:39], v2 offset:704
	s_waitcnt lgkmcnt(0)
	v_mul_f64 v[46:47], v[36:37], v[42:43]
	v_fmac_f64_e32 v[46:47], v[38:39], v[40:41]
	v_add_f64 v[52:53], v[44:45], v[46:47]
	ds_read_b128 v[44:47], v2 offset:720
	s_waitcnt lgkmcnt(0)
	;; [unrolled: 5-line block ×8, first 2 shown]
	v_mul_f64 v[2:3], v[92:93], v[98:99]
	v_fmac_f64_e32 v[2:3], v[94:95], v[96:97]
	v_add_f64 v[100:101], v[100:101], v[2:3]
	v_mul_f64 v[2:3], v[6:7], v[22:23]
	v_fma_f64 v[2:3], v[4:5], v[20:21], -v[2:3]
	v_mul_f64 v[4:5], v[10:11], v[26:27]
	v_add_f64 v[2:3], v[2:3], 0
	v_fma_f64 v[4:5], v[8:9], v[24:25], -v[4:5]
	v_add_f64 v[2:3], v[2:3], v[4:5]
	v_mul_f64 v[4:5], v[14:15], v[30:31]
	v_fma_f64 v[4:5], v[12:13], v[28:29], -v[4:5]
	v_add_f64 v[2:3], v[2:3], v[4:5]
	v_mul_f64 v[4:5], v[18:19], v[34:35]
	;; [unrolled: 3-line block ×10, first 2 shown]
	v_fma_f64 v[4:5], v[92:93], v[96:97], -v[4:5]
	v_add_f64 v[6:7], v[2:3], v[4:5]
	scratch_load_dwordx4 v[2:5], off, off offset:208
	s_waitcnt vmcnt(0)
	v_add_f64 v[2:3], v[2:3], -v[6:7]
	v_add_f64 v[4:5], v[4:5], -v[100:101]
	scratch_store_dwordx4 off, v[2:5], off offset:208
	s_and_saveexec_b64 s[2:3], vcc
	s_cbranch_execz .LBB89_145
; %bb.144:
	scratch_load_dwordx4 v[2:5], off, s31
	v_mov_b32_e32 v6, 0
	v_mov_b32_e32 v7, v6
	;; [unrolled: 1-line block ×4, first 2 shown]
	scratch_store_dwordx4 off, v[6:9], off offset:192
	s_waitcnt vmcnt(1)
	ds_write_b128 v202, v[2:5]
.LBB89_145:
	s_or_b64 exec, exec, s[2:3]
	v_mov_b32_e32 v2, 0
	s_waitcnt lgkmcnt(0)
	; wave barrier
	ds_read_b128 v[4:7], v2 offset:624
	ds_read_b128 v[8:11], v2 offset:640
	;; [unrolled: 1-line block ×4, first 2 shown]
	scratch_load_dwordx4 v[20:23], off, off offset:208
	scratch_load_dwordx4 v[40:43], off, off offset:272
	;; [unrolled: 1-line block ×7, first 2 shown]
	v_cmp_lt_u32_e32 vcc, 11, v1
	scratch_load_dwordx4 v[48:51], off, off offset:288
	scratch_load_dwordx4 v[56:59], off, off offset:304
	;; [unrolled: 1-line block ×3, first 2 shown]
	s_waitcnt vmcnt(9) lgkmcnt(3)
	v_mul_f64 v[24:25], v[4:5], v[22:23]
	v_fmac_f64_e32 v[24:25], v[6:7], v[20:21]
	v_add_f64 v[28:29], v[24:25], 0
	scratch_load_dwordx4 v[24:27], off, off offset:224
	v_mul_f64 v[6:7], v[6:7], v[22:23]
	v_fma_f64 v[4:5], v[4:5], v[20:21], -v[6:7]
	v_add_f64 v[4:5], v[4:5], 0
	s_waitcnt vmcnt(0) lgkmcnt(2)
	v_mul_f64 v[30:31], v[8:9], v[26:27]
	v_fmac_f64_e32 v[30:31], v[10:11], v[24:25]
	v_add_f64 v[32:33], v[28:29], v[30:31]
	scratch_load_dwordx4 v[28:31], off, off offset:240
	v_mul_f64 v[6:7], v[10:11], v[26:27]
	v_fma_f64 v[6:7], v[8:9], v[24:25], -v[6:7]
	v_add_f64 v[4:5], v[4:5], v[6:7]
	;; [unrolled: 8-line block ×3, first 2 shown]
	s_waitcnt vmcnt(0) lgkmcnt(0)
	v_mul_f64 v[38:39], v[16:17], v[34:35]
	v_fmac_f64_e32 v[38:39], v[18:19], v[32:33]
	v_add_f64 v[44:45], v[36:37], v[38:39]
	ds_read_b128 v[36:39], v2 offset:688
	v_mul_f64 v[6:7], v[18:19], v[34:35]
	v_fma_f64 v[6:7], v[16:17], v[32:33], -v[6:7]
	v_add_f64 v[4:5], v[4:5], v[6:7]
	s_waitcnt lgkmcnt(0)
	v_mul_f64 v[46:47], v[36:37], v[42:43]
	v_fmac_f64_e32 v[46:47], v[38:39], v[40:41]
	v_add_f64 v[52:53], v[44:45], v[46:47]
	ds_read_b128 v[44:47], v2 offset:704
	v_mul_f64 v[6:7], v[38:39], v[42:43]
	v_fma_f64 v[6:7], v[36:37], v[40:41], -v[6:7]
	v_add_f64 v[4:5], v[4:5], v[6:7]
	s_waitcnt lgkmcnt(0)
	;; [unrolled: 8-line block ×9, first 2 shown]
	v_mul_f64 v[6:7], v[102:103], v[106:107]
	v_fma_f64 v[6:7], v[100:101], v[104:105], -v[6:7]
	v_add_f64 v[8:9], v[4:5], v[6:7]
	scratch_load_dwordx4 v[4:7], off, off offset:192
	v_mul_f64 v[110:111], v[100:101], v[106:107]
	v_fmac_f64_e32 v[110:111], v[102:103], v[104:105]
	v_add_f64 v[108:109], v[108:109], v[110:111]
	s_waitcnt vmcnt(0)
	v_add_f64 v[4:5], v[4:5], -v[8:9]
	v_add_f64 v[6:7], v[6:7], -v[108:109]
	scratch_store_dwordx4 off, v[4:7], off offset:192
	s_and_saveexec_b64 s[2:3], vcc
	s_cbranch_execz .LBB89_147
; %bb.146:
	scratch_load_dwordx4 v[6:9], off, s33
	v_mov_b32_e32 v3, v2
	v_mov_b32_e32 v4, v2
	;; [unrolled: 1-line block ×3, first 2 shown]
	scratch_store_dwordx4 off, v[2:5], off offset:176
	s_waitcnt vmcnt(1)
	ds_write_b128 v202, v[6:9]
.LBB89_147:
	s_or_b64 exec, exec, s[2:3]
	s_waitcnt lgkmcnt(0)
	; wave barrier
	scratch_load_dwordx4 v[4:7], off, off offset:192
	scratch_load_dwordx4 v[8:11], off, off offset:208
	;; [unrolled: 1-line block ×14, first 2 shown]
	ds_read_b128 v[60:63], v2 offset:608
	ds_read_b128 v[64:67], v2 offset:624
	;; [unrolled: 1-line block ×14, first 2 shown]
	scratch_load_dwordx4 v[116:119], off, off offset:176
	v_cmp_lt_u32_e32 vcc, 10, v1
	s_waitcnt vmcnt(14) lgkmcnt(13)
	v_mul_f64 v[2:3], v[60:61], v[6:7]
	s_waitcnt vmcnt(13) lgkmcnt(12)
	v_mul_f64 v[120:121], v[64:65], v[10:11]
	v_fmac_f64_e32 v[2:3], v[62:63], v[4:5]
	s_waitcnt vmcnt(12) lgkmcnt(11)
	v_mul_f64 v[122:123], v[68:69], v[14:15]
	v_fmac_f64_e32 v[120:121], v[66:67], v[8:9]
	v_add_f64 v[2:3], v[2:3], 0
	s_waitcnt vmcnt(11) lgkmcnt(10)
	v_mul_f64 v[124:125], v[72:73], v[18:19]
	v_fmac_f64_e32 v[122:123], v[70:71], v[12:13]
	v_add_f64 v[2:3], v[2:3], v[120:121]
	;; [unrolled: 4-line block ×4, first 2 shown]
	s_waitcnt vmcnt(8) lgkmcnt(7)
	v_mul_f64 v[130:131], v[84:85], v[30:31]
	v_mul_f64 v[6:7], v[62:63], v[6:7]
	v_fmac_f64_e32 v[128:129], v[82:83], v[24:25]
	v_add_f64 v[2:3], v[2:3], v[126:127]
	s_waitcnt vmcnt(7) lgkmcnt(6)
	v_mul_f64 v[132:133], v[88:89], v[34:35]
	v_mul_f64 v[10:11], v[66:67], v[10:11]
	v_fmac_f64_e32 v[130:131], v[86:87], v[28:29]
	v_fma_f64 v[4:5], v[60:61], v[4:5], -v[6:7]
	v_add_f64 v[2:3], v[2:3], v[128:129]
	s_waitcnt vmcnt(6) lgkmcnt(5)
	v_mul_f64 v[134:135], v[92:93], v[38:39]
	v_mul_f64 v[14:15], v[70:71], v[14:15]
	v_fmac_f64_e32 v[132:133], v[90:91], v[32:33]
	v_fma_f64 v[6:7], v[64:65], v[8:9], -v[10:11]
	v_add_f64 v[4:5], v[4:5], 0
	v_add_f64 v[2:3], v[2:3], v[130:131]
	s_waitcnt vmcnt(5) lgkmcnt(4)
	v_mul_f64 v[136:137], v[96:97], v[42:43]
	v_mul_f64 v[18:19], v[74:75], v[18:19]
	v_fmac_f64_e32 v[134:135], v[94:95], v[36:37]
	v_fma_f64 v[8:9], v[68:69], v[12:13], -v[14:15]
	v_add_f64 v[4:5], v[4:5], v[6:7]
	;; [unrolled: 7-line block ×6, first 2 shown]
	v_add_f64 v[2:3], v[2:3], v[140:141]
	v_fmac_f64_e32 v[144:145], v[114:115], v[56:57]
	v_fma_f64 v[18:19], v[88:89], v[32:33], -v[34:35]
	v_add_f64 v[4:5], v[4:5], v[16:17]
	v_add_f64 v[2:3], v[2:3], v[142:143]
	;; [unrolled: 1-line block ×4, first 2 shown]
	v_mul_f64 v[4:5], v[94:95], v[38:39]
	v_fma_f64 v[4:5], v[92:93], v[36:37], -v[4:5]
	v_add_f64 v[2:3], v[2:3], v[4:5]
	v_mul_f64 v[4:5], v[98:99], v[42:43]
	v_fma_f64 v[4:5], v[96:97], v[40:41], -v[4:5]
	v_add_f64 v[2:3], v[2:3], v[4:5]
	;; [unrolled: 3-line block ×6, first 2 shown]
	s_waitcnt vmcnt(0)
	v_add_f64 v[2:3], v[116:117], -v[2:3]
	v_add_f64 v[4:5], v[118:119], -v[6:7]
	scratch_store_dwordx4 off, v[2:5], off offset:176
	s_and_saveexec_b64 s[2:3], vcc
	s_cbranch_execz .LBB89_149
; %bb.148:
	scratch_load_dwordx4 v[2:5], off, s34
	v_mov_b32_e32 v6, 0
	v_mov_b32_e32 v7, v6
	v_mov_b32_e32 v8, v6
	v_mov_b32_e32 v9, v6
	scratch_store_dwordx4 off, v[6:9], off offset:160
	s_waitcnt vmcnt(1)
	ds_write_b128 v202, v[2:5]
.LBB89_149:
	s_or_b64 exec, exec, s[2:3]
	s_waitcnt lgkmcnt(0)
	; wave barrier
	scratch_load_dwordx4 v[4:7], off, off offset:176
	scratch_load_dwordx4 v[8:11], off, off offset:192
	;; [unrolled: 1-line block ×16, first 2 shown]
	v_mov_b32_e32 v2, 0
	ds_read_b128 v[68:71], v2 offset:592
	ds_read_b128 v[72:75], v2 offset:608
	;; [unrolled: 1-line block ×15, first 2 shown]
	v_cmp_lt_u32_e32 vcc, 9, v1
	s_waitcnt vmcnt(15) lgkmcnt(14)
	v_mul_f64 v[128:129], v[68:69], v[6:7]
	v_mul_f64 v[6:7], v[70:71], v[6:7]
	s_waitcnt vmcnt(14) lgkmcnt(13)
	v_mul_f64 v[130:131], v[72:73], v[10:11]
	v_mul_f64 v[10:11], v[74:75], v[10:11]
	v_fmac_f64_e32 v[128:129], v[70:71], v[4:5]
	v_fma_f64 v[4:5], v[68:69], v[4:5], -v[6:7]
	s_waitcnt vmcnt(13) lgkmcnt(12)
	v_mul_f64 v[132:133], v[76:77], v[14:15]
	v_mul_f64 v[14:15], v[78:79], v[14:15]
	v_fma_f64 v[6:7], v[72:73], v[8:9], -v[10:11]
	v_add_f64 v[4:5], v[4:5], 0
	s_waitcnt vmcnt(12) lgkmcnt(11)
	v_mul_f64 v[134:135], v[80:81], v[18:19]
	v_mul_f64 v[18:19], v[82:83], v[18:19]
	v_fmac_f64_e32 v[130:131], v[74:75], v[8:9]
	v_fma_f64 v[8:9], v[76:77], v[12:13], -v[14:15]
	v_add_f64 v[4:5], v[4:5], v[6:7]
	s_waitcnt vmcnt(11) lgkmcnt(10)
	v_mul_f64 v[136:137], v[84:85], v[22:23]
	v_mul_f64 v[22:23], v[86:87], v[22:23]
	v_fma_f64 v[10:11], v[80:81], v[16:17], -v[18:19]
	v_add_f64 v[4:5], v[4:5], v[8:9]
	s_waitcnt vmcnt(10) lgkmcnt(9)
	v_mul_f64 v[138:139], v[88:89], v[26:27]
	v_mul_f64 v[26:27], v[90:91], v[26:27]
	v_fmac_f64_e32 v[132:133], v[78:79], v[12:13]
	v_fma_f64 v[12:13], v[84:85], v[20:21], -v[22:23]
	v_add_f64 v[4:5], v[4:5], v[10:11]
	v_fma_f64 v[14:15], v[88:89], v[24:25], -v[26:27]
	v_add_f64 v[4:5], v[4:5], v[12:13]
	s_waitcnt vmcnt(9) lgkmcnt(8)
	v_mul_f64 v[8:9], v[94:95], v[30:31]
	v_add_f64 v[4:5], v[4:5], v[14:15]
	v_fma_f64 v[8:9], v[92:93], v[28:29], -v[8:9]
	v_add_f64 v[4:5], v[4:5], v[8:9]
	s_waitcnt vmcnt(8) lgkmcnt(7)
	v_mul_f64 v[8:9], v[98:99], v[34:35]
	v_fma_f64 v[8:9], v[96:97], v[32:33], -v[8:9]
	v_fmac_f64_e32 v[134:135], v[82:83], v[16:17]
	v_add_f64 v[16:17], v[128:129], 0
	v_add_f64 v[4:5], v[4:5], v[8:9]
	s_waitcnt vmcnt(7) lgkmcnt(6)
	v_mul_f64 v[8:9], v[102:103], v[38:39]
	v_add_f64 v[16:17], v[16:17], v[130:131]
	v_fma_f64 v[8:9], v[100:101], v[36:37], -v[8:9]
	v_add_f64 v[6:7], v[16:17], v[132:133]
	v_add_f64 v[4:5], v[4:5], v[8:9]
	s_waitcnt vmcnt(6) lgkmcnt(5)
	v_mul_f64 v[8:9], v[106:107], v[42:43]
	v_fmac_f64_e32 v[136:137], v[86:87], v[20:21]
	v_add_f64 v[6:7], v[6:7], v[134:135]
	v_fma_f64 v[8:9], v[104:105], v[40:41], -v[8:9]
	v_mul_f64 v[140:141], v[92:93], v[30:31]
	v_fmac_f64_e32 v[138:139], v[90:91], v[24:25]
	v_add_f64 v[6:7], v[6:7], v[136:137]
	v_add_f64 v[4:5], v[4:5], v[8:9]
	s_waitcnt vmcnt(5) lgkmcnt(4)
	v_mul_f64 v[8:9], v[110:111], v[46:47]
	v_mul_f64 v[142:143], v[96:97], v[34:35]
	v_fmac_f64_e32 v[140:141], v[94:95], v[28:29]
	v_add_f64 v[6:7], v[6:7], v[138:139]
	v_fma_f64 v[8:9], v[108:109], v[44:45], -v[8:9]
	v_mul_f64 v[144:145], v[100:101], v[38:39]
	v_fmac_f64_e32 v[142:143], v[98:99], v[32:33]
	v_add_f64 v[6:7], v[6:7], v[140:141]
	v_add_f64 v[4:5], v[4:5], v[8:9]
	s_waitcnt vmcnt(4) lgkmcnt(3)
	v_mul_f64 v[8:9], v[114:115], v[50:51]
	v_mul_f64 v[146:147], v[104:105], v[42:43]
	v_fmac_f64_e32 v[144:145], v[102:103], v[36:37]
	v_add_f64 v[6:7], v[6:7], v[142:143]
	v_fma_f64 v[8:9], v[112:113], v[48:49], -v[8:9]
	v_mul_f64 v[150:151], v[108:109], v[46:47]
	v_fmac_f64_e32 v[146:147], v[106:107], v[40:41]
	v_add_f64 v[6:7], v[6:7], v[144:145]
	v_add_f64 v[4:5], v[4:5], v[8:9]
	s_waitcnt vmcnt(3) lgkmcnt(2)
	v_mul_f64 v[8:9], v[118:119], v[54:55]
	v_mul_f64 v[152:153], v[112:113], v[50:51]
	v_fmac_f64_e32 v[150:151], v[110:111], v[44:45]
	v_add_f64 v[6:7], v[6:7], v[146:147]
	v_fma_f64 v[8:9], v[116:117], v[52:53], -v[8:9]
	v_mul_f64 v[200:201], v[116:117], v[54:55]
	v_fmac_f64_e32 v[152:153], v[114:115], v[48:49]
	v_add_f64 v[6:7], v[6:7], v[150:151]
	v_add_f64 v[4:5], v[4:5], v[8:9]
	s_waitcnt vmcnt(2) lgkmcnt(1)
	v_mul_f64 v[8:9], v[122:123], v[58:59]
	v_mul_f64 v[204:205], v[120:121], v[58:59]
	v_fmac_f64_e32 v[200:201], v[118:119], v[52:53]
	v_add_f64 v[6:7], v[6:7], v[152:153]
	v_fma_f64 v[8:9], v[120:121], v[56:57], -v[8:9]
	s_waitcnt vmcnt(1) lgkmcnt(0)
	v_mul_f64 v[206:207], v[124:125], v[62:63]
	v_fmac_f64_e32 v[204:205], v[122:123], v[56:57]
	v_add_f64 v[6:7], v[6:7], v[200:201]
	v_add_f64 v[4:5], v[4:5], v[8:9]
	v_mul_f64 v[8:9], v[126:127], v[62:63]
	v_fmac_f64_e32 v[206:207], v[126:127], v[60:61]
	v_add_f64 v[6:7], v[6:7], v[204:205]
	v_fma_f64 v[8:9], v[124:125], v[60:61], -v[8:9]
	v_add_f64 v[6:7], v[6:7], v[206:207]
	v_add_f64 v[4:5], v[4:5], v[8:9]
	s_waitcnt vmcnt(0)
	v_add_f64 v[4:5], v[64:65], -v[4:5]
	v_add_f64 v[6:7], v[66:67], -v[6:7]
	scratch_store_dwordx4 off, v[4:7], off offset:160
	s_and_saveexec_b64 s[2:3], vcc
	s_cbranch_execz .LBB89_151
; %bb.150:
	scratch_load_dwordx4 v[6:9], off, s35
	v_mov_b32_e32 v3, v2
	v_mov_b32_e32 v4, v2
	;; [unrolled: 1-line block ×3, first 2 shown]
	scratch_store_dwordx4 off, v[2:5], off offset:144
	s_waitcnt vmcnt(1)
	ds_write_b128 v202, v[6:9]
.LBB89_151:
	s_or_b64 exec, exec, s[2:3]
	s_waitcnt lgkmcnt(0)
	; wave barrier
	scratch_load_dwordx4 v[4:7], off, off offset:160
	scratch_load_dwordx4 v[8:11], off, off offset:176
	;; [unrolled: 1-line block ×16, first 2 shown]
	ds_read_b128 v[68:71], v2 offset:576
	ds_read_b128 v[72:75], v2 offset:592
	;; [unrolled: 1-line block ×16, first 2 shown]
	scratch_load_dwordx4 v[132:135], off, off offset:144
	v_cmp_lt_u32_e32 vcc, 8, v1
	s_waitcnt vmcnt(16) lgkmcnt(14)
	v_mul_f64 v[2:3], v[68:69], v[6:7]
	s_waitcnt vmcnt(15)
	v_mul_f64 v[136:137], v[72:73], v[10:11]
	v_fmac_f64_e32 v[2:3], v[70:71], v[4:5]
	s_waitcnt vmcnt(14) lgkmcnt(13)
	v_mul_f64 v[138:139], v[76:77], v[14:15]
	v_fmac_f64_e32 v[136:137], v[74:75], v[8:9]
	v_add_f64 v[2:3], v[2:3], 0
	s_waitcnt vmcnt(13) lgkmcnt(12)
	v_mul_f64 v[140:141], v[80:81], v[18:19]
	v_fmac_f64_e32 v[138:139], v[78:79], v[12:13]
	v_add_f64 v[2:3], v[2:3], v[136:137]
	;; [unrolled: 4-line block ×10, first 2 shown]
	s_waitcnt vmcnt(4) lgkmcnt(3)
	v_mul_f64 v[208:209], v[116:117], v[54:55]
	v_mul_f64 v[6:7], v[70:71], v[6:7]
	v_fmac_f64_e32 v[206:207], v[114:115], v[48:49]
	v_add_f64 v[2:3], v[2:3], v[204:205]
	s_waitcnt vmcnt(3) lgkmcnt(2)
	v_mul_f64 v[210:211], v[120:121], v[58:59]
	v_mul_f64 v[10:11], v[74:75], v[10:11]
	v_fmac_f64_e32 v[208:209], v[118:119], v[52:53]
	v_fma_f64 v[4:5], v[68:69], v[4:5], -v[6:7]
	v_add_f64 v[2:3], v[2:3], v[206:207]
	s_waitcnt vmcnt(2) lgkmcnt(1)
	v_mul_f64 v[212:213], v[124:125], v[62:63]
	v_mul_f64 v[14:15], v[78:79], v[14:15]
	v_fmac_f64_e32 v[210:211], v[122:123], v[56:57]
	v_fma_f64 v[6:7], v[72:73], v[8:9], -v[10:11]
	v_add_f64 v[4:5], v[4:5], 0
	v_add_f64 v[2:3], v[2:3], v[208:209]
	s_waitcnt vmcnt(1) lgkmcnt(0)
	v_mul_f64 v[214:215], v[128:129], v[66:67]
	v_mul_f64 v[18:19], v[82:83], v[18:19]
	v_fmac_f64_e32 v[212:213], v[126:127], v[60:61]
	v_fma_f64 v[8:9], v[76:77], v[12:13], -v[14:15]
	v_add_f64 v[4:5], v[4:5], v[6:7]
	v_add_f64 v[2:3], v[2:3], v[210:211]
	v_mul_f64 v[26:27], v[86:87], v[26:27]
	v_fmac_f64_e32 v[214:215], v[130:131], v[64:65]
	v_fma_f64 v[10:11], v[80:81], v[16:17], -v[18:19]
	v_add_f64 v[4:5], v[4:5], v[8:9]
	v_add_f64 v[2:3], v[2:3], v[212:213]
	v_fma_f64 v[12:13], v[84:85], v[24:25], -v[26:27]
	v_add_f64 v[4:5], v[4:5], v[10:11]
	v_add_f64 v[6:7], v[2:3], v[214:215]
	v_mul_f64 v[2:3], v[90:91], v[22:23]
	v_add_f64 v[4:5], v[4:5], v[12:13]
	v_fma_f64 v[2:3], v[88:89], v[20:21], -v[2:3]
	v_add_f64 v[2:3], v[4:5], v[2:3]
	v_mul_f64 v[4:5], v[94:95], v[30:31]
	v_fma_f64 v[4:5], v[92:93], v[28:29], -v[4:5]
	v_add_f64 v[2:3], v[2:3], v[4:5]
	v_mul_f64 v[4:5], v[98:99], v[34:35]
	;; [unrolled: 3-line block ×10, first 2 shown]
	v_fma_f64 v[4:5], v[128:129], v[64:65], -v[4:5]
	v_add_f64 v[2:3], v[2:3], v[4:5]
	s_waitcnt vmcnt(0)
	v_add_f64 v[2:3], v[132:133], -v[2:3]
	v_add_f64 v[4:5], v[134:135], -v[6:7]
	scratch_store_dwordx4 off, v[2:5], off offset:144
	s_and_saveexec_b64 s[2:3], vcc
	s_cbranch_execz .LBB89_153
; %bb.152:
	scratch_load_dwordx4 v[2:5], off, s36
	v_mov_b32_e32 v6, 0
	v_mov_b32_e32 v7, v6
	;; [unrolled: 1-line block ×4, first 2 shown]
	scratch_store_dwordx4 off, v[6:9], off offset:128
	s_waitcnt vmcnt(1)
	ds_write_b128 v202, v[2:5]
.LBB89_153:
	s_or_b64 exec, exec, s[2:3]
	s_waitcnt lgkmcnt(0)
	; wave barrier
	scratch_load_dwordx4 v[4:7], off, off offset:144
	scratch_load_dwordx4 v[8:11], off, off offset:160
	;; [unrolled: 1-line block ×18, first 2 shown]
	v_mov_b32_e32 v2, 0
	ds_read_b128 v[76:79], v2 offset:560
	ds_read_b128 v[80:83], v2 offset:576
	;; [unrolled: 1-line block ×17, first 2 shown]
	v_cmp_lt_u32_e32 vcc, 7, v1
	s_waitcnt vmcnt(17) lgkmcnt(14)
	v_mul_f64 v[144:145], v[76:77], v[6:7]
	v_mul_f64 v[6:7], v[78:79], v[6:7]
	s_waitcnt vmcnt(16)
	v_mul_f64 v[146:147], v[80:81], v[10:11]
	v_mul_f64 v[10:11], v[82:83], v[10:11]
	v_fmac_f64_e32 v[144:145], v[78:79], v[4:5]
	v_fma_f64 v[4:5], v[76:77], v[4:5], -v[6:7]
	s_waitcnt vmcnt(15)
	v_mul_f64 v[150:151], v[84:85], v[18:19]
	v_mul_f64 v[18:19], v[86:87], v[18:19]
	v_fma_f64 v[6:7], v[80:81], v[8:9], -v[10:11]
	v_add_f64 v[4:5], v[4:5], 0
	s_waitcnt vmcnt(14) lgkmcnt(13)
	v_mul_f64 v[152:153], v[88:89], v[14:15]
	v_mul_f64 v[14:15], v[90:91], v[14:15]
	v_fmac_f64_e32 v[146:147], v[82:83], v[8:9]
	v_fma_f64 v[8:9], v[84:85], v[16:17], -v[18:19]
	v_add_f64 v[4:5], v[4:5], v[6:7]
	v_add_f64 v[4:5], v[4:5], v[8:9]
	v_fma_f64 v[8:9], v[88:89], v[12:13], -v[14:15]
	v_add_f64 v[4:5], v[4:5], v[8:9]
	s_waitcnt vmcnt(13) lgkmcnt(12)
	v_mul_f64 v[8:9], v[94:95], v[22:23]
	v_fma_f64 v[8:9], v[92:93], v[20:21], -v[8:9]
	v_add_f64 v[4:5], v[4:5], v[8:9]
	s_waitcnt vmcnt(12) lgkmcnt(11)
	v_mul_f64 v[8:9], v[98:99], v[26:27]
	;; [unrolled: 4-line block ×5, first 2 shown]
	v_fma_f64 v[8:9], v[108:109], v[36:37], -v[8:9]
	v_add_f64 v[10:11], v[144:145], 0
	v_add_f64 v[4:5], v[4:5], v[8:9]
	s_waitcnt vmcnt(8) lgkmcnt(7)
	v_mul_f64 v[8:9], v[114:115], v[42:43]
	v_fmac_f64_e32 v[150:151], v[86:87], v[16:17]
	v_add_f64 v[10:11], v[10:11], v[146:147]
	v_fma_f64 v[8:9], v[112:113], v[40:41], -v[8:9]
	v_mul_f64 v[200:201], v[92:93], v[22:23]
	v_fmac_f64_e32 v[152:153], v[90:91], v[12:13]
	v_add_f64 v[6:7], v[10:11], v[150:151]
	v_add_f64 v[4:5], v[4:5], v[8:9]
	s_waitcnt vmcnt(7) lgkmcnt(6)
	v_mul_f64 v[8:9], v[118:119], v[46:47]
	v_mul_f64 v[204:205], v[96:97], v[26:27]
	v_fmac_f64_e32 v[200:201], v[94:95], v[20:21]
	v_add_f64 v[6:7], v[6:7], v[152:153]
	v_fma_f64 v[8:9], v[116:117], v[44:45], -v[8:9]
	v_mul_f64 v[206:207], v[100:101], v[30:31]
	v_fmac_f64_e32 v[204:205], v[98:99], v[24:25]
	v_add_f64 v[6:7], v[6:7], v[200:201]
	v_add_f64 v[4:5], v[4:5], v[8:9]
	s_waitcnt vmcnt(6) lgkmcnt(5)
	v_mul_f64 v[8:9], v[122:123], v[50:51]
	;; [unrolled: 10-line block ×6, first 2 shown]
	v_mul_f64 v[224:225], v[136:137], v[66:67]
	v_fmac_f64_e32 v[222:223], v[134:135], v[60:61]
	v_add_f64 v[6:7], v[6:7], v[220:221]
	v_fma_f64 v[8:9], v[136:137], v[64:65], -v[8:9]
	s_waitcnt vmcnt(1) lgkmcnt(0)
	v_mul_f64 v[226:227], v[140:141], v[70:71]
	v_fmac_f64_e32 v[224:225], v[138:139], v[64:65]
	v_add_f64 v[6:7], v[6:7], v[222:223]
	v_add_f64 v[4:5], v[4:5], v[8:9]
	v_mul_f64 v[8:9], v[142:143], v[70:71]
	v_fmac_f64_e32 v[226:227], v[142:143], v[68:69]
	v_add_f64 v[6:7], v[6:7], v[224:225]
	v_fma_f64 v[8:9], v[140:141], v[68:69], -v[8:9]
	v_add_f64 v[6:7], v[6:7], v[226:227]
	v_add_f64 v[4:5], v[4:5], v[8:9]
	s_waitcnt vmcnt(0)
	v_add_f64 v[4:5], v[72:73], -v[4:5]
	v_add_f64 v[6:7], v[74:75], -v[6:7]
	scratch_store_dwordx4 off, v[4:7], off offset:128
	s_and_saveexec_b64 s[2:3], vcc
	s_cbranch_execz .LBB89_155
; %bb.154:
	scratch_load_dwordx4 v[6:9], off, s37
	v_mov_b32_e32 v3, v2
	v_mov_b32_e32 v4, v2
	;; [unrolled: 1-line block ×3, first 2 shown]
	scratch_store_dwordx4 off, v[2:5], off offset:112
	s_waitcnt vmcnt(1)
	ds_write_b128 v202, v[6:9]
.LBB89_155:
	s_or_b64 exec, exec, s[2:3]
	s_waitcnt lgkmcnt(0)
	; wave barrier
	scratch_load_dwordx4 v[4:7], off, off offset:128
	scratch_load_dwordx4 v[12:15], off, off offset:144
	;; [unrolled: 1-line block ×18, first 2 shown]
	ds_read_b128 v[76:79], v2 offset:544
	ds_read_b128 v[80:83], v2 offset:560
	;; [unrolled: 1-line block ×18, first 2 shown]
	scratch_load_dwordx4 v[204:207], off, off offset:112
	v_cmp_lt_u32_e32 vcc, 6, v1
	s_waitcnt vmcnt(18) lgkmcnt(14)
	v_mul_f64 v[2:3], v[76:77], v[6:7]
	s_waitcnt vmcnt(17)
	v_mul_f64 v[150:151], v[80:81], v[14:15]
	v_fmac_f64_e32 v[2:3], v[78:79], v[4:5]
	s_waitcnt vmcnt(16)
	v_mul_f64 v[152:153], v[84:85], v[10:11]
	v_fmac_f64_e32 v[150:151], v[82:83], v[12:13]
	v_add_f64 v[2:3], v[2:3], 0
	s_waitcnt vmcnt(15)
	v_mul_f64 v[200:201], v[88:89], v[18:19]
	v_fmac_f64_e32 v[152:153], v[86:87], v[8:9]
	v_add_f64 v[2:3], v[2:3], v[150:151]
	s_waitcnt vmcnt(14) lgkmcnt(13)
	v_mul_f64 v[208:209], v[92:93], v[22:23]
	v_fmac_f64_e32 v[200:201], v[90:91], v[16:17]
	v_add_f64 v[2:3], v[2:3], v[152:153]
	s_waitcnt vmcnt(13) lgkmcnt(12)
	;; [unrolled: 4-line block ×13, first 2 shown]
	v_mul_f64 v[232:233], v[140:141], v[70:71]
	v_mul_f64 v[6:7], v[78:79], v[6:7]
	v_fmac_f64_e32 v[230:231], v[138:139], v[64:65]
	v_add_f64 v[2:3], v[2:3], v[228:229]
	s_waitcnt vmcnt(1) lgkmcnt(0)
	v_mul_f64 v[234:235], v[144:145], v[74:75]
	v_mul_f64 v[14:15], v[82:83], v[14:15]
	v_fmac_f64_e32 v[232:233], v[142:143], v[68:69]
	v_fma_f64 v[4:5], v[76:77], v[4:5], -v[6:7]
	v_add_f64 v[2:3], v[2:3], v[230:231]
	v_mul_f64 v[10:11], v[86:87], v[10:11]
	v_fmac_f64_e32 v[234:235], v[146:147], v[72:73]
	v_fma_f64 v[6:7], v[80:81], v[12:13], -v[14:15]
	v_add_f64 v[4:5], v[4:5], 0
	v_add_f64 v[2:3], v[2:3], v[232:233]
	;; [unrolled: 1-line block ×4, first 2 shown]
	v_fma_f64 v[2:3], v[84:85], v[8:9], -v[10:11]
	v_add_f64 v[2:3], v[4:5], v[2:3]
	v_mul_f64 v[4:5], v[90:91], v[18:19]
	v_fma_f64 v[4:5], v[88:89], v[16:17], -v[4:5]
	v_add_f64 v[2:3], v[2:3], v[4:5]
	v_mul_f64 v[4:5], v[94:95], v[22:23]
	;; [unrolled: 3-line block ×15, first 2 shown]
	v_fma_f64 v[4:5], v[144:145], v[72:73], -v[4:5]
	v_add_f64 v[2:3], v[2:3], v[4:5]
	s_waitcnt vmcnt(0)
	v_add_f64 v[2:3], v[204:205], -v[2:3]
	v_add_f64 v[4:5], v[206:207], -v[6:7]
	scratch_store_dwordx4 off, v[2:5], off offset:112
	s_and_saveexec_b64 s[2:3], vcc
	s_cbranch_execz .LBB89_157
; %bb.156:
	scratch_load_dwordx4 v[2:5], off, s38
	v_mov_b32_e32 v6, 0
	v_mov_b32_e32 v7, v6
	;; [unrolled: 1-line block ×4, first 2 shown]
	scratch_store_dwordx4 off, v[6:9], off offset:96
	s_waitcnt vmcnt(1)
	ds_write_b128 v202, v[2:5]
.LBB89_157:
	s_or_b64 exec, exec, s[2:3]
	s_waitcnt lgkmcnt(0)
	; wave barrier
	scratch_load_dwordx4 v[8:11], off, off offset:112
	scratch_load_dwordx4 v[4:7], off, off offset:128
	;; [unrolled: 1-line block ×20, first 2 shown]
	v_mov_b32_e32 v2, 0
	ds_read_b128 v[84:87], v2 offset:528
	ds_read_b128 v[88:91], v2 offset:544
	;; [unrolled: 1-line block ×19, first 2 shown]
	v_cmp_lt_u32_e32 vcc, 5, v1
	s_waitcnt vmcnt(19) lgkmcnt(14)
	v_mul_f64 v[150:151], v[84:85], v[10:11]
	v_mul_f64 v[10:11], v[86:87], v[10:11]
	s_waitcnt vmcnt(18)
	v_mul_f64 v[152:153], v[88:89], v[6:7]
	v_fmac_f64_e32 v[150:151], v[86:87], v[8:9]
	v_fma_f64 v[8:9], v[84:85], v[8:9], -v[10:11]
	v_mul_f64 v[6:7], v[90:91], v[6:7]
	v_fmac_f64_e32 v[152:153], v[90:91], v[4:5]
	v_add_f64 v[8:9], v[8:9], 0
	v_fma_f64 v[4:5], v[88:89], v[4:5], -v[6:7]
	s_waitcnt vmcnt(17)
	v_mul_f64 v[6:7], v[94:95], v[14:15]
	v_add_f64 v[4:5], v[8:9], v[4:5]
	v_fma_f64 v[6:7], v[92:93], v[12:13], -v[6:7]
	v_add_f64 v[4:5], v[4:5], v[6:7]
	s_waitcnt vmcnt(16)
	v_mul_f64 v[6:7], v[98:99], v[18:19]
	v_fma_f64 v[6:7], v[96:97], v[16:17], -v[6:7]
	v_add_f64 v[4:5], v[4:5], v[6:7]
	s_waitcnt vmcnt(15)
	v_mul_f64 v[6:7], v[102:103], v[22:23]
	v_fma_f64 v[6:7], v[100:101], v[20:21], -v[6:7]
	v_add_f64 v[4:5], v[4:5], v[6:7]
	s_waitcnt vmcnt(14) lgkmcnt(13)
	v_mul_f64 v[6:7], v[106:107], v[26:27]
	v_fma_f64 v[6:7], v[104:105], v[24:25], -v[6:7]
	v_add_f64 v[4:5], v[4:5], v[6:7]
	s_waitcnt vmcnt(13) lgkmcnt(12)
	;; [unrolled: 4-line block ×5, first 2 shown]
	v_mul_f64 v[6:7], v[122:123], v[42:43]
	v_fma_f64 v[6:7], v[120:121], v[40:41], -v[6:7]
	v_mul_f64 v[200:201], v[92:93], v[14:15]
	v_add_f64 v[10:11], v[150:151], 0
	v_add_f64 v[4:5], v[4:5], v[6:7]
	s_waitcnt vmcnt(9) lgkmcnt(8)
	v_mul_f64 v[6:7], v[126:127], v[46:47]
	v_mul_f64 v[216:217], v[96:97], v[18:19]
	v_fmac_f64_e32 v[200:201], v[94:95], v[12:13]
	v_add_f64 v[10:11], v[10:11], v[152:153]
	v_fma_f64 v[6:7], v[124:125], v[44:45], -v[6:7]
	v_mul_f64 v[218:219], v[100:101], v[22:23]
	v_fmac_f64_e32 v[216:217], v[98:99], v[16:17]
	v_add_f64 v[10:11], v[10:11], v[200:201]
	v_add_f64 v[4:5], v[4:5], v[6:7]
	s_waitcnt vmcnt(8) lgkmcnt(7)
	v_mul_f64 v[6:7], v[130:131], v[50:51]
	v_mul_f64 v[220:221], v[104:105], v[26:27]
	v_fmac_f64_e32 v[218:219], v[102:103], v[20:21]
	v_add_f64 v[10:11], v[10:11], v[216:217]
	v_fma_f64 v[6:7], v[128:129], v[48:49], -v[6:7]
	v_mul_f64 v[222:223], v[108:109], v[30:31]
	v_fmac_f64_e32 v[220:221], v[106:107], v[24:25]
	;; [unrolled: 10-line block ×7, first 2 shown]
	v_add_f64 v[10:11], v[10:11], v[238:239]
	v_add_f64 v[4:5], v[4:5], v[6:7]
	s_waitcnt vmcnt(2) lgkmcnt(1)
	v_mul_f64 v[6:7], v[210:211], v[74:75]
	v_mul_f64 v[244:245], v[208:209], v[74:75]
	v_fmac_f64_e32 v[242:243], v[206:207], v[68:69]
	v_add_f64 v[10:11], v[10:11], v[240:241]
	v_fma_f64 v[6:7], v[208:209], v[72:73], -v[6:7]
	s_waitcnt vmcnt(1) lgkmcnt(0)
	v_mul_f64 v[246:247], v[212:213], v[78:79]
	v_fmac_f64_e32 v[244:245], v[210:211], v[72:73]
	v_add_f64 v[10:11], v[10:11], v[242:243]
	v_add_f64 v[4:5], v[4:5], v[6:7]
	v_mul_f64 v[6:7], v[214:215], v[78:79]
	v_fmac_f64_e32 v[246:247], v[214:215], v[76:77]
	v_add_f64 v[10:11], v[10:11], v[244:245]
	v_fma_f64 v[6:7], v[212:213], v[76:77], -v[6:7]
	v_add_f64 v[10:11], v[10:11], v[246:247]
	v_add_f64 v[4:5], v[4:5], v[6:7]
	s_waitcnt vmcnt(0)
	v_add_f64 v[4:5], v[80:81], -v[4:5]
	v_add_f64 v[6:7], v[82:83], -v[10:11]
	scratch_store_dwordx4 off, v[4:7], off offset:96
	s_and_saveexec_b64 s[2:3], vcc
	s_cbranch_execz .LBB89_159
; %bb.158:
	scratch_load_dwordx4 v[6:9], off, s39
	v_mov_b32_e32 v3, v2
	v_mov_b32_e32 v4, v2
	;; [unrolled: 1-line block ×3, first 2 shown]
	scratch_store_dwordx4 off, v[2:5], off offset:80
	s_waitcnt vmcnt(1)
	ds_write_b128 v202, v[6:9]
.LBB89_159:
	s_or_b64 exec, exec, s[2:3]
	s_waitcnt lgkmcnt(0)
	; wave barrier
	ds_read_b128 v[16:19], v2 offset:512
	ds_read_b128 v[12:15], v2 offset:528
	;; [unrolled: 1-line block ×4, first 2 shown]
	scratch_load_dwordx4 v[20:23], off, off offset:96
	scratch_load_dwordx4 v[40:43], off, off offset:160
	;; [unrolled: 1-line block ×14, first 2 shown]
	v_cmp_lt_u32_e32 vcc, 4, v1
	scratch_load_dwordx4 v[48:51], off, off offset:176
	scratch_load_dwordx4 v[56:59], off, off offset:192
	;; [unrolled: 1-line block ×3, first 2 shown]
	ds_read_b128 v[208:211], v2 offset:800
	ds_read_b128 v[216:219], v2 offset:816
	s_waitcnt vmcnt(16) lgkmcnt(5)
	v_mul_f64 v[24:25], v[16:17], v[22:23]
	v_fmac_f64_e32 v[24:25], v[18:19], v[20:21]
	v_add_f64 v[28:29], v[24:25], 0
	scratch_load_dwordx4 v[24:27], off, off offset:112
	s_waitcnt vmcnt(0) lgkmcnt(4)
	v_mul_f64 v[30:31], v[12:13], v[26:27]
	v_fmac_f64_e32 v[30:31], v[14:15], v[24:25]
	v_add_f64 v[32:33], v[28:29], v[30:31]
	scratch_load_dwordx4 v[28:31], off, off offset:128
	v_mul_f64 v[14:15], v[14:15], v[26:27]
	v_fma_f64 v[12:13], v[12:13], v[24:25], -v[14:15]
	s_waitcnt vmcnt(0) lgkmcnt(3)
	v_mul_f64 v[34:35], v[8:9], v[30:31]
	v_fmac_f64_e32 v[34:35], v[10:11], v[28:29]
	v_add_f64 v[36:37], v[32:33], v[34:35]
	scratch_load_dwordx4 v[32:35], off, off offset:144
	v_mul_f64 v[10:11], v[10:11], v[30:31]
	v_fma_f64 v[8:9], v[8:9], v[28:29], -v[10:11]
	s_waitcnt vmcnt(0) lgkmcnt(2)
	v_mul_f64 v[38:39], v[4:5], v[34:35]
	v_fmac_f64_e32 v[38:39], v[6:7], v[32:33]
	v_add_f64 v[44:45], v[36:37], v[38:39]
	ds_read_b128 v[36:39], v2 offset:576
	v_mul_f64 v[6:7], v[6:7], v[34:35]
	v_fma_f64 v[4:5], v[4:5], v[32:33], -v[6:7]
	s_waitcnt lgkmcnt(0)
	v_mul_f64 v[46:47], v[36:37], v[42:43]
	v_fmac_f64_e32 v[46:47], v[38:39], v[40:41]
	v_add_f64 v[52:53], v[44:45], v[46:47]
	ds_read_b128 v[44:47], v2 offset:592
	s_waitcnt lgkmcnt(0)
	v_mul_f64 v[54:55], v[44:45], v[50:51]
	v_fmac_f64_e32 v[54:55], v[46:47], v[48:49]
	v_add_f64 v[60:61], v[52:53], v[54:55]
	ds_read_b128 v[52:55], v2 offset:608
	;; [unrolled: 5-line block ×13, first 2 shown]
	v_mul_f64 v[2:3], v[216:217], v[222:223]
	v_fmac_f64_e32 v[2:3], v[218:219], v[220:221]
	s_waitcnt lgkmcnt(0)
	v_mul_f64 v[146:147], v[142:143], v[206:207]
	v_fmac_f64_e32 v[146:147], v[144:145], v[204:205]
	v_add_f64 v[96:97], v[96:97], v[146:147]
	v_mul_f64 v[146:147], v[208:209], v[214:215]
	v_fmac_f64_e32 v[146:147], v[210:211], v[212:213]
	v_add_f64 v[96:97], v[96:97], v[146:147]
	v_add_f64 v[96:97], v[96:97], v[2:3]
	v_mul_f64 v[2:3], v[18:19], v[22:23]
	v_fma_f64 v[2:3], v[16:17], v[20:21], -v[2:3]
	v_add_f64 v[2:3], v[2:3], 0
	v_add_f64 v[2:3], v[2:3], v[12:13]
	;; [unrolled: 1-line block ×4, first 2 shown]
	v_mul_f64 v[4:5], v[38:39], v[42:43]
	v_fma_f64 v[4:5], v[36:37], v[40:41], -v[4:5]
	v_add_f64 v[2:3], v[2:3], v[4:5]
	v_mul_f64 v[4:5], v[46:47], v[50:51]
	v_fma_f64 v[4:5], v[44:45], v[48:49], -v[4:5]
	v_add_f64 v[2:3], v[2:3], v[4:5]
	;; [unrolled: 3-line block ×16, first 2 shown]
	scratch_load_dwordx4 v[2:5], off, off offset:80
	s_waitcnt vmcnt(0)
	v_add_f64 v[2:3], v[2:3], -v[6:7]
	v_add_f64 v[4:5], v[4:5], -v[96:97]
	scratch_store_dwordx4 off, v[2:5], off offset:80
	s_and_saveexec_b64 s[2:3], vcc
	s_cbranch_execz .LBB89_161
; %bb.160:
	scratch_load_dwordx4 v[2:5], off, s40
	v_mov_b32_e32 v6, 0
	v_mov_b32_e32 v7, v6
	;; [unrolled: 1-line block ×4, first 2 shown]
	scratch_store_dwordx4 off, v[6:9], off offset:64
	s_waitcnt vmcnt(1)
	ds_write_b128 v202, v[2:5]
.LBB89_161:
	s_or_b64 exec, exec, s[2:3]
	v_mov_b32_e32 v2, 0
	s_waitcnt lgkmcnt(0)
	; wave barrier
	ds_read_b128 v[16:19], v2 offset:496
	ds_read_b128 v[12:15], v2 offset:512
	;; [unrolled: 1-line block ×4, first 2 shown]
	scratch_load_dwordx4 v[20:23], off, off offset:80
	scratch_load_dwordx4 v[40:43], off, off offset:144
	;; [unrolled: 1-line block ×15, first 2 shown]
	v_cmp_lt_u32_e32 vcc, 3, v1
	scratch_load_dwordx4 v[48:51], off, off offset:160
	scratch_load_dwordx4 v[56:59], off, off offset:176
	;; [unrolled: 1-line block ×3, first 2 shown]
	ds_read_b128 v[208:211], v2 offset:784
	ds_read_b128 v[216:219], v2 offset:800
	;; [unrolled: 1-line block ×3, first 2 shown]
	s_waitcnt vmcnt(17) lgkmcnt(6)
	v_mul_f64 v[24:25], v[16:17], v[22:23]
	v_fmac_f64_e32 v[24:25], v[18:19], v[20:21]
	v_add_f64 v[28:29], v[24:25], 0
	scratch_load_dwordx4 v[24:27], off, off offset:96
	v_mul_f64 v[18:19], v[18:19], v[22:23]
	v_fma_f64 v[16:17], v[16:17], v[20:21], -v[18:19]
	v_add_f64 v[16:17], v[16:17], 0
	s_waitcnt vmcnt(0) lgkmcnt(5)
	v_mul_f64 v[30:31], v[12:13], v[26:27]
	v_fmac_f64_e32 v[30:31], v[14:15], v[24:25]
	v_add_f64 v[32:33], v[28:29], v[30:31]
	scratch_load_dwordx4 v[28:31], off, off offset:112
	v_mul_f64 v[14:15], v[14:15], v[26:27]
	v_fma_f64 v[12:13], v[12:13], v[24:25], -v[14:15]
	v_add_f64 v[12:13], v[16:17], v[12:13]
	;; [unrolled: 8-line block ×3, first 2 shown]
	s_waitcnt vmcnt(0) lgkmcnt(3)
	v_mul_f64 v[38:39], v[4:5], v[34:35]
	v_fmac_f64_e32 v[38:39], v[6:7], v[32:33]
	v_add_f64 v[44:45], v[36:37], v[38:39]
	ds_read_b128 v[36:39], v2 offset:560
	v_mul_f64 v[6:7], v[6:7], v[34:35]
	v_fma_f64 v[4:5], v[4:5], v[32:33], -v[6:7]
	v_add_f64 v[4:5], v[8:9], v[4:5]
	s_waitcnt lgkmcnt(0)
	v_mul_f64 v[46:47], v[36:37], v[42:43]
	v_fmac_f64_e32 v[46:47], v[38:39], v[40:41]
	v_add_f64 v[52:53], v[44:45], v[46:47]
	ds_read_b128 v[44:47], v2 offset:576
	v_mul_f64 v[6:7], v[38:39], v[42:43]
	v_fma_f64 v[6:7], v[36:37], v[40:41], -v[6:7]
	v_add_f64 v[4:5], v[4:5], v[6:7]
	s_waitcnt lgkmcnt(0)
	;; [unrolled: 8-line block ×14, first 2 shown]
	v_mul_f64 v[6:7], v[144:145], v[206:207]
	v_fma_f64 v[6:7], v[142:143], v[204:205], -v[6:7]
	v_add_f64 v[4:5], v[4:5], v[6:7]
	v_mul_f64 v[6:7], v[210:211], v[214:215]
	v_fma_f64 v[6:7], v[208:209], v[212:213], -v[6:7]
	v_add_f64 v[4:5], v[4:5], v[6:7]
	;; [unrolled: 3-line block ×4, first 2 shown]
	scratch_load_dwordx4 v[4:7], off, off offset:64
	v_mul_f64 v[146:147], v[142:143], v[206:207]
	v_fmac_f64_e32 v[146:147], v[144:145], v[204:205]
	v_add_f64 v[104:105], v[104:105], v[146:147]
	v_mul_f64 v[146:147], v[208:209], v[214:215]
	v_fmac_f64_e32 v[146:147], v[210:211], v[212:213]
	v_add_f64 v[104:105], v[104:105], v[146:147]
	v_mul_f64 v[146:147], v[216:217], v[222:223]
	v_fmac_f64_e32 v[146:147], v[218:219], v[220:221]
	v_add_f64 v[104:105], v[104:105], v[146:147]
	v_mul_f64 v[146:147], v[224:225], v[230:231]
	v_fmac_f64_e32 v[146:147], v[226:227], v[228:229]
	v_add_f64 v[104:105], v[104:105], v[146:147]
	s_waitcnt vmcnt(0)
	v_add_f64 v[4:5], v[4:5], -v[8:9]
	v_add_f64 v[6:7], v[6:7], -v[104:105]
	scratch_store_dwordx4 off, v[4:7], off offset:64
	s_and_saveexec_b64 s[2:3], vcc
	s_cbranch_execz .LBB89_163
; %bb.162:
	scratch_load_dwordx4 v[6:9], off, s41
	v_mov_b32_e32 v3, v2
	v_mov_b32_e32 v4, v2
	;; [unrolled: 1-line block ×3, first 2 shown]
	scratch_store_dwordx4 off, v[2:5], off offset:48
	s_waitcnt vmcnt(1)
	ds_write_b128 v202, v[6:9]
.LBB89_163:
	s_or_b64 exec, exec, s[2:3]
	s_waitcnt lgkmcnt(0)
	; wave barrier
	ds_read_b128 v[16:19], v2 offset:480
	ds_read_b128 v[12:15], v2 offset:496
	;; [unrolled: 1-line block ×4, first 2 shown]
	scratch_load_dwordx4 v[20:23], off, off offset:64
	scratch_load_dwordx4 v[40:43], off, off offset:128
	scratch_load_dwordx4 v[72:75], off, off offset:192
	scratch_load_dwordx4 v[80:83], off, off offset:208
	scratch_load_dwordx4 v[88:91], off, off offset:224
	scratch_load_dwordx4 v[96:99], off, off offset:240
	scratch_load_dwordx4 v[104:107], off, off offset:256
	scratch_load_dwordx4 v[112:115], off, off offset:272
	scratch_load_dwordx4 v[122:125], off, off offset:288
	scratch_load_dwordx4 v[130:133], off, off offset:304
	scratch_load_dwordx4 v[138:141], off, off offset:320
	scratch_load_dwordx4 v[204:207], off, off offset:336
	scratch_load_dwordx4 v[212:215], off, off offset:352
	scratch_load_dwordx4 v[220:223], off, off offset:368
	scratch_load_dwordx4 v[228:231], off, off offset:384
	scratch_load_dwordx4 v[236:239], off, off offset:400
	v_cmp_lt_u32_e32 vcc, 2, v1
	scratch_load_dwordx4 v[48:51], off, off offset:144
	scratch_load_dwordx4 v[56:59], off, off offset:160
	;; [unrolled: 1-line block ×3, first 2 shown]
	ds_read_b128 v[208:211], v2 offset:768
	ds_read_b128 v[216:219], v2 offset:784
	;; [unrolled: 1-line block ×4, first 2 shown]
	s_waitcnt vmcnt(18) lgkmcnt(7)
	v_mul_f64 v[24:25], v[16:17], v[22:23]
	v_fmac_f64_e32 v[24:25], v[18:19], v[20:21]
	v_add_f64 v[28:29], v[24:25], 0
	scratch_load_dwordx4 v[24:27], off, off offset:80
	s_waitcnt vmcnt(0) lgkmcnt(6)
	v_mul_f64 v[30:31], v[12:13], v[26:27]
	v_fmac_f64_e32 v[30:31], v[14:15], v[24:25]
	v_add_f64 v[32:33], v[28:29], v[30:31]
	scratch_load_dwordx4 v[28:31], off, off offset:96
	v_mul_f64 v[14:15], v[14:15], v[26:27]
	v_fma_f64 v[12:13], v[12:13], v[24:25], -v[14:15]
	s_waitcnt vmcnt(0) lgkmcnt(5)
	v_mul_f64 v[34:35], v[8:9], v[30:31]
	v_fmac_f64_e32 v[34:35], v[10:11], v[28:29]
	v_add_f64 v[36:37], v[32:33], v[34:35]
	scratch_load_dwordx4 v[32:35], off, off offset:112
	v_mul_f64 v[10:11], v[10:11], v[30:31]
	v_fma_f64 v[8:9], v[8:9], v[28:29], -v[10:11]
	s_waitcnt vmcnt(0) lgkmcnt(4)
	v_mul_f64 v[38:39], v[4:5], v[34:35]
	v_fmac_f64_e32 v[38:39], v[6:7], v[32:33]
	v_add_f64 v[44:45], v[36:37], v[38:39]
	ds_read_b128 v[36:39], v2 offset:544
	v_mul_f64 v[6:7], v[6:7], v[34:35]
	v_fma_f64 v[4:5], v[4:5], v[32:33], -v[6:7]
	s_waitcnt lgkmcnt(0)
	v_mul_f64 v[46:47], v[36:37], v[42:43]
	v_fmac_f64_e32 v[46:47], v[38:39], v[40:41]
	v_add_f64 v[52:53], v[44:45], v[46:47]
	ds_read_b128 v[44:47], v2 offset:560
	s_waitcnt lgkmcnt(0)
	v_mul_f64 v[54:55], v[44:45], v[50:51]
	v_fmac_f64_e32 v[54:55], v[46:47], v[48:49]
	v_add_f64 v[60:61], v[52:53], v[54:55]
	ds_read_b128 v[52:55], v2 offset:576
	;; [unrolled: 5-line block ×13, first 2 shown]
	v_mul_f64 v[2:3], v[232:233], v[238:239]
	v_fmac_f64_e32 v[2:3], v[234:235], v[236:237]
	s_waitcnt lgkmcnt(0)
	v_mul_f64 v[146:147], v[142:143], v[206:207]
	v_fmac_f64_e32 v[146:147], v[144:145], v[204:205]
	v_add_f64 v[120:121], v[120:121], v[146:147]
	v_mul_f64 v[146:147], v[208:209], v[214:215]
	v_fmac_f64_e32 v[146:147], v[210:211], v[212:213]
	v_add_f64 v[120:121], v[120:121], v[146:147]
	;; [unrolled: 3-line block ×4, first 2 shown]
	v_add_f64 v[120:121], v[120:121], v[2:3]
	v_mul_f64 v[2:3], v[18:19], v[22:23]
	v_fma_f64 v[2:3], v[16:17], v[20:21], -v[2:3]
	v_add_f64 v[2:3], v[2:3], 0
	v_add_f64 v[2:3], v[2:3], v[12:13]
	v_add_f64 v[2:3], v[2:3], v[8:9]
	v_add_f64 v[2:3], v[2:3], v[4:5]
	v_mul_f64 v[4:5], v[38:39], v[42:43]
	v_fma_f64 v[4:5], v[36:37], v[40:41], -v[4:5]
	v_add_f64 v[2:3], v[2:3], v[4:5]
	v_mul_f64 v[4:5], v[46:47], v[50:51]
	v_fma_f64 v[4:5], v[44:45], v[48:49], -v[4:5]
	v_add_f64 v[2:3], v[2:3], v[4:5]
	;; [unrolled: 3-line block ×18, first 2 shown]
	scratch_load_dwordx4 v[2:5], off, off offset:48
	s_waitcnt vmcnt(0)
	v_add_f64 v[2:3], v[2:3], -v[6:7]
	v_add_f64 v[4:5], v[4:5], -v[120:121]
	scratch_store_dwordx4 off, v[2:5], off offset:48
	s_and_saveexec_b64 s[2:3], vcc
	s_cbranch_execz .LBB89_165
; %bb.164:
	scratch_load_dwordx4 v[2:5], off, s42
	v_mov_b32_e32 v6, 0
	v_mov_b32_e32 v7, v6
	;; [unrolled: 1-line block ×4, first 2 shown]
	scratch_store_dwordx4 off, v[6:9], off offset:32
	s_waitcnt vmcnt(1)
	ds_write_b128 v202, v[2:5]
.LBB89_165:
	s_or_b64 exec, exec, s[2:3]
	v_mov_b32_e32 v2, 0
	s_waitcnt lgkmcnt(0)
	; wave barrier
	ds_read_b128 v[16:19], v2 offset:464
	ds_read_b128 v[12:15], v2 offset:480
	;; [unrolled: 1-line block ×4, first 2 shown]
	scratch_load_dwordx4 v[20:23], off, off offset:48
	scratch_load_dwordx4 v[40:43], off, off offset:112
	;; [unrolled: 1-line block ×17, first 2 shown]
	v_cmp_lt_u32_e32 vcc, 1, v1
	scratch_load_dwordx4 v[48:51], off, off offset:128
	scratch_load_dwordx4 v[56:59], off, off offset:144
	;; [unrolled: 1-line block ×3, first 2 shown]
	ds_read_b128 v[208:211], v2 offset:752
	ds_read_b128 v[216:219], v2 offset:768
	ds_read_b128 v[224:227], v2 offset:784
	ds_read_b128 v[232:235], v2 offset:800
	ds_read_b128 v[240:243], v2 offset:816
	s_waitcnt vmcnt(19) lgkmcnt(8)
	v_mul_f64 v[24:25], v[16:17], v[22:23]
	v_fmac_f64_e32 v[24:25], v[18:19], v[20:21]
	v_add_f64 v[28:29], v[24:25], 0
	scratch_load_dwordx4 v[24:27], off, off offset:64
	v_mul_f64 v[18:19], v[18:19], v[22:23]
	v_fma_f64 v[16:17], v[16:17], v[20:21], -v[18:19]
	v_add_f64 v[16:17], v[16:17], 0
	s_waitcnt vmcnt(0) lgkmcnt(7)
	v_mul_f64 v[30:31], v[12:13], v[26:27]
	v_fmac_f64_e32 v[30:31], v[14:15], v[24:25]
	v_add_f64 v[32:33], v[28:29], v[30:31]
	scratch_load_dwordx4 v[28:31], off, off offset:80
	v_mul_f64 v[14:15], v[14:15], v[26:27]
	v_fma_f64 v[12:13], v[12:13], v[24:25], -v[14:15]
	v_add_f64 v[12:13], v[16:17], v[12:13]
	;; [unrolled: 8-line block ×3, first 2 shown]
	s_waitcnt vmcnt(0) lgkmcnt(5)
	v_mul_f64 v[38:39], v[4:5], v[34:35]
	v_fmac_f64_e32 v[38:39], v[6:7], v[32:33]
	v_add_f64 v[44:45], v[36:37], v[38:39]
	ds_read_b128 v[36:39], v2 offset:528
	v_mul_f64 v[6:7], v[6:7], v[34:35]
	v_fma_f64 v[4:5], v[4:5], v[32:33], -v[6:7]
	v_add_f64 v[4:5], v[8:9], v[4:5]
	s_waitcnt lgkmcnt(0)
	v_mul_f64 v[46:47], v[36:37], v[42:43]
	v_fmac_f64_e32 v[46:47], v[38:39], v[40:41]
	v_add_f64 v[52:53], v[44:45], v[46:47]
	ds_read_b128 v[44:47], v2 offset:544
	v_mul_f64 v[6:7], v[38:39], v[42:43]
	v_fma_f64 v[6:7], v[36:37], v[40:41], -v[6:7]
	v_add_f64 v[4:5], v[4:5], v[6:7]
	s_waitcnt lgkmcnt(0)
	;; [unrolled: 8-line block ×14, first 2 shown]
	v_mul_f64 v[6:7], v[144:145], v[206:207]
	v_fma_f64 v[6:7], v[142:143], v[204:205], -v[6:7]
	v_add_f64 v[4:5], v[4:5], v[6:7]
	v_mul_f64 v[6:7], v[210:211], v[214:215]
	v_fma_f64 v[6:7], v[208:209], v[212:213], -v[6:7]
	v_add_f64 v[4:5], v[4:5], v[6:7]
	;; [unrolled: 3-line block ×6, first 2 shown]
	scratch_load_dwordx4 v[4:7], off, off offset:32
	v_mul_f64 v[146:147], v[142:143], v[206:207]
	v_fmac_f64_e32 v[146:147], v[144:145], v[204:205]
	v_add_f64 v[128:129], v[128:129], v[146:147]
	v_mul_f64 v[146:147], v[208:209], v[214:215]
	v_fmac_f64_e32 v[146:147], v[210:211], v[212:213]
	v_add_f64 v[128:129], v[128:129], v[146:147]
	;; [unrolled: 3-line block ×6, first 2 shown]
	s_waitcnt vmcnt(0)
	v_add_f64 v[4:5], v[4:5], -v[8:9]
	v_add_f64 v[6:7], v[6:7], -v[128:129]
	scratch_store_dwordx4 off, v[4:7], off offset:32
	s_and_saveexec_b64 s[2:3], vcc
	s_cbranch_execz .LBB89_167
; %bb.166:
	scratch_load_dwordx4 v[6:9], off, s43
	v_mov_b32_e32 v3, v2
	v_mov_b32_e32 v4, v2
	;; [unrolled: 1-line block ×3, first 2 shown]
	scratch_store_dwordx4 off, v[2:5], off offset:16
	s_waitcnt vmcnt(1)
	ds_write_b128 v202, v[6:9]
.LBB89_167:
	s_or_b64 exec, exec, s[2:3]
	s_waitcnt lgkmcnt(0)
	; wave barrier
	ds_read_b128 v[16:19], v2 offset:448
	ds_read_b128 v[12:15], v2 offset:464
	;; [unrolled: 1-line block ×4, first 2 shown]
	scratch_load_dwordx4 v[20:23], off, off offset:32
	scratch_load_dwordx4 v[40:43], off, off offset:96
	;; [unrolled: 1-line block ×18, first 2 shown]
	v_cmp_ne_u32_e32 vcc, 0, v1
	scratch_load_dwordx4 v[48:51], off, off offset:112
	scratch_load_dwordx4 v[56:59], off, off offset:128
	;; [unrolled: 1-line block ×3, first 2 shown]
	ds_read_b128 v[204:207], v2 offset:736
	ds_read_b128 v[212:215], v2 offset:752
	;; [unrolled: 1-line block ×6, first 2 shown]
	s_waitcnt vmcnt(20) lgkmcnt(9)
	v_mul_f64 v[24:25], v[16:17], v[22:23]
	v_fmac_f64_e32 v[24:25], v[18:19], v[20:21]
	v_add_f64 v[28:29], v[24:25], 0
	scratch_load_dwordx4 v[24:27], off, off offset:48
	s_waitcnt vmcnt(0) lgkmcnt(8)
	v_mul_f64 v[30:31], v[12:13], v[26:27]
	v_fmac_f64_e32 v[30:31], v[14:15], v[24:25]
	v_add_f64 v[32:33], v[28:29], v[30:31]
	scratch_load_dwordx4 v[28:31], off, off offset:64
	v_mul_f64 v[14:15], v[14:15], v[26:27]
	v_fma_f64 v[12:13], v[12:13], v[24:25], -v[14:15]
	s_waitcnt vmcnt(0) lgkmcnt(7)
	v_mul_f64 v[34:35], v[8:9], v[30:31]
	v_fmac_f64_e32 v[34:35], v[10:11], v[28:29]
	v_add_f64 v[36:37], v[32:33], v[34:35]
	scratch_load_dwordx4 v[32:35], off, off offset:80
	v_mul_f64 v[10:11], v[10:11], v[30:31]
	v_fma_f64 v[8:9], v[8:9], v[28:29], -v[10:11]
	s_waitcnt vmcnt(0) lgkmcnt(6)
	v_mul_f64 v[38:39], v[4:5], v[34:35]
	v_fmac_f64_e32 v[38:39], v[6:7], v[32:33]
	v_add_f64 v[44:45], v[36:37], v[38:39]
	ds_read_b128 v[36:39], v2 offset:512
	v_mul_f64 v[6:7], v[6:7], v[34:35]
	v_fma_f64 v[4:5], v[4:5], v[32:33], -v[6:7]
	s_waitcnt lgkmcnt(0)
	v_mul_f64 v[46:47], v[36:37], v[42:43]
	v_fmac_f64_e32 v[46:47], v[38:39], v[40:41]
	v_add_f64 v[52:53], v[44:45], v[46:47]
	ds_read_b128 v[44:47], v2 offset:528
	s_waitcnt lgkmcnt(0)
	v_mul_f64 v[54:55], v[44:45], v[50:51]
	v_fmac_f64_e32 v[54:55], v[46:47], v[48:49]
	v_add_f64 v[60:61], v[52:53], v[54:55]
	ds_read_b128 v[52:55], v2 offset:544
	;; [unrolled: 5-line block ×13, first 2 shown]
	v_mul_f64 v[2:3], v[244:245], v[250:251]
	v_fmac_f64_e32 v[2:3], v[246:247], v[248:249]
	s_waitcnt lgkmcnt(0)
	v_mul_f64 v[152:153], v[140:141], v[146:147]
	v_fmac_f64_e32 v[152:153], v[142:143], v[144:145]
	v_add_f64 v[150:151], v[150:151], v[152:153]
	v_mul_f64 v[152:153], v[204:205], v[210:211]
	v_fmac_f64_e32 v[152:153], v[206:207], v[208:209]
	v_add_f64 v[150:151], v[150:151], v[152:153]
	;; [unrolled: 3-line block ×6, first 2 shown]
	v_add_f64 v[200:201], v[150:151], v[2:3]
	v_mul_f64 v[2:3], v[18:19], v[22:23]
	v_fma_f64 v[2:3], v[16:17], v[20:21], -v[2:3]
	v_add_f64 v[2:3], v[2:3], 0
	v_add_f64 v[2:3], v[2:3], v[12:13]
	;; [unrolled: 1-line block ×4, first 2 shown]
	v_mul_f64 v[4:5], v[38:39], v[42:43]
	v_fma_f64 v[4:5], v[36:37], v[40:41], -v[4:5]
	v_add_f64 v[2:3], v[2:3], v[4:5]
	v_mul_f64 v[4:5], v[46:47], v[50:51]
	v_fma_f64 v[4:5], v[44:45], v[48:49], -v[4:5]
	v_add_f64 v[2:3], v[2:3], v[4:5]
	;; [unrolled: 3-line block ×20, first 2 shown]
	scratch_load_dwordx4 v[2:5], off, off offset:16
	s_waitcnt vmcnt(0)
	v_add_f64 v[2:3], v[2:3], -v[6:7]
	v_add_f64 v[4:5], v[4:5], -v[200:201]
	scratch_store_dwordx4 off, v[2:5], off offset:16
	s_and_saveexec_b64 s[2:3], vcc
	s_cbranch_execz .LBB89_169
; %bb.168:
	scratch_load_dwordx4 v[2:5], off, off
	v_mov_b32_e32 v6, 0
	v_mov_b32_e32 v7, v6
	;; [unrolled: 1-line block ×4, first 2 shown]
	scratch_store_dwordx4 off, v[6:9], off
	s_waitcnt vmcnt(1)
	ds_write_b128 v202, v[2:5]
.LBB89_169:
	s_or_b64 exec, exec, s[2:3]
	v_mov_b32_e32 v144, 0
	s_waitcnt lgkmcnt(0)
	; wave barrier
	ds_read_b128 v[14:17], v144 offset:432
	ds_read_b128 v[10:13], v144 offset:448
	;; [unrolled: 1-line block ×4, first 2 shown]
	scratch_load_dwordx4 v[18:21], off, off offset:16
	scratch_load_dwordx4 v[38:41], off, off offset:80
	;; [unrolled: 1-line block ×19, first 2 shown]
	s_and_b64 vcc, exec, s[14:15]
	scratch_load_dwordx4 v[46:49], off, off offset:96
	scratch_load_dwordx4 v[54:57], off, off offset:112
	;; [unrolled: 1-line block ×3, first 2 shown]
	ds_read_b128 v[204:207], v144 offset:720
	ds_read_b128 v[212:215], v144 offset:736
	ds_read_b128 v[220:223], v144 offset:752
	ds_read_b128 v[228:231], v144 offset:768
	ds_read_b128 v[236:239], v144 offset:784
	ds_read_b128 v[244:247], v144 offset:800
	ds_read_b128 v[252:255], v144 offset:816
	s_waitcnt vmcnt(21) lgkmcnt(10)
	v_mul_f64 v[22:23], v[14:15], v[20:21]
	v_fmac_f64_e32 v[22:23], v[16:17], v[18:19]
	v_add_f64 v[26:27], v[22:23], 0
	scratch_load_dwordx4 v[22:25], off, off offset:32
	v_mul_f64 v[16:17], v[16:17], v[20:21]
	v_fma_f64 v[14:15], v[14:15], v[18:19], -v[16:17]
	v_add_f64 v[14:15], v[14:15], 0
	s_waitcnt vmcnt(0) lgkmcnt(9)
	v_mul_f64 v[28:29], v[10:11], v[24:25]
	v_fmac_f64_e32 v[28:29], v[12:13], v[22:23]
	v_add_f64 v[30:31], v[26:27], v[28:29]
	scratch_load_dwordx4 v[26:29], off, off offset:48
	v_mul_f64 v[12:13], v[12:13], v[24:25]
	v_fma_f64 v[10:11], v[10:11], v[22:23], -v[12:13]
	v_add_f64 v[10:11], v[14:15], v[10:11]
	;; [unrolled: 8-line block ×3, first 2 shown]
	s_waitcnt vmcnt(0) lgkmcnt(7)
	v_mul_f64 v[36:37], v[2:3], v[32:33]
	v_fmac_f64_e32 v[36:37], v[4:5], v[30:31]
	v_add_f64 v[42:43], v[34:35], v[36:37]
	ds_read_b128 v[34:37], v144 offset:496
	v_mul_f64 v[4:5], v[4:5], v[32:33]
	v_fma_f64 v[2:3], v[2:3], v[30:31], -v[4:5]
	v_add_f64 v[2:3], v[6:7], v[2:3]
	s_waitcnt lgkmcnt(0)
	v_mul_f64 v[44:45], v[34:35], v[40:41]
	v_fmac_f64_e32 v[44:45], v[36:37], v[38:39]
	v_add_f64 v[50:51], v[42:43], v[44:45]
	ds_read_b128 v[42:45], v144 offset:512
	v_mul_f64 v[4:5], v[36:37], v[40:41]
	v_fma_f64 v[4:5], v[34:35], v[38:39], -v[4:5]
	v_add_f64 v[2:3], v[2:3], v[4:5]
	s_waitcnt lgkmcnt(0)
	v_mul_f64 v[52:53], v[42:43], v[48:49]
	v_fmac_f64_e32 v[52:53], v[44:45], v[46:47]
	v_add_f64 v[58:59], v[50:51], v[52:53]
	ds_read_b128 v[50:53], v144 offset:528
	v_mul_f64 v[4:5], v[44:45], v[48:49]
	v_fma_f64 v[4:5], v[42:43], v[46:47], -v[4:5]
	v_add_f64 v[2:3], v[2:3], v[4:5]
	s_waitcnt lgkmcnt(0)
	v_mul_f64 v[60:61], v[50:51], v[56:57]
	v_fmac_f64_e32 v[60:61], v[52:53], v[54:55]
	v_add_f64 v[66:67], v[58:59], v[60:61]
	ds_read_b128 v[58:61], v144 offset:544
	v_mul_f64 v[4:5], v[52:53], v[56:57]
	v_fma_f64 v[4:5], v[50:51], v[54:55], -v[4:5]
	v_add_f64 v[2:3], v[2:3], v[4:5]
	s_waitcnt lgkmcnt(0)
	v_mul_f64 v[68:69], v[58:59], v[64:65]
	v_fmac_f64_e32 v[68:69], v[60:61], v[62:63]
	v_add_f64 v[74:75], v[66:67], v[68:69]
	ds_read_b128 v[66:69], v144 offset:560
	v_mul_f64 v[4:5], v[60:61], v[64:65]
	v_fma_f64 v[4:5], v[58:59], v[62:63], -v[4:5]
	v_add_f64 v[2:3], v[2:3], v[4:5]
	s_waitcnt lgkmcnt(0)
	v_mul_f64 v[76:77], v[66:67], v[72:73]
	v_fmac_f64_e32 v[76:77], v[68:69], v[70:71]
	v_add_f64 v[82:83], v[74:75], v[76:77]
	ds_read_b128 v[74:77], v144 offset:576
	v_mul_f64 v[4:5], v[68:69], v[72:73]
	v_fma_f64 v[4:5], v[66:67], v[70:71], -v[4:5]
	v_add_f64 v[2:3], v[2:3], v[4:5]
	s_waitcnt lgkmcnt(0)
	v_mul_f64 v[84:85], v[74:75], v[80:81]
	v_fmac_f64_e32 v[84:85], v[76:77], v[78:79]
	v_add_f64 v[90:91], v[82:83], v[84:85]
	ds_read_b128 v[82:85], v144 offset:592
	v_mul_f64 v[4:5], v[76:77], v[80:81]
	v_fma_f64 v[4:5], v[74:75], v[78:79], -v[4:5]
	v_add_f64 v[2:3], v[2:3], v[4:5]
	s_waitcnt lgkmcnt(0)
	v_mul_f64 v[92:93], v[82:83], v[88:89]
	v_fmac_f64_e32 v[92:93], v[84:85], v[86:87]
	v_add_f64 v[98:99], v[90:91], v[92:93]
	ds_read_b128 v[90:93], v144 offset:608
	v_mul_f64 v[4:5], v[84:85], v[88:89]
	v_fma_f64 v[4:5], v[82:83], v[86:87], -v[4:5]
	v_add_f64 v[2:3], v[2:3], v[4:5]
	s_waitcnt lgkmcnt(0)
	v_mul_f64 v[100:101], v[90:91], v[96:97]
	v_fmac_f64_e32 v[100:101], v[92:93], v[94:95]
	v_add_f64 v[106:107], v[98:99], v[100:101]
	ds_read_b128 v[98:101], v144 offset:624
	v_mul_f64 v[4:5], v[92:93], v[96:97]
	v_fma_f64 v[4:5], v[90:91], v[94:95], -v[4:5]
	v_add_f64 v[2:3], v[2:3], v[4:5]
	s_waitcnt lgkmcnt(0)
	v_mul_f64 v[108:109], v[98:99], v[104:105]
	v_fmac_f64_e32 v[108:109], v[100:101], v[102:103]
	v_add_f64 v[114:115], v[106:107], v[108:109]
	ds_read_b128 v[106:109], v144 offset:640
	v_mul_f64 v[4:5], v[100:101], v[104:105]
	v_fma_f64 v[4:5], v[98:99], v[102:103], -v[4:5]
	v_add_f64 v[2:3], v[2:3], v[4:5]
	s_waitcnt lgkmcnt(0)
	v_mul_f64 v[116:117], v[106:107], v[112:113]
	v_fmac_f64_e32 v[116:117], v[108:109], v[110:111]
	v_add_f64 v[122:123], v[114:115], v[116:117]
	ds_read_b128 v[114:117], v144 offset:656
	v_mul_f64 v[4:5], v[108:109], v[112:113]
	v_fma_f64 v[4:5], v[106:107], v[110:111], -v[4:5]
	v_add_f64 v[2:3], v[2:3], v[4:5]
	s_waitcnt lgkmcnt(0)
	v_mul_f64 v[124:125], v[114:115], v[120:121]
	v_fmac_f64_e32 v[124:125], v[116:117], v[118:119]
	v_add_f64 v[130:131], v[122:123], v[124:125]
	ds_read_b128 v[122:125], v144 offset:672
	v_mul_f64 v[4:5], v[116:117], v[120:121]
	v_fma_f64 v[4:5], v[114:115], v[118:119], -v[4:5]
	v_add_f64 v[2:3], v[2:3], v[4:5]
	s_waitcnt lgkmcnt(0)
	v_mul_f64 v[132:133], v[122:123], v[128:129]
	v_fmac_f64_e32 v[132:133], v[124:125], v[126:127]
	v_add_f64 v[138:139], v[130:131], v[132:133]
	ds_read_b128 v[130:133], v144 offset:688
	v_mul_f64 v[4:5], v[124:125], v[128:129]
	v_fma_f64 v[4:5], v[122:123], v[126:127], -v[4:5]
	v_add_f64 v[2:3], v[2:3], v[4:5]
	s_waitcnt lgkmcnt(0)
	v_mul_f64 v[140:141], v[130:131], v[136:137]
	v_fmac_f64_e32 v[140:141], v[132:133], v[134:135]
	v_add_f64 v[142:143], v[138:139], v[140:141]
	ds_read_b128 v[138:141], v144 offset:704
	v_mul_f64 v[4:5], v[132:133], v[136:137]
	v_fma_f64 v[4:5], v[130:131], v[134:135], -v[4:5]
	v_add_f64 v[2:3], v[2:3], v[4:5]
	s_waitcnt lgkmcnt(0)
	v_mul_f64 v[4:5], v[140:141], v[202:203]
	v_fma_f64 v[4:5], v[138:139], v[200:201], -v[4:5]
	v_add_f64 v[2:3], v[2:3], v[4:5]
	v_mul_f64 v[4:5], v[206:207], v[210:211]
	v_fma_f64 v[4:5], v[204:205], v[208:209], -v[4:5]
	v_add_f64 v[2:3], v[2:3], v[4:5]
	;; [unrolled: 3-line block ×8, first 2 shown]
	scratch_load_dwordx4 v[2:5], off, off
	v_mul_f64 v[146:147], v[138:139], v[202:203]
	v_fmac_f64_e32 v[146:147], v[140:141], v[200:201]
	v_add_f64 v[142:143], v[142:143], v[146:147]
	v_mul_f64 v[146:147], v[204:205], v[210:211]
	v_fmac_f64_e32 v[146:147], v[206:207], v[208:209]
	v_add_f64 v[142:143], v[142:143], v[146:147]
	v_mul_f64 v[146:147], v[212:213], v[218:219]
	v_fmac_f64_e32 v[146:147], v[214:215], v[216:217]
	v_add_f64 v[142:143], v[142:143], v[146:147]
	v_mul_f64 v[146:147], v[220:221], v[226:227]
	v_fmac_f64_e32 v[146:147], v[222:223], v[224:225]
	v_add_f64 v[142:143], v[142:143], v[146:147]
	v_mul_f64 v[146:147], v[228:229], v[234:235]
	v_fmac_f64_e32 v[146:147], v[230:231], v[232:233]
	v_add_f64 v[142:143], v[142:143], v[146:147]
	v_mul_f64 v[146:147], v[236:237], v[242:243]
	v_fmac_f64_e32 v[146:147], v[238:239], v[240:241]
	v_add_f64 v[142:143], v[142:143], v[146:147]
	v_mul_f64 v[146:147], v[244:245], v[250:251]
	v_fmac_f64_e32 v[146:147], v[246:247], v[248:249]
	v_add_f64 v[142:143], v[142:143], v[146:147]
	v_mul_f64 v[146:147], v[252:253], v[152:153]
	v_fmac_f64_e32 v[146:147], v[254:255], v[150:151]
	v_add_f64 v[142:143], v[142:143], v[146:147]
	s_waitcnt vmcnt(0)
	v_add_f64 v[2:3], v[2:3], -v[6:7]
	v_add_f64 v[4:5], v[4:5], -v[142:143]
	scratch_store_dwordx4 off, v[2:5], off
	s_cbranch_vccz .LBB89_220
; %bb.170:
	global_load_dword v2, v144, s[12:13] offset:96
	s_load_dwordx2 s[2:3], s[0:1], 0x4
	v_bfe_u32 v3, v0, 10, 10
	v_bfe_u32 v0, v0, 20, 10
	s_waitcnt lgkmcnt(0)
	s_lshr_b32 s0, s2, 16
	s_mul_i32 s0, s0, s3
	v_mul_u32_u24_e32 v1, s0, v1
	v_mul_u32_u24_e32 v3, s3, v3
	v_add3_u32 v0, v1, v3, v0
	v_mov_b32_e32 v1, 0x348
	v_lshl_add_u32 v0, v0, 4, v1
	s_waitcnt vmcnt(0)
	v_readfirstlane_b32 s0, v2
	s_add_i32 s0, s0, -1
	s_cmp_lg_u32 s0, 24
	s_cbranch_scc0 .LBB89_172
; %bb.171:
	s_lshl_b32 s0, s0, 4
	scratch_load_dwordx4 v[2:5], off, s19
	scratch_load_dwordx4 v[6:9], off, s0
	s_waitcnt vmcnt(1)
	ds_write2_b64 v0, v[2:3], v[4:5] offset1:1
	s_waitcnt vmcnt(0)
	scratch_store_dwordx4 off, v[6:9], s19
	scratch_store_dwordx4 off, v[2:5], s0
.LBB89_172:
	v_mov_b32_e32 v1, 0
	global_load_dword v2, v1, s[12:13] offset:92
	s_waitcnt vmcnt(0)
	v_readfirstlane_b32 s0, v2
	s_add_i32 s0, s0, -1
	s_cmp_eq_u32 s0, 23
	s_cbranch_scc1 .LBB89_174
; %bb.173:
	s_lshl_b32 s0, s0, 4
	scratch_load_dwordx4 v[2:5], off, s20
	scratch_load_dwordx4 v[6:9], off, s0
	s_waitcnt vmcnt(1)
	ds_write2_b64 v0, v[2:3], v[4:5] offset1:1
	s_waitcnt vmcnt(0)
	scratch_store_dwordx4 off, v[6:9], s20
	scratch_store_dwordx4 off, v[2:5], s0
.LBB89_174:
	global_load_dword v1, v1, s[12:13] offset:88
	s_waitcnt vmcnt(0)
	v_readfirstlane_b32 s0, v1
	s_add_i32 s0, s0, -1
	s_cmp_eq_u32 s0, 22
	s_cbranch_scc1 .LBB89_176
; %bb.175:
	s_lshl_b32 s0, s0, 4
	scratch_load_dwordx4 v[2:5], off, s21
	scratch_load_dwordx4 v[6:9], off, s0
	s_waitcnt vmcnt(1)
	ds_write2_b64 v0, v[2:3], v[4:5] offset1:1
	s_waitcnt vmcnt(0)
	scratch_store_dwordx4 off, v[6:9], s21
	scratch_store_dwordx4 off, v[2:5], s0
.LBB89_176:
	v_mov_b32_e32 v1, 0
	global_load_dword v2, v1, s[12:13] offset:84
	s_waitcnt vmcnt(0)
	v_readfirstlane_b32 s0, v2
	s_add_i32 s0, s0, -1
	s_cmp_eq_u32 s0, 21
	s_cbranch_scc1 .LBB89_178
; %bb.177:
	s_lshl_b32 s0, s0, 4
	scratch_load_dwordx4 v[2:5], off, s22
	scratch_load_dwordx4 v[6:9], off, s0
	s_waitcnt vmcnt(1)
	ds_write2_b64 v0, v[2:3], v[4:5] offset1:1
	s_waitcnt vmcnt(0)
	scratch_store_dwordx4 off, v[6:9], s22
	scratch_store_dwordx4 off, v[2:5], s0
.LBB89_178:
	global_load_dword v1, v1, s[12:13] offset:80
	s_waitcnt vmcnt(0)
	v_readfirstlane_b32 s0, v1
	s_add_i32 s0, s0, -1
	s_cmp_eq_u32 s0, 20
	s_cbranch_scc1 .LBB89_180
; %bb.179:
	s_lshl_b32 s0, s0, 4
	scratch_load_dwordx4 v[2:5], off, s23
	scratch_load_dwordx4 v[6:9], off, s0
	s_waitcnt vmcnt(1)
	ds_write2_b64 v0, v[2:3], v[4:5] offset1:1
	s_waitcnt vmcnt(0)
	scratch_store_dwordx4 off, v[6:9], s23
	scratch_store_dwordx4 off, v[2:5], s0
.LBB89_180:
	;; [unrolled: 33-line block ×11, first 2 shown]
	v_mov_b32_e32 v1, 0
	global_load_dword v2, v1, s[12:13] offset:4
	s_waitcnt vmcnt(0)
	v_readfirstlane_b32 s0, v2
	s_add_i32 s0, s0, -1
	s_cmp_eq_u32 s0, 1
	s_cbranch_scc1 .LBB89_218
; %bb.217:
	s_lshl_b32 s0, s0, 4
	scratch_load_dwordx4 v[2:5], off, s43
	scratch_load_dwordx4 v[6:9], off, s0
	s_waitcnt vmcnt(1)
	ds_write2_b64 v0, v[2:3], v[4:5] offset1:1
	s_waitcnt vmcnt(0)
	scratch_store_dwordx4 off, v[6:9], s43
	scratch_store_dwordx4 off, v[2:5], s0
.LBB89_218:
	global_load_dword v1, v1, s[12:13]
	s_waitcnt vmcnt(0)
	v_readfirstlane_b32 s0, v1
	s_add_i32 s0, s0, -1
	s_cmp_eq_u32 s0, 0
	s_cbranch_scc1 .LBB89_220
; %bb.219:
	s_lshl_b32 s0, s0, 4
	scratch_load_dwordx4 v[2:5], off, off
	scratch_load_dwordx4 v[6:9], off, s0
	s_waitcnt vmcnt(1)
	ds_write2_b64 v0, v[2:3], v[4:5] offset1:1
	s_waitcnt vmcnt(0)
	scratch_store_dwordx4 off, v[6:9], off
	scratch_store_dwordx4 off, v[2:5], s0
.LBB89_220:
	scratch_load_dwordx4 v[0:3], off, off
	s_nop 0
	v_accvgpr_read_b32 v5, a1
	v_accvgpr_read_b32 v4, a0
	s_waitcnt vmcnt(0)
	flat_store_dwordx4 v[148:149], v[0:3]
	scratch_load_dwordx4 v[0:3], off, s43
	s_waitcnt vmcnt(0)
	flat_store_dwordx4 v[4:5], v[0:3]
	scratch_load_dwordx4 v[0:3], off, s42
	v_accvgpr_read_b32 v5, a3
	v_accvgpr_read_b32 v4, a2
	s_waitcnt vmcnt(0)
	flat_store_dwordx4 v[4:5], v[0:3]
	scratch_load_dwordx4 v[0:3], off, s41
	s_waitcnt vmcnt(0)
	flat_store_dwordx4 v[154:155], v[0:3]
	scratch_load_dwordx4 v[0:3], off, s40
	;; [unrolled: 3-line block ×23, first 2 shown]
	s_waitcnt vmcnt(0)
	flat_store_dwordx4 v[198:199], v[0:3]
	s_endpgm
	.section	.rodata,"a",@progbits
	.p2align	6, 0x0
	.amdhsa_kernel _ZN9rocsolver6v33100L18getri_kernel_smallILi26E19rocblas_complex_numIdEPKPS3_EEvT1_iilPiilS8_bb
		.amdhsa_group_segment_fixed_size 1864
		.amdhsa_private_segment_fixed_size 432
		.amdhsa_kernarg_size 60
		.amdhsa_user_sgpr_count 4
		.amdhsa_user_sgpr_dispatch_ptr 1
		.amdhsa_user_sgpr_queue_ptr 0
		.amdhsa_user_sgpr_kernarg_segment_ptr 1
		.amdhsa_user_sgpr_dispatch_id 0
		.amdhsa_user_sgpr_kernarg_preload_length 0
		.amdhsa_user_sgpr_kernarg_preload_offset 0
		.amdhsa_user_sgpr_private_segment_size 0
		.amdhsa_uses_dynamic_stack 0
		.amdhsa_enable_private_segment 1
		.amdhsa_system_sgpr_workgroup_id_x 1
		.amdhsa_system_sgpr_workgroup_id_y 0
		.amdhsa_system_sgpr_workgroup_id_z 0
		.amdhsa_system_sgpr_workgroup_info 0
		.amdhsa_system_vgpr_workitem_id 2
		.amdhsa_next_free_vgpr 260
		.amdhsa_next_free_sgpr 51
		.amdhsa_accum_offset 256
		.amdhsa_reserve_vcc 1
		.amdhsa_float_round_mode_32 0
		.amdhsa_float_round_mode_16_64 0
		.amdhsa_float_denorm_mode_32 3
		.amdhsa_float_denorm_mode_16_64 3
		.amdhsa_dx10_clamp 1
		.amdhsa_ieee_mode 1
		.amdhsa_fp16_overflow 0
		.amdhsa_tg_split 0
		.amdhsa_exception_fp_ieee_invalid_op 0
		.amdhsa_exception_fp_denorm_src 0
		.amdhsa_exception_fp_ieee_div_zero 0
		.amdhsa_exception_fp_ieee_overflow 0
		.amdhsa_exception_fp_ieee_underflow 0
		.amdhsa_exception_fp_ieee_inexact 0
		.amdhsa_exception_int_div_zero 0
	.end_amdhsa_kernel
	.section	.text._ZN9rocsolver6v33100L18getri_kernel_smallILi26E19rocblas_complex_numIdEPKPS3_EEvT1_iilPiilS8_bb,"axG",@progbits,_ZN9rocsolver6v33100L18getri_kernel_smallILi26E19rocblas_complex_numIdEPKPS3_EEvT1_iilPiilS8_bb,comdat
.Lfunc_end89:
	.size	_ZN9rocsolver6v33100L18getri_kernel_smallILi26E19rocblas_complex_numIdEPKPS3_EEvT1_iilPiilS8_bb, .Lfunc_end89-_ZN9rocsolver6v33100L18getri_kernel_smallILi26E19rocblas_complex_numIdEPKPS3_EEvT1_iilPiilS8_bb
                                        ; -- End function
	.set _ZN9rocsolver6v33100L18getri_kernel_smallILi26E19rocblas_complex_numIdEPKPS3_EEvT1_iilPiilS8_bb.num_vgpr, 256
	.set _ZN9rocsolver6v33100L18getri_kernel_smallILi26E19rocblas_complex_numIdEPKPS3_EEvT1_iilPiilS8_bb.num_agpr, 4
	.set _ZN9rocsolver6v33100L18getri_kernel_smallILi26E19rocblas_complex_numIdEPKPS3_EEvT1_iilPiilS8_bb.numbered_sgpr, 51
	.set _ZN9rocsolver6v33100L18getri_kernel_smallILi26E19rocblas_complex_numIdEPKPS3_EEvT1_iilPiilS8_bb.num_named_barrier, 0
	.set _ZN9rocsolver6v33100L18getri_kernel_smallILi26E19rocblas_complex_numIdEPKPS3_EEvT1_iilPiilS8_bb.private_seg_size, 432
	.set _ZN9rocsolver6v33100L18getri_kernel_smallILi26E19rocblas_complex_numIdEPKPS3_EEvT1_iilPiilS8_bb.uses_vcc, 1
	.set _ZN9rocsolver6v33100L18getri_kernel_smallILi26E19rocblas_complex_numIdEPKPS3_EEvT1_iilPiilS8_bb.uses_flat_scratch, 0
	.set _ZN9rocsolver6v33100L18getri_kernel_smallILi26E19rocblas_complex_numIdEPKPS3_EEvT1_iilPiilS8_bb.has_dyn_sized_stack, 0
	.set _ZN9rocsolver6v33100L18getri_kernel_smallILi26E19rocblas_complex_numIdEPKPS3_EEvT1_iilPiilS8_bb.has_recursion, 0
	.set _ZN9rocsolver6v33100L18getri_kernel_smallILi26E19rocblas_complex_numIdEPKPS3_EEvT1_iilPiilS8_bb.has_indirect_call, 0
	.section	.AMDGPU.csdata,"",@progbits
; Kernel info:
; codeLenInByte = 33316
; TotalNumSgprs: 57
; NumVgprs: 256
; NumAgprs: 4
; TotalNumVgprs: 260
; ScratchSize: 432
; MemoryBound: 0
; FloatMode: 240
; IeeeMode: 1
; LDSByteSize: 1864 bytes/workgroup (compile time only)
; SGPRBlocks: 7
; VGPRBlocks: 32
; NumSGPRsForWavesPerEU: 57
; NumVGPRsForWavesPerEU: 260
; AccumOffset: 256
; Occupancy: 1
; WaveLimiterHint : 1
; COMPUTE_PGM_RSRC2:SCRATCH_EN: 1
; COMPUTE_PGM_RSRC2:USER_SGPR: 4
; COMPUTE_PGM_RSRC2:TRAP_HANDLER: 0
; COMPUTE_PGM_RSRC2:TGID_X_EN: 1
; COMPUTE_PGM_RSRC2:TGID_Y_EN: 0
; COMPUTE_PGM_RSRC2:TGID_Z_EN: 0
; COMPUTE_PGM_RSRC2:TIDIG_COMP_CNT: 2
; COMPUTE_PGM_RSRC3_GFX90A:ACCUM_OFFSET: 63
; COMPUTE_PGM_RSRC3_GFX90A:TG_SPLIT: 0
	.section	.text._ZN9rocsolver6v33100L18getri_kernel_smallILi27E19rocblas_complex_numIdEPKPS3_EEvT1_iilPiilS8_bb,"axG",@progbits,_ZN9rocsolver6v33100L18getri_kernel_smallILi27E19rocblas_complex_numIdEPKPS3_EEvT1_iilPiilS8_bb,comdat
	.globl	_ZN9rocsolver6v33100L18getri_kernel_smallILi27E19rocblas_complex_numIdEPKPS3_EEvT1_iilPiilS8_bb ; -- Begin function _ZN9rocsolver6v33100L18getri_kernel_smallILi27E19rocblas_complex_numIdEPKPS3_EEvT1_iilPiilS8_bb
	.p2align	8
	.type	_ZN9rocsolver6v33100L18getri_kernel_smallILi27E19rocblas_complex_numIdEPKPS3_EEvT1_iilPiilS8_bb,@function
_ZN9rocsolver6v33100L18getri_kernel_smallILi27E19rocblas_complex_numIdEPKPS3_EEvT1_iilPiilS8_bb: ; @_ZN9rocsolver6v33100L18getri_kernel_smallILi27E19rocblas_complex_numIdEPKPS3_EEvT1_iilPiilS8_bb
; %bb.0:
	v_and_b32_e32 v1, 0x3ff, v0
	v_cmp_gt_u32_e32 vcc, 27, v1
	s_and_saveexec_b64 s[6:7], vcc
	s_cbranch_execz .LBB90_122
; %bb.1:
	s_load_dword s18, s[2:3], 0x38
	s_load_dwordx2 s[6:7], s[2:3], 0x0
	s_load_dwordx4 s[8:11], s[2:3], 0x28
	s_waitcnt lgkmcnt(0)
	s_bitcmp1_b32 s18, 8
	s_cselect_b64 s[14:15], -1, 0
	s_ashr_i32 s5, s4, 31
	s_lshl_b64 s[12:13], s[4:5], 3
	s_add_u32 s6, s6, s12
	s_addc_u32 s7, s7, s13
	s_load_dwordx2 s[16:17], s[6:7], 0x0
	s_bfe_u32 s6, s18, 0x10008
	s_cmp_eq_u32 s6, 0
                                        ; implicit-def: $sgpr12_sgpr13
	s_cbranch_scc1 .LBB90_3
; %bb.2:
	s_load_dword s6, s[2:3], 0x20
	s_load_dwordx2 s[12:13], s[2:3], 0x18
	s_mul_i32 s7, s8, s5
	s_mul_hi_u32 s18, s8, s4
	s_add_i32 s18, s18, s7
	s_mul_i32 s9, s9, s4
	s_add_i32 s9, s18, s9
	s_mul_i32 s8, s8, s4
	s_waitcnt lgkmcnt(0)
	s_ashr_i32 s7, s6, 31
	s_lshl_b64 s[8:9], s[8:9], 2
	s_add_u32 s8, s12, s8
	s_addc_u32 s9, s13, s9
	s_lshl_b64 s[6:7], s[6:7], 2
	s_add_u32 s12, s8, s6
	s_addc_u32 s13, s9, s7
.LBB90_3:
	s_load_dwordx2 s[6:7], s[2:3], 0x8
	s_load_dword s8, s[2:3], 0x38
	v_lshlrev_b32_e32 v14, 4, v1
	v_mov_b32_e32 v15, 0
	s_movk_i32 s45, 0x140
	s_waitcnt lgkmcnt(0)
	s_ashr_i32 s3, s6, 31
	s_mov_b32 s2, s6
	s_lshl_b64 s[2:3], s[2:3], 4
	s_add_u32 s2, s16, s2
	s_addc_u32 s3, s17, s3
	v_lshl_add_u64 v[168:169], s[2:3], 0, v[14:15]
	flat_load_dwordx4 v[2:5], v[168:169]
	s_mov_b32 s16, s7
	s_ashr_i32 s17, s7, 31
	v_lshl_add_u64 v[6:7], s[16:17], 4, v[168:169]
	v_accvgpr_write_b32 a0, v6
	s_add_i32 s6, s7, s7
	v_accvgpr_write_b32 a1, v7
	s_movk_i32 s46, 0x150
	s_movk_i32 s47, 0x160
	;; [unrolled: 1-line block ×21, first 2 shown]
	s_mov_b32 s44, 16
	s_mov_b32 s43, 32
	;; [unrolled: 1-line block ×11, first 2 shown]
	s_bitcmp0_b32 s8, 0
	s_waitcnt vmcnt(0) lgkmcnt(0)
	scratch_store_dwordx4 off, v[2:5], off
	flat_load_dwordx4 v[2:5], v[6:7]
	v_add_u32_e32 v6, s6, v1
	v_ashrrev_i32_e32 v7, 31, v6
	v_lshl_add_u64 v[8:9], v[6:7], 4, s[2:3]
	v_add_u32_e32 v6, s7, v6
	v_accvgpr_write_b32 a2, v8
	v_ashrrev_i32_e32 v7, 31, v6
	v_accvgpr_write_b32 a3, v9
	s_waitcnt vmcnt(0) lgkmcnt(0)
	scratch_store_dwordx4 off, v[2:5], off offset:16
	flat_load_dwordx4 v[2:5], v[8:9]
	v_lshl_add_u64 v[8:9], v[6:7], 4, s[2:3]
	v_add_u32_e32 v6, s7, v6
	v_accvgpr_write_b32 a4, v8
	v_ashrrev_i32_e32 v7, 31, v6
	v_accvgpr_write_b32 a5, v9
	s_waitcnt vmcnt(0) lgkmcnt(0)
	scratch_store_dwordx4 off, v[2:5], off offset:32
	flat_load_dwordx4 v[2:5], v[8:9]
	;; [unrolled: 8-line block ×4, first 2 shown]
	v_lshl_add_u64 v[8:9], v[6:7], 4, s[2:3]
	v_add_u32_e32 v6, s7, v6
	v_ashrrev_i32_e32 v7, 31, v6
	v_lshl_add_u64 v[182:183], v[6:7], 4, s[2:3]
	v_add_u32_e32 v6, s7, v6
	v_ashrrev_i32_e32 v7, 31, v6
	;; [unrolled: 3-line block ×20, first 2 shown]
	v_lshl_add_u64 v[220:221], v[6:7], 4, s[2:3]
	v_accvgpr_write_b32 a11, v9
	v_accvgpr_write_b32 a10, v8
	s_mov_b64 s[6:7], -1
	s_waitcnt vmcnt(0) lgkmcnt(0)
	scratch_store_dwordx4 off, v[2:5], off offset:80
	flat_load_dwordx4 v[2:5], v[8:9]
	s_waitcnt vmcnt(0) lgkmcnt(0)
	scratch_store_dwordx4 off, v[2:5], off offset:96
	flat_load_dwordx4 v[2:5], v[182:183]
	;; [unrolled: 3-line block ×21, first 2 shown]
	s_waitcnt vmcnt(0) lgkmcnt(0)
	scratch_store_dwordx4 off, v[2:5], off offset:416
	s_cbranch_scc1 .LBB90_120
; %bb.4:
	v_cmp_eq_u32_e64 s[2:3], 0, v1
	s_and_saveexec_b64 s[6:7], s[2:3]
; %bb.5:
	v_mov_b32_e32 v2, 0
	ds_write_b32 v2, v2 offset:864
; %bb.6:
	s_or_b64 exec, exec, s[6:7]
	s_waitcnt lgkmcnt(0)
	; wave barrier
	scratch_load_dwordx4 v[2:5], v14, off
	s_waitcnt vmcnt(0)
	v_cmp_eq_f64_e32 vcc, 0, v[2:3]
	v_cmp_eq_f64_e64 s[6:7], 0, v[4:5]
	s_and_b64 s[6:7], vcc, s[6:7]
	s_and_saveexec_b64 s[8:9], s[6:7]
	s_cbranch_execz .LBB90_10
; %bb.7:
	v_mov_b32_e32 v2, 0
	ds_read_b32 v4, v2 offset:864
	v_add_u32_e32 v3, 1, v1
	s_waitcnt lgkmcnt(0)
	v_readfirstlane_b32 s6, v4
	s_cmp_eq_u32 s6, 0
	s_cselect_b64 s[16:17], -1, 0
	v_cmp_gt_i32_e32 vcc, s6, v3
	s_or_b64 s[16:17], s[16:17], vcc
	s_and_b64 exec, exec, s[16:17]
	s_cbranch_execz .LBB90_10
; %bb.8:
	s_mov_b64 s[16:17], 0
	v_mov_b32_e32 v4, s6
.LBB90_9:                               ; =>This Inner Loop Header: Depth=1
	ds_cmpst_rtn_b32 v4, v2, v4, v3 offset:864
	s_waitcnt lgkmcnt(0)
	v_cmp_ne_u32_e32 vcc, 0, v4
	v_cmp_le_i32_e64 s[6:7], v4, v3
	s_and_b64 s[6:7], vcc, s[6:7]
	s_and_b64 s[6:7], exec, s[6:7]
	s_or_b64 s[16:17], s[6:7], s[16:17]
	s_andn2_b64 exec, exec, s[16:17]
	s_cbranch_execnz .LBB90_9
.LBB90_10:
	s_or_b64 exec, exec, s[8:9]
	v_mov_b32_e32 v3, 0
	; wave barrier
	ds_read_b32 v2, v3 offset:864
	s_and_saveexec_b64 s[6:7], s[2:3]
	s_cbranch_execz .LBB90_12
; %bb.11:
	s_lshl_b64 s[8:9], s[4:5], 2
	s_add_u32 s8, s10, s8
	s_addc_u32 s9, s11, s9
	s_waitcnt lgkmcnt(0)
	global_store_dword v3, v2, s[8:9]
.LBB90_12:
	s_or_b64 exec, exec, s[6:7]
	s_waitcnt lgkmcnt(0)
	v_cmp_ne_u32_e32 vcc, 0, v2
	s_mov_b64 s[6:7], 0
	s_cbranch_vccnz .LBB90_120
; %bb.13:
	v_mov_b32_e32 v15, v14
	scratch_load_dwordx4 v[2:5], v15, off
                                        ; implicit-def: $vgpr6_vgpr7
                                        ; implicit-def: $vgpr10_vgpr11
	s_waitcnt vmcnt(0)
	v_cmp_ngt_f64_e64 s[6:7], |v[2:3]|, |v[4:5]|
	s_and_saveexec_b64 s[8:9], s[6:7]
	s_xor_b64 s[6:7], exec, s[8:9]
	s_cbranch_execz .LBB90_15
; %bb.14:
	v_div_scale_f64 v[6:7], s[8:9], v[4:5], v[4:5], v[2:3]
	v_rcp_f64_e32 v[8:9], v[6:7]
	v_div_scale_f64 v[10:11], vcc, v[2:3], v[4:5], v[2:3]
	v_fma_f64 v[12:13], -v[6:7], v[8:9], 1.0
	v_fmac_f64_e32 v[8:9], v[8:9], v[12:13]
	v_fma_f64 v[12:13], -v[6:7], v[8:9], 1.0
	v_fmac_f64_e32 v[8:9], v[8:9], v[12:13]
	v_mul_f64 v[12:13], v[10:11], v[8:9]
	v_fma_f64 v[6:7], -v[6:7], v[12:13], v[10:11]
	v_div_fmas_f64 v[6:7], v[6:7], v[8:9], v[12:13]
	v_div_fixup_f64 v[6:7], v[6:7], v[4:5], v[2:3]
	v_fmac_f64_e32 v[4:5], v[2:3], v[6:7]
	v_div_scale_f64 v[2:3], s[8:9], v[4:5], v[4:5], 1.0
	v_rcp_f64_e32 v[8:9], v[2:3]
	s_nop 0
	v_fma_f64 v[10:11], -v[2:3], v[8:9], 1.0
	v_fmac_f64_e32 v[8:9], v[8:9], v[10:11]
	v_fma_f64 v[10:11], -v[2:3], v[8:9], 1.0
	v_fmac_f64_e32 v[8:9], v[8:9], v[10:11]
	v_div_scale_f64 v[10:11], vcc, 1.0, v[4:5], 1.0
	v_mul_f64 v[12:13], v[10:11], v[8:9]
	v_fma_f64 v[2:3], -v[2:3], v[12:13], v[10:11]
	s_nop 1
	v_div_fmas_f64 v[2:3], v[2:3], v[8:9], v[12:13]
	v_div_fixup_f64 v[8:9], v[2:3], v[4:5], 1.0
	v_mul_f64 v[6:7], v[6:7], v[8:9]
	v_xor_b32_e32 v9, 0x80000000, v9
	v_xor_b32_e32 v11, 0x80000000, v7
	v_mov_b32_e32 v10, v6
                                        ; implicit-def: $vgpr2_vgpr3
.LBB90_15:
	s_andn2_saveexec_b64 s[6:7], s[6:7]
	s_cbranch_execz .LBB90_17
; %bb.16:
	v_div_scale_f64 v[6:7], s[8:9], v[2:3], v[2:3], v[4:5]
	v_rcp_f64_e32 v[8:9], v[6:7]
	v_div_scale_f64 v[10:11], vcc, v[4:5], v[2:3], v[4:5]
	v_fma_f64 v[12:13], -v[6:7], v[8:9], 1.0
	v_fmac_f64_e32 v[8:9], v[8:9], v[12:13]
	v_fma_f64 v[12:13], -v[6:7], v[8:9], 1.0
	v_fmac_f64_e32 v[8:9], v[8:9], v[12:13]
	v_mul_f64 v[12:13], v[10:11], v[8:9]
	v_fma_f64 v[6:7], -v[6:7], v[12:13], v[10:11]
	v_div_fmas_f64 v[6:7], v[6:7], v[8:9], v[12:13]
	v_div_fixup_f64 v[8:9], v[6:7], v[2:3], v[4:5]
	v_fmac_f64_e32 v[2:3], v[4:5], v[8:9]
	v_div_scale_f64 v[4:5], s[8:9], v[2:3], v[2:3], 1.0
	v_rcp_f64_e32 v[6:7], v[4:5]
	s_nop 0
	v_fma_f64 v[10:11], -v[4:5], v[6:7], 1.0
	v_fmac_f64_e32 v[6:7], v[6:7], v[10:11]
	v_fma_f64 v[10:11], -v[4:5], v[6:7], 1.0
	v_fmac_f64_e32 v[6:7], v[6:7], v[10:11]
	v_div_scale_f64 v[10:11], vcc, 1.0, v[2:3], 1.0
	v_mul_f64 v[12:13], v[10:11], v[6:7]
	v_fma_f64 v[4:5], -v[4:5], v[12:13], v[10:11]
	s_nop 1
	v_div_fmas_f64 v[4:5], v[4:5], v[6:7], v[12:13]
	v_div_fixup_f64 v[6:7], v[4:5], v[2:3], 1.0
	v_xor_b32_e32 v11, 0x80000000, v7
	v_mov_b32_e32 v10, v6
	v_mul_f64 v[8:9], v[8:9], -v[6:7]
.LBB90_17:
	s_or_b64 exec, exec, s[6:7]
	scratch_store_dwordx4 v15, v[6:9], off
	scratch_load_dwordx4 v[2:5], off, s44
	v_xor_b32_e32 v13, 0x80000000, v9
	v_mov_b32_e32 v12, v8
	v_add_u32_e32 v6, 0x1b0, v14
	ds_write_b128 v14, v[10:13]
	s_waitcnt vmcnt(0)
	ds_write_b128 v14, v[2:5] offset:432
	s_waitcnt lgkmcnt(0)
	; wave barrier
	s_and_saveexec_b64 s[6:7], s[2:3]
	s_cbranch_execz .LBB90_19
; %bb.18:
	scratch_load_dwordx4 v[2:5], v15, off
	ds_read_b128 v[8:11], v6
	v_mov_b32_e32 v7, 0
	ds_read_b128 v[16:19], v7 offset:16
	s_waitcnt vmcnt(0) lgkmcnt(1)
	v_mul_f64 v[12:13], v[10:11], v[4:5]
	v_mul_f64 v[4:5], v[8:9], v[4:5]
	v_fma_f64 v[8:9], v[8:9], v[2:3], -v[12:13]
	v_fmac_f64_e32 v[4:5], v[10:11], v[2:3]
	v_add_f64 v[2:3], v[8:9], 0
	v_add_f64 v[8:9], v[4:5], 0
	s_waitcnt lgkmcnt(0)
	v_mul_f64 v[10:11], v[8:9], v[18:19]
	v_mul_f64 v[4:5], v[2:3], v[18:19]
	v_fma_f64 v[2:3], v[2:3], v[16:17], -v[10:11]
	v_fmac_f64_e32 v[4:5], v[8:9], v[16:17]
	scratch_store_dwordx4 off, v[2:5], off offset:16
.LBB90_19:
	s_or_b64 exec, exec, s[6:7]
	; wave barrier
	scratch_load_dwordx4 v[2:5], off, s43
	v_cmp_gt_u32_e32 vcc, 2, v1
	s_waitcnt vmcnt(0)
	ds_write_b128 v6, v[2:5]
	s_waitcnt lgkmcnt(0)
	; wave barrier
	s_and_saveexec_b64 s[6:7], vcc
	s_cbranch_execz .LBB90_23
; %bb.20:
	scratch_load_dwordx4 v[2:5], v15, off
	ds_read_b128 v[8:11], v6
	s_waitcnt vmcnt(0) lgkmcnt(0)
	v_mul_f64 v[12:13], v[10:11], v[4:5]
	v_mul_f64 v[16:17], v[8:9], v[4:5]
	v_fma_f64 v[4:5], v[8:9], v[2:3], -v[12:13]
	v_fmac_f64_e32 v[16:17], v[10:11], v[2:3]
	v_add_f64 v[4:5], v[4:5], 0
	v_add_f64 v[2:3], v[16:17], 0
	s_and_saveexec_b64 s[8:9], s[2:3]
	s_cbranch_execz .LBB90_22
; %bb.21:
	scratch_load_dwordx4 v[8:11], off, off offset:16
	v_mov_b32_e32 v7, 0
	ds_read_b128 v[16:19], v7 offset:448
	s_waitcnt vmcnt(0) lgkmcnt(0)
	v_mul_f64 v[12:13], v[16:17], v[10:11]
	v_mul_f64 v[10:11], v[18:19], v[10:11]
	v_fmac_f64_e32 v[12:13], v[18:19], v[8:9]
	v_fma_f64 v[8:9], v[16:17], v[8:9], -v[10:11]
	v_add_f64 v[2:3], v[2:3], v[12:13]
	v_add_f64 v[4:5], v[4:5], v[8:9]
.LBB90_22:
	s_or_b64 exec, exec, s[8:9]
	v_mov_b32_e32 v7, 0
	ds_read_b128 v[8:11], v7 offset:32
	s_waitcnt lgkmcnt(0)
	v_mul_f64 v[16:17], v[2:3], v[10:11]
	v_mul_f64 v[12:13], v[4:5], v[10:11]
	v_fma_f64 v[10:11], v[4:5], v[8:9], -v[16:17]
	v_fmac_f64_e32 v[12:13], v[2:3], v[8:9]
	scratch_store_dwordx4 off, v[10:13], off offset:32
.LBB90_23:
	s_or_b64 exec, exec, s[6:7]
	; wave barrier
	scratch_load_dwordx4 v[2:5], off, s42
	v_cmp_gt_u32_e32 vcc, 3, v1
	v_add_u32_e32 v7, -1, v1
	s_waitcnt vmcnt(0)
	ds_write_b128 v6, v[2:5]
	s_waitcnt lgkmcnt(0)
	; wave barrier
	s_and_saveexec_b64 s[2:3], vcc
	s_cbranch_execz .LBB90_27
; %bb.24:
	v_add_u32_e32 v8, -1, v1
	v_add_u32_e32 v9, 0x1b0, v14
	v_mov_b32_e32 v10, v14
	v_mov_b64_e32 v[2:3], 0
	s_mov_b64 s[6:7], 0
	v_mov_b64_e32 v[4:5], 0
.LBB90_25:                              ; =>This Inner Loop Header: Depth=1
	scratch_load_dwordx4 v[16:19], v10, off
	ds_read_b128 v[20:23], v9
	v_add_u32_e32 v8, 1, v8
	v_cmp_lt_u32_e32 vcc, 1, v8
	v_add_u32_e32 v9, 16, v9
	v_add_u32_e32 v10, 16, v10
	s_or_b64 s[6:7], vcc, s[6:7]
	s_waitcnt vmcnt(0) lgkmcnt(0)
	v_mul_f64 v[12:13], v[22:23], v[18:19]
	v_mul_f64 v[18:19], v[20:21], v[18:19]
	v_fma_f64 v[12:13], v[20:21], v[16:17], -v[12:13]
	v_fmac_f64_e32 v[18:19], v[22:23], v[16:17]
	v_add_f64 v[4:5], v[4:5], v[12:13]
	v_add_f64 v[2:3], v[2:3], v[18:19]
	s_andn2_b64 exec, exec, s[6:7]
	s_cbranch_execnz .LBB90_25
; %bb.26:
	s_or_b64 exec, exec, s[6:7]
	v_mov_b32_e32 v8, 0
	ds_read_b128 v[8:11], v8 offset:48
	s_waitcnt lgkmcnt(0)
	v_mul_f64 v[16:17], v[2:3], v[10:11]
	v_mul_f64 v[12:13], v[4:5], v[10:11]
	v_fma_f64 v[10:11], v[4:5], v[8:9], -v[16:17]
	v_fmac_f64_e32 v[12:13], v[2:3], v[8:9]
	scratch_store_dwordx4 off, v[10:13], off offset:48
.LBB90_27:
	s_or_b64 exec, exec, s[2:3]
	; wave barrier
	scratch_load_dwordx4 v[2:5], off, s41
	v_cmp_gt_u32_e32 vcc, 4, v1
	s_waitcnt vmcnt(0)
	ds_write_b128 v6, v[2:5]
	s_waitcnt lgkmcnt(0)
	; wave barrier
	s_and_saveexec_b64 s[2:3], vcc
	s_cbranch_execz .LBB90_31
; %bb.28:
	v_add_u32_e32 v8, -1, v1
	v_add_u32_e32 v9, 0x1b0, v14
	v_mov_b32_e32 v10, v14
	v_mov_b64_e32 v[2:3], 0
	s_mov_b64 s[6:7], 0
	v_mov_b64_e32 v[4:5], 0
.LBB90_29:                              ; =>This Inner Loop Header: Depth=1
	scratch_load_dwordx4 v[16:19], v10, off
	ds_read_b128 v[20:23], v9
	v_add_u32_e32 v8, 1, v8
	v_cmp_lt_u32_e32 vcc, 2, v8
	v_add_u32_e32 v9, 16, v9
	v_add_u32_e32 v10, 16, v10
	s_or_b64 s[6:7], vcc, s[6:7]
	s_waitcnt vmcnt(0) lgkmcnt(0)
	v_mul_f64 v[12:13], v[22:23], v[18:19]
	v_mul_f64 v[18:19], v[20:21], v[18:19]
	v_fma_f64 v[12:13], v[20:21], v[16:17], -v[12:13]
	v_fmac_f64_e32 v[18:19], v[22:23], v[16:17]
	v_add_f64 v[4:5], v[4:5], v[12:13]
	v_add_f64 v[2:3], v[2:3], v[18:19]
	s_andn2_b64 exec, exec, s[6:7]
	s_cbranch_execnz .LBB90_29
; %bb.30:
	s_or_b64 exec, exec, s[6:7]
	v_mov_b32_e32 v8, 0
	ds_read_b128 v[8:11], v8 offset:64
	s_waitcnt lgkmcnt(0)
	v_mul_f64 v[16:17], v[2:3], v[10:11]
	v_mul_f64 v[12:13], v[4:5], v[10:11]
	v_fma_f64 v[10:11], v[4:5], v[8:9], -v[16:17]
	v_fmac_f64_e32 v[12:13], v[2:3], v[8:9]
	scratch_store_dwordx4 off, v[10:13], off offset:64
.LBB90_31:
	s_or_b64 exec, exec, s[2:3]
	; wave barrier
	scratch_load_dwordx4 v[2:5], off, s40
	v_cmp_gt_u32_e32 vcc, 5, v1
	;; [unrolled: 45-line block ×19, first 2 shown]
	s_waitcnt vmcnt(0)
	ds_write_b128 v6, v[2:5]
	s_waitcnt lgkmcnt(0)
	; wave barrier
	s_and_saveexec_b64 s[2:3], vcc
	s_cbranch_execz .LBB90_103
; %bb.100:
	v_add_u32_e32 v8, -1, v1
	v_add_u32_e32 v9, 0x1b0, v14
	v_mov_b32_e32 v10, v14
	v_mov_b64_e32 v[2:3], 0
	s_mov_b64 s[6:7], 0
	v_mov_b64_e32 v[4:5], 0
.LBB90_101:                             ; =>This Inner Loop Header: Depth=1
	scratch_load_dwordx4 v[16:19], v10, off
	ds_read_b128 v[20:23], v9
	v_add_u32_e32 v8, 1, v8
	v_cmp_lt_u32_e32 vcc, 20, v8
	v_add_u32_e32 v9, 16, v9
	v_add_u32_e32 v10, 16, v10
	s_or_b64 s[6:7], vcc, s[6:7]
	s_waitcnt vmcnt(0) lgkmcnt(0)
	v_mul_f64 v[12:13], v[22:23], v[18:19]
	v_mul_f64 v[18:19], v[20:21], v[18:19]
	v_fma_f64 v[12:13], v[20:21], v[16:17], -v[12:13]
	v_fmac_f64_e32 v[18:19], v[22:23], v[16:17]
	v_add_f64 v[4:5], v[4:5], v[12:13]
	v_add_f64 v[2:3], v[2:3], v[18:19]
	s_andn2_b64 exec, exec, s[6:7]
	s_cbranch_execnz .LBB90_101
; %bb.102:
	s_or_b64 exec, exec, s[6:7]
	v_mov_b32_e32 v8, 0
	ds_read_b128 v[8:11], v8 offset:352
	s_waitcnt lgkmcnt(0)
	v_mul_f64 v[16:17], v[2:3], v[10:11]
	v_mul_f64 v[12:13], v[4:5], v[10:11]
	v_fma_f64 v[10:11], v[4:5], v[8:9], -v[16:17]
	v_fmac_f64_e32 v[12:13], v[2:3], v[8:9]
	scratch_store_dwordx4 off, v[10:13], off offset:352
.LBB90_103:
	s_or_b64 exec, exec, s[2:3]
	; wave barrier
	scratch_load_dwordx4 v[2:5], off, s21
	v_cmp_gt_u32_e32 vcc, 23, v1
	s_waitcnt vmcnt(0)
	ds_write_b128 v6, v[2:5]
	s_waitcnt lgkmcnt(0)
	; wave barrier
	s_and_saveexec_b64 s[2:3], vcc
	s_cbranch_execz .LBB90_107
; %bb.104:
	v_add_u32_e32 v8, -1, v1
	v_add_u32_e32 v9, 0x1b0, v14
	v_mov_b32_e32 v10, v14
	v_mov_b64_e32 v[2:3], 0
	s_mov_b64 s[6:7], 0
	v_mov_b64_e32 v[4:5], 0
.LBB90_105:                             ; =>This Inner Loop Header: Depth=1
	scratch_load_dwordx4 v[16:19], v10, off
	ds_read_b128 v[20:23], v9
	v_add_u32_e32 v8, 1, v8
	v_cmp_lt_u32_e32 vcc, 21, v8
	v_add_u32_e32 v9, 16, v9
	v_add_u32_e32 v10, 16, v10
	s_or_b64 s[6:7], vcc, s[6:7]
	s_waitcnt vmcnt(0) lgkmcnt(0)
	v_mul_f64 v[12:13], v[22:23], v[18:19]
	v_mul_f64 v[18:19], v[20:21], v[18:19]
	v_fma_f64 v[12:13], v[20:21], v[16:17], -v[12:13]
	v_fmac_f64_e32 v[18:19], v[22:23], v[16:17]
	v_add_f64 v[4:5], v[4:5], v[12:13]
	v_add_f64 v[2:3], v[2:3], v[18:19]
	s_andn2_b64 exec, exec, s[6:7]
	s_cbranch_execnz .LBB90_105
; %bb.106:
	s_or_b64 exec, exec, s[6:7]
	v_mov_b32_e32 v8, 0
	ds_read_b128 v[8:11], v8 offset:368
	s_waitcnt lgkmcnt(0)
	v_mul_f64 v[16:17], v[2:3], v[10:11]
	v_mul_f64 v[12:13], v[4:5], v[10:11]
	v_fma_f64 v[10:11], v[4:5], v[8:9], -v[16:17]
	v_fmac_f64_e32 v[12:13], v[2:3], v[8:9]
	scratch_store_dwordx4 off, v[10:13], off offset:368
.LBB90_107:
	s_or_b64 exec, exec, s[2:3]
	; wave barrier
	scratch_load_dwordx4 v[2:5], off, s20
	v_cmp_gt_u32_e32 vcc, 24, v1
	;; [unrolled: 45-line block ×3, first 2 shown]
	s_waitcnt vmcnt(0)
	ds_write_b128 v6, v[2:5]
	s_waitcnt lgkmcnt(0)
	; wave barrier
	s_and_saveexec_b64 s[2:3], vcc
	s_cbranch_execz .LBB90_115
; %bb.112:
	v_add_u32_e32 v8, -1, v1
	v_add_u32_e32 v9, 0x1b0, v14
	v_mov_b32_e32 v10, v14
	v_mov_b64_e32 v[2:3], 0
	s_mov_b64 s[6:7], 0
	v_mov_b64_e32 v[4:5], 0
.LBB90_113:                             ; =>This Inner Loop Header: Depth=1
	scratch_load_dwordx4 v[16:19], v10, off
	ds_read_b128 v[20:23], v9
	v_add_u32_e32 v8, 1, v8
	v_cmp_lt_u32_e32 vcc, 23, v8
	v_add_u32_e32 v9, 16, v9
	v_add_u32_e32 v10, 16, v10
	s_or_b64 s[6:7], vcc, s[6:7]
	s_waitcnt vmcnt(0) lgkmcnt(0)
	v_mul_f64 v[12:13], v[22:23], v[18:19]
	v_mul_f64 v[18:19], v[20:21], v[18:19]
	v_fma_f64 v[12:13], v[20:21], v[16:17], -v[12:13]
	v_fmac_f64_e32 v[18:19], v[22:23], v[16:17]
	v_add_f64 v[4:5], v[4:5], v[12:13]
	v_add_f64 v[2:3], v[2:3], v[18:19]
	s_andn2_b64 exec, exec, s[6:7]
	s_cbranch_execnz .LBB90_113
; %bb.114:
	s_or_b64 exec, exec, s[6:7]
	v_mov_b32_e32 v8, 0
	ds_read_b128 v[8:11], v8 offset:400
	s_waitcnt lgkmcnt(0)
	v_mul_f64 v[16:17], v[2:3], v[10:11]
	v_mul_f64 v[12:13], v[4:5], v[10:11]
	v_fma_f64 v[10:11], v[4:5], v[8:9], -v[16:17]
	v_fmac_f64_e32 v[12:13], v[2:3], v[8:9]
	scratch_store_dwordx4 off, v[10:13], off offset:400
.LBB90_115:
	s_or_b64 exec, exec, s[2:3]
	; wave barrier
	scratch_load_dwordx4 v[2:5], off, s18
	v_cmp_ne_u32_e32 vcc, 26, v1
	s_waitcnt vmcnt(0)
	ds_write_b128 v6, v[2:5]
	s_waitcnt lgkmcnt(0)
	; wave barrier
	s_and_saveexec_b64 s[2:3], vcc
	s_cbranch_execz .LBB90_119
; %bb.116:
	v_add_u32_e32 v6, 0x1b0, v14
	v_mov_b32_e32 v8, v14
	v_mov_b64_e32 v[2:3], 0
	s_mov_b64 s[6:7], 0
	v_mov_b64_e32 v[4:5], 0
.LBB90_117:                             ; =>This Inner Loop Header: Depth=1
	scratch_load_dwordx4 v[10:13], v8, off
	ds_read_b128 v[14:17], v6
	v_add_u32_e32 v7, 1, v7
	v_cmp_lt_u32_e32 vcc, 24, v7
	v_add_u32_e32 v6, 16, v6
	v_add_u32_e32 v8, 16, v8
	s_or_b64 s[6:7], vcc, s[6:7]
	s_waitcnt vmcnt(0) lgkmcnt(0)
	v_mul_f64 v[18:19], v[16:17], v[12:13]
	v_mul_f64 v[12:13], v[14:15], v[12:13]
	v_fma_f64 v[14:15], v[14:15], v[10:11], -v[18:19]
	v_fmac_f64_e32 v[12:13], v[16:17], v[10:11]
	v_add_f64 v[4:5], v[4:5], v[14:15]
	v_add_f64 v[2:3], v[2:3], v[12:13]
	s_andn2_b64 exec, exec, s[6:7]
	s_cbranch_execnz .LBB90_117
; %bb.118:
	s_or_b64 exec, exec, s[6:7]
	v_mov_b32_e32 v6, 0
	ds_read_b128 v[6:9], v6 offset:416
	s_waitcnt lgkmcnt(0)
	v_mul_f64 v[12:13], v[2:3], v[8:9]
	v_mul_f64 v[10:11], v[4:5], v[8:9]
	v_fma_f64 v[8:9], v[4:5], v[6:7], -v[12:13]
	v_fmac_f64_e32 v[10:11], v[2:3], v[6:7]
	scratch_store_dwordx4 off, v[8:11], off offset:416
.LBB90_119:
	s_or_b64 exec, exec, s[2:3]
	s_mov_b64 s[6:7], -1
	; wave barrier
.LBB90_120:
	s_and_b64 vcc, exec, s[6:7]
	s_cbranch_vccz .LBB90_122
; %bb.121:
	s_lshl_b64 s[2:3], s[4:5], 2
	s_add_u32 s2, s10, s2
	s_addc_u32 s3, s11, s3
	v_mov_b32_e32 v2, 0
	global_load_dword v2, v2, s[2:3]
	s_waitcnt vmcnt(0)
	v_cmp_ne_u32_e32 vcc, 0, v2
	s_cbranch_vccz .LBB90_123
.LBB90_122:
	s_endpgm
.LBB90_123:
	v_mov_b32_e32 v2, 0x1b0
	v_lshl_add_u32 v150, v1, 4, v2
	v_cmp_eq_u32_e32 vcc, 26, v1
	s_and_saveexec_b64 s[2:3], vcc
	s_cbranch_execz .LBB90_125
; %bb.124:
	scratch_load_dwordx4 v[2:5], off, s19
	v_mov_b32_e32 v6, 0
	v_mov_b32_e32 v7, v6
	;; [unrolled: 1-line block ×4, first 2 shown]
	scratch_store_dwordx4 off, v[6:9], off offset:400
	s_waitcnt vmcnt(1)
	ds_write_b128 v150, v[2:5]
.LBB90_125:
	s_or_b64 exec, exec, s[2:3]
	s_waitcnt lgkmcnt(0)
	; wave barrier
	scratch_load_dwordx4 v[4:7], off, off offset:416
	scratch_load_dwordx4 v[8:11], off, off offset:400
	v_mov_b32_e32 v2, 0
	ds_read_b128 v[12:15], v2 offset:848
	v_cmp_lt_u32_e32 vcc, 24, v1
	s_waitcnt vmcnt(1) lgkmcnt(0)
	v_mul_f64 v[16:17], v[12:13], v[6:7]
	v_mul_f64 v[6:7], v[14:15], v[6:7]
	v_fmac_f64_e32 v[16:17], v[14:15], v[4:5]
	v_fma_f64 v[4:5], v[12:13], v[4:5], -v[6:7]
	v_add_f64 v[6:7], v[16:17], 0
	v_add_f64 v[4:5], v[4:5], 0
	s_waitcnt vmcnt(0)
	v_add_f64 v[4:5], v[8:9], -v[4:5]
	v_add_f64 v[6:7], v[10:11], -v[6:7]
	scratch_store_dwordx4 off, v[4:7], off offset:400
	s_and_saveexec_b64 s[2:3], vcc
	s_cbranch_execz .LBB90_127
; %bb.126:
	scratch_load_dwordx4 v[6:9], off, s20
	v_mov_b32_e32 v3, v2
	v_mov_b32_e32 v4, v2
	;; [unrolled: 1-line block ×3, first 2 shown]
	scratch_store_dwordx4 off, v[2:5], off offset:384
	s_waitcnt vmcnt(1)
	ds_write_b128 v150, v[6:9]
.LBB90_127:
	s_or_b64 exec, exec, s[2:3]
	s_waitcnt lgkmcnt(0)
	; wave barrier
	scratch_load_dwordx4 v[4:7], off, off offset:400
	scratch_load_dwordx4 v[8:11], off, off offset:416
	;; [unrolled: 1-line block ×3, first 2 shown]
	ds_read_b128 v[16:19], v2 offset:832
	ds_read_b128 v[20:23], v2 offset:848
	v_cmp_lt_u32_e32 vcc, 23, v1
	s_waitcnt vmcnt(2) lgkmcnt(1)
	v_mul_f64 v[2:3], v[16:17], v[6:7]
	v_mul_f64 v[6:7], v[18:19], v[6:7]
	s_waitcnt vmcnt(1) lgkmcnt(0)
	v_mul_f64 v[24:25], v[20:21], v[10:11]
	v_mul_f64 v[10:11], v[22:23], v[10:11]
	v_fmac_f64_e32 v[2:3], v[18:19], v[4:5]
	v_fma_f64 v[4:5], v[16:17], v[4:5], -v[6:7]
	v_fmac_f64_e32 v[24:25], v[22:23], v[8:9]
	v_fma_f64 v[6:7], v[20:21], v[8:9], -v[10:11]
	v_add_f64 v[2:3], v[2:3], 0
	v_add_f64 v[4:5], v[4:5], 0
	;; [unrolled: 1-line block ×4, first 2 shown]
	s_waitcnt vmcnt(0)
	v_add_f64 v[2:3], v[12:13], -v[2:3]
	v_add_f64 v[4:5], v[14:15], -v[8:9]
	scratch_store_dwordx4 off, v[2:5], off offset:384
	s_and_saveexec_b64 s[2:3], vcc
	s_cbranch_execz .LBB90_129
; %bb.128:
	scratch_load_dwordx4 v[2:5], off, s21
	v_mov_b32_e32 v6, 0
	v_mov_b32_e32 v7, v6
	;; [unrolled: 1-line block ×4, first 2 shown]
	scratch_store_dwordx4 off, v[6:9], off offset:368
	s_waitcnt vmcnt(1)
	ds_write_b128 v150, v[2:5]
.LBB90_129:
	s_or_b64 exec, exec, s[2:3]
	s_waitcnt lgkmcnt(0)
	; wave barrier
	scratch_load_dwordx4 v[4:7], off, off offset:384
	scratch_load_dwordx4 v[8:11], off, off offset:400
	;; [unrolled: 1-line block ×4, first 2 shown]
	v_mov_b32_e32 v2, 0
	ds_read_b128 v[20:23], v2 offset:816
	ds_read_b128 v[24:27], v2 offset:832
	;; [unrolled: 1-line block ×3, first 2 shown]
	v_cmp_lt_u32_e32 vcc, 22, v1
	s_waitcnt vmcnt(3) lgkmcnt(2)
	v_mul_f64 v[32:33], v[20:21], v[6:7]
	v_mul_f64 v[6:7], v[22:23], v[6:7]
	s_waitcnt vmcnt(2) lgkmcnt(1)
	v_mul_f64 v[34:35], v[24:25], v[10:11]
	v_mul_f64 v[10:11], v[26:27], v[10:11]
	v_fmac_f64_e32 v[32:33], v[22:23], v[4:5]
	v_fma_f64 v[4:5], v[20:21], v[4:5], -v[6:7]
	s_waitcnt vmcnt(1) lgkmcnt(0)
	v_mul_f64 v[36:37], v[28:29], v[14:15]
	v_mul_f64 v[14:15], v[30:31], v[14:15]
	v_fmac_f64_e32 v[34:35], v[26:27], v[8:9]
	v_fma_f64 v[6:7], v[24:25], v[8:9], -v[10:11]
	v_add_f64 v[10:11], v[32:33], 0
	v_add_f64 v[4:5], v[4:5], 0
	v_fmac_f64_e32 v[36:37], v[30:31], v[12:13]
	v_fma_f64 v[8:9], v[28:29], v[12:13], -v[14:15]
	v_add_f64 v[10:11], v[10:11], v[34:35]
	v_add_f64 v[4:5], v[4:5], v[6:7]
	;; [unrolled: 1-line block ×4, first 2 shown]
	s_waitcnt vmcnt(0)
	v_add_f64 v[4:5], v[16:17], -v[4:5]
	v_add_f64 v[6:7], v[18:19], -v[6:7]
	scratch_store_dwordx4 off, v[4:7], off offset:368
	s_and_saveexec_b64 s[2:3], vcc
	s_cbranch_execz .LBB90_131
; %bb.130:
	scratch_load_dwordx4 v[6:9], off, s22
	v_mov_b32_e32 v3, v2
	v_mov_b32_e32 v4, v2
	;; [unrolled: 1-line block ×3, first 2 shown]
	scratch_store_dwordx4 off, v[2:5], off offset:352
	s_waitcnt vmcnt(1)
	ds_write_b128 v150, v[6:9]
.LBB90_131:
	s_or_b64 exec, exec, s[2:3]
	s_waitcnt lgkmcnt(0)
	; wave barrier
	scratch_load_dwordx4 v[4:7], off, off offset:368
	scratch_load_dwordx4 v[8:11], off, off offset:384
	;; [unrolled: 1-line block ×5, first 2 shown]
	ds_read_b128 v[24:27], v2 offset:800
	ds_read_b128 v[28:31], v2 offset:816
	;; [unrolled: 1-line block ×4, first 2 shown]
	v_cmp_lt_u32_e32 vcc, 21, v1
	s_waitcnt vmcnt(4) lgkmcnt(3)
	v_mul_f64 v[2:3], v[24:25], v[6:7]
	v_mul_f64 v[6:7], v[26:27], v[6:7]
	s_waitcnt vmcnt(3) lgkmcnt(2)
	v_mul_f64 v[40:41], v[28:29], v[10:11]
	v_mul_f64 v[10:11], v[30:31], v[10:11]
	v_fmac_f64_e32 v[2:3], v[26:27], v[4:5]
	v_fma_f64 v[4:5], v[24:25], v[4:5], -v[6:7]
	s_waitcnt vmcnt(2) lgkmcnt(1)
	v_mul_f64 v[42:43], v[32:33], v[14:15]
	v_mul_f64 v[14:15], v[34:35], v[14:15]
	v_fmac_f64_e32 v[40:41], v[30:31], v[8:9]
	v_fma_f64 v[6:7], v[28:29], v[8:9], -v[10:11]
	v_add_f64 v[2:3], v[2:3], 0
	v_add_f64 v[4:5], v[4:5], 0
	s_waitcnt vmcnt(1) lgkmcnt(0)
	v_mul_f64 v[44:45], v[36:37], v[18:19]
	v_mul_f64 v[18:19], v[38:39], v[18:19]
	v_fmac_f64_e32 v[42:43], v[34:35], v[12:13]
	v_fma_f64 v[8:9], v[32:33], v[12:13], -v[14:15]
	v_add_f64 v[2:3], v[2:3], v[40:41]
	v_add_f64 v[4:5], v[4:5], v[6:7]
	v_fmac_f64_e32 v[44:45], v[38:39], v[16:17]
	v_fma_f64 v[10:11], v[36:37], v[16:17], -v[18:19]
	v_add_f64 v[2:3], v[2:3], v[42:43]
	v_add_f64 v[4:5], v[4:5], v[8:9]
	;; [unrolled: 1-line block ×4, first 2 shown]
	s_waitcnt vmcnt(0)
	v_add_f64 v[2:3], v[20:21], -v[2:3]
	v_add_f64 v[4:5], v[22:23], -v[6:7]
	scratch_store_dwordx4 off, v[2:5], off offset:352
	s_and_saveexec_b64 s[2:3], vcc
	s_cbranch_execz .LBB90_133
; %bb.132:
	scratch_load_dwordx4 v[2:5], off, s23
	v_mov_b32_e32 v6, 0
	v_mov_b32_e32 v7, v6
	;; [unrolled: 1-line block ×4, first 2 shown]
	scratch_store_dwordx4 off, v[6:9], off offset:336
	s_waitcnt vmcnt(1)
	ds_write_b128 v150, v[2:5]
.LBB90_133:
	s_or_b64 exec, exec, s[2:3]
	s_waitcnt lgkmcnt(0)
	; wave barrier
	scratch_load_dwordx4 v[4:7], off, off offset:352
	scratch_load_dwordx4 v[8:11], off, off offset:368
	;; [unrolled: 1-line block ×6, first 2 shown]
	v_mov_b32_e32 v2, 0
	ds_read_b128 v[28:31], v2 offset:784
	ds_read_b128 v[32:35], v2 offset:800
	;; [unrolled: 1-line block ×5, first 2 shown]
	v_cmp_lt_u32_e32 vcc, 20, v1
	s_waitcnt vmcnt(5) lgkmcnt(4)
	v_mul_f64 v[48:49], v[28:29], v[6:7]
	v_mul_f64 v[6:7], v[30:31], v[6:7]
	s_waitcnt vmcnt(4) lgkmcnt(3)
	v_mul_f64 v[50:51], v[32:33], v[10:11]
	s_waitcnt vmcnt(3) lgkmcnt(2)
	v_mul_f64 v[52:53], v[36:37], v[14:15]
	v_mul_f64 v[10:11], v[34:35], v[10:11]
	;; [unrolled: 1-line block ×3, first 2 shown]
	v_fmac_f64_e32 v[48:49], v[30:31], v[4:5]
	v_fma_f64 v[4:5], v[28:29], v[4:5], -v[6:7]
	v_fmac_f64_e32 v[50:51], v[34:35], v[8:9]
	v_fma_f64 v[6:7], v[32:33], v[8:9], -v[10:11]
	v_fma_f64 v[8:9], v[36:37], v[12:13], -v[14:15]
	v_add_f64 v[14:15], v[48:49], 0
	v_add_f64 v[4:5], v[4:5], 0
	s_waitcnt vmcnt(2) lgkmcnt(1)
	v_mul_f64 v[54:55], v[40:41], v[18:19]
	v_mul_f64 v[18:19], v[42:43], v[18:19]
	v_fmac_f64_e32 v[52:53], v[38:39], v[12:13]
	v_add_f64 v[14:15], v[14:15], v[50:51]
	v_add_f64 v[4:5], v[4:5], v[6:7]
	s_waitcnt vmcnt(1) lgkmcnt(0)
	v_mul_f64 v[56:57], v[44:45], v[22:23]
	v_mul_f64 v[22:23], v[46:47], v[22:23]
	v_fmac_f64_e32 v[54:55], v[42:43], v[16:17]
	v_fma_f64 v[10:11], v[40:41], v[16:17], -v[18:19]
	v_add_f64 v[6:7], v[14:15], v[52:53]
	v_add_f64 v[4:5], v[4:5], v[8:9]
	v_fmac_f64_e32 v[56:57], v[46:47], v[20:21]
	v_fma_f64 v[12:13], v[44:45], v[20:21], -v[22:23]
	v_add_f64 v[6:7], v[6:7], v[54:55]
	v_add_f64 v[4:5], v[4:5], v[10:11]
	;; [unrolled: 1-line block ×4, first 2 shown]
	s_waitcnt vmcnt(0)
	v_add_f64 v[4:5], v[24:25], -v[4:5]
	v_add_f64 v[6:7], v[26:27], -v[6:7]
	scratch_store_dwordx4 off, v[4:7], off offset:336
	s_and_saveexec_b64 s[2:3], vcc
	s_cbranch_execz .LBB90_135
; %bb.134:
	scratch_load_dwordx4 v[6:9], off, s24
	v_mov_b32_e32 v3, v2
	v_mov_b32_e32 v4, v2
	;; [unrolled: 1-line block ×3, first 2 shown]
	scratch_store_dwordx4 off, v[2:5], off offset:320
	s_waitcnt vmcnt(1)
	ds_write_b128 v150, v[6:9]
.LBB90_135:
	s_or_b64 exec, exec, s[2:3]
	s_waitcnt lgkmcnt(0)
	; wave barrier
	scratch_load_dwordx4 v[4:7], off, off offset:336
	scratch_load_dwordx4 v[8:11], off, off offset:352
	;; [unrolled: 1-line block ×7, first 2 shown]
	ds_read_b128 v[32:35], v2 offset:768
	ds_read_b128 v[36:39], v2 offset:784
	;; [unrolled: 1-line block ×6, first 2 shown]
	v_cmp_lt_u32_e32 vcc, 19, v1
	s_waitcnt vmcnt(6) lgkmcnt(5)
	v_mul_f64 v[2:3], v[32:33], v[6:7]
	v_mul_f64 v[6:7], v[34:35], v[6:7]
	s_waitcnt vmcnt(5) lgkmcnt(4)
	v_mul_f64 v[56:57], v[36:37], v[10:11]
	v_mul_f64 v[10:11], v[38:39], v[10:11]
	v_fmac_f64_e32 v[2:3], v[34:35], v[4:5]
	v_fma_f64 v[4:5], v[32:33], v[4:5], -v[6:7]
	s_waitcnt vmcnt(4) lgkmcnt(3)
	v_mul_f64 v[58:59], v[40:41], v[14:15]
	v_mul_f64 v[14:15], v[42:43], v[14:15]
	v_fmac_f64_e32 v[56:57], v[38:39], v[8:9]
	v_fma_f64 v[6:7], v[36:37], v[8:9], -v[10:11]
	v_add_f64 v[2:3], v[2:3], 0
	v_add_f64 v[4:5], v[4:5], 0
	s_waitcnt vmcnt(3) lgkmcnt(2)
	v_mul_f64 v[60:61], v[44:45], v[18:19]
	v_mul_f64 v[18:19], v[46:47], v[18:19]
	v_fmac_f64_e32 v[58:59], v[42:43], v[12:13]
	v_fma_f64 v[8:9], v[40:41], v[12:13], -v[14:15]
	v_add_f64 v[2:3], v[2:3], v[56:57]
	v_add_f64 v[4:5], v[4:5], v[6:7]
	;; [unrolled: 7-line block ×4, first 2 shown]
	v_fmac_f64_e32 v[64:65], v[54:55], v[24:25]
	v_fma_f64 v[14:15], v[52:53], v[24:25], -v[26:27]
	v_add_f64 v[2:3], v[2:3], v[62:63]
	v_add_f64 v[4:5], v[4:5], v[12:13]
	;; [unrolled: 1-line block ×4, first 2 shown]
	s_waitcnt vmcnt(0)
	v_add_f64 v[2:3], v[28:29], -v[2:3]
	v_add_f64 v[4:5], v[30:31], -v[6:7]
	scratch_store_dwordx4 off, v[2:5], off offset:320
	s_and_saveexec_b64 s[2:3], vcc
	s_cbranch_execz .LBB90_137
; %bb.136:
	scratch_load_dwordx4 v[2:5], off, s25
	v_mov_b32_e32 v6, 0
	v_mov_b32_e32 v7, v6
	;; [unrolled: 1-line block ×4, first 2 shown]
	scratch_store_dwordx4 off, v[6:9], off offset:304
	s_waitcnt vmcnt(1)
	ds_write_b128 v150, v[2:5]
.LBB90_137:
	s_or_b64 exec, exec, s[2:3]
	v_mov_b32_e32 v2, 0
	s_waitcnt lgkmcnt(0)
	; wave barrier
	ds_read_b128 v[4:7], v2 offset:752
	ds_read_b128 v[8:11], v2 offset:768
	;; [unrolled: 1-line block ×4, first 2 shown]
	scratch_load_dwordx4 v[20:23], off, off offset:320
	scratch_load_dwordx4 v[40:43], off, off offset:384
	v_cmp_lt_u32_e32 vcc, 18, v1
	scratch_load_dwordx4 v[48:51], off, off offset:400
	scratch_load_dwordx4 v[56:59], off, off offset:416
	s_waitcnt vmcnt(3) lgkmcnt(3)
	v_mul_f64 v[24:25], v[4:5], v[22:23]
	v_fmac_f64_e32 v[24:25], v[6:7], v[20:21]
	v_add_f64 v[28:29], v[24:25], 0
	scratch_load_dwordx4 v[24:27], off, off offset:336
	v_mul_f64 v[6:7], v[6:7], v[22:23]
	v_fma_f64 v[4:5], v[4:5], v[20:21], -v[6:7]
	v_add_f64 v[4:5], v[4:5], 0
	s_waitcnt vmcnt(0) lgkmcnt(2)
	v_mul_f64 v[30:31], v[8:9], v[26:27]
	v_fmac_f64_e32 v[30:31], v[10:11], v[24:25]
	v_add_f64 v[32:33], v[28:29], v[30:31]
	scratch_load_dwordx4 v[28:31], off, off offset:352
	v_mul_f64 v[6:7], v[10:11], v[26:27]
	v_fma_f64 v[6:7], v[8:9], v[24:25], -v[6:7]
	v_add_f64 v[4:5], v[4:5], v[6:7]
	;; [unrolled: 8-line block ×3, first 2 shown]
	s_waitcnt vmcnt(0) lgkmcnt(0)
	v_mul_f64 v[38:39], v[16:17], v[34:35]
	v_fmac_f64_e32 v[38:39], v[18:19], v[32:33]
	v_add_f64 v[44:45], v[36:37], v[38:39]
	ds_read_b128 v[36:39], v2 offset:816
	v_mul_f64 v[6:7], v[18:19], v[34:35]
	v_fma_f64 v[6:7], v[16:17], v[32:33], -v[6:7]
	v_add_f64 v[4:5], v[4:5], v[6:7]
	s_waitcnt lgkmcnt(0)
	v_mul_f64 v[46:47], v[36:37], v[42:43]
	v_fmac_f64_e32 v[46:47], v[38:39], v[40:41]
	v_add_f64 v[52:53], v[44:45], v[46:47]
	ds_read_b128 v[44:47], v2 offset:832
	v_mul_f64 v[6:7], v[38:39], v[42:43]
	v_fma_f64 v[6:7], v[36:37], v[40:41], -v[6:7]
	v_add_f64 v[4:5], v[4:5], v[6:7]
	s_waitcnt lgkmcnt(0)
	;; [unrolled: 8-line block ×3, first 2 shown]
	v_mul_f64 v[6:7], v[54:55], v[58:59]
	v_fma_f64 v[6:7], v[52:53], v[56:57], -v[6:7]
	v_add_f64 v[8:9], v[4:5], v[6:7]
	scratch_load_dwordx4 v[4:7], off, off offset:304
	v_mul_f64 v[62:63], v[52:53], v[58:59]
	v_fmac_f64_e32 v[62:63], v[54:55], v[56:57]
	v_add_f64 v[60:61], v[60:61], v[62:63]
	s_waitcnt vmcnt(0)
	v_add_f64 v[4:5], v[4:5], -v[8:9]
	v_add_f64 v[6:7], v[6:7], -v[60:61]
	scratch_store_dwordx4 off, v[4:7], off offset:304
	s_and_saveexec_b64 s[2:3], vcc
	s_cbranch_execz .LBB90_139
; %bb.138:
	scratch_load_dwordx4 v[6:9], off, s26
	v_mov_b32_e32 v3, v2
	v_mov_b32_e32 v4, v2
	;; [unrolled: 1-line block ×3, first 2 shown]
	scratch_store_dwordx4 off, v[2:5], off offset:288
	s_waitcnt vmcnt(1)
	ds_write_b128 v150, v[6:9]
.LBB90_139:
	s_or_b64 exec, exec, s[2:3]
	s_waitcnt lgkmcnt(0)
	; wave barrier
	ds_read_b128 v[4:7], v2 offset:736
	ds_read_b128 v[8:11], v2 offset:752
	;; [unrolled: 1-line block ×4, first 2 shown]
	scratch_load_dwordx4 v[20:23], off, off offset:304
	scratch_load_dwordx4 v[40:43], off, off offset:368
	v_cmp_lt_u32_e32 vcc, 17, v1
	scratch_load_dwordx4 v[48:51], off, off offset:384
	scratch_load_dwordx4 v[56:59], off, off offset:400
	;; [unrolled: 1-line block ×3, first 2 shown]
	s_waitcnt vmcnt(4) lgkmcnt(3)
	v_mul_f64 v[24:25], v[4:5], v[22:23]
	v_fmac_f64_e32 v[24:25], v[6:7], v[20:21]
	v_add_f64 v[28:29], v[24:25], 0
	scratch_load_dwordx4 v[24:27], off, off offset:320
	s_waitcnt vmcnt(0) lgkmcnt(2)
	v_mul_f64 v[30:31], v[8:9], v[26:27]
	v_fmac_f64_e32 v[30:31], v[10:11], v[24:25]
	v_add_f64 v[32:33], v[28:29], v[30:31]
	scratch_load_dwordx4 v[28:31], off, off offset:336
	;; [unrolled: 5-line block ×3, first 2 shown]
	s_waitcnt vmcnt(0) lgkmcnt(0)
	v_mul_f64 v[38:39], v[16:17], v[34:35]
	v_fmac_f64_e32 v[38:39], v[18:19], v[32:33]
	v_add_f64 v[44:45], v[36:37], v[38:39]
	ds_read_b128 v[36:39], v2 offset:800
	s_waitcnt lgkmcnt(0)
	v_mul_f64 v[46:47], v[36:37], v[42:43]
	v_fmac_f64_e32 v[46:47], v[38:39], v[40:41]
	v_add_f64 v[52:53], v[44:45], v[46:47]
	ds_read_b128 v[44:47], v2 offset:816
	s_waitcnt lgkmcnt(0)
	;; [unrolled: 5-line block ×4, first 2 shown]
	v_mul_f64 v[2:3], v[60:61], v[66:67]
	v_fmac_f64_e32 v[2:3], v[62:63], v[64:65]
	v_add_f64 v[68:69], v[68:69], v[2:3]
	v_mul_f64 v[2:3], v[6:7], v[22:23]
	v_fma_f64 v[2:3], v[4:5], v[20:21], -v[2:3]
	v_mul_f64 v[4:5], v[10:11], v[26:27]
	v_add_f64 v[2:3], v[2:3], 0
	v_fma_f64 v[4:5], v[8:9], v[24:25], -v[4:5]
	v_add_f64 v[2:3], v[2:3], v[4:5]
	v_mul_f64 v[4:5], v[14:15], v[30:31]
	v_fma_f64 v[4:5], v[12:13], v[28:29], -v[4:5]
	v_add_f64 v[2:3], v[2:3], v[4:5]
	v_mul_f64 v[4:5], v[18:19], v[34:35]
	;; [unrolled: 3-line block ×6, first 2 shown]
	v_fma_f64 v[4:5], v[60:61], v[64:65], -v[4:5]
	v_add_f64 v[6:7], v[2:3], v[4:5]
	scratch_load_dwordx4 v[2:5], off, off offset:288
	s_waitcnt vmcnt(0)
	v_add_f64 v[2:3], v[2:3], -v[6:7]
	v_add_f64 v[4:5], v[4:5], -v[68:69]
	scratch_store_dwordx4 off, v[2:5], off offset:288
	s_and_saveexec_b64 s[2:3], vcc
	s_cbranch_execz .LBB90_141
; %bb.140:
	scratch_load_dwordx4 v[2:5], off, s27
	v_mov_b32_e32 v6, 0
	v_mov_b32_e32 v7, v6
	;; [unrolled: 1-line block ×4, first 2 shown]
	scratch_store_dwordx4 off, v[6:9], off offset:272
	s_waitcnt vmcnt(1)
	ds_write_b128 v150, v[2:5]
.LBB90_141:
	s_or_b64 exec, exec, s[2:3]
	s_waitcnt lgkmcnt(0)
	; wave barrier
	scratch_load_dwordx4 v[4:7], off, off offset:288
	scratch_load_dwordx4 v[8:11], off, off offset:304
	;; [unrolled: 1-line block ×10, first 2 shown]
	v_mov_b32_e32 v2, 0
	ds_read_b128 v[44:47], v2 offset:720
	ds_read_b128 v[48:51], v2 offset:736
	ds_read_b128 v[52:55], v2 offset:752
	ds_read_b128 v[56:59], v2 offset:768
	ds_read_b128 v[60:63], v2 offset:784
	ds_read_b128 v[64:67], v2 offset:800
	ds_read_b128 v[68:71], v2 offset:816
	ds_read_b128 v[72:75], v2 offset:832
	ds_read_b128 v[76:79], v2 offset:848
	v_cmp_lt_u32_e32 vcc, 16, v1
	s_waitcnt vmcnt(9) lgkmcnt(8)
	v_mul_f64 v[80:81], v[44:45], v[6:7]
	v_mul_f64 v[6:7], v[46:47], v[6:7]
	s_waitcnt vmcnt(8) lgkmcnt(7)
	v_mul_f64 v[82:83], v[48:49], v[10:11]
	s_waitcnt vmcnt(7) lgkmcnt(6)
	;; [unrolled: 2-line block ×3, first 2 shown]
	v_mul_f64 v[88:89], v[60:61], v[22:23]
	v_mul_f64 v[10:11], v[50:51], v[10:11]
	;; [unrolled: 1-line block ×4, first 2 shown]
	v_fmac_f64_e32 v[80:81], v[46:47], v[4:5]
	v_fma_f64 v[4:5], v[44:45], v[4:5], -v[6:7]
	v_fmac_f64_e32 v[82:83], v[50:51], v[8:9]
	v_fmac_f64_e32 v[84:85], v[54:55], v[12:13]
	v_fma_f64 v[6:7], v[48:49], v[8:9], -v[10:11]
	v_fma_f64 v[8:9], v[52:53], v[12:13], -v[14:15]
	;; [unrolled: 1-line block ×3, first 2 shown]
	v_add_f64 v[22:23], v[80:81], 0
	v_add_f64 v[4:5], v[4:5], 0
	v_mul_f64 v[86:87], v[56:57], v[18:19]
	v_mul_f64 v[18:19], v[58:59], v[18:19]
	v_add_f64 v[22:23], v[22:23], v[82:83]
	v_add_f64 v[4:5], v[4:5], v[6:7]
	v_fmac_f64_e32 v[86:87], v[58:59], v[16:17]
	v_fma_f64 v[10:11], v[56:57], v[16:17], -v[18:19]
	v_add_f64 v[6:7], v[22:23], v[84:85]
	v_add_f64 v[4:5], v[4:5], v[8:9]
	s_waitcnt vmcnt(4) lgkmcnt(3)
	v_mul_f64 v[90:91], v[64:65], v[26:27]
	v_mul_f64 v[26:27], v[66:67], v[26:27]
	v_fmac_f64_e32 v[88:89], v[62:63], v[20:21]
	v_add_f64 v[6:7], v[6:7], v[86:87]
	v_add_f64 v[4:5], v[4:5], v[10:11]
	s_waitcnt vmcnt(3) lgkmcnt(2)
	v_mul_f64 v[92:93], v[68:69], v[30:31]
	v_mul_f64 v[30:31], v[70:71], v[30:31]
	v_fmac_f64_e32 v[90:91], v[66:67], v[24:25]
	v_fma_f64 v[14:15], v[64:65], v[24:25], -v[26:27]
	v_add_f64 v[6:7], v[6:7], v[88:89]
	v_add_f64 v[4:5], v[4:5], v[12:13]
	s_waitcnt vmcnt(2) lgkmcnt(1)
	v_mul_f64 v[94:95], v[72:73], v[34:35]
	v_mul_f64 v[34:35], v[74:75], v[34:35]
	v_fmac_f64_e32 v[92:93], v[70:71], v[28:29]
	v_fma_f64 v[16:17], v[68:69], v[28:29], -v[30:31]
	;; [unrolled: 7-line block ×3, first 2 shown]
	v_add_f64 v[6:7], v[6:7], v[92:93]
	v_add_f64 v[4:5], v[4:5], v[16:17]
	v_fmac_f64_e32 v[96:97], v[78:79], v[36:37]
	v_fma_f64 v[20:21], v[76:77], v[36:37], -v[38:39]
	v_add_f64 v[6:7], v[6:7], v[94:95]
	v_add_f64 v[4:5], v[4:5], v[18:19]
	;; [unrolled: 1-line block ×4, first 2 shown]
	s_waitcnt vmcnt(0)
	v_add_f64 v[4:5], v[40:41], -v[4:5]
	v_add_f64 v[6:7], v[42:43], -v[6:7]
	scratch_store_dwordx4 off, v[4:7], off offset:272
	s_and_saveexec_b64 s[2:3], vcc
	s_cbranch_execz .LBB90_143
; %bb.142:
	scratch_load_dwordx4 v[6:9], off, s28
	v_mov_b32_e32 v3, v2
	v_mov_b32_e32 v4, v2
	;; [unrolled: 1-line block ×3, first 2 shown]
	scratch_store_dwordx4 off, v[2:5], off offset:256
	s_waitcnt vmcnt(1)
	ds_write_b128 v150, v[6:9]
.LBB90_143:
	s_or_b64 exec, exec, s[2:3]
	s_waitcnt lgkmcnt(0)
	; wave barrier
	scratch_load_dwordx4 v[4:7], off, off offset:272
	scratch_load_dwordx4 v[8:11], off, off offset:288
	;; [unrolled: 1-line block ×11, first 2 shown]
	ds_read_b128 v[48:51], v2 offset:704
	ds_read_b128 v[52:55], v2 offset:720
	;; [unrolled: 1-line block ×10, first 2 shown]
	v_cmp_lt_u32_e32 vcc, 15, v1
	s_waitcnt vmcnt(10) lgkmcnt(9)
	v_mul_f64 v[2:3], v[48:49], v[6:7]
	v_mul_f64 v[6:7], v[50:51], v[6:7]
	s_waitcnt vmcnt(9) lgkmcnt(8)
	v_mul_f64 v[88:89], v[52:53], v[10:11]
	v_mul_f64 v[10:11], v[54:55], v[10:11]
	v_fmac_f64_e32 v[2:3], v[50:51], v[4:5]
	v_fma_f64 v[4:5], v[48:49], v[4:5], -v[6:7]
	s_waitcnt vmcnt(8) lgkmcnt(7)
	v_mul_f64 v[90:91], v[56:57], v[14:15]
	v_mul_f64 v[14:15], v[58:59], v[14:15]
	v_fmac_f64_e32 v[88:89], v[54:55], v[8:9]
	v_fma_f64 v[6:7], v[52:53], v[8:9], -v[10:11]
	v_add_f64 v[2:3], v[2:3], 0
	v_add_f64 v[4:5], v[4:5], 0
	s_waitcnt vmcnt(7) lgkmcnt(6)
	v_mul_f64 v[92:93], v[60:61], v[18:19]
	v_mul_f64 v[18:19], v[62:63], v[18:19]
	v_fmac_f64_e32 v[90:91], v[58:59], v[12:13]
	v_fma_f64 v[8:9], v[56:57], v[12:13], -v[14:15]
	v_add_f64 v[2:3], v[2:3], v[88:89]
	v_add_f64 v[4:5], v[4:5], v[6:7]
	;; [unrolled: 7-line block ×8, first 2 shown]
	v_fmac_f64_e32 v[104:105], v[86:87], v[40:41]
	v_fma_f64 v[22:23], v[84:85], v[40:41], -v[42:43]
	v_add_f64 v[2:3], v[2:3], v[102:103]
	v_add_f64 v[4:5], v[4:5], v[20:21]
	;; [unrolled: 1-line block ×4, first 2 shown]
	s_waitcnt vmcnt(0)
	v_add_f64 v[2:3], v[44:45], -v[2:3]
	v_add_f64 v[4:5], v[46:47], -v[6:7]
	scratch_store_dwordx4 off, v[2:5], off offset:256
	s_and_saveexec_b64 s[2:3], vcc
	s_cbranch_execz .LBB90_145
; %bb.144:
	scratch_load_dwordx4 v[2:5], off, s29
	v_mov_b32_e32 v6, 0
	v_mov_b32_e32 v7, v6
	v_mov_b32_e32 v8, v6
	v_mov_b32_e32 v9, v6
	scratch_store_dwordx4 off, v[6:9], off offset:240
	s_waitcnt vmcnt(1)
	ds_write_b128 v150, v[2:5]
.LBB90_145:
	s_or_b64 exec, exec, s[2:3]
	v_mov_b32_e32 v2, 0
	s_waitcnt lgkmcnt(0)
	; wave barrier
	ds_read_b128 v[4:7], v2 offset:688
	ds_read_b128 v[8:11], v2 offset:704
	;; [unrolled: 1-line block ×4, first 2 shown]
	scratch_load_dwordx4 v[20:23], off, off offset:256
	scratch_load_dwordx4 v[40:43], off, off offset:320
	;; [unrolled: 1-line block ×5, first 2 shown]
	v_cmp_lt_u32_e32 vcc, 14, v1
	scratch_load_dwordx4 v[48:51], off, off offset:336
	scratch_load_dwordx4 v[56:59], off, off offset:352
	;; [unrolled: 1-line block ×3, first 2 shown]
	s_waitcnt vmcnt(7) lgkmcnt(3)
	v_mul_f64 v[24:25], v[4:5], v[22:23]
	v_fmac_f64_e32 v[24:25], v[6:7], v[20:21]
	v_add_f64 v[28:29], v[24:25], 0
	scratch_load_dwordx4 v[24:27], off, off offset:272
	v_mul_f64 v[6:7], v[6:7], v[22:23]
	v_fma_f64 v[4:5], v[4:5], v[20:21], -v[6:7]
	v_add_f64 v[4:5], v[4:5], 0
	s_waitcnt vmcnt(0) lgkmcnt(2)
	v_mul_f64 v[30:31], v[8:9], v[26:27]
	v_fmac_f64_e32 v[30:31], v[10:11], v[24:25]
	v_add_f64 v[32:33], v[28:29], v[30:31]
	scratch_load_dwordx4 v[28:31], off, off offset:288
	v_mul_f64 v[6:7], v[10:11], v[26:27]
	v_fma_f64 v[6:7], v[8:9], v[24:25], -v[6:7]
	v_add_f64 v[4:5], v[4:5], v[6:7]
	s_waitcnt vmcnt(0) lgkmcnt(1)
	v_mul_f64 v[34:35], v[12:13], v[30:31]
	v_fmac_f64_e32 v[34:35], v[14:15], v[28:29]
	v_add_f64 v[36:37], v[32:33], v[34:35]
	scratch_load_dwordx4 v[32:35], off, off offset:304
	v_mul_f64 v[6:7], v[14:15], v[30:31]
	v_fma_f64 v[6:7], v[12:13], v[28:29], -v[6:7]
	v_add_f64 v[4:5], v[4:5], v[6:7]
	s_waitcnt vmcnt(0) lgkmcnt(0)
	v_mul_f64 v[38:39], v[16:17], v[34:35]
	v_fmac_f64_e32 v[38:39], v[18:19], v[32:33]
	v_add_f64 v[44:45], v[36:37], v[38:39]
	ds_read_b128 v[36:39], v2 offset:752
	v_mul_f64 v[6:7], v[18:19], v[34:35]
	v_fma_f64 v[6:7], v[16:17], v[32:33], -v[6:7]
	v_add_f64 v[4:5], v[4:5], v[6:7]
	s_waitcnt lgkmcnt(0)
	v_mul_f64 v[46:47], v[36:37], v[42:43]
	v_fmac_f64_e32 v[46:47], v[38:39], v[40:41]
	v_add_f64 v[52:53], v[44:45], v[46:47]
	ds_read_b128 v[44:47], v2 offset:768
	v_mul_f64 v[6:7], v[38:39], v[42:43]
	v_fma_f64 v[6:7], v[36:37], v[40:41], -v[6:7]
	v_add_f64 v[4:5], v[4:5], v[6:7]
	s_waitcnt lgkmcnt(0)
	;; [unrolled: 8-line block ×7, first 2 shown]
	v_mul_f64 v[6:7], v[86:87], v[90:91]
	v_fma_f64 v[6:7], v[84:85], v[88:89], -v[6:7]
	v_add_f64 v[8:9], v[4:5], v[6:7]
	scratch_load_dwordx4 v[4:7], off, off offset:240
	v_mul_f64 v[94:95], v[84:85], v[90:91]
	v_fmac_f64_e32 v[94:95], v[86:87], v[88:89]
	v_add_f64 v[92:93], v[92:93], v[94:95]
	s_waitcnt vmcnt(0)
	v_add_f64 v[4:5], v[4:5], -v[8:9]
	v_add_f64 v[6:7], v[6:7], -v[92:93]
	scratch_store_dwordx4 off, v[4:7], off offset:240
	s_and_saveexec_b64 s[2:3], vcc
	s_cbranch_execz .LBB90_147
; %bb.146:
	scratch_load_dwordx4 v[6:9], off, s30
	v_mov_b32_e32 v3, v2
	v_mov_b32_e32 v4, v2
	;; [unrolled: 1-line block ×3, first 2 shown]
	scratch_store_dwordx4 off, v[2:5], off offset:224
	s_waitcnt vmcnt(1)
	ds_write_b128 v150, v[6:9]
.LBB90_147:
	s_or_b64 exec, exec, s[2:3]
	s_waitcnt lgkmcnt(0)
	; wave barrier
	ds_read_b128 v[4:7], v2 offset:672
	ds_read_b128 v[8:11], v2 offset:688
	;; [unrolled: 1-line block ×4, first 2 shown]
	scratch_load_dwordx4 v[20:23], off, off offset:240
	scratch_load_dwordx4 v[40:43], off, off offset:304
	;; [unrolled: 1-line block ×6, first 2 shown]
	v_cmp_lt_u32_e32 vcc, 13, v1
	scratch_load_dwordx4 v[48:51], off, off offset:320
	scratch_load_dwordx4 v[56:59], off, off offset:336
	;; [unrolled: 1-line block ×3, first 2 shown]
	s_waitcnt vmcnt(8) lgkmcnt(3)
	v_mul_f64 v[24:25], v[4:5], v[22:23]
	v_fmac_f64_e32 v[24:25], v[6:7], v[20:21]
	v_add_f64 v[28:29], v[24:25], 0
	scratch_load_dwordx4 v[24:27], off, off offset:256
	s_waitcnt vmcnt(0) lgkmcnt(2)
	v_mul_f64 v[30:31], v[8:9], v[26:27]
	v_fmac_f64_e32 v[30:31], v[10:11], v[24:25]
	v_add_f64 v[32:33], v[28:29], v[30:31]
	scratch_load_dwordx4 v[28:31], off, off offset:272
	;; [unrolled: 5-line block ×3, first 2 shown]
	s_waitcnt vmcnt(0) lgkmcnt(0)
	v_mul_f64 v[38:39], v[16:17], v[34:35]
	v_fmac_f64_e32 v[38:39], v[18:19], v[32:33]
	v_add_f64 v[44:45], v[36:37], v[38:39]
	ds_read_b128 v[36:39], v2 offset:736
	s_waitcnt lgkmcnt(0)
	v_mul_f64 v[46:47], v[36:37], v[42:43]
	v_fmac_f64_e32 v[46:47], v[38:39], v[40:41]
	v_add_f64 v[52:53], v[44:45], v[46:47]
	ds_read_b128 v[44:47], v2 offset:752
	s_waitcnt lgkmcnt(0)
	;; [unrolled: 5-line block ×8, first 2 shown]
	v_mul_f64 v[2:3], v[92:93], v[98:99]
	v_fmac_f64_e32 v[2:3], v[94:95], v[96:97]
	v_add_f64 v[100:101], v[100:101], v[2:3]
	v_mul_f64 v[2:3], v[6:7], v[22:23]
	v_fma_f64 v[2:3], v[4:5], v[20:21], -v[2:3]
	v_mul_f64 v[4:5], v[10:11], v[26:27]
	v_add_f64 v[2:3], v[2:3], 0
	v_fma_f64 v[4:5], v[8:9], v[24:25], -v[4:5]
	v_add_f64 v[2:3], v[2:3], v[4:5]
	v_mul_f64 v[4:5], v[14:15], v[30:31]
	v_fma_f64 v[4:5], v[12:13], v[28:29], -v[4:5]
	v_add_f64 v[2:3], v[2:3], v[4:5]
	v_mul_f64 v[4:5], v[18:19], v[34:35]
	;; [unrolled: 3-line block ×10, first 2 shown]
	v_fma_f64 v[4:5], v[92:93], v[96:97], -v[4:5]
	v_add_f64 v[6:7], v[2:3], v[4:5]
	scratch_load_dwordx4 v[2:5], off, off offset:224
	s_waitcnt vmcnt(0)
	v_add_f64 v[2:3], v[2:3], -v[6:7]
	v_add_f64 v[4:5], v[4:5], -v[100:101]
	scratch_store_dwordx4 off, v[2:5], off offset:224
	s_and_saveexec_b64 s[2:3], vcc
	s_cbranch_execz .LBB90_149
; %bb.148:
	scratch_load_dwordx4 v[2:5], off, s31
	v_mov_b32_e32 v6, 0
	v_mov_b32_e32 v7, v6
	;; [unrolled: 1-line block ×4, first 2 shown]
	scratch_store_dwordx4 off, v[6:9], off offset:208
	s_waitcnt vmcnt(1)
	ds_write_b128 v150, v[2:5]
.LBB90_149:
	s_or_b64 exec, exec, s[2:3]
	v_mov_b32_e32 v2, 0
	s_waitcnt lgkmcnt(0)
	; wave barrier
	ds_read_b128 v[4:7], v2 offset:656
	ds_read_b128 v[8:11], v2 offset:672
	;; [unrolled: 1-line block ×4, first 2 shown]
	scratch_load_dwordx4 v[20:23], off, off offset:224
	scratch_load_dwordx4 v[40:43], off, off offset:288
	;; [unrolled: 1-line block ×7, first 2 shown]
	v_cmp_lt_u32_e32 vcc, 12, v1
	scratch_load_dwordx4 v[48:51], off, off offset:304
	scratch_load_dwordx4 v[56:59], off, off offset:320
	;; [unrolled: 1-line block ×3, first 2 shown]
	s_waitcnt vmcnt(9) lgkmcnt(3)
	v_mul_f64 v[24:25], v[4:5], v[22:23]
	v_fmac_f64_e32 v[24:25], v[6:7], v[20:21]
	v_add_f64 v[28:29], v[24:25], 0
	scratch_load_dwordx4 v[24:27], off, off offset:240
	v_mul_f64 v[6:7], v[6:7], v[22:23]
	v_fma_f64 v[4:5], v[4:5], v[20:21], -v[6:7]
	v_add_f64 v[4:5], v[4:5], 0
	s_waitcnt vmcnt(0) lgkmcnt(2)
	v_mul_f64 v[30:31], v[8:9], v[26:27]
	v_fmac_f64_e32 v[30:31], v[10:11], v[24:25]
	v_add_f64 v[32:33], v[28:29], v[30:31]
	scratch_load_dwordx4 v[28:31], off, off offset:256
	v_mul_f64 v[6:7], v[10:11], v[26:27]
	v_fma_f64 v[6:7], v[8:9], v[24:25], -v[6:7]
	v_add_f64 v[4:5], v[4:5], v[6:7]
	;; [unrolled: 8-line block ×3, first 2 shown]
	s_waitcnt vmcnt(0) lgkmcnt(0)
	v_mul_f64 v[38:39], v[16:17], v[34:35]
	v_fmac_f64_e32 v[38:39], v[18:19], v[32:33]
	v_add_f64 v[44:45], v[36:37], v[38:39]
	ds_read_b128 v[36:39], v2 offset:720
	v_mul_f64 v[6:7], v[18:19], v[34:35]
	v_fma_f64 v[6:7], v[16:17], v[32:33], -v[6:7]
	v_add_f64 v[4:5], v[4:5], v[6:7]
	s_waitcnt lgkmcnt(0)
	v_mul_f64 v[46:47], v[36:37], v[42:43]
	v_fmac_f64_e32 v[46:47], v[38:39], v[40:41]
	v_add_f64 v[52:53], v[44:45], v[46:47]
	ds_read_b128 v[44:47], v2 offset:736
	v_mul_f64 v[6:7], v[38:39], v[42:43]
	v_fma_f64 v[6:7], v[36:37], v[40:41], -v[6:7]
	v_add_f64 v[4:5], v[4:5], v[6:7]
	s_waitcnt lgkmcnt(0)
	;; [unrolled: 8-line block ×9, first 2 shown]
	v_mul_f64 v[6:7], v[102:103], v[106:107]
	v_fma_f64 v[6:7], v[100:101], v[104:105], -v[6:7]
	v_add_f64 v[8:9], v[4:5], v[6:7]
	scratch_load_dwordx4 v[4:7], off, off offset:208
	v_mul_f64 v[110:111], v[100:101], v[106:107]
	v_fmac_f64_e32 v[110:111], v[102:103], v[104:105]
	v_add_f64 v[108:109], v[108:109], v[110:111]
	s_waitcnt vmcnt(0)
	v_add_f64 v[4:5], v[4:5], -v[8:9]
	v_add_f64 v[6:7], v[6:7], -v[108:109]
	scratch_store_dwordx4 off, v[4:7], off offset:208
	s_and_saveexec_b64 s[2:3], vcc
	s_cbranch_execz .LBB90_151
; %bb.150:
	scratch_load_dwordx4 v[6:9], off, s33
	v_mov_b32_e32 v3, v2
	v_mov_b32_e32 v4, v2
	;; [unrolled: 1-line block ×3, first 2 shown]
	scratch_store_dwordx4 off, v[2:5], off offset:192
	s_waitcnt vmcnt(1)
	ds_write_b128 v150, v[6:9]
.LBB90_151:
	s_or_b64 exec, exec, s[2:3]
	s_waitcnt lgkmcnt(0)
	; wave barrier
	scratch_load_dwordx4 v[4:7], off, off offset:208
	scratch_load_dwordx4 v[8:11], off, off offset:224
	;; [unrolled: 1-line block ×14, first 2 shown]
	ds_read_b128 v[60:63], v2 offset:640
	ds_read_b128 v[64:67], v2 offset:656
	;; [unrolled: 1-line block ×14, first 2 shown]
	scratch_load_dwordx4 v[116:119], off, off offset:192
	v_cmp_lt_u32_e32 vcc, 11, v1
	s_waitcnt vmcnt(14) lgkmcnt(13)
	v_mul_f64 v[2:3], v[60:61], v[6:7]
	s_waitcnt vmcnt(13) lgkmcnt(12)
	v_mul_f64 v[120:121], v[64:65], v[10:11]
	v_fmac_f64_e32 v[2:3], v[62:63], v[4:5]
	s_waitcnt vmcnt(12) lgkmcnt(11)
	v_mul_f64 v[122:123], v[68:69], v[14:15]
	v_fmac_f64_e32 v[120:121], v[66:67], v[8:9]
	v_add_f64 v[2:3], v[2:3], 0
	s_waitcnt vmcnt(11) lgkmcnt(10)
	v_mul_f64 v[124:125], v[72:73], v[18:19]
	v_fmac_f64_e32 v[122:123], v[70:71], v[12:13]
	v_add_f64 v[2:3], v[2:3], v[120:121]
	;; [unrolled: 4-line block ×4, first 2 shown]
	s_waitcnt vmcnt(8) lgkmcnt(7)
	v_mul_f64 v[130:131], v[84:85], v[30:31]
	v_mul_f64 v[6:7], v[62:63], v[6:7]
	v_fmac_f64_e32 v[128:129], v[82:83], v[24:25]
	v_add_f64 v[2:3], v[2:3], v[126:127]
	s_waitcnt vmcnt(7) lgkmcnt(6)
	v_mul_f64 v[132:133], v[88:89], v[34:35]
	v_mul_f64 v[10:11], v[66:67], v[10:11]
	v_fmac_f64_e32 v[130:131], v[86:87], v[28:29]
	v_fma_f64 v[4:5], v[60:61], v[4:5], -v[6:7]
	v_add_f64 v[2:3], v[2:3], v[128:129]
	s_waitcnt vmcnt(6) lgkmcnt(5)
	v_mul_f64 v[134:135], v[92:93], v[38:39]
	v_mul_f64 v[14:15], v[70:71], v[14:15]
	v_fmac_f64_e32 v[132:133], v[90:91], v[32:33]
	v_fma_f64 v[6:7], v[64:65], v[8:9], -v[10:11]
	v_add_f64 v[4:5], v[4:5], 0
	v_add_f64 v[2:3], v[2:3], v[130:131]
	s_waitcnt vmcnt(5) lgkmcnt(4)
	v_mul_f64 v[136:137], v[96:97], v[42:43]
	v_mul_f64 v[18:19], v[74:75], v[18:19]
	v_fmac_f64_e32 v[134:135], v[94:95], v[36:37]
	v_fma_f64 v[8:9], v[68:69], v[12:13], -v[14:15]
	v_add_f64 v[4:5], v[4:5], v[6:7]
	;; [unrolled: 7-line block ×6, first 2 shown]
	v_add_f64 v[2:3], v[2:3], v[140:141]
	v_fmac_f64_e32 v[144:145], v[114:115], v[56:57]
	v_fma_f64 v[18:19], v[88:89], v[32:33], -v[34:35]
	v_add_f64 v[4:5], v[4:5], v[16:17]
	v_add_f64 v[2:3], v[2:3], v[142:143]
	;; [unrolled: 1-line block ×4, first 2 shown]
	v_mul_f64 v[4:5], v[94:95], v[38:39]
	v_fma_f64 v[4:5], v[92:93], v[36:37], -v[4:5]
	v_add_f64 v[2:3], v[2:3], v[4:5]
	v_mul_f64 v[4:5], v[98:99], v[42:43]
	v_fma_f64 v[4:5], v[96:97], v[40:41], -v[4:5]
	v_add_f64 v[2:3], v[2:3], v[4:5]
	v_mul_f64 v[4:5], v[102:103], v[46:47]
	v_fma_f64 v[4:5], v[100:101], v[44:45], -v[4:5]
	v_add_f64 v[2:3], v[2:3], v[4:5]
	v_mul_f64 v[4:5], v[106:107], v[50:51]
	v_fma_f64 v[4:5], v[104:105], v[48:49], -v[4:5]
	v_add_f64 v[2:3], v[2:3], v[4:5]
	v_mul_f64 v[4:5], v[110:111], v[54:55]
	v_fma_f64 v[4:5], v[108:109], v[52:53], -v[4:5]
	v_add_f64 v[2:3], v[2:3], v[4:5]
	v_mul_f64 v[4:5], v[114:115], v[58:59]
	v_fma_f64 v[4:5], v[112:113], v[56:57], -v[4:5]
	v_add_f64 v[2:3], v[2:3], v[4:5]
	s_waitcnt vmcnt(0)
	v_add_f64 v[2:3], v[116:117], -v[2:3]
	v_add_f64 v[4:5], v[118:119], -v[6:7]
	scratch_store_dwordx4 off, v[2:5], off offset:192
	s_and_saveexec_b64 s[2:3], vcc
	s_cbranch_execz .LBB90_153
; %bb.152:
	scratch_load_dwordx4 v[2:5], off, s34
	v_mov_b32_e32 v6, 0
	v_mov_b32_e32 v7, v6
	;; [unrolled: 1-line block ×4, first 2 shown]
	scratch_store_dwordx4 off, v[6:9], off offset:176
	s_waitcnt vmcnt(1)
	ds_write_b128 v150, v[2:5]
.LBB90_153:
	s_or_b64 exec, exec, s[2:3]
	s_waitcnt lgkmcnt(0)
	; wave barrier
	scratch_load_dwordx4 v[4:7], off, off offset:192
	scratch_load_dwordx4 v[8:11], off, off offset:208
	;; [unrolled: 1-line block ×16, first 2 shown]
	v_mov_b32_e32 v2, 0
	ds_read_b128 v[68:71], v2 offset:624
	ds_read_b128 v[72:75], v2 offset:640
	;; [unrolled: 1-line block ×15, first 2 shown]
	v_cmp_lt_u32_e32 vcc, 10, v1
	s_waitcnt vmcnt(15) lgkmcnt(14)
	v_mul_f64 v[128:129], v[68:69], v[6:7]
	v_mul_f64 v[6:7], v[70:71], v[6:7]
	s_waitcnt vmcnt(14) lgkmcnt(13)
	v_mul_f64 v[130:131], v[72:73], v[10:11]
	v_mul_f64 v[10:11], v[74:75], v[10:11]
	v_fmac_f64_e32 v[128:129], v[70:71], v[4:5]
	v_fma_f64 v[4:5], v[68:69], v[4:5], -v[6:7]
	s_waitcnt vmcnt(13) lgkmcnt(12)
	v_mul_f64 v[132:133], v[76:77], v[14:15]
	v_mul_f64 v[14:15], v[78:79], v[14:15]
	v_fma_f64 v[6:7], v[72:73], v[8:9], -v[10:11]
	v_add_f64 v[4:5], v[4:5], 0
	s_waitcnt vmcnt(12) lgkmcnt(11)
	v_mul_f64 v[134:135], v[80:81], v[18:19]
	v_mul_f64 v[18:19], v[82:83], v[18:19]
	v_fmac_f64_e32 v[130:131], v[74:75], v[8:9]
	v_fma_f64 v[8:9], v[76:77], v[12:13], -v[14:15]
	v_add_f64 v[4:5], v[4:5], v[6:7]
	s_waitcnt vmcnt(11) lgkmcnt(10)
	v_mul_f64 v[136:137], v[84:85], v[22:23]
	v_mul_f64 v[22:23], v[86:87], v[22:23]
	v_fma_f64 v[10:11], v[80:81], v[16:17], -v[18:19]
	v_add_f64 v[4:5], v[4:5], v[8:9]
	s_waitcnt vmcnt(10) lgkmcnt(9)
	v_mul_f64 v[138:139], v[88:89], v[26:27]
	v_mul_f64 v[26:27], v[90:91], v[26:27]
	v_fmac_f64_e32 v[132:133], v[78:79], v[12:13]
	v_fma_f64 v[12:13], v[84:85], v[20:21], -v[22:23]
	v_add_f64 v[4:5], v[4:5], v[10:11]
	v_fma_f64 v[14:15], v[88:89], v[24:25], -v[26:27]
	v_add_f64 v[4:5], v[4:5], v[12:13]
	s_waitcnt vmcnt(9) lgkmcnt(8)
	v_mul_f64 v[8:9], v[94:95], v[30:31]
	v_add_f64 v[4:5], v[4:5], v[14:15]
	v_fma_f64 v[8:9], v[92:93], v[28:29], -v[8:9]
	v_add_f64 v[4:5], v[4:5], v[8:9]
	s_waitcnt vmcnt(8) lgkmcnt(7)
	v_mul_f64 v[8:9], v[98:99], v[34:35]
	v_fma_f64 v[8:9], v[96:97], v[32:33], -v[8:9]
	v_fmac_f64_e32 v[134:135], v[82:83], v[16:17]
	v_add_f64 v[16:17], v[128:129], 0
	v_add_f64 v[4:5], v[4:5], v[8:9]
	s_waitcnt vmcnt(7) lgkmcnt(6)
	v_mul_f64 v[8:9], v[102:103], v[38:39]
	v_add_f64 v[16:17], v[16:17], v[130:131]
	v_fma_f64 v[8:9], v[100:101], v[36:37], -v[8:9]
	v_add_f64 v[6:7], v[16:17], v[132:133]
	v_add_f64 v[4:5], v[4:5], v[8:9]
	s_waitcnt vmcnt(6) lgkmcnt(5)
	v_mul_f64 v[8:9], v[106:107], v[42:43]
	v_fmac_f64_e32 v[136:137], v[86:87], v[20:21]
	v_add_f64 v[6:7], v[6:7], v[134:135]
	v_fma_f64 v[8:9], v[104:105], v[40:41], -v[8:9]
	v_mul_f64 v[140:141], v[92:93], v[30:31]
	v_fmac_f64_e32 v[138:139], v[90:91], v[24:25]
	v_add_f64 v[6:7], v[6:7], v[136:137]
	v_add_f64 v[4:5], v[4:5], v[8:9]
	s_waitcnt vmcnt(5) lgkmcnt(4)
	v_mul_f64 v[8:9], v[110:111], v[46:47]
	v_mul_f64 v[142:143], v[96:97], v[34:35]
	v_fmac_f64_e32 v[140:141], v[94:95], v[28:29]
	v_add_f64 v[6:7], v[6:7], v[138:139]
	v_fma_f64 v[8:9], v[108:109], v[44:45], -v[8:9]
	v_mul_f64 v[144:145], v[100:101], v[38:39]
	v_fmac_f64_e32 v[142:143], v[98:99], v[32:33]
	v_add_f64 v[6:7], v[6:7], v[140:141]
	v_add_f64 v[4:5], v[4:5], v[8:9]
	s_waitcnt vmcnt(4) lgkmcnt(3)
	v_mul_f64 v[8:9], v[114:115], v[50:51]
	;; [unrolled: 10-line block ×4, first 2 shown]
	v_mul_f64 v[156:157], v[120:121], v[58:59]
	v_fmac_f64_e32 v[154:155], v[118:119], v[52:53]
	v_add_f64 v[6:7], v[6:7], v[152:153]
	v_fma_f64 v[8:9], v[120:121], v[56:57], -v[8:9]
	s_waitcnt vmcnt(1) lgkmcnt(0)
	v_mul_f64 v[158:159], v[124:125], v[62:63]
	v_fmac_f64_e32 v[156:157], v[122:123], v[56:57]
	v_add_f64 v[6:7], v[6:7], v[154:155]
	v_add_f64 v[4:5], v[4:5], v[8:9]
	v_mul_f64 v[8:9], v[126:127], v[62:63]
	v_fmac_f64_e32 v[158:159], v[126:127], v[60:61]
	v_add_f64 v[6:7], v[6:7], v[156:157]
	v_fma_f64 v[8:9], v[124:125], v[60:61], -v[8:9]
	v_add_f64 v[6:7], v[6:7], v[158:159]
	v_add_f64 v[4:5], v[4:5], v[8:9]
	s_waitcnt vmcnt(0)
	v_add_f64 v[4:5], v[64:65], -v[4:5]
	v_add_f64 v[6:7], v[66:67], -v[6:7]
	scratch_store_dwordx4 off, v[4:7], off offset:176
	s_and_saveexec_b64 s[2:3], vcc
	s_cbranch_execz .LBB90_155
; %bb.154:
	scratch_load_dwordx4 v[6:9], off, s35
	v_mov_b32_e32 v3, v2
	v_mov_b32_e32 v4, v2
	;; [unrolled: 1-line block ×3, first 2 shown]
	scratch_store_dwordx4 off, v[2:5], off offset:160
	s_waitcnt vmcnt(1)
	ds_write_b128 v150, v[6:9]
.LBB90_155:
	s_or_b64 exec, exec, s[2:3]
	s_waitcnt lgkmcnt(0)
	; wave barrier
	scratch_load_dwordx4 v[4:7], off, off offset:176
	scratch_load_dwordx4 v[8:11], off, off offset:192
	;; [unrolled: 1-line block ×16, first 2 shown]
	ds_read_b128 v[68:71], v2 offset:608
	ds_read_b128 v[72:75], v2 offset:624
	ds_read_b128 v[76:79], v2 offset:640
	ds_read_b128 v[80:83], v2 offset:656
	ds_read_b128 v[84:87], v2 offset:672
	ds_read_b128 v[88:91], v2 offset:688
	ds_read_b128 v[92:95], v2 offset:704
	ds_read_b128 v[96:99], v2 offset:720
	ds_read_b128 v[100:103], v2 offset:736
	ds_read_b128 v[104:107], v2 offset:752
	ds_read_b128 v[108:111], v2 offset:768
	ds_read_b128 v[112:115], v2 offset:784
	ds_read_b128 v[116:119], v2 offset:800
	ds_read_b128 v[120:123], v2 offset:816
	ds_read_b128 v[124:127], v2 offset:832
	ds_read_b128 v[128:131], v2 offset:848
	scratch_load_dwordx4 v[132:135], off, off offset:160
	v_cmp_lt_u32_e32 vcc, 9, v1
	s_waitcnt vmcnt(16) lgkmcnt(14)
	v_mul_f64 v[2:3], v[68:69], v[6:7]
	s_waitcnt vmcnt(15)
	v_mul_f64 v[136:137], v[72:73], v[10:11]
	v_fmac_f64_e32 v[2:3], v[70:71], v[4:5]
	s_waitcnt vmcnt(14) lgkmcnt(13)
	v_mul_f64 v[138:139], v[76:77], v[14:15]
	v_fmac_f64_e32 v[136:137], v[74:75], v[8:9]
	v_add_f64 v[2:3], v[2:3], 0
	s_waitcnt vmcnt(13) lgkmcnt(12)
	v_mul_f64 v[140:141], v[80:81], v[18:19]
	v_fmac_f64_e32 v[138:139], v[78:79], v[12:13]
	v_add_f64 v[2:3], v[2:3], v[136:137]
	;; [unrolled: 4-line block ×10, first 2 shown]
	s_waitcnt vmcnt(4) lgkmcnt(3)
	v_mul_f64 v[160:161], v[116:117], v[54:55]
	v_mul_f64 v[6:7], v[70:71], v[6:7]
	v_fmac_f64_e32 v[158:159], v[114:115], v[48:49]
	v_add_f64 v[2:3], v[2:3], v[156:157]
	s_waitcnt vmcnt(3) lgkmcnt(2)
	v_mul_f64 v[162:163], v[120:121], v[58:59]
	v_mul_f64 v[10:11], v[74:75], v[10:11]
	v_fmac_f64_e32 v[160:161], v[118:119], v[52:53]
	v_fma_f64 v[4:5], v[68:69], v[4:5], -v[6:7]
	v_add_f64 v[2:3], v[2:3], v[158:159]
	s_waitcnt vmcnt(2) lgkmcnt(1)
	v_mul_f64 v[164:165], v[124:125], v[62:63]
	v_mul_f64 v[14:15], v[78:79], v[14:15]
	v_fmac_f64_e32 v[162:163], v[122:123], v[56:57]
	v_fma_f64 v[6:7], v[72:73], v[8:9], -v[10:11]
	v_add_f64 v[4:5], v[4:5], 0
	v_add_f64 v[2:3], v[2:3], v[160:161]
	s_waitcnt vmcnt(1) lgkmcnt(0)
	v_mul_f64 v[166:167], v[128:129], v[66:67]
	v_mul_f64 v[18:19], v[82:83], v[18:19]
	v_fmac_f64_e32 v[164:165], v[126:127], v[60:61]
	v_fma_f64 v[8:9], v[76:77], v[12:13], -v[14:15]
	v_add_f64 v[4:5], v[4:5], v[6:7]
	v_add_f64 v[2:3], v[2:3], v[162:163]
	v_mul_f64 v[26:27], v[86:87], v[26:27]
	v_fmac_f64_e32 v[166:167], v[130:131], v[64:65]
	v_fma_f64 v[10:11], v[80:81], v[16:17], -v[18:19]
	v_add_f64 v[4:5], v[4:5], v[8:9]
	v_add_f64 v[2:3], v[2:3], v[164:165]
	v_fma_f64 v[12:13], v[84:85], v[24:25], -v[26:27]
	v_add_f64 v[4:5], v[4:5], v[10:11]
	v_add_f64 v[6:7], v[2:3], v[166:167]
	v_mul_f64 v[2:3], v[90:91], v[22:23]
	v_add_f64 v[4:5], v[4:5], v[12:13]
	v_fma_f64 v[2:3], v[88:89], v[20:21], -v[2:3]
	v_add_f64 v[2:3], v[4:5], v[2:3]
	v_mul_f64 v[4:5], v[94:95], v[30:31]
	v_fma_f64 v[4:5], v[92:93], v[28:29], -v[4:5]
	v_add_f64 v[2:3], v[2:3], v[4:5]
	v_mul_f64 v[4:5], v[98:99], v[34:35]
	;; [unrolled: 3-line block ×10, first 2 shown]
	v_fma_f64 v[4:5], v[128:129], v[64:65], -v[4:5]
	v_add_f64 v[2:3], v[2:3], v[4:5]
	s_waitcnt vmcnt(0)
	v_add_f64 v[2:3], v[132:133], -v[2:3]
	v_add_f64 v[4:5], v[134:135], -v[6:7]
	scratch_store_dwordx4 off, v[2:5], off offset:160
	s_and_saveexec_b64 s[2:3], vcc
	s_cbranch_execz .LBB90_157
; %bb.156:
	scratch_load_dwordx4 v[2:5], off, s36
	v_mov_b32_e32 v6, 0
	v_mov_b32_e32 v7, v6
	;; [unrolled: 1-line block ×4, first 2 shown]
	scratch_store_dwordx4 off, v[6:9], off offset:144
	s_waitcnt vmcnt(1)
	ds_write_b128 v150, v[2:5]
.LBB90_157:
	s_or_b64 exec, exec, s[2:3]
	s_waitcnt lgkmcnt(0)
	; wave barrier
	scratch_load_dwordx4 v[4:7], off, off offset:160
	scratch_load_dwordx4 v[8:11], off, off offset:176
	;; [unrolled: 1-line block ×18, first 2 shown]
	v_mov_b32_e32 v2, 0
	ds_read_b128 v[76:79], v2 offset:592
	ds_read_b128 v[80:83], v2 offset:608
	ds_read_b128 v[84:87], v2 offset:624
	ds_read_b128 v[88:91], v2 offset:640
	ds_read_b128 v[92:95], v2 offset:656
	ds_read_b128 v[96:99], v2 offset:672
	ds_read_b128 v[100:103], v2 offset:688
	ds_read_b128 v[104:107], v2 offset:704
	ds_read_b128 v[108:111], v2 offset:720
	ds_read_b128 v[112:115], v2 offset:736
	ds_read_b128 v[116:119], v2 offset:752
	ds_read_b128 v[120:123], v2 offset:768
	ds_read_b128 v[124:127], v2 offset:784
	ds_read_b128 v[128:131], v2 offset:800
	ds_read_b128 v[132:135], v2 offset:816
	ds_read_b128 v[136:139], v2 offset:832
	ds_read_b128 v[140:143], v2 offset:848
	v_cmp_lt_u32_e32 vcc, 8, v1
	s_waitcnt vmcnt(17) lgkmcnt(14)
	v_mul_f64 v[144:145], v[76:77], v[6:7]
	v_mul_f64 v[6:7], v[78:79], v[6:7]
	s_waitcnt vmcnt(16)
	v_mul_f64 v[146:147], v[80:81], v[10:11]
	v_mul_f64 v[10:11], v[82:83], v[10:11]
	v_fmac_f64_e32 v[144:145], v[78:79], v[4:5]
	v_fma_f64 v[4:5], v[76:77], v[4:5], -v[6:7]
	s_waitcnt vmcnt(15)
	v_mul_f64 v[148:149], v[84:85], v[18:19]
	v_mul_f64 v[18:19], v[86:87], v[18:19]
	v_fma_f64 v[6:7], v[80:81], v[8:9], -v[10:11]
	v_add_f64 v[4:5], v[4:5], 0
	s_waitcnt vmcnt(14) lgkmcnt(13)
	v_mul_f64 v[152:153], v[88:89], v[14:15]
	v_mul_f64 v[14:15], v[90:91], v[14:15]
	v_fmac_f64_e32 v[146:147], v[82:83], v[8:9]
	v_fma_f64 v[8:9], v[84:85], v[16:17], -v[18:19]
	v_add_f64 v[4:5], v[4:5], v[6:7]
	v_add_f64 v[4:5], v[4:5], v[8:9]
	v_fma_f64 v[8:9], v[88:89], v[12:13], -v[14:15]
	v_add_f64 v[4:5], v[4:5], v[8:9]
	s_waitcnt vmcnt(13) lgkmcnt(12)
	v_mul_f64 v[8:9], v[94:95], v[22:23]
	v_fma_f64 v[8:9], v[92:93], v[20:21], -v[8:9]
	v_add_f64 v[4:5], v[4:5], v[8:9]
	s_waitcnt vmcnt(12) lgkmcnt(11)
	v_mul_f64 v[8:9], v[98:99], v[26:27]
	;; [unrolled: 4-line block ×5, first 2 shown]
	v_fma_f64 v[8:9], v[108:109], v[36:37], -v[8:9]
	v_add_f64 v[10:11], v[144:145], 0
	v_add_f64 v[4:5], v[4:5], v[8:9]
	s_waitcnt vmcnt(8) lgkmcnt(7)
	v_mul_f64 v[8:9], v[114:115], v[42:43]
	v_fmac_f64_e32 v[148:149], v[86:87], v[16:17]
	v_add_f64 v[10:11], v[10:11], v[146:147]
	v_fma_f64 v[8:9], v[112:113], v[40:41], -v[8:9]
	v_mul_f64 v[154:155], v[92:93], v[22:23]
	v_fmac_f64_e32 v[152:153], v[90:91], v[12:13]
	v_add_f64 v[6:7], v[10:11], v[148:149]
	v_add_f64 v[4:5], v[4:5], v[8:9]
	s_waitcnt vmcnt(7) lgkmcnt(6)
	v_mul_f64 v[8:9], v[118:119], v[46:47]
	v_mul_f64 v[156:157], v[96:97], v[26:27]
	v_fmac_f64_e32 v[154:155], v[94:95], v[20:21]
	v_add_f64 v[6:7], v[6:7], v[152:153]
	v_fma_f64 v[8:9], v[116:117], v[44:45], -v[8:9]
	v_mul_f64 v[158:159], v[100:101], v[30:31]
	v_fmac_f64_e32 v[156:157], v[98:99], v[24:25]
	v_add_f64 v[6:7], v[6:7], v[154:155]
	v_add_f64 v[4:5], v[4:5], v[8:9]
	s_waitcnt vmcnt(6) lgkmcnt(5)
	v_mul_f64 v[8:9], v[122:123], v[50:51]
	;; [unrolled: 10-line block ×6, first 2 shown]
	v_mul_f64 v[178:179], v[136:137], v[66:67]
	v_fmac_f64_e32 v[176:177], v[134:135], v[60:61]
	v_add_f64 v[6:7], v[6:7], v[174:175]
	v_fma_f64 v[8:9], v[136:137], v[64:65], -v[8:9]
	s_waitcnt vmcnt(1) lgkmcnt(0)
	v_mul_f64 v[180:181], v[140:141], v[70:71]
	v_fmac_f64_e32 v[178:179], v[138:139], v[64:65]
	v_add_f64 v[6:7], v[6:7], v[176:177]
	v_add_f64 v[4:5], v[4:5], v[8:9]
	v_mul_f64 v[8:9], v[142:143], v[70:71]
	v_fmac_f64_e32 v[180:181], v[142:143], v[68:69]
	v_add_f64 v[6:7], v[6:7], v[178:179]
	v_fma_f64 v[8:9], v[140:141], v[68:69], -v[8:9]
	v_add_f64 v[6:7], v[6:7], v[180:181]
	v_add_f64 v[4:5], v[4:5], v[8:9]
	s_waitcnt vmcnt(0)
	v_add_f64 v[4:5], v[72:73], -v[4:5]
	v_add_f64 v[6:7], v[74:75], -v[6:7]
	scratch_store_dwordx4 off, v[4:7], off offset:144
	s_and_saveexec_b64 s[2:3], vcc
	s_cbranch_execz .LBB90_159
; %bb.158:
	scratch_load_dwordx4 v[6:9], off, s37
	v_mov_b32_e32 v3, v2
	v_mov_b32_e32 v4, v2
	;; [unrolled: 1-line block ×3, first 2 shown]
	scratch_store_dwordx4 off, v[2:5], off offset:128
	s_waitcnt vmcnt(1)
	ds_write_b128 v150, v[6:9]
.LBB90_159:
	s_or_b64 exec, exec, s[2:3]
	s_waitcnt lgkmcnt(0)
	; wave barrier
	scratch_load_dwordx4 v[4:7], off, off offset:144
	scratch_load_dwordx4 v[12:15], off, off offset:160
	;; [unrolled: 1-line block ×18, first 2 shown]
	ds_read_b128 v[76:79], v2 offset:576
	ds_read_b128 v[80:83], v2 offset:592
	;; [unrolled: 1-line block ×18, first 2 shown]
	scratch_load_dwordx4 v[152:155], off, off offset:128
	v_cmp_lt_u32_e32 vcc, 7, v1
	s_waitcnt vmcnt(18) lgkmcnt(14)
	v_mul_f64 v[2:3], v[76:77], v[6:7]
	s_waitcnt vmcnt(17)
	v_mul_f64 v[148:149], v[80:81], v[14:15]
	v_fmac_f64_e32 v[2:3], v[78:79], v[4:5]
	s_waitcnt vmcnt(16)
	v_mul_f64 v[156:157], v[84:85], v[10:11]
	v_fmac_f64_e32 v[148:149], v[82:83], v[12:13]
	v_add_f64 v[2:3], v[2:3], 0
	s_waitcnt vmcnt(15)
	v_mul_f64 v[158:159], v[88:89], v[18:19]
	v_fmac_f64_e32 v[156:157], v[86:87], v[8:9]
	v_add_f64 v[2:3], v[2:3], v[148:149]
	s_waitcnt vmcnt(14) lgkmcnt(13)
	v_mul_f64 v[160:161], v[92:93], v[22:23]
	v_fmac_f64_e32 v[158:159], v[90:91], v[16:17]
	v_add_f64 v[2:3], v[2:3], v[156:157]
	s_waitcnt vmcnt(13) lgkmcnt(12)
	;; [unrolled: 4-line block ×13, first 2 shown]
	v_mul_f64 v[226:227], v[140:141], v[70:71]
	v_mul_f64 v[6:7], v[78:79], v[6:7]
	v_fmac_f64_e32 v[224:225], v[138:139], v[64:65]
	v_add_f64 v[2:3], v[2:3], v[222:223]
	s_waitcnt vmcnt(1) lgkmcnt(0)
	v_mul_f64 v[228:229], v[144:145], v[74:75]
	v_mul_f64 v[14:15], v[82:83], v[14:15]
	v_fmac_f64_e32 v[226:227], v[142:143], v[68:69]
	v_fma_f64 v[4:5], v[76:77], v[4:5], -v[6:7]
	v_add_f64 v[2:3], v[2:3], v[224:225]
	v_mul_f64 v[10:11], v[86:87], v[10:11]
	v_fmac_f64_e32 v[228:229], v[146:147], v[72:73]
	v_fma_f64 v[6:7], v[80:81], v[12:13], -v[14:15]
	v_add_f64 v[4:5], v[4:5], 0
	v_add_f64 v[2:3], v[2:3], v[226:227]
	;; [unrolled: 1-line block ×4, first 2 shown]
	v_fma_f64 v[2:3], v[84:85], v[8:9], -v[10:11]
	v_add_f64 v[2:3], v[4:5], v[2:3]
	v_mul_f64 v[4:5], v[90:91], v[18:19]
	v_fma_f64 v[4:5], v[88:89], v[16:17], -v[4:5]
	v_add_f64 v[2:3], v[2:3], v[4:5]
	v_mul_f64 v[4:5], v[94:95], v[22:23]
	;; [unrolled: 3-line block ×15, first 2 shown]
	v_fma_f64 v[4:5], v[144:145], v[72:73], -v[4:5]
	v_add_f64 v[2:3], v[2:3], v[4:5]
	s_waitcnt vmcnt(0)
	v_add_f64 v[2:3], v[152:153], -v[2:3]
	v_add_f64 v[4:5], v[154:155], -v[6:7]
	scratch_store_dwordx4 off, v[2:5], off offset:128
	s_and_saveexec_b64 s[2:3], vcc
	s_cbranch_execz .LBB90_161
; %bb.160:
	scratch_load_dwordx4 v[2:5], off, s38
	v_mov_b32_e32 v6, 0
	v_mov_b32_e32 v7, v6
	;; [unrolled: 1-line block ×4, first 2 shown]
	scratch_store_dwordx4 off, v[6:9], off offset:112
	s_waitcnt vmcnt(1)
	ds_write_b128 v150, v[2:5]
.LBB90_161:
	s_or_b64 exec, exec, s[2:3]
	s_waitcnt lgkmcnt(0)
	; wave barrier
	scratch_load_dwordx4 v[8:11], off, off offset:128
	scratch_load_dwordx4 v[4:7], off, off offset:144
	;; [unrolled: 1-line block ×20, first 2 shown]
	v_mov_b32_e32 v2, 0
	ds_read_b128 v[84:87], v2 offset:560
	ds_read_b128 v[88:91], v2 offset:576
	;; [unrolled: 1-line block ×19, first 2 shown]
	v_cmp_lt_u32_e32 vcc, 6, v1
	s_waitcnt vmcnt(19) lgkmcnt(14)
	v_mul_f64 v[148:149], v[84:85], v[10:11]
	v_mul_f64 v[10:11], v[86:87], v[10:11]
	s_waitcnt vmcnt(18)
	v_mul_f64 v[164:165], v[88:89], v[6:7]
	v_fmac_f64_e32 v[148:149], v[86:87], v[8:9]
	v_fma_f64 v[8:9], v[84:85], v[8:9], -v[10:11]
	v_mul_f64 v[6:7], v[90:91], v[6:7]
	v_fmac_f64_e32 v[164:165], v[90:91], v[4:5]
	v_add_f64 v[8:9], v[8:9], 0
	v_fma_f64 v[4:5], v[88:89], v[4:5], -v[6:7]
	s_waitcnt vmcnt(17)
	v_mul_f64 v[6:7], v[94:95], v[14:15]
	v_add_f64 v[4:5], v[8:9], v[4:5]
	v_fma_f64 v[6:7], v[92:93], v[12:13], -v[6:7]
	v_add_f64 v[4:5], v[4:5], v[6:7]
	s_waitcnt vmcnt(16)
	v_mul_f64 v[6:7], v[98:99], v[18:19]
	v_fma_f64 v[6:7], v[96:97], v[16:17], -v[6:7]
	v_add_f64 v[4:5], v[4:5], v[6:7]
	s_waitcnt vmcnt(15)
	v_mul_f64 v[6:7], v[102:103], v[22:23]
	v_fma_f64 v[6:7], v[100:101], v[20:21], -v[6:7]
	v_add_f64 v[4:5], v[4:5], v[6:7]
	s_waitcnt vmcnt(14) lgkmcnt(13)
	v_mul_f64 v[6:7], v[106:107], v[26:27]
	v_fma_f64 v[6:7], v[104:105], v[24:25], -v[6:7]
	v_add_f64 v[4:5], v[4:5], v[6:7]
	s_waitcnt vmcnt(13) lgkmcnt(12)
	;; [unrolled: 4-line block ×5, first 2 shown]
	v_mul_f64 v[6:7], v[122:123], v[42:43]
	v_fma_f64 v[6:7], v[120:121], v[40:41], -v[6:7]
	v_mul_f64 v[166:167], v[92:93], v[14:15]
	v_add_f64 v[10:11], v[148:149], 0
	v_add_f64 v[4:5], v[4:5], v[6:7]
	s_waitcnt vmcnt(9) lgkmcnt(8)
	v_mul_f64 v[6:7], v[126:127], v[46:47]
	v_mul_f64 v[170:171], v[96:97], v[18:19]
	v_fmac_f64_e32 v[166:167], v[94:95], v[12:13]
	v_add_f64 v[10:11], v[10:11], v[164:165]
	v_fma_f64 v[6:7], v[124:125], v[44:45], -v[6:7]
	v_mul_f64 v[172:173], v[100:101], v[22:23]
	v_fmac_f64_e32 v[170:171], v[98:99], v[16:17]
	v_add_f64 v[10:11], v[10:11], v[166:167]
	v_add_f64 v[4:5], v[4:5], v[6:7]
	s_waitcnt vmcnt(8) lgkmcnt(7)
	v_mul_f64 v[6:7], v[130:131], v[50:51]
	v_mul_f64 v[174:175], v[104:105], v[26:27]
	v_fmac_f64_e32 v[172:173], v[102:103], v[20:21]
	v_add_f64 v[10:11], v[10:11], v[170:171]
	v_fma_f64 v[6:7], v[128:129], v[48:49], -v[6:7]
	v_mul_f64 v[176:177], v[108:109], v[30:31]
	v_fmac_f64_e32 v[174:175], v[106:107], v[24:25]
	v_add_f64 v[10:11], v[10:11], v[172:173]
	v_add_f64 v[4:5], v[4:5], v[6:7]
	s_waitcnt vmcnt(7) lgkmcnt(6)
	v_mul_f64 v[6:7], v[134:135], v[54:55]
	v_mul_f64 v[178:179], v[112:113], v[34:35]
	v_fmac_f64_e32 v[176:177], v[110:111], v[28:29]
	v_add_f64 v[10:11], v[10:11], v[174:175]
	v_fma_f64 v[6:7], v[132:133], v[52:53], -v[6:7]
	v_mul_f64 v[180:181], v[116:117], v[38:39]
	v_fmac_f64_e32 v[178:179], v[114:115], v[32:33]
	v_add_f64 v[10:11], v[10:11], v[176:177]
	v_add_f64 v[4:5], v[4:5], v[6:7]
	s_waitcnt vmcnt(6) lgkmcnt(5)
	v_mul_f64 v[6:7], v[138:139], v[58:59]
	v_mul_f64 v[222:223], v[120:121], v[42:43]
	v_fmac_f64_e32 v[180:181], v[118:119], v[36:37]
	v_add_f64 v[10:11], v[10:11], v[178:179]
	v_fma_f64 v[6:7], v[136:137], v[56:57], -v[6:7]
	v_mul_f64 v[224:225], v[124:125], v[46:47]
	v_fmac_f64_e32 v[222:223], v[122:123], v[40:41]
	v_add_f64 v[10:11], v[10:11], v[180:181]
	v_add_f64 v[4:5], v[4:5], v[6:7]
	s_waitcnt vmcnt(5) lgkmcnt(4)
	v_mul_f64 v[6:7], v[142:143], v[62:63]
	v_mul_f64 v[226:227], v[128:129], v[50:51]
	v_fmac_f64_e32 v[224:225], v[126:127], v[44:45]
	v_add_f64 v[10:11], v[10:11], v[222:223]
	v_fma_f64 v[6:7], v[140:141], v[60:61], -v[6:7]
	v_mul_f64 v[228:229], v[132:133], v[54:55]
	v_fmac_f64_e32 v[226:227], v[130:131], v[48:49]
	v_add_f64 v[10:11], v[10:11], v[224:225]
	v_add_f64 v[4:5], v[4:5], v[6:7]
	s_waitcnt vmcnt(4) lgkmcnt(3)
	v_mul_f64 v[6:7], v[146:147], v[66:67]
	v_mul_f64 v[230:231], v[136:137], v[58:59]
	v_fmac_f64_e32 v[228:229], v[134:135], v[52:53]
	v_add_f64 v[10:11], v[10:11], v[226:227]
	v_fma_f64 v[6:7], v[144:145], v[64:65], -v[6:7]
	v_mul_f64 v[232:233], v[140:141], v[62:63]
	v_fmac_f64_e32 v[230:231], v[138:139], v[56:57]
	v_add_f64 v[10:11], v[10:11], v[228:229]
	v_add_f64 v[4:5], v[4:5], v[6:7]
	s_waitcnt vmcnt(3) lgkmcnt(2)
	v_mul_f64 v[6:7], v[154:155], v[70:71]
	v_mul_f64 v[234:235], v[144:145], v[66:67]
	v_fmac_f64_e32 v[232:233], v[142:143], v[60:61]
	v_add_f64 v[10:11], v[10:11], v[230:231]
	v_fma_f64 v[6:7], v[152:153], v[68:69], -v[6:7]
	v_mul_f64 v[236:237], v[152:153], v[70:71]
	v_fmac_f64_e32 v[234:235], v[146:147], v[64:65]
	v_add_f64 v[10:11], v[10:11], v[232:233]
	v_add_f64 v[4:5], v[4:5], v[6:7]
	s_waitcnt vmcnt(2) lgkmcnt(1)
	v_mul_f64 v[6:7], v[158:159], v[74:75]
	v_mul_f64 v[238:239], v[156:157], v[74:75]
	v_fmac_f64_e32 v[236:237], v[154:155], v[68:69]
	v_add_f64 v[10:11], v[10:11], v[234:235]
	v_fma_f64 v[6:7], v[156:157], v[72:73], -v[6:7]
	s_waitcnt vmcnt(1) lgkmcnt(0)
	v_mul_f64 v[240:241], v[160:161], v[78:79]
	v_fmac_f64_e32 v[238:239], v[158:159], v[72:73]
	v_add_f64 v[10:11], v[10:11], v[236:237]
	v_add_f64 v[4:5], v[4:5], v[6:7]
	v_mul_f64 v[6:7], v[162:163], v[78:79]
	v_fmac_f64_e32 v[240:241], v[162:163], v[76:77]
	v_add_f64 v[10:11], v[10:11], v[238:239]
	v_fma_f64 v[6:7], v[160:161], v[76:77], -v[6:7]
	v_add_f64 v[10:11], v[10:11], v[240:241]
	v_add_f64 v[4:5], v[4:5], v[6:7]
	s_waitcnt vmcnt(0)
	v_add_f64 v[4:5], v[80:81], -v[4:5]
	v_add_f64 v[6:7], v[82:83], -v[10:11]
	scratch_store_dwordx4 off, v[4:7], off offset:112
	s_and_saveexec_b64 s[2:3], vcc
	s_cbranch_execz .LBB90_163
; %bb.162:
	scratch_load_dwordx4 v[6:9], off, s39
	v_mov_b32_e32 v3, v2
	v_mov_b32_e32 v4, v2
	v_mov_b32_e32 v5, v2
	scratch_store_dwordx4 off, v[2:5], off offset:96
	s_waitcnt vmcnt(1)
	ds_write_b128 v150, v[6:9]
.LBB90_163:
	s_or_b64 exec, exec, s[2:3]
	s_waitcnt lgkmcnt(0)
	; wave barrier
	ds_read_b128 v[16:19], v2 offset:544
	ds_read_b128 v[12:15], v2 offset:560
	;; [unrolled: 1-line block ×4, first 2 shown]
	scratch_load_dwordx4 v[20:23], off, off offset:112
	scratch_load_dwordx4 v[40:43], off, off offset:176
	;; [unrolled: 1-line block ×14, first 2 shown]
	v_cmp_lt_u32_e32 vcc, 5, v1
	scratch_load_dwordx4 v[48:51], off, off offset:192
	scratch_load_dwordx4 v[56:59], off, off offset:208
	;; [unrolled: 1-line block ×3, first 2 shown]
	s_waitcnt vmcnt(16) lgkmcnt(3)
	v_mul_f64 v[24:25], v[16:17], v[22:23]
	v_fmac_f64_e32 v[24:25], v[18:19], v[20:21]
	v_add_f64 v[28:29], v[24:25], 0
	scratch_load_dwordx4 v[24:27], off, off offset:128
	s_waitcnt vmcnt(0) lgkmcnt(2)
	v_mul_f64 v[30:31], v[12:13], v[26:27]
	v_fmac_f64_e32 v[30:31], v[14:15], v[24:25]
	v_add_f64 v[32:33], v[28:29], v[30:31]
	scratch_load_dwordx4 v[28:31], off, off offset:144
	v_mul_f64 v[14:15], v[14:15], v[26:27]
	v_fma_f64 v[12:13], v[12:13], v[24:25], -v[14:15]
	s_waitcnt vmcnt(0) lgkmcnt(1)
	v_mul_f64 v[34:35], v[8:9], v[30:31]
	v_fmac_f64_e32 v[34:35], v[10:11], v[28:29]
	v_add_f64 v[36:37], v[32:33], v[34:35]
	scratch_load_dwordx4 v[32:35], off, off offset:160
	v_mul_f64 v[10:11], v[10:11], v[30:31]
	v_fma_f64 v[8:9], v[8:9], v[28:29], -v[10:11]
	s_waitcnt vmcnt(0) lgkmcnt(0)
	v_mul_f64 v[38:39], v[4:5], v[34:35]
	v_fmac_f64_e32 v[38:39], v[6:7], v[32:33]
	v_add_f64 v[44:45], v[36:37], v[38:39]
	ds_read_b128 v[36:39], v2 offset:608
	v_mul_f64 v[6:7], v[6:7], v[34:35]
	v_fma_f64 v[4:5], v[4:5], v[32:33], -v[6:7]
	s_waitcnt lgkmcnt(0)
	v_mul_f64 v[46:47], v[36:37], v[42:43]
	v_fmac_f64_e32 v[46:47], v[38:39], v[40:41]
	v_add_f64 v[52:53], v[44:45], v[46:47]
	ds_read_b128 v[44:47], v2 offset:624
	s_waitcnt lgkmcnt(0)
	v_mul_f64 v[54:55], v[44:45], v[50:51]
	v_fmac_f64_e32 v[54:55], v[46:47], v[48:49]
	v_add_f64 v[60:61], v[52:53], v[54:55]
	ds_read_b128 v[52:55], v2 offset:640
	;; [unrolled: 5-line block ×15, first 2 shown]
	s_waitcnt lgkmcnt(0)
	v_mul_f64 v[2:3], v[160:161], v[166:167]
	v_fmac_f64_e32 v[2:3], v[162:163], v[164:165]
	v_add_f64 v[96:97], v[96:97], v[2:3]
	v_mul_f64 v[2:3], v[18:19], v[22:23]
	v_fma_f64 v[2:3], v[16:17], v[20:21], -v[2:3]
	v_add_f64 v[2:3], v[2:3], 0
	v_add_f64 v[2:3], v[2:3], v[12:13]
	;; [unrolled: 1-line block ×4, first 2 shown]
	v_mul_f64 v[4:5], v[38:39], v[42:43]
	v_fma_f64 v[4:5], v[36:37], v[40:41], -v[4:5]
	v_add_f64 v[2:3], v[2:3], v[4:5]
	v_mul_f64 v[4:5], v[46:47], v[50:51]
	v_fma_f64 v[4:5], v[44:45], v[48:49], -v[4:5]
	v_add_f64 v[2:3], v[2:3], v[4:5]
	;; [unrolled: 3-line block ×16, first 2 shown]
	scratch_load_dwordx4 v[2:5], off, off offset:96
	s_waitcnt vmcnt(0)
	v_add_f64 v[2:3], v[2:3], -v[6:7]
	v_add_f64 v[4:5], v[4:5], -v[96:97]
	scratch_store_dwordx4 off, v[2:5], off offset:96
	s_and_saveexec_b64 s[2:3], vcc
	s_cbranch_execz .LBB90_165
; %bb.164:
	scratch_load_dwordx4 v[2:5], off, s40
	v_mov_b32_e32 v6, 0
	v_mov_b32_e32 v7, v6
	;; [unrolled: 1-line block ×4, first 2 shown]
	scratch_store_dwordx4 off, v[6:9], off offset:80
	s_waitcnt vmcnt(1)
	ds_write_b128 v150, v[2:5]
.LBB90_165:
	s_or_b64 exec, exec, s[2:3]
	v_mov_b32_e32 v2, 0
	s_waitcnt lgkmcnt(0)
	; wave barrier
	ds_read_b128 v[16:19], v2 offset:528
	ds_read_b128 v[12:15], v2 offset:544
	;; [unrolled: 1-line block ×4, first 2 shown]
	scratch_load_dwordx4 v[20:23], off, off offset:96
	scratch_load_dwordx4 v[40:43], off, off offset:160
	;; [unrolled: 1-line block ×15, first 2 shown]
	v_cmp_lt_u32_e32 vcc, 4, v1
	scratch_load_dwordx4 v[48:51], off, off offset:176
	scratch_load_dwordx4 v[56:59], off, off offset:192
	;; [unrolled: 1-line block ×3, first 2 shown]
	ds_read_b128 v[222:225], v2 offset:848
	s_waitcnt vmcnt(17) lgkmcnt(4)
	v_mul_f64 v[24:25], v[16:17], v[22:23]
	v_fmac_f64_e32 v[24:25], v[18:19], v[20:21]
	v_add_f64 v[28:29], v[24:25], 0
	scratch_load_dwordx4 v[24:27], off, off offset:112
	v_mul_f64 v[18:19], v[18:19], v[22:23]
	v_fma_f64 v[16:17], v[16:17], v[20:21], -v[18:19]
	v_add_f64 v[16:17], v[16:17], 0
	s_waitcnt vmcnt(0) lgkmcnt(3)
	v_mul_f64 v[30:31], v[12:13], v[26:27]
	v_fmac_f64_e32 v[30:31], v[14:15], v[24:25]
	v_add_f64 v[32:33], v[28:29], v[30:31]
	scratch_load_dwordx4 v[28:31], off, off offset:128
	v_mul_f64 v[14:15], v[14:15], v[26:27]
	v_fma_f64 v[12:13], v[12:13], v[24:25], -v[14:15]
	v_add_f64 v[12:13], v[16:17], v[12:13]
	;; [unrolled: 8-line block ×3, first 2 shown]
	s_waitcnt vmcnt(0) lgkmcnt(1)
	v_mul_f64 v[38:39], v[4:5], v[34:35]
	v_fmac_f64_e32 v[38:39], v[6:7], v[32:33]
	v_add_f64 v[44:45], v[36:37], v[38:39]
	ds_read_b128 v[36:39], v2 offset:592
	v_mul_f64 v[6:7], v[6:7], v[34:35]
	v_fma_f64 v[4:5], v[4:5], v[32:33], -v[6:7]
	v_add_f64 v[4:5], v[8:9], v[4:5]
	s_waitcnt lgkmcnt(0)
	v_mul_f64 v[46:47], v[36:37], v[42:43]
	v_fmac_f64_e32 v[46:47], v[38:39], v[40:41]
	v_add_f64 v[52:53], v[44:45], v[46:47]
	ds_read_b128 v[44:47], v2 offset:608
	v_mul_f64 v[6:7], v[38:39], v[42:43]
	v_fma_f64 v[6:7], v[36:37], v[40:41], -v[6:7]
	v_add_f64 v[4:5], v[4:5], v[6:7]
	s_waitcnt lgkmcnt(0)
	;; [unrolled: 8-line block ×16, first 2 shown]
	v_mul_f64 v[6:7], v[162:163], v[166:167]
	v_fma_f64 v[6:7], v[160:161], v[164:165], -v[6:7]
	v_add_f64 v[4:5], v[4:5], v[6:7]
	v_mul_f64 v[6:7], v[224:225], v[228:229]
	v_fma_f64 v[6:7], v[222:223], v[226:227], -v[6:7]
	v_add_f64 v[8:9], v[4:5], v[6:7]
	scratch_load_dwordx4 v[4:7], off, off offset:80
	v_mul_f64 v[170:171], v[160:161], v[166:167]
	v_fmac_f64_e32 v[170:171], v[162:163], v[164:165]
	v_add_f64 v[104:105], v[104:105], v[170:171]
	v_mul_f64 v[170:171], v[222:223], v[228:229]
	v_fmac_f64_e32 v[170:171], v[224:225], v[226:227]
	v_add_f64 v[104:105], v[104:105], v[170:171]
	s_waitcnt vmcnt(0)
	v_add_f64 v[4:5], v[4:5], -v[8:9]
	v_add_f64 v[6:7], v[6:7], -v[104:105]
	scratch_store_dwordx4 off, v[4:7], off offset:80
	s_and_saveexec_b64 s[2:3], vcc
	s_cbranch_execz .LBB90_167
; %bb.166:
	scratch_load_dwordx4 v[6:9], off, s41
	v_mov_b32_e32 v3, v2
	v_mov_b32_e32 v4, v2
	;; [unrolled: 1-line block ×3, first 2 shown]
	scratch_store_dwordx4 off, v[2:5], off offset:64
	s_waitcnt vmcnt(1)
	ds_write_b128 v150, v[6:9]
.LBB90_167:
	s_or_b64 exec, exec, s[2:3]
	s_waitcnt lgkmcnt(0)
	; wave barrier
	ds_read_b128 v[16:19], v2 offset:512
	ds_read_b128 v[12:15], v2 offset:528
	;; [unrolled: 1-line block ×4, first 2 shown]
	scratch_load_dwordx4 v[20:23], off, off offset:80
	scratch_load_dwordx4 v[40:43], off, off offset:144
	;; [unrolled: 1-line block ×16, first 2 shown]
	v_cmp_lt_u32_e32 vcc, 3, v1
	scratch_load_dwordx4 v[48:51], off, off offset:160
	scratch_load_dwordx4 v[56:59], off, off offset:176
	;; [unrolled: 1-line block ×3, first 2 shown]
	ds_read_b128 v[222:225], v2 offset:832
	ds_read_b128 v[230:233], v2 offset:848
	s_waitcnt vmcnt(18) lgkmcnt(5)
	v_mul_f64 v[24:25], v[16:17], v[22:23]
	v_fmac_f64_e32 v[24:25], v[18:19], v[20:21]
	v_add_f64 v[28:29], v[24:25], 0
	scratch_load_dwordx4 v[24:27], off, off offset:96
	s_waitcnt vmcnt(0) lgkmcnt(4)
	v_mul_f64 v[30:31], v[12:13], v[26:27]
	v_fmac_f64_e32 v[30:31], v[14:15], v[24:25]
	v_add_f64 v[32:33], v[28:29], v[30:31]
	scratch_load_dwordx4 v[28:31], off, off offset:112
	v_mul_f64 v[14:15], v[14:15], v[26:27]
	v_fma_f64 v[12:13], v[12:13], v[24:25], -v[14:15]
	s_waitcnt vmcnt(0) lgkmcnt(3)
	v_mul_f64 v[34:35], v[8:9], v[30:31]
	v_fmac_f64_e32 v[34:35], v[10:11], v[28:29]
	v_add_f64 v[36:37], v[32:33], v[34:35]
	scratch_load_dwordx4 v[32:35], off, off offset:128
	v_mul_f64 v[10:11], v[10:11], v[30:31]
	v_fma_f64 v[8:9], v[8:9], v[28:29], -v[10:11]
	s_waitcnt vmcnt(0) lgkmcnt(2)
	v_mul_f64 v[38:39], v[4:5], v[34:35]
	v_fmac_f64_e32 v[38:39], v[6:7], v[32:33]
	v_add_f64 v[44:45], v[36:37], v[38:39]
	ds_read_b128 v[36:39], v2 offset:576
	v_mul_f64 v[6:7], v[6:7], v[34:35]
	v_fma_f64 v[4:5], v[4:5], v[32:33], -v[6:7]
	s_waitcnt lgkmcnt(0)
	v_mul_f64 v[46:47], v[36:37], v[42:43]
	v_fmac_f64_e32 v[46:47], v[38:39], v[40:41]
	v_add_f64 v[52:53], v[44:45], v[46:47]
	ds_read_b128 v[44:47], v2 offset:592
	s_waitcnt lgkmcnt(0)
	v_mul_f64 v[54:55], v[44:45], v[50:51]
	v_fmac_f64_e32 v[54:55], v[46:47], v[48:49]
	v_add_f64 v[60:61], v[52:53], v[54:55]
	ds_read_b128 v[52:55], v2 offset:608
	;; [unrolled: 5-line block ×15, first 2 shown]
	v_mul_f64 v[2:3], v[230:231], v[236:237]
	v_fmac_f64_e32 v[2:3], v[232:233], v[234:235]
	s_waitcnt lgkmcnt(0)
	v_mul_f64 v[170:171], v[160:161], v[166:167]
	v_fmac_f64_e32 v[170:171], v[162:163], v[164:165]
	v_add_f64 v[120:121], v[120:121], v[170:171]
	v_mul_f64 v[170:171], v[222:223], v[228:229]
	v_fmac_f64_e32 v[170:171], v[224:225], v[226:227]
	v_add_f64 v[120:121], v[120:121], v[170:171]
	v_add_f64 v[120:121], v[120:121], v[2:3]
	v_mul_f64 v[2:3], v[18:19], v[22:23]
	v_fma_f64 v[2:3], v[16:17], v[20:21], -v[2:3]
	v_add_f64 v[2:3], v[2:3], 0
	v_add_f64 v[2:3], v[2:3], v[12:13]
	;; [unrolled: 1-line block ×4, first 2 shown]
	v_mul_f64 v[4:5], v[38:39], v[42:43]
	v_fma_f64 v[4:5], v[36:37], v[40:41], -v[4:5]
	v_add_f64 v[2:3], v[2:3], v[4:5]
	v_mul_f64 v[4:5], v[46:47], v[50:51]
	v_fma_f64 v[4:5], v[44:45], v[48:49], -v[4:5]
	v_add_f64 v[2:3], v[2:3], v[4:5]
	;; [unrolled: 3-line block ×18, first 2 shown]
	scratch_load_dwordx4 v[2:5], off, off offset:64
	s_waitcnt vmcnt(0)
	v_add_f64 v[2:3], v[2:3], -v[6:7]
	v_add_f64 v[4:5], v[4:5], -v[120:121]
	scratch_store_dwordx4 off, v[2:5], off offset:64
	s_and_saveexec_b64 s[2:3], vcc
	s_cbranch_execz .LBB90_169
; %bb.168:
	scratch_load_dwordx4 v[2:5], off, s42
	v_mov_b32_e32 v6, 0
	v_mov_b32_e32 v7, v6
	;; [unrolled: 1-line block ×4, first 2 shown]
	scratch_store_dwordx4 off, v[6:9], off offset:48
	s_waitcnt vmcnt(1)
	ds_write_b128 v150, v[2:5]
.LBB90_169:
	s_or_b64 exec, exec, s[2:3]
	v_mov_b32_e32 v2, 0
	s_waitcnt lgkmcnt(0)
	; wave barrier
	ds_read_b128 v[16:19], v2 offset:496
	ds_read_b128 v[12:15], v2 offset:512
	;; [unrolled: 1-line block ×4, first 2 shown]
	scratch_load_dwordx4 v[20:23], off, off offset:64
	scratch_load_dwordx4 v[40:43], off, off offset:128
	;; [unrolled: 1-line block ×17, first 2 shown]
	v_cmp_lt_u32_e32 vcc, 2, v1
	scratch_load_dwordx4 v[48:51], off, off offset:144
	scratch_load_dwordx4 v[56:59], off, off offset:160
	;; [unrolled: 1-line block ×3, first 2 shown]
	ds_read_b128 v[222:225], v2 offset:816
	ds_read_b128 v[230:233], v2 offset:832
	;; [unrolled: 1-line block ×3, first 2 shown]
	s_waitcnt vmcnt(19) lgkmcnt(6)
	v_mul_f64 v[24:25], v[16:17], v[22:23]
	v_fmac_f64_e32 v[24:25], v[18:19], v[20:21]
	v_add_f64 v[28:29], v[24:25], 0
	scratch_load_dwordx4 v[24:27], off, off offset:80
	v_mul_f64 v[18:19], v[18:19], v[22:23]
	v_fma_f64 v[16:17], v[16:17], v[20:21], -v[18:19]
	v_add_f64 v[16:17], v[16:17], 0
	s_waitcnt vmcnt(0) lgkmcnt(5)
	v_mul_f64 v[30:31], v[12:13], v[26:27]
	v_fmac_f64_e32 v[30:31], v[14:15], v[24:25]
	v_add_f64 v[32:33], v[28:29], v[30:31]
	scratch_load_dwordx4 v[28:31], off, off offset:96
	v_mul_f64 v[14:15], v[14:15], v[26:27]
	v_fma_f64 v[12:13], v[12:13], v[24:25], -v[14:15]
	v_add_f64 v[12:13], v[16:17], v[12:13]
	;; [unrolled: 8-line block ×3, first 2 shown]
	s_waitcnt vmcnt(0) lgkmcnt(3)
	v_mul_f64 v[38:39], v[4:5], v[34:35]
	v_fmac_f64_e32 v[38:39], v[6:7], v[32:33]
	v_add_f64 v[44:45], v[36:37], v[38:39]
	ds_read_b128 v[36:39], v2 offset:560
	v_mul_f64 v[6:7], v[6:7], v[34:35]
	v_fma_f64 v[4:5], v[4:5], v[32:33], -v[6:7]
	v_add_f64 v[4:5], v[8:9], v[4:5]
	s_waitcnt lgkmcnt(0)
	v_mul_f64 v[46:47], v[36:37], v[42:43]
	v_fmac_f64_e32 v[46:47], v[38:39], v[40:41]
	v_add_f64 v[52:53], v[44:45], v[46:47]
	ds_read_b128 v[44:47], v2 offset:576
	v_mul_f64 v[6:7], v[38:39], v[42:43]
	v_fma_f64 v[6:7], v[36:37], v[40:41], -v[6:7]
	v_add_f64 v[4:5], v[4:5], v[6:7]
	s_waitcnt lgkmcnt(0)
	;; [unrolled: 8-line block ×16, first 2 shown]
	v_mul_f64 v[6:7], v[162:163], v[166:167]
	v_fma_f64 v[6:7], v[160:161], v[164:165], -v[6:7]
	v_add_f64 v[4:5], v[4:5], v[6:7]
	v_mul_f64 v[6:7], v[224:225], v[228:229]
	v_fma_f64 v[6:7], v[222:223], v[226:227], -v[6:7]
	v_add_f64 v[4:5], v[4:5], v[6:7]
	;; [unrolled: 3-line block ×4, first 2 shown]
	scratch_load_dwordx4 v[4:7], off, off offset:48
	v_mul_f64 v[170:171], v[160:161], v[166:167]
	v_fmac_f64_e32 v[170:171], v[162:163], v[164:165]
	v_add_f64 v[128:129], v[128:129], v[170:171]
	v_mul_f64 v[170:171], v[222:223], v[228:229]
	v_fmac_f64_e32 v[170:171], v[224:225], v[226:227]
	v_add_f64 v[128:129], v[128:129], v[170:171]
	;; [unrolled: 3-line block ×4, first 2 shown]
	s_waitcnt vmcnt(0)
	v_add_f64 v[4:5], v[4:5], -v[8:9]
	v_add_f64 v[6:7], v[6:7], -v[128:129]
	scratch_store_dwordx4 off, v[4:7], off offset:48
	s_and_saveexec_b64 s[2:3], vcc
	s_cbranch_execz .LBB90_171
; %bb.170:
	scratch_load_dwordx4 v[6:9], off, s43
	v_mov_b32_e32 v3, v2
	v_mov_b32_e32 v4, v2
	;; [unrolled: 1-line block ×3, first 2 shown]
	scratch_store_dwordx4 off, v[2:5], off offset:32
	s_waitcnt vmcnt(1)
	ds_write_b128 v150, v[6:9]
.LBB90_171:
	s_or_b64 exec, exec, s[2:3]
	s_waitcnt lgkmcnt(0)
	; wave barrier
	ds_read_b128 v[16:19], v2 offset:480
	ds_read_b128 v[12:15], v2 offset:496
	;; [unrolled: 1-line block ×4, first 2 shown]
	scratch_load_dwordx4 v[20:23], off, off offset:48
	scratch_load_dwordx4 v[40:43], off, off offset:112
	;; [unrolled: 1-line block ×18, first 2 shown]
	v_cmp_lt_u32_e32 vcc, 1, v1
	scratch_load_dwordx4 v[48:51], off, off offset:128
	scratch_load_dwordx4 v[56:59], off, off offset:144
	;; [unrolled: 1-line block ×3, first 2 shown]
	ds_read_b128 v[222:225], v2 offset:800
	ds_read_b128 v[230:233], v2 offset:816
	ds_read_b128 v[238:241], v2 offset:832
	ds_read_b128 v[246:249], v2 offset:848
	s_waitcnt vmcnt(20) lgkmcnt(7)
	v_mul_f64 v[24:25], v[16:17], v[22:23]
	v_fmac_f64_e32 v[24:25], v[18:19], v[20:21]
	v_add_f64 v[28:29], v[24:25], 0
	scratch_load_dwordx4 v[24:27], off, off offset:64
	s_waitcnt vmcnt(0) lgkmcnt(6)
	v_mul_f64 v[30:31], v[12:13], v[26:27]
	v_fmac_f64_e32 v[30:31], v[14:15], v[24:25]
	v_add_f64 v[32:33], v[28:29], v[30:31]
	scratch_load_dwordx4 v[28:31], off, off offset:80
	v_mul_f64 v[14:15], v[14:15], v[26:27]
	v_fma_f64 v[12:13], v[12:13], v[24:25], -v[14:15]
	s_waitcnt vmcnt(0) lgkmcnt(5)
	v_mul_f64 v[34:35], v[8:9], v[30:31]
	v_fmac_f64_e32 v[34:35], v[10:11], v[28:29]
	v_add_f64 v[36:37], v[32:33], v[34:35]
	scratch_load_dwordx4 v[32:35], off, off offset:96
	v_mul_f64 v[10:11], v[10:11], v[30:31]
	v_fma_f64 v[8:9], v[8:9], v[28:29], -v[10:11]
	s_waitcnt vmcnt(0) lgkmcnt(4)
	v_mul_f64 v[38:39], v[4:5], v[34:35]
	v_fmac_f64_e32 v[38:39], v[6:7], v[32:33]
	v_add_f64 v[44:45], v[36:37], v[38:39]
	ds_read_b128 v[36:39], v2 offset:544
	v_mul_f64 v[6:7], v[6:7], v[34:35]
	v_fma_f64 v[4:5], v[4:5], v[32:33], -v[6:7]
	s_waitcnt lgkmcnt(0)
	v_mul_f64 v[46:47], v[36:37], v[42:43]
	v_fmac_f64_e32 v[46:47], v[38:39], v[40:41]
	v_add_f64 v[52:53], v[44:45], v[46:47]
	ds_read_b128 v[44:47], v2 offset:560
	s_waitcnt lgkmcnt(0)
	v_mul_f64 v[54:55], v[44:45], v[50:51]
	v_fmac_f64_e32 v[54:55], v[46:47], v[48:49]
	v_add_f64 v[60:61], v[52:53], v[54:55]
	ds_read_b128 v[52:55], v2 offset:576
	;; [unrolled: 5-line block ×15, first 2 shown]
	v_mul_f64 v[2:3], v[246:247], v[252:253]
	v_fmac_f64_e32 v[2:3], v[248:249], v[250:251]
	s_waitcnt lgkmcnt(0)
	v_mul_f64 v[170:171], v[160:161], v[166:167]
	v_fmac_f64_e32 v[170:171], v[162:163], v[164:165]
	v_add_f64 v[148:149], v[148:149], v[170:171]
	v_mul_f64 v[170:171], v[222:223], v[228:229]
	v_fmac_f64_e32 v[170:171], v[224:225], v[226:227]
	v_add_f64 v[148:149], v[148:149], v[170:171]
	;; [unrolled: 3-line block ×4, first 2 shown]
	v_add_f64 v[148:149], v[148:149], v[2:3]
	v_mul_f64 v[2:3], v[18:19], v[22:23]
	v_fma_f64 v[2:3], v[16:17], v[20:21], -v[2:3]
	v_add_f64 v[2:3], v[2:3], 0
	v_add_f64 v[2:3], v[2:3], v[12:13]
	;; [unrolled: 1-line block ×4, first 2 shown]
	v_mul_f64 v[4:5], v[38:39], v[42:43]
	v_fma_f64 v[4:5], v[36:37], v[40:41], -v[4:5]
	v_add_f64 v[2:3], v[2:3], v[4:5]
	v_mul_f64 v[4:5], v[46:47], v[50:51]
	v_fma_f64 v[4:5], v[44:45], v[48:49], -v[4:5]
	v_add_f64 v[2:3], v[2:3], v[4:5]
	;; [unrolled: 3-line block ×20, first 2 shown]
	scratch_load_dwordx4 v[2:5], off, off offset:32
	s_waitcnt vmcnt(0)
	v_add_f64 v[2:3], v[2:3], -v[6:7]
	v_add_f64 v[4:5], v[4:5], -v[148:149]
	scratch_store_dwordx4 off, v[2:5], off offset:32
	s_and_saveexec_b64 s[2:3], vcc
	s_cbranch_execz .LBB90_173
; %bb.172:
	scratch_load_dwordx4 v[2:5], off, s44
	v_mov_b32_e32 v6, 0
	v_mov_b32_e32 v7, v6
	;; [unrolled: 1-line block ×4, first 2 shown]
	scratch_store_dwordx4 off, v[6:9], off offset:16
	s_waitcnt vmcnt(1)
	ds_write_b128 v150, v[2:5]
.LBB90_173:
	s_or_b64 exec, exec, s[2:3]
	v_mov_b32_e32 v2, 0
	s_waitcnt lgkmcnt(0)
	; wave barrier
	ds_read_b128 v[16:19], v2 offset:464
	ds_read_b128 v[12:15], v2 offset:480
	;; [unrolled: 1-line block ×4, first 2 shown]
	scratch_load_dwordx4 v[20:23], off, off offset:32
	scratch_load_dwordx4 v[40:43], off, off offset:96
	;; [unrolled: 1-line block ×19, first 2 shown]
	v_cmp_ne_u32_e32 vcc, 0, v1
	scratch_load_dwordx4 v[48:51], off, off offset:112
	scratch_load_dwordx4 v[56:59], off, off offset:128
	;; [unrolled: 1-line block ×3, first 2 shown]
	ds_read_b128 v[222:225], v2 offset:784
	ds_read_b128 v[230:233], v2 offset:800
	;; [unrolled: 1-line block ×4, first 2 shown]
	s_waitcnt vmcnt(21) lgkmcnt(7)
	v_mul_f64 v[24:25], v[16:17], v[22:23]
	v_fmac_f64_e32 v[24:25], v[18:19], v[20:21]
	v_add_f64 v[28:29], v[24:25], 0
	scratch_load_dwordx4 v[24:27], off, off offset:48
	v_mul_f64 v[18:19], v[18:19], v[22:23]
	v_fma_f64 v[16:17], v[16:17], v[20:21], -v[18:19]
	v_add_f64 v[16:17], v[16:17], 0
	s_waitcnt vmcnt(0) lgkmcnt(6)
	v_mul_f64 v[30:31], v[12:13], v[26:27]
	v_fmac_f64_e32 v[30:31], v[14:15], v[24:25]
	v_add_f64 v[32:33], v[28:29], v[30:31]
	scratch_load_dwordx4 v[28:31], off, off offset:64
	v_mul_f64 v[14:15], v[14:15], v[26:27]
	v_fma_f64 v[12:13], v[12:13], v[24:25], -v[14:15]
	v_add_f64 v[12:13], v[16:17], v[12:13]
	;; [unrolled: 8-line block ×3, first 2 shown]
	s_waitcnt vmcnt(0) lgkmcnt(4)
	v_mul_f64 v[38:39], v[4:5], v[34:35]
	v_fmac_f64_e32 v[38:39], v[6:7], v[32:33]
	v_add_f64 v[44:45], v[36:37], v[38:39]
	ds_read_b128 v[36:39], v2 offset:528
	v_mul_f64 v[6:7], v[6:7], v[34:35]
	v_fma_f64 v[4:5], v[4:5], v[32:33], -v[6:7]
	v_add_f64 v[4:5], v[8:9], v[4:5]
	s_waitcnt lgkmcnt(0)
	v_mul_f64 v[46:47], v[36:37], v[42:43]
	v_fmac_f64_e32 v[46:47], v[38:39], v[40:41]
	v_add_f64 v[52:53], v[44:45], v[46:47]
	ds_read_b128 v[44:47], v2 offset:544
	v_mul_f64 v[6:7], v[38:39], v[42:43]
	v_fma_f64 v[6:7], v[36:37], v[40:41], -v[6:7]
	v_add_f64 v[4:5], v[4:5], v[6:7]
	s_waitcnt lgkmcnt(0)
	;; [unrolled: 8-line block ×16, first 2 shown]
	v_mul_f64 v[170:171], v[160:161], v[166:167]
	v_fmac_f64_e32 v[170:171], v[162:163], v[164:165]
	v_add_f64 v[144:145], v[144:145], v[170:171]
	v_mul_f64 v[170:171], v[222:223], v[228:229]
	v_fmac_f64_e32 v[170:171], v[224:225], v[226:227]
	v_add_f64 v[144:145], v[144:145], v[170:171]
	v_mul_f64 v[170:171], v[230:231], v[236:237]
	v_fmac_f64_e32 v[170:171], v[232:233], v[234:235]
	v_mul_f64 v[6:7], v[162:163], v[166:167]
	v_add_f64 v[144:145], v[144:145], v[170:171]
	v_mul_f64 v[170:171], v[238:239], v[244:245]
	v_fma_f64 v[6:7], v[160:161], v[164:165], -v[6:7]
	v_fmac_f64_e32 v[170:171], v[240:241], v[242:243]
	v_add_f64 v[4:5], v[4:5], v[6:7]
	v_mul_f64 v[6:7], v[224:225], v[228:229]
	v_add_f64 v[144:145], v[144:145], v[170:171]
	v_mul_f64 v[170:171], v[246:247], v[252:253]
	v_fma_f64 v[6:7], v[222:223], v[226:227], -v[6:7]
	v_fmac_f64_e32 v[170:171], v[248:249], v[250:251]
	v_add_f64 v[4:5], v[4:5], v[6:7]
	v_mul_f64 v[6:7], v[232:233], v[236:237]
	v_add_f64 v[144:145], v[144:145], v[170:171]
	ds_read_b128 v[170:173], v2 offset:848
	v_fma_f64 v[6:7], v[230:231], v[234:235], -v[6:7]
	v_add_f64 v[4:5], v[4:5], v[6:7]
	v_mul_f64 v[6:7], v[240:241], v[244:245]
	v_fma_f64 v[6:7], v[238:239], v[242:243], -v[6:7]
	v_add_f64 v[4:5], v[4:5], v[6:7]
	v_mul_f64 v[6:7], v[248:249], v[252:253]
	v_fma_f64 v[6:7], v[246:247], v[250:251], -v[6:7]
	v_add_f64 v[4:5], v[4:5], v[6:7]
	s_waitcnt lgkmcnt(0)
	v_mul_f64 v[6:7], v[172:173], v[176:177]
	v_fma_f64 v[6:7], v[170:171], v[174:175], -v[6:7]
	v_add_f64 v[8:9], v[4:5], v[6:7]
	scratch_load_dwordx4 v[4:7], off, off offset:16
	v_mul_f64 v[178:179], v[170:171], v[176:177]
	v_fmac_f64_e32 v[178:179], v[172:173], v[174:175]
	v_add_f64 v[144:145], v[144:145], v[178:179]
	s_waitcnt vmcnt(0)
	v_add_f64 v[4:5], v[4:5], -v[8:9]
	v_add_f64 v[6:7], v[6:7], -v[144:145]
	scratch_store_dwordx4 off, v[4:7], off offset:16
	s_and_saveexec_b64 s[2:3], vcc
	s_cbranch_execz .LBB90_175
; %bb.174:
	scratch_load_dwordx4 v[6:9], off, off
	v_mov_b32_e32 v3, v2
	v_mov_b32_e32 v4, v2
	;; [unrolled: 1-line block ×3, first 2 shown]
	scratch_store_dwordx4 off, v[2:5], off
	s_waitcnt vmcnt(1)
	ds_write_b128 v150, v[6:9]
.LBB90_175:
	s_or_b64 exec, exec, s[2:3]
	s_waitcnt lgkmcnt(0)
	; wave barrier
	ds_read_b128 v[16:19], v2 offset:448
	ds_read_b128 v[12:15], v2 offset:464
	;; [unrolled: 1-line block ×4, first 2 shown]
	scratch_load_dwordx4 v[20:23], off, off offset:16
	scratch_load_dwordx4 v[40:43], off, off offset:80
	;; [unrolled: 1-line block ×19, first 2 shown]
	s_and_b64 vcc, exec, s[14:15]
	scratch_load_dwordx4 v[48:51], off, off offset:96
	scratch_load_dwordx4 v[56:59], off, off offset:112
	;; [unrolled: 1-line block ×3, first 2 shown]
	ds_read_b128 v[228:231], v2 offset:800
	ds_read_b128 v[236:239], v2 offset:816
	;; [unrolled: 1-line block ×4, first 2 shown]
	s_waitcnt vmcnt(21) lgkmcnt(7)
	v_mul_f64 v[24:25], v[16:17], v[22:23]
	v_fmac_f64_e32 v[24:25], v[18:19], v[20:21]
	v_add_f64 v[28:29], v[24:25], 0
	scratch_load_dwordx4 v[24:27], off, off offset:32
	s_waitcnt vmcnt(0) lgkmcnt(6)
	v_mul_f64 v[30:31], v[12:13], v[26:27]
	v_fmac_f64_e32 v[30:31], v[14:15], v[24:25]
	v_add_f64 v[32:33], v[28:29], v[30:31]
	scratch_load_dwordx4 v[28:31], off, off offset:48
	v_mul_f64 v[14:15], v[14:15], v[26:27]
	v_fma_f64 v[12:13], v[12:13], v[24:25], -v[14:15]
	s_waitcnt vmcnt(0) lgkmcnt(5)
	v_mul_f64 v[34:35], v[8:9], v[30:31]
	v_fmac_f64_e32 v[34:35], v[10:11], v[28:29]
	v_add_f64 v[36:37], v[32:33], v[34:35]
	scratch_load_dwordx4 v[32:35], off, off offset:64
	v_mul_f64 v[10:11], v[10:11], v[30:31]
	v_fma_f64 v[8:9], v[8:9], v[28:29], -v[10:11]
	s_waitcnt vmcnt(0) lgkmcnt(4)
	v_mul_f64 v[38:39], v[4:5], v[34:35]
	v_fmac_f64_e32 v[38:39], v[6:7], v[32:33]
	v_add_f64 v[44:45], v[36:37], v[38:39]
	ds_read_b128 v[36:39], v2 offset:512
	v_mul_f64 v[6:7], v[6:7], v[34:35]
	v_fma_f64 v[4:5], v[4:5], v[32:33], -v[6:7]
	s_waitcnt lgkmcnt(0)
	v_mul_f64 v[46:47], v[36:37], v[42:43]
	v_fmac_f64_e32 v[46:47], v[38:39], v[40:41]
	v_add_f64 v[52:53], v[44:45], v[46:47]
	ds_read_b128 v[44:47], v2 offset:528
	s_waitcnt lgkmcnt(0)
	v_mul_f64 v[54:55], v[44:45], v[50:51]
	v_fmac_f64_e32 v[54:55], v[46:47], v[48:49]
	v_add_f64 v[60:61], v[52:53], v[54:55]
	ds_read_b128 v[52:55], v2 offset:544
	;; [unrolled: 5-line block ×17, first 2 shown]
	s_waitcnt lgkmcnt(0)
	v_mul_f64 v[180:181], v[174:175], v[226:227]
	v_fmac_f64_e32 v[180:181], v[176:177], v[224:225]
	v_add_f64 v[178:179], v[178:179], v[180:181]
	v_mul_f64 v[180:181], v[228:229], v[234:235]
	v_fmac_f64_e32 v[180:181], v[230:231], v[232:233]
	v_add_f64 v[178:179], v[178:179], v[180:181]
	;; [unrolled: 3-line block ×4, first 2 shown]
	scratch_load_dwordx4 v[178:181], off, off offset:416
	s_waitcnt vmcnt(0)
	v_mul_f64 v[2:3], v[252:253], v[180:181]
	v_fmac_f64_e32 v[2:3], v[254:255], v[178:179]
	v_add_f64 v[222:223], v[222:223], v[2:3]
	v_mul_f64 v[2:3], v[18:19], v[22:23]
	v_fma_f64 v[2:3], v[16:17], v[20:21], -v[2:3]
	v_add_f64 v[2:3], v[2:3], 0
	v_add_f64 v[2:3], v[2:3], v[12:13]
	;; [unrolled: 1-line block ×4, first 2 shown]
	v_mul_f64 v[4:5], v[38:39], v[42:43]
	v_fma_f64 v[4:5], v[36:37], v[40:41], -v[4:5]
	v_add_f64 v[2:3], v[2:3], v[4:5]
	v_mul_f64 v[4:5], v[46:47], v[50:51]
	v_fma_f64 v[4:5], v[44:45], v[48:49], -v[4:5]
	v_add_f64 v[2:3], v[2:3], v[4:5]
	;; [unrolled: 3-line block ×22, first 2 shown]
	scratch_load_dwordx4 v[2:5], off, off
	s_waitcnt vmcnt(0)
	v_add_f64 v[2:3], v[2:3], -v[6:7]
	v_add_f64 v[4:5], v[4:5], -v[222:223]
	scratch_store_dwordx4 off, v[2:5], off
	s_cbranch_vccz .LBB90_228
; %bb.176:
	s_nop 0
	v_mov_b32_e32 v2, 0
	global_load_dword v3, v2, s[12:13] offset:100
	s_load_dwordx2 s[2:3], s[0:1], 0x4
	v_bfe_u32 v4, v0, 10, 10
	v_bfe_u32 v0, v0, 20, 10
	s_waitcnt lgkmcnt(0)
	s_lshr_b32 s0, s2, 16
	s_mul_i32 s0, s0, s3
	v_mul_u32_u24_e32 v1, s0, v1
	v_mul_u32_u24_e32 v4, s3, v4
	v_add3_u32 v0, v1, v4, v0
	v_mov_b32_e32 v1, 0x368
	v_lshl_add_u32 v0, v0, 4, v1
	s_waitcnt vmcnt(0)
	v_readfirstlane_b32 s0, v3
	s_add_i32 s0, s0, -1
	s_cmp_lg_u32 s0, 25
	s_cbranch_scc0 .LBB90_178
; %bb.177:
	s_lshl_b32 s0, s0, 4
	scratch_load_dwordx4 v[4:7], off, s19
	scratch_load_dwordx4 v[8:11], off, s0
	s_waitcnt vmcnt(1)
	ds_write2_b64 v0, v[4:5], v[6:7] offset1:1
	s_waitcnt vmcnt(0)
	scratch_store_dwordx4 off, v[8:11], s19
	scratch_store_dwordx4 off, v[4:7], s0
.LBB90_178:
	global_load_dword v1, v2, s[12:13] offset:96
	s_waitcnt vmcnt(0)
	v_readfirstlane_b32 s0, v1
	s_add_i32 s0, s0, -1
	s_cmp_eq_u32 s0, 24
	s_cbranch_scc1 .LBB90_180
; %bb.179:
	s_lshl_b32 s0, s0, 4
	scratch_load_dwordx4 v[2:5], off, s20
	scratch_load_dwordx4 v[6:9], off, s0
	s_waitcnt vmcnt(1)
	ds_write2_b64 v0, v[2:3], v[4:5] offset1:1
	s_waitcnt vmcnt(0)
	scratch_store_dwordx4 off, v[6:9], s20
	scratch_store_dwordx4 off, v[2:5], s0
.LBB90_180:
	v_mov_b32_e32 v1, 0
	global_load_dword v2, v1, s[12:13] offset:92
	s_waitcnt vmcnt(0)
	v_readfirstlane_b32 s0, v2
	s_add_i32 s0, s0, -1
	s_cmp_eq_u32 s0, 23
	s_cbranch_scc1 .LBB90_182
; %bb.181:
	s_lshl_b32 s0, s0, 4
	scratch_load_dwordx4 v[2:5], off, s21
	scratch_load_dwordx4 v[6:9], off, s0
	s_waitcnt vmcnt(1)
	ds_write2_b64 v0, v[2:3], v[4:5] offset1:1
	s_waitcnt vmcnt(0)
	scratch_store_dwordx4 off, v[6:9], s21
	scratch_store_dwordx4 off, v[2:5], s0
.LBB90_182:
	global_load_dword v1, v1, s[12:13] offset:88
	s_waitcnt vmcnt(0)
	v_readfirstlane_b32 s0, v1
	s_add_i32 s0, s0, -1
	s_cmp_eq_u32 s0, 22
	s_cbranch_scc1 .LBB90_184
; %bb.183:
	s_lshl_b32 s0, s0, 4
	scratch_load_dwordx4 v[2:5], off, s22
	scratch_load_dwordx4 v[6:9], off, s0
	s_waitcnt vmcnt(1)
	ds_write2_b64 v0, v[2:3], v[4:5] offset1:1
	s_waitcnt vmcnt(0)
	scratch_store_dwordx4 off, v[6:9], s22
	scratch_store_dwordx4 off, v[2:5], s0
.LBB90_184:
	v_mov_b32_e32 v1, 0
	global_load_dword v2, v1, s[12:13] offset:84
	s_waitcnt vmcnt(0)
	v_readfirstlane_b32 s0, v2
	s_add_i32 s0, s0, -1
	s_cmp_eq_u32 s0, 21
	s_cbranch_scc1 .LBB90_186
; %bb.185:
	s_lshl_b32 s0, s0, 4
	scratch_load_dwordx4 v[2:5], off, s23
	scratch_load_dwordx4 v[6:9], off, s0
	s_waitcnt vmcnt(1)
	ds_write2_b64 v0, v[2:3], v[4:5] offset1:1
	s_waitcnt vmcnt(0)
	scratch_store_dwordx4 off, v[6:9], s23
	scratch_store_dwordx4 off, v[2:5], s0
.LBB90_186:
	;; [unrolled: 33-line block ×12, first 2 shown]
	global_load_dword v1, v1, s[12:13]
	s_waitcnt vmcnt(0)
	v_readfirstlane_b32 s0, v1
	s_add_i32 s0, s0, -1
	s_cmp_eq_u32 s0, 0
	s_cbranch_scc1 .LBB90_228
; %bb.227:
	s_lshl_b32 s0, s0, 4
	scratch_load_dwordx4 v[2:5], off, off
	scratch_load_dwordx4 v[6:9], off, s0
	s_waitcnt vmcnt(1)
	ds_write2_b64 v0, v[2:3], v[4:5] offset1:1
	s_waitcnt vmcnt(0)
	scratch_store_dwordx4 off, v[6:9], off
	scratch_store_dwordx4 off, v[2:5], s0
.LBB90_228:
	scratch_load_dwordx4 v[0:3], off, off
	s_nop 0
	v_accvgpr_read_b32 v5, a1
	v_accvgpr_read_b32 v4, a0
	s_waitcnt vmcnt(0)
	flat_store_dwordx4 v[168:169], v[0:3]
	scratch_load_dwordx4 v[0:3], off, s44
	s_waitcnt vmcnt(0)
	flat_store_dwordx4 v[4:5], v[0:3]
	scratch_load_dwordx4 v[0:3], off, s43
	v_accvgpr_read_b32 v5, a3
	v_accvgpr_read_b32 v4, a2
	s_waitcnt vmcnt(0)
	flat_store_dwordx4 v[4:5], v[0:3]
	scratch_load_dwordx4 v[0:3], off, s42
	v_accvgpr_read_b32 v4, a4
	v_accvgpr_read_b32 v5, a5
	;; [unrolled: 5-line block ×5, first 2 shown]
	s_waitcnt vmcnt(0)
	flat_store_dwordx4 v[4:5], v[0:3]
	scratch_load_dwordx4 v[0:3], off, s38
	s_waitcnt vmcnt(0)
	flat_store_dwordx4 v[182:183], v[0:3]
	scratch_load_dwordx4 v[0:3], off, s37
	s_waitcnt vmcnt(0)
	flat_store_dwordx4 v[184:185], v[0:3]
	scratch_load_dwordx4 v[0:3], off, s36
	s_waitcnt vmcnt(0)
	flat_store_dwordx4 v[186:187], v[0:3]
	scratch_load_dwordx4 v[0:3], off, s35
	s_waitcnt vmcnt(0)
	flat_store_dwordx4 v[188:189], v[0:3]
	scratch_load_dwordx4 v[0:3], off, s34
	s_waitcnt vmcnt(0)
	flat_store_dwordx4 v[190:191], v[0:3]
	scratch_load_dwordx4 v[0:3], off, s33
	s_waitcnt vmcnt(0)
	flat_store_dwordx4 v[192:193], v[0:3]
	scratch_load_dwordx4 v[0:3], off, s31
	s_waitcnt vmcnt(0)
	flat_store_dwordx4 v[194:195], v[0:3]
	scratch_load_dwordx4 v[0:3], off, s30
	s_waitcnt vmcnt(0)
	flat_store_dwordx4 v[196:197], v[0:3]
	scratch_load_dwordx4 v[0:3], off, s29
	s_waitcnt vmcnt(0)
	flat_store_dwordx4 v[198:199], v[0:3]
	scratch_load_dwordx4 v[0:3], off, s28
	s_waitcnt vmcnt(0)
	flat_store_dwordx4 v[200:201], v[0:3]
	scratch_load_dwordx4 v[0:3], off, s27
	s_waitcnt vmcnt(0)
	flat_store_dwordx4 v[202:203], v[0:3]
	scratch_load_dwordx4 v[0:3], off, s26
	s_waitcnt vmcnt(0)
	flat_store_dwordx4 v[204:205], v[0:3]
	scratch_load_dwordx4 v[0:3], off, s25
	s_waitcnt vmcnt(0)
	flat_store_dwordx4 v[206:207], v[0:3]
	scratch_load_dwordx4 v[0:3], off, s24
	s_waitcnt vmcnt(0)
	flat_store_dwordx4 v[208:209], v[0:3]
	scratch_load_dwordx4 v[0:3], off, s23
	s_waitcnt vmcnt(0)
	flat_store_dwordx4 v[210:211], v[0:3]
	scratch_load_dwordx4 v[0:3], off, s22
	s_waitcnt vmcnt(0)
	flat_store_dwordx4 v[212:213], v[0:3]
	scratch_load_dwordx4 v[0:3], off, s21
	s_waitcnt vmcnt(0)
	flat_store_dwordx4 v[214:215], v[0:3]
	scratch_load_dwordx4 v[0:3], off, s20
	s_waitcnt vmcnt(0)
	flat_store_dwordx4 v[216:217], v[0:3]
	scratch_load_dwordx4 v[0:3], off, s19
	s_waitcnt vmcnt(0)
	flat_store_dwordx4 v[218:219], v[0:3]
	scratch_load_dwordx4 v[0:3], off, s18
	s_waitcnt vmcnt(0)
	flat_store_dwordx4 v[220:221], v[0:3]
	s_endpgm
	.section	.rodata,"a",@progbits
	.p2align	6, 0x0
	.amdhsa_kernel _ZN9rocsolver6v33100L18getri_kernel_smallILi27E19rocblas_complex_numIdEPKPS3_EEvT1_iilPiilS8_bb
		.amdhsa_group_segment_fixed_size 1896
		.amdhsa_private_segment_fixed_size 448
		.amdhsa_kernarg_size 60
		.amdhsa_user_sgpr_count 4
		.amdhsa_user_sgpr_dispatch_ptr 1
		.amdhsa_user_sgpr_queue_ptr 0
		.amdhsa_user_sgpr_kernarg_segment_ptr 1
		.amdhsa_user_sgpr_dispatch_id 0
		.amdhsa_user_sgpr_kernarg_preload_length 0
		.amdhsa_user_sgpr_kernarg_preload_offset 0
		.amdhsa_user_sgpr_private_segment_size 0
		.amdhsa_uses_dynamic_stack 0
		.amdhsa_enable_private_segment 1
		.amdhsa_system_sgpr_workgroup_id_x 1
		.amdhsa_system_sgpr_workgroup_id_y 0
		.amdhsa_system_sgpr_workgroup_id_z 0
		.amdhsa_system_sgpr_workgroup_info 0
		.amdhsa_system_vgpr_workitem_id 2
		.amdhsa_next_free_vgpr 268
		.amdhsa_next_free_sgpr 52
		.amdhsa_accum_offset 256
		.amdhsa_reserve_vcc 1
		.amdhsa_float_round_mode_32 0
		.amdhsa_float_round_mode_16_64 0
		.amdhsa_float_denorm_mode_32 3
		.amdhsa_float_denorm_mode_16_64 3
		.amdhsa_dx10_clamp 1
		.amdhsa_ieee_mode 1
		.amdhsa_fp16_overflow 0
		.amdhsa_tg_split 0
		.amdhsa_exception_fp_ieee_invalid_op 0
		.amdhsa_exception_fp_denorm_src 0
		.amdhsa_exception_fp_ieee_div_zero 0
		.amdhsa_exception_fp_ieee_overflow 0
		.amdhsa_exception_fp_ieee_underflow 0
		.amdhsa_exception_fp_ieee_inexact 0
		.amdhsa_exception_int_div_zero 0
	.end_amdhsa_kernel
	.section	.text._ZN9rocsolver6v33100L18getri_kernel_smallILi27E19rocblas_complex_numIdEPKPS3_EEvT1_iilPiilS8_bb,"axG",@progbits,_ZN9rocsolver6v33100L18getri_kernel_smallILi27E19rocblas_complex_numIdEPKPS3_EEvT1_iilPiilS8_bb,comdat
.Lfunc_end90:
	.size	_ZN9rocsolver6v33100L18getri_kernel_smallILi27E19rocblas_complex_numIdEPKPS3_EEvT1_iilPiilS8_bb, .Lfunc_end90-_ZN9rocsolver6v33100L18getri_kernel_smallILi27E19rocblas_complex_numIdEPKPS3_EEvT1_iilPiilS8_bb
                                        ; -- End function
	.set _ZN9rocsolver6v33100L18getri_kernel_smallILi27E19rocblas_complex_numIdEPKPS3_EEvT1_iilPiilS8_bb.num_vgpr, 256
	.set _ZN9rocsolver6v33100L18getri_kernel_smallILi27E19rocblas_complex_numIdEPKPS3_EEvT1_iilPiilS8_bb.num_agpr, 12
	.set _ZN9rocsolver6v33100L18getri_kernel_smallILi27E19rocblas_complex_numIdEPKPS3_EEvT1_iilPiilS8_bb.numbered_sgpr, 52
	.set _ZN9rocsolver6v33100L18getri_kernel_smallILi27E19rocblas_complex_numIdEPKPS3_EEvT1_iilPiilS8_bb.num_named_barrier, 0
	.set _ZN9rocsolver6v33100L18getri_kernel_smallILi27E19rocblas_complex_numIdEPKPS3_EEvT1_iilPiilS8_bb.private_seg_size, 448
	.set _ZN9rocsolver6v33100L18getri_kernel_smallILi27E19rocblas_complex_numIdEPKPS3_EEvT1_iilPiilS8_bb.uses_vcc, 1
	.set _ZN9rocsolver6v33100L18getri_kernel_smallILi27E19rocblas_complex_numIdEPKPS3_EEvT1_iilPiilS8_bb.uses_flat_scratch, 0
	.set _ZN9rocsolver6v33100L18getri_kernel_smallILi27E19rocblas_complex_numIdEPKPS3_EEvT1_iilPiilS8_bb.has_dyn_sized_stack, 0
	.set _ZN9rocsolver6v33100L18getri_kernel_smallILi27E19rocblas_complex_numIdEPKPS3_EEvT1_iilPiilS8_bb.has_recursion, 0
	.set _ZN9rocsolver6v33100L18getri_kernel_smallILi27E19rocblas_complex_numIdEPKPS3_EEvT1_iilPiilS8_bb.has_indirect_call, 0
	.section	.AMDGPU.csdata,"",@progbits
; Kernel info:
; codeLenInByte = 35608
; TotalNumSgprs: 58
; NumVgprs: 256
; NumAgprs: 12
; TotalNumVgprs: 268
; ScratchSize: 448
; MemoryBound: 0
; FloatMode: 240
; IeeeMode: 1
; LDSByteSize: 1896 bytes/workgroup (compile time only)
; SGPRBlocks: 7
; VGPRBlocks: 33
; NumSGPRsForWavesPerEU: 58
; NumVGPRsForWavesPerEU: 268
; AccumOffset: 256
; Occupancy: 1
; WaveLimiterHint : 1
; COMPUTE_PGM_RSRC2:SCRATCH_EN: 1
; COMPUTE_PGM_RSRC2:USER_SGPR: 4
; COMPUTE_PGM_RSRC2:TRAP_HANDLER: 0
; COMPUTE_PGM_RSRC2:TGID_X_EN: 1
; COMPUTE_PGM_RSRC2:TGID_Y_EN: 0
; COMPUTE_PGM_RSRC2:TGID_Z_EN: 0
; COMPUTE_PGM_RSRC2:TIDIG_COMP_CNT: 2
; COMPUTE_PGM_RSRC3_GFX90A:ACCUM_OFFSET: 63
; COMPUTE_PGM_RSRC3_GFX90A:TG_SPLIT: 0
	.section	.text._ZN9rocsolver6v33100L18getri_kernel_smallILi28E19rocblas_complex_numIdEPKPS3_EEvT1_iilPiilS8_bb,"axG",@progbits,_ZN9rocsolver6v33100L18getri_kernel_smallILi28E19rocblas_complex_numIdEPKPS3_EEvT1_iilPiilS8_bb,comdat
	.globl	_ZN9rocsolver6v33100L18getri_kernel_smallILi28E19rocblas_complex_numIdEPKPS3_EEvT1_iilPiilS8_bb ; -- Begin function _ZN9rocsolver6v33100L18getri_kernel_smallILi28E19rocblas_complex_numIdEPKPS3_EEvT1_iilPiilS8_bb
	.p2align	8
	.type	_ZN9rocsolver6v33100L18getri_kernel_smallILi28E19rocblas_complex_numIdEPKPS3_EEvT1_iilPiilS8_bb,@function
_ZN9rocsolver6v33100L18getri_kernel_smallILi28E19rocblas_complex_numIdEPKPS3_EEvT1_iilPiilS8_bb: ; @_ZN9rocsolver6v33100L18getri_kernel_smallILi28E19rocblas_complex_numIdEPKPS3_EEvT1_iilPiilS8_bb
; %bb.0:
	v_and_b32_e32 v1, 0x3ff, v0
	v_cmp_gt_u32_e32 vcc, 28, v1
	s_and_saveexec_b64 s[6:7], vcc
	s_cbranch_execz .LBB91_126
; %bb.1:
	s_load_dword s18, s[2:3], 0x38
	s_load_dwordx2 s[6:7], s[2:3], 0x0
	s_load_dwordx4 s[8:11], s[2:3], 0x28
	s_waitcnt lgkmcnt(0)
	s_bitcmp1_b32 s18, 8
	s_cselect_b64 s[14:15], -1, 0
	s_ashr_i32 s5, s4, 31
	s_lshl_b64 s[12:13], s[4:5], 3
	s_add_u32 s6, s6, s12
	s_addc_u32 s7, s7, s13
	s_load_dwordx2 s[16:17], s[6:7], 0x0
	s_bfe_u32 s6, s18, 0x10008
	s_cmp_eq_u32 s6, 0
                                        ; implicit-def: $sgpr12_sgpr13
	s_cbranch_scc1 .LBB91_3
; %bb.2:
	s_load_dword s6, s[2:3], 0x20
	s_load_dwordx2 s[12:13], s[2:3], 0x18
	s_mul_i32 s7, s8, s5
	s_mul_hi_u32 s18, s8, s4
	s_add_i32 s18, s18, s7
	s_mul_i32 s9, s9, s4
	s_add_i32 s9, s18, s9
	s_mul_i32 s8, s8, s4
	s_waitcnt lgkmcnt(0)
	s_ashr_i32 s7, s6, 31
	s_lshl_b64 s[8:9], s[8:9], 2
	s_add_u32 s8, s12, s8
	s_addc_u32 s9, s13, s9
	s_lshl_b64 s[6:7], s[6:7], 2
	s_add_u32 s12, s8, s6
	s_addc_u32 s13, s9, s7
.LBB91_3:
	s_load_dwordx2 s[6:7], s[2:3], 0x8
	s_load_dword s8, s[2:3], 0x38
	v_lshlrev_b32_e32 v14, 4, v1
	v_mov_b32_e32 v15, 0
	s_movk_i32 s46, 0x140
	s_waitcnt lgkmcnt(0)
	s_ashr_i32 s3, s6, 31
	s_mov_b32 s2, s6
	s_lshl_b64 s[2:3], s[2:3], 4
	s_add_u32 s2, s16, s2
	s_addc_u32 s3, s17, s3
	v_lshl_add_u64 v[168:169], s[2:3], 0, v[14:15]
	flat_load_dwordx4 v[2:5], v[168:169]
	s_mov_b32 s16, s7
	s_ashr_i32 s17, s7, 31
	v_lshl_add_u64 v[6:7], s[16:17], 4, v[168:169]
	v_accvgpr_write_b32 a0, v6
	s_add_i32 s6, s7, s7
	v_accvgpr_write_b32 a1, v7
	s_movk_i32 s47, 0x150
	s_movk_i32 s48, 0x160
	;; [unrolled: 1-line block ×22, first 2 shown]
	s_mov_b32 s45, 16
	s_mov_b32 s44, 32
	;; [unrolled: 1-line block ×12, first 2 shown]
	s_bitcmp0_b32 s8, 0
	s_waitcnt vmcnt(0) lgkmcnt(0)
	scratch_store_dwordx4 off, v[2:5], off
	flat_load_dwordx4 v[2:5], v[6:7]
	v_add_u32_e32 v6, s6, v1
	v_ashrrev_i32_e32 v7, 31, v6
	v_lshl_add_u64 v[8:9], v[6:7], 4, s[2:3]
	v_add_u32_e32 v6, s7, v6
	v_accvgpr_write_b32 a2, v8
	v_ashrrev_i32_e32 v7, 31, v6
	v_accvgpr_write_b32 a3, v9
	s_waitcnt vmcnt(0) lgkmcnt(0)
	scratch_store_dwordx4 off, v[2:5], off offset:16
	flat_load_dwordx4 v[2:5], v[8:9]
	v_lshl_add_u64 v[8:9], v[6:7], 4, s[2:3]
	v_add_u32_e32 v6, s7, v6
	v_accvgpr_write_b32 a4, v8
	v_ashrrev_i32_e32 v7, 31, v6
	v_accvgpr_write_b32 a5, v9
	s_waitcnt vmcnt(0) lgkmcnt(0)
	scratch_store_dwordx4 off, v[2:5], off offset:32
	flat_load_dwordx4 v[2:5], v[8:9]
	v_lshl_add_u64 v[8:9], v[6:7], 4, s[2:3]
	v_add_u32_e32 v6, s7, v6
	v_accvgpr_write_b32 a6, v8
	v_ashrrev_i32_e32 v7, 31, v6
	v_accvgpr_write_b32 a7, v9
	s_waitcnt vmcnt(0) lgkmcnt(0)
	scratch_store_dwordx4 off, v[2:5], off offset:48
	flat_load_dwordx4 v[2:5], v[8:9]
	v_lshl_add_u64 v[8:9], v[6:7], 4, s[2:3]
	v_add_u32_e32 v6, s7, v6
	v_accvgpr_write_b32 a8, v8
	v_ashrrev_i32_e32 v7, 31, v6
	v_accvgpr_write_b32 a9, v9
	s_waitcnt vmcnt(0) lgkmcnt(0)
	scratch_store_dwordx4 off, v[2:5], off offset:64
	flat_load_dwordx4 v[2:5], v[8:9]
	v_lshl_add_u64 v[8:9], v[6:7], 4, s[2:3]
	v_add_u32_e32 v6, s7, v6
	v_accvgpr_write_b32 a11, v9
	v_ashrrev_i32_e32 v7, 31, v6
	v_accvgpr_write_b32 a10, v8
	s_waitcnt vmcnt(0) lgkmcnt(0)
	scratch_store_dwordx4 off, v[2:5], off offset:80
	flat_load_dwordx4 v[2:5], v[8:9]
	v_lshl_add_u64 v[8:9], v[6:7], 4, s[2:3]
	v_add_u32_e32 v6, s7, v6
	v_accvgpr_write_b32 a13, v9
	v_ashrrev_i32_e32 v7, 31, v6
	v_accvgpr_write_b32 a12, v8
	s_waitcnt vmcnt(0) lgkmcnt(0)
	scratch_store_dwordx4 off, v[2:5], off offset:96
	flat_load_dwordx4 v[2:5], v[8:9]
	v_lshl_add_u64 v[8:9], v[6:7], 4, s[2:3]
	v_add_u32_e32 v6, s7, v6
	v_accvgpr_write_b32 a15, v9
	v_ashrrev_i32_e32 v7, 31, v6
	v_accvgpr_write_b32 a14, v8
	s_waitcnt vmcnt(0) lgkmcnt(0)
	scratch_store_dwordx4 off, v[2:5], off offset:112
	flat_load_dwordx4 v[2:5], v[8:9]
	v_lshl_add_u64 v[8:9], v[6:7], 4, s[2:3]
	v_add_u32_e32 v6, s7, v6
	v_accvgpr_write_b32 a17, v9
	v_ashrrev_i32_e32 v7, 31, v6
	v_accvgpr_write_b32 a16, v8
	s_waitcnt vmcnt(0) lgkmcnt(0)
	scratch_store_dwordx4 off, v[2:5], off offset:128
	flat_load_dwordx4 v[2:5], v[8:9]
	v_lshl_add_u64 v[8:9], v[6:7], 4, s[2:3]
	v_add_u32_e32 v6, s7, v6
	v_accvgpr_write_b32 a19, v9
	v_ashrrev_i32_e32 v7, 31, v6
	v_accvgpr_write_b32 a18, v8
	s_waitcnt vmcnt(0) lgkmcnt(0)
	scratch_store_dwordx4 off, v[2:5], off offset:144
	flat_load_dwordx4 v[2:5], v[8:9]
	v_lshl_add_u64 v[8:9], v[6:7], 4, s[2:3]
	v_add_u32_e32 v6, s7, v6
	v_accvgpr_write_b32 a21, v9
	v_ashrrev_i32_e32 v7, 31, v6
	v_accvgpr_write_b32 a20, v8
	s_waitcnt vmcnt(0) lgkmcnt(0)
	scratch_store_dwordx4 off, v[2:5], off offset:160
	flat_load_dwordx4 v[2:5], v[8:9]
	v_lshl_add_u64 v[8:9], v[6:7], 4, s[2:3]
	v_add_u32_e32 v6, s7, v6
	v_ashrrev_i32_e32 v7, 31, v6
	v_lshl_add_u64 v[194:195], v[6:7], 4, s[2:3]
	v_add_u32_e32 v6, s7, v6
	v_ashrrev_i32_e32 v7, 31, v6
	;; [unrolled: 3-line block ×15, first 2 shown]
	v_lshl_add_u64 v[222:223], v[6:7], 4, s[2:3]
	v_accvgpr_write_b32 a23, v9
	v_accvgpr_write_b32 a22, v8
	s_mov_b64 s[6:7], -1
	s_waitcnt vmcnt(0) lgkmcnt(0)
	scratch_store_dwordx4 off, v[2:5], off offset:176
	flat_load_dwordx4 v[2:5], v[8:9]
	s_waitcnt vmcnt(0) lgkmcnt(0)
	scratch_store_dwordx4 off, v[2:5], off offset:192
	flat_load_dwordx4 v[2:5], v[194:195]
	;; [unrolled: 3-line block ×16, first 2 shown]
	s_waitcnt vmcnt(0) lgkmcnt(0)
	scratch_store_dwordx4 off, v[2:5], off offset:432
	s_cbranch_scc1 .LBB91_124
; %bb.4:
	v_cmp_eq_u32_e64 s[2:3], 0, v1
	s_and_saveexec_b64 s[6:7], s[2:3]
; %bb.5:
	v_mov_b32_e32 v2, 0
	ds_write_b32 v2, v2 offset:896
; %bb.6:
	s_or_b64 exec, exec, s[6:7]
	s_waitcnt lgkmcnt(0)
	; wave barrier
	scratch_load_dwordx4 v[2:5], v14, off
	s_waitcnt vmcnt(0)
	v_cmp_eq_f64_e32 vcc, 0, v[2:3]
	v_cmp_eq_f64_e64 s[6:7], 0, v[4:5]
	s_and_b64 s[6:7], vcc, s[6:7]
	s_and_saveexec_b64 s[8:9], s[6:7]
	s_cbranch_execz .LBB91_10
; %bb.7:
	v_mov_b32_e32 v2, 0
	ds_read_b32 v4, v2 offset:896
	v_add_u32_e32 v3, 1, v1
	s_waitcnt lgkmcnt(0)
	v_readfirstlane_b32 s6, v4
	s_cmp_eq_u32 s6, 0
	s_cselect_b64 s[16:17], -1, 0
	v_cmp_gt_i32_e32 vcc, s6, v3
	s_or_b64 s[16:17], s[16:17], vcc
	s_and_b64 exec, exec, s[16:17]
	s_cbranch_execz .LBB91_10
; %bb.8:
	s_mov_b64 s[16:17], 0
	v_mov_b32_e32 v4, s6
.LBB91_9:                               ; =>This Inner Loop Header: Depth=1
	ds_cmpst_rtn_b32 v4, v2, v4, v3 offset:896
	s_waitcnt lgkmcnt(0)
	v_cmp_ne_u32_e32 vcc, 0, v4
	v_cmp_le_i32_e64 s[6:7], v4, v3
	s_and_b64 s[6:7], vcc, s[6:7]
	s_and_b64 s[6:7], exec, s[6:7]
	s_or_b64 s[16:17], s[6:7], s[16:17]
	s_andn2_b64 exec, exec, s[16:17]
	s_cbranch_execnz .LBB91_9
.LBB91_10:
	s_or_b64 exec, exec, s[8:9]
	v_mov_b32_e32 v3, 0
	; wave barrier
	ds_read_b32 v2, v3 offset:896
	s_and_saveexec_b64 s[6:7], s[2:3]
	s_cbranch_execz .LBB91_12
; %bb.11:
	s_lshl_b64 s[8:9], s[4:5], 2
	s_add_u32 s8, s10, s8
	s_addc_u32 s9, s11, s9
	s_waitcnt lgkmcnt(0)
	global_store_dword v3, v2, s[8:9]
.LBB91_12:
	s_or_b64 exec, exec, s[6:7]
	s_waitcnt lgkmcnt(0)
	v_cmp_ne_u32_e32 vcc, 0, v2
	s_mov_b64 s[6:7], 0
	s_cbranch_vccnz .LBB91_124
; %bb.13:
	v_mov_b32_e32 v15, v14
	scratch_load_dwordx4 v[2:5], v15, off
                                        ; implicit-def: $vgpr6_vgpr7
                                        ; implicit-def: $vgpr10_vgpr11
	s_waitcnt vmcnt(0)
	v_cmp_ngt_f64_e64 s[6:7], |v[2:3]|, |v[4:5]|
	s_and_saveexec_b64 s[8:9], s[6:7]
	s_xor_b64 s[6:7], exec, s[8:9]
	s_cbranch_execz .LBB91_15
; %bb.14:
	v_div_scale_f64 v[6:7], s[8:9], v[4:5], v[4:5], v[2:3]
	v_rcp_f64_e32 v[8:9], v[6:7]
	v_div_scale_f64 v[10:11], vcc, v[2:3], v[4:5], v[2:3]
	v_fma_f64 v[12:13], -v[6:7], v[8:9], 1.0
	v_fmac_f64_e32 v[8:9], v[8:9], v[12:13]
	v_fma_f64 v[12:13], -v[6:7], v[8:9], 1.0
	v_fmac_f64_e32 v[8:9], v[8:9], v[12:13]
	v_mul_f64 v[12:13], v[10:11], v[8:9]
	v_fma_f64 v[6:7], -v[6:7], v[12:13], v[10:11]
	v_div_fmas_f64 v[6:7], v[6:7], v[8:9], v[12:13]
	v_div_fixup_f64 v[6:7], v[6:7], v[4:5], v[2:3]
	v_fmac_f64_e32 v[4:5], v[2:3], v[6:7]
	v_div_scale_f64 v[2:3], s[8:9], v[4:5], v[4:5], 1.0
	v_rcp_f64_e32 v[8:9], v[2:3]
	s_nop 0
	v_fma_f64 v[10:11], -v[2:3], v[8:9], 1.0
	v_fmac_f64_e32 v[8:9], v[8:9], v[10:11]
	v_fma_f64 v[10:11], -v[2:3], v[8:9], 1.0
	v_fmac_f64_e32 v[8:9], v[8:9], v[10:11]
	v_div_scale_f64 v[10:11], vcc, 1.0, v[4:5], 1.0
	v_mul_f64 v[12:13], v[10:11], v[8:9]
	v_fma_f64 v[2:3], -v[2:3], v[12:13], v[10:11]
	s_nop 1
	v_div_fmas_f64 v[2:3], v[2:3], v[8:9], v[12:13]
	v_div_fixup_f64 v[8:9], v[2:3], v[4:5], 1.0
	v_mul_f64 v[6:7], v[6:7], v[8:9]
	v_xor_b32_e32 v9, 0x80000000, v9
	v_xor_b32_e32 v11, 0x80000000, v7
	v_mov_b32_e32 v10, v6
                                        ; implicit-def: $vgpr2_vgpr3
.LBB91_15:
	s_andn2_saveexec_b64 s[6:7], s[6:7]
	s_cbranch_execz .LBB91_17
; %bb.16:
	v_div_scale_f64 v[6:7], s[8:9], v[2:3], v[2:3], v[4:5]
	v_rcp_f64_e32 v[8:9], v[6:7]
	v_div_scale_f64 v[10:11], vcc, v[4:5], v[2:3], v[4:5]
	v_fma_f64 v[12:13], -v[6:7], v[8:9], 1.0
	v_fmac_f64_e32 v[8:9], v[8:9], v[12:13]
	v_fma_f64 v[12:13], -v[6:7], v[8:9], 1.0
	v_fmac_f64_e32 v[8:9], v[8:9], v[12:13]
	v_mul_f64 v[12:13], v[10:11], v[8:9]
	v_fma_f64 v[6:7], -v[6:7], v[12:13], v[10:11]
	v_div_fmas_f64 v[6:7], v[6:7], v[8:9], v[12:13]
	v_div_fixup_f64 v[8:9], v[6:7], v[2:3], v[4:5]
	v_fmac_f64_e32 v[2:3], v[4:5], v[8:9]
	v_div_scale_f64 v[4:5], s[8:9], v[2:3], v[2:3], 1.0
	v_rcp_f64_e32 v[6:7], v[4:5]
	s_nop 0
	v_fma_f64 v[10:11], -v[4:5], v[6:7], 1.0
	v_fmac_f64_e32 v[6:7], v[6:7], v[10:11]
	v_fma_f64 v[10:11], -v[4:5], v[6:7], 1.0
	v_fmac_f64_e32 v[6:7], v[6:7], v[10:11]
	v_div_scale_f64 v[10:11], vcc, 1.0, v[2:3], 1.0
	v_mul_f64 v[12:13], v[10:11], v[6:7]
	v_fma_f64 v[4:5], -v[4:5], v[12:13], v[10:11]
	s_nop 1
	v_div_fmas_f64 v[4:5], v[4:5], v[6:7], v[12:13]
	v_div_fixup_f64 v[6:7], v[4:5], v[2:3], 1.0
	v_xor_b32_e32 v11, 0x80000000, v7
	v_mov_b32_e32 v10, v6
	v_mul_f64 v[8:9], v[8:9], -v[6:7]
.LBB91_17:
	s_or_b64 exec, exec, s[6:7]
	scratch_store_dwordx4 v15, v[6:9], off
	scratch_load_dwordx4 v[2:5], off, s45
	v_xor_b32_e32 v13, 0x80000000, v9
	v_mov_b32_e32 v12, v8
	v_add_u32_e32 v6, 0x1c0, v14
	ds_write_b128 v14, v[10:13]
	s_waitcnt vmcnt(0)
	ds_write_b128 v14, v[2:5] offset:448
	s_waitcnt lgkmcnt(0)
	; wave barrier
	s_and_saveexec_b64 s[6:7], s[2:3]
	s_cbranch_execz .LBB91_19
; %bb.18:
	scratch_load_dwordx4 v[2:5], v15, off
	ds_read_b128 v[8:11], v6
	v_mov_b32_e32 v7, 0
	ds_read_b128 v[16:19], v7 offset:16
	s_waitcnt vmcnt(0) lgkmcnt(1)
	v_mul_f64 v[12:13], v[10:11], v[4:5]
	v_mul_f64 v[4:5], v[8:9], v[4:5]
	v_fma_f64 v[8:9], v[8:9], v[2:3], -v[12:13]
	v_fmac_f64_e32 v[4:5], v[10:11], v[2:3]
	v_add_f64 v[2:3], v[8:9], 0
	v_add_f64 v[8:9], v[4:5], 0
	s_waitcnt lgkmcnt(0)
	v_mul_f64 v[10:11], v[8:9], v[18:19]
	v_mul_f64 v[4:5], v[2:3], v[18:19]
	v_fma_f64 v[2:3], v[2:3], v[16:17], -v[10:11]
	v_fmac_f64_e32 v[4:5], v[8:9], v[16:17]
	scratch_store_dwordx4 off, v[2:5], off offset:16
.LBB91_19:
	s_or_b64 exec, exec, s[6:7]
	; wave barrier
	scratch_load_dwordx4 v[2:5], off, s44
	v_cmp_gt_u32_e32 vcc, 2, v1
	s_waitcnt vmcnt(0)
	ds_write_b128 v6, v[2:5]
	s_waitcnt lgkmcnt(0)
	; wave barrier
	s_and_saveexec_b64 s[6:7], vcc
	s_cbranch_execz .LBB91_23
; %bb.20:
	scratch_load_dwordx4 v[2:5], v15, off
	ds_read_b128 v[8:11], v6
	s_waitcnt vmcnt(0) lgkmcnt(0)
	v_mul_f64 v[12:13], v[10:11], v[4:5]
	v_mul_f64 v[16:17], v[8:9], v[4:5]
	v_fma_f64 v[4:5], v[8:9], v[2:3], -v[12:13]
	v_fmac_f64_e32 v[16:17], v[10:11], v[2:3]
	v_add_f64 v[4:5], v[4:5], 0
	v_add_f64 v[2:3], v[16:17], 0
	s_and_saveexec_b64 s[8:9], s[2:3]
	s_cbranch_execz .LBB91_22
; %bb.21:
	scratch_load_dwordx4 v[8:11], off, off offset:16
	v_mov_b32_e32 v7, 0
	ds_read_b128 v[16:19], v7 offset:464
	s_waitcnt vmcnt(0) lgkmcnt(0)
	v_mul_f64 v[12:13], v[16:17], v[10:11]
	v_mul_f64 v[10:11], v[18:19], v[10:11]
	v_fmac_f64_e32 v[12:13], v[18:19], v[8:9]
	v_fma_f64 v[8:9], v[16:17], v[8:9], -v[10:11]
	v_add_f64 v[2:3], v[2:3], v[12:13]
	v_add_f64 v[4:5], v[4:5], v[8:9]
.LBB91_22:
	s_or_b64 exec, exec, s[8:9]
	v_mov_b32_e32 v7, 0
	ds_read_b128 v[8:11], v7 offset:32
	s_waitcnt lgkmcnt(0)
	v_mul_f64 v[16:17], v[2:3], v[10:11]
	v_mul_f64 v[12:13], v[4:5], v[10:11]
	v_fma_f64 v[10:11], v[4:5], v[8:9], -v[16:17]
	v_fmac_f64_e32 v[12:13], v[2:3], v[8:9]
	scratch_store_dwordx4 off, v[10:13], off offset:32
.LBB91_23:
	s_or_b64 exec, exec, s[6:7]
	; wave barrier
	scratch_load_dwordx4 v[2:5], off, s43
	v_cmp_gt_u32_e32 vcc, 3, v1
	v_add_u32_e32 v7, -1, v1
	s_waitcnt vmcnt(0)
	ds_write_b128 v6, v[2:5]
	s_waitcnt lgkmcnt(0)
	; wave barrier
	s_and_saveexec_b64 s[2:3], vcc
	s_cbranch_execz .LBB91_27
; %bb.24:
	v_add_u32_e32 v8, -1, v1
	v_add_u32_e32 v9, 0x1c0, v14
	v_mov_b32_e32 v10, v14
	v_mov_b64_e32 v[2:3], 0
	s_mov_b64 s[6:7], 0
	v_mov_b64_e32 v[4:5], 0
.LBB91_25:                              ; =>This Inner Loop Header: Depth=1
	scratch_load_dwordx4 v[16:19], v10, off
	ds_read_b128 v[20:23], v9
	v_add_u32_e32 v8, 1, v8
	v_cmp_lt_u32_e32 vcc, 1, v8
	v_add_u32_e32 v9, 16, v9
	v_add_u32_e32 v10, 16, v10
	s_or_b64 s[6:7], vcc, s[6:7]
	s_waitcnt vmcnt(0) lgkmcnt(0)
	v_mul_f64 v[12:13], v[22:23], v[18:19]
	v_mul_f64 v[18:19], v[20:21], v[18:19]
	v_fma_f64 v[12:13], v[20:21], v[16:17], -v[12:13]
	v_fmac_f64_e32 v[18:19], v[22:23], v[16:17]
	v_add_f64 v[4:5], v[4:5], v[12:13]
	v_add_f64 v[2:3], v[2:3], v[18:19]
	s_andn2_b64 exec, exec, s[6:7]
	s_cbranch_execnz .LBB91_25
; %bb.26:
	s_or_b64 exec, exec, s[6:7]
	v_mov_b32_e32 v8, 0
	ds_read_b128 v[8:11], v8 offset:48
	s_waitcnt lgkmcnt(0)
	v_mul_f64 v[16:17], v[2:3], v[10:11]
	v_mul_f64 v[12:13], v[4:5], v[10:11]
	v_fma_f64 v[10:11], v[4:5], v[8:9], -v[16:17]
	v_fmac_f64_e32 v[12:13], v[2:3], v[8:9]
	scratch_store_dwordx4 off, v[10:13], off offset:48
.LBB91_27:
	s_or_b64 exec, exec, s[2:3]
	; wave barrier
	scratch_load_dwordx4 v[2:5], off, s42
	v_cmp_gt_u32_e32 vcc, 4, v1
	s_waitcnt vmcnt(0)
	ds_write_b128 v6, v[2:5]
	s_waitcnt lgkmcnt(0)
	; wave barrier
	s_and_saveexec_b64 s[2:3], vcc
	s_cbranch_execz .LBB91_31
; %bb.28:
	v_add_u32_e32 v8, -1, v1
	v_add_u32_e32 v9, 0x1c0, v14
	v_mov_b32_e32 v10, v14
	v_mov_b64_e32 v[2:3], 0
	s_mov_b64 s[6:7], 0
	v_mov_b64_e32 v[4:5], 0
.LBB91_29:                              ; =>This Inner Loop Header: Depth=1
	scratch_load_dwordx4 v[16:19], v10, off
	ds_read_b128 v[20:23], v9
	v_add_u32_e32 v8, 1, v8
	v_cmp_lt_u32_e32 vcc, 2, v8
	v_add_u32_e32 v9, 16, v9
	v_add_u32_e32 v10, 16, v10
	s_or_b64 s[6:7], vcc, s[6:7]
	s_waitcnt vmcnt(0) lgkmcnt(0)
	v_mul_f64 v[12:13], v[22:23], v[18:19]
	v_mul_f64 v[18:19], v[20:21], v[18:19]
	v_fma_f64 v[12:13], v[20:21], v[16:17], -v[12:13]
	v_fmac_f64_e32 v[18:19], v[22:23], v[16:17]
	v_add_f64 v[4:5], v[4:5], v[12:13]
	v_add_f64 v[2:3], v[2:3], v[18:19]
	s_andn2_b64 exec, exec, s[6:7]
	s_cbranch_execnz .LBB91_29
; %bb.30:
	s_or_b64 exec, exec, s[6:7]
	v_mov_b32_e32 v8, 0
	ds_read_b128 v[8:11], v8 offset:64
	s_waitcnt lgkmcnt(0)
	v_mul_f64 v[16:17], v[2:3], v[10:11]
	v_mul_f64 v[12:13], v[4:5], v[10:11]
	v_fma_f64 v[10:11], v[4:5], v[8:9], -v[16:17]
	v_fmac_f64_e32 v[12:13], v[2:3], v[8:9]
	scratch_store_dwordx4 off, v[10:13], off offset:64
.LBB91_31:
	s_or_b64 exec, exec, s[2:3]
	; wave barrier
	scratch_load_dwordx4 v[2:5], off, s41
	v_cmp_gt_u32_e32 vcc, 5, v1
	;; [unrolled: 45-line block ×19, first 2 shown]
	s_waitcnt vmcnt(0)
	ds_write_b128 v6, v[2:5]
	s_waitcnt lgkmcnt(0)
	; wave barrier
	s_and_saveexec_b64 s[2:3], vcc
	s_cbranch_execz .LBB91_103
; %bb.100:
	v_add_u32_e32 v8, -1, v1
	v_add_u32_e32 v9, 0x1c0, v14
	v_mov_b32_e32 v10, v14
	v_mov_b64_e32 v[2:3], 0
	s_mov_b64 s[6:7], 0
	v_mov_b64_e32 v[4:5], 0
.LBB91_101:                             ; =>This Inner Loop Header: Depth=1
	scratch_load_dwordx4 v[16:19], v10, off
	ds_read_b128 v[20:23], v9
	v_add_u32_e32 v8, 1, v8
	v_cmp_lt_u32_e32 vcc, 20, v8
	v_add_u32_e32 v9, 16, v9
	v_add_u32_e32 v10, 16, v10
	s_or_b64 s[6:7], vcc, s[6:7]
	s_waitcnt vmcnt(0) lgkmcnt(0)
	v_mul_f64 v[12:13], v[22:23], v[18:19]
	v_mul_f64 v[18:19], v[20:21], v[18:19]
	v_fma_f64 v[12:13], v[20:21], v[16:17], -v[12:13]
	v_fmac_f64_e32 v[18:19], v[22:23], v[16:17]
	v_add_f64 v[4:5], v[4:5], v[12:13]
	v_add_f64 v[2:3], v[2:3], v[18:19]
	s_andn2_b64 exec, exec, s[6:7]
	s_cbranch_execnz .LBB91_101
; %bb.102:
	s_or_b64 exec, exec, s[6:7]
	v_mov_b32_e32 v8, 0
	ds_read_b128 v[8:11], v8 offset:352
	s_waitcnt lgkmcnt(0)
	v_mul_f64 v[16:17], v[2:3], v[10:11]
	v_mul_f64 v[12:13], v[4:5], v[10:11]
	v_fma_f64 v[10:11], v[4:5], v[8:9], -v[16:17]
	v_fmac_f64_e32 v[12:13], v[2:3], v[8:9]
	scratch_store_dwordx4 off, v[10:13], off offset:352
.LBB91_103:
	s_or_b64 exec, exec, s[2:3]
	; wave barrier
	scratch_load_dwordx4 v[2:5], off, s22
	v_cmp_gt_u32_e32 vcc, 23, v1
	s_waitcnt vmcnt(0)
	ds_write_b128 v6, v[2:5]
	s_waitcnt lgkmcnt(0)
	; wave barrier
	s_and_saveexec_b64 s[2:3], vcc
	s_cbranch_execz .LBB91_107
; %bb.104:
	v_add_u32_e32 v8, -1, v1
	v_add_u32_e32 v9, 0x1c0, v14
	v_mov_b32_e32 v10, v14
	v_mov_b64_e32 v[2:3], 0
	s_mov_b64 s[6:7], 0
	v_mov_b64_e32 v[4:5], 0
.LBB91_105:                             ; =>This Inner Loop Header: Depth=1
	scratch_load_dwordx4 v[16:19], v10, off
	ds_read_b128 v[20:23], v9
	v_add_u32_e32 v8, 1, v8
	v_cmp_lt_u32_e32 vcc, 21, v8
	v_add_u32_e32 v9, 16, v9
	v_add_u32_e32 v10, 16, v10
	s_or_b64 s[6:7], vcc, s[6:7]
	s_waitcnt vmcnt(0) lgkmcnt(0)
	v_mul_f64 v[12:13], v[22:23], v[18:19]
	v_mul_f64 v[18:19], v[20:21], v[18:19]
	v_fma_f64 v[12:13], v[20:21], v[16:17], -v[12:13]
	v_fmac_f64_e32 v[18:19], v[22:23], v[16:17]
	v_add_f64 v[4:5], v[4:5], v[12:13]
	v_add_f64 v[2:3], v[2:3], v[18:19]
	s_andn2_b64 exec, exec, s[6:7]
	s_cbranch_execnz .LBB91_105
; %bb.106:
	s_or_b64 exec, exec, s[6:7]
	v_mov_b32_e32 v8, 0
	ds_read_b128 v[8:11], v8 offset:368
	s_waitcnt lgkmcnt(0)
	v_mul_f64 v[16:17], v[2:3], v[10:11]
	v_mul_f64 v[12:13], v[4:5], v[10:11]
	v_fma_f64 v[10:11], v[4:5], v[8:9], -v[16:17]
	v_fmac_f64_e32 v[12:13], v[2:3], v[8:9]
	scratch_store_dwordx4 off, v[10:13], off offset:368
.LBB91_107:
	s_or_b64 exec, exec, s[2:3]
	; wave barrier
	scratch_load_dwordx4 v[2:5], off, s21
	v_cmp_gt_u32_e32 vcc, 24, v1
	;; [unrolled: 45-line block ×4, first 2 shown]
	s_waitcnt vmcnt(0)
	ds_write_b128 v6, v[2:5]
	s_waitcnt lgkmcnt(0)
	; wave barrier
	s_and_saveexec_b64 s[2:3], vcc
	s_cbranch_execz .LBB91_119
; %bb.116:
	v_add_u32_e32 v8, -1, v1
	v_add_u32_e32 v9, 0x1c0, v14
	v_mov_b32_e32 v10, v14
	v_mov_b64_e32 v[2:3], 0
	s_mov_b64 s[6:7], 0
	v_mov_b64_e32 v[4:5], 0
.LBB91_117:                             ; =>This Inner Loop Header: Depth=1
	scratch_load_dwordx4 v[16:19], v10, off
	ds_read_b128 v[20:23], v9
	v_add_u32_e32 v8, 1, v8
	v_cmp_lt_u32_e32 vcc, 24, v8
	v_add_u32_e32 v9, 16, v9
	v_add_u32_e32 v10, 16, v10
	s_or_b64 s[6:7], vcc, s[6:7]
	s_waitcnt vmcnt(0) lgkmcnt(0)
	v_mul_f64 v[12:13], v[22:23], v[18:19]
	v_mul_f64 v[18:19], v[20:21], v[18:19]
	v_fma_f64 v[12:13], v[20:21], v[16:17], -v[12:13]
	v_fmac_f64_e32 v[18:19], v[22:23], v[16:17]
	v_add_f64 v[4:5], v[4:5], v[12:13]
	v_add_f64 v[2:3], v[2:3], v[18:19]
	s_andn2_b64 exec, exec, s[6:7]
	s_cbranch_execnz .LBB91_117
; %bb.118:
	s_or_b64 exec, exec, s[6:7]
	v_mov_b32_e32 v8, 0
	ds_read_b128 v[8:11], v8 offset:416
	s_waitcnt lgkmcnt(0)
	v_mul_f64 v[16:17], v[2:3], v[10:11]
	v_mul_f64 v[12:13], v[4:5], v[10:11]
	v_fma_f64 v[10:11], v[4:5], v[8:9], -v[16:17]
	v_fmac_f64_e32 v[12:13], v[2:3], v[8:9]
	scratch_store_dwordx4 off, v[10:13], off offset:416
.LBB91_119:
	s_or_b64 exec, exec, s[2:3]
	; wave barrier
	scratch_load_dwordx4 v[2:5], off, s18
	v_cmp_ne_u32_e32 vcc, 27, v1
	s_waitcnt vmcnt(0)
	ds_write_b128 v6, v[2:5]
	s_waitcnt lgkmcnt(0)
	; wave barrier
	s_and_saveexec_b64 s[2:3], vcc
	s_cbranch_execz .LBB91_123
; %bb.120:
	v_add_u32_e32 v6, 0x1c0, v14
	v_mov_b32_e32 v8, v14
	v_mov_b64_e32 v[2:3], 0
	s_mov_b64 s[6:7], 0
	v_mov_b64_e32 v[4:5], 0
.LBB91_121:                             ; =>This Inner Loop Header: Depth=1
	scratch_load_dwordx4 v[10:13], v8, off
	ds_read_b128 v[14:17], v6
	v_add_u32_e32 v7, 1, v7
	v_cmp_lt_u32_e32 vcc, 25, v7
	v_add_u32_e32 v6, 16, v6
	v_add_u32_e32 v8, 16, v8
	s_or_b64 s[6:7], vcc, s[6:7]
	s_waitcnt vmcnt(0) lgkmcnt(0)
	v_mul_f64 v[18:19], v[16:17], v[12:13]
	v_mul_f64 v[12:13], v[14:15], v[12:13]
	v_fma_f64 v[14:15], v[14:15], v[10:11], -v[18:19]
	v_fmac_f64_e32 v[12:13], v[16:17], v[10:11]
	v_add_f64 v[4:5], v[4:5], v[14:15]
	v_add_f64 v[2:3], v[2:3], v[12:13]
	s_andn2_b64 exec, exec, s[6:7]
	s_cbranch_execnz .LBB91_121
; %bb.122:
	s_or_b64 exec, exec, s[6:7]
	v_mov_b32_e32 v6, 0
	ds_read_b128 v[6:9], v6 offset:432
	s_waitcnt lgkmcnt(0)
	v_mul_f64 v[12:13], v[2:3], v[8:9]
	v_mul_f64 v[10:11], v[4:5], v[8:9]
	v_fma_f64 v[8:9], v[4:5], v[6:7], -v[12:13]
	v_fmac_f64_e32 v[10:11], v[2:3], v[6:7]
	scratch_store_dwordx4 off, v[8:11], off offset:432
.LBB91_123:
	s_or_b64 exec, exec, s[2:3]
	s_mov_b64 s[6:7], -1
	; wave barrier
.LBB91_124:
	s_and_b64 vcc, exec, s[6:7]
	s_cbranch_vccz .LBB91_126
; %bb.125:
	s_lshl_b64 s[2:3], s[4:5], 2
	s_add_u32 s2, s10, s2
	s_addc_u32 s3, s11, s3
	v_mov_b32_e32 v2, 0
	global_load_dword v2, v2, s[2:3]
	s_waitcnt vmcnt(0)
	v_cmp_ne_u32_e32 vcc, 0, v2
	s_cbranch_vccz .LBB91_127
.LBB91_126:
	s_endpgm
.LBB91_127:
	v_mov_b32_e32 v2, 0x1c0
	v_lshl_add_u32 v226, v1, 4, v2
	v_cmp_eq_u32_e32 vcc, 27, v1
	s_and_saveexec_b64 s[2:3], vcc
	s_cbranch_execz .LBB91_129
; %bb.128:
	scratch_load_dwordx4 v[2:5], off, s19
	v_mov_b32_e32 v6, 0
	v_mov_b32_e32 v7, v6
	v_mov_b32_e32 v8, v6
	v_mov_b32_e32 v9, v6
	scratch_store_dwordx4 off, v[6:9], off offset:416
	s_waitcnt vmcnt(1)
	ds_write_b128 v226, v[2:5]
.LBB91_129:
	s_or_b64 exec, exec, s[2:3]
	s_waitcnt lgkmcnt(0)
	; wave barrier
	scratch_load_dwordx4 v[4:7], off, off offset:432
	scratch_load_dwordx4 v[8:11], off, off offset:416
	v_mov_b32_e32 v2, 0
	ds_read_b128 v[12:15], v2 offset:880
	v_cmp_lt_u32_e32 vcc, 25, v1
	s_waitcnt vmcnt(1) lgkmcnt(0)
	v_mul_f64 v[16:17], v[12:13], v[6:7]
	v_mul_f64 v[6:7], v[14:15], v[6:7]
	v_fmac_f64_e32 v[16:17], v[14:15], v[4:5]
	v_fma_f64 v[4:5], v[12:13], v[4:5], -v[6:7]
	v_add_f64 v[6:7], v[16:17], 0
	v_add_f64 v[4:5], v[4:5], 0
	s_waitcnt vmcnt(0)
	v_add_f64 v[4:5], v[8:9], -v[4:5]
	v_add_f64 v[6:7], v[10:11], -v[6:7]
	scratch_store_dwordx4 off, v[4:7], off offset:416
	s_and_saveexec_b64 s[2:3], vcc
	s_cbranch_execz .LBB91_131
; %bb.130:
	scratch_load_dwordx4 v[6:9], off, s20
	v_mov_b32_e32 v3, v2
	v_mov_b32_e32 v4, v2
	;; [unrolled: 1-line block ×3, first 2 shown]
	scratch_store_dwordx4 off, v[2:5], off offset:400
	s_waitcnt vmcnt(1)
	ds_write_b128 v226, v[6:9]
.LBB91_131:
	s_or_b64 exec, exec, s[2:3]
	s_waitcnt lgkmcnt(0)
	; wave barrier
	scratch_load_dwordx4 v[4:7], off, off offset:416
	scratch_load_dwordx4 v[8:11], off, off offset:432
	;; [unrolled: 1-line block ×3, first 2 shown]
	ds_read_b128 v[16:19], v2 offset:864
	ds_read_b128 v[20:23], v2 offset:880
	v_cmp_lt_u32_e32 vcc, 24, v1
	s_waitcnt vmcnt(2) lgkmcnt(1)
	v_mul_f64 v[2:3], v[16:17], v[6:7]
	v_mul_f64 v[6:7], v[18:19], v[6:7]
	s_waitcnt vmcnt(1) lgkmcnt(0)
	v_mul_f64 v[24:25], v[20:21], v[10:11]
	v_mul_f64 v[10:11], v[22:23], v[10:11]
	v_fmac_f64_e32 v[2:3], v[18:19], v[4:5]
	v_fma_f64 v[4:5], v[16:17], v[4:5], -v[6:7]
	v_fmac_f64_e32 v[24:25], v[22:23], v[8:9]
	v_fma_f64 v[6:7], v[20:21], v[8:9], -v[10:11]
	v_add_f64 v[2:3], v[2:3], 0
	v_add_f64 v[4:5], v[4:5], 0
	;; [unrolled: 1-line block ×4, first 2 shown]
	s_waitcnt vmcnt(0)
	v_add_f64 v[2:3], v[12:13], -v[2:3]
	v_add_f64 v[4:5], v[14:15], -v[8:9]
	scratch_store_dwordx4 off, v[2:5], off offset:400
	s_and_saveexec_b64 s[2:3], vcc
	s_cbranch_execz .LBB91_133
; %bb.132:
	scratch_load_dwordx4 v[2:5], off, s21
	v_mov_b32_e32 v6, 0
	v_mov_b32_e32 v7, v6
	;; [unrolled: 1-line block ×4, first 2 shown]
	scratch_store_dwordx4 off, v[6:9], off offset:384
	s_waitcnt vmcnt(1)
	ds_write_b128 v226, v[2:5]
.LBB91_133:
	s_or_b64 exec, exec, s[2:3]
	s_waitcnt lgkmcnt(0)
	; wave barrier
	scratch_load_dwordx4 v[4:7], off, off offset:400
	scratch_load_dwordx4 v[8:11], off, off offset:416
	;; [unrolled: 1-line block ×4, first 2 shown]
	v_mov_b32_e32 v2, 0
	ds_read_b128 v[20:23], v2 offset:848
	ds_read_b128 v[24:27], v2 offset:864
	;; [unrolled: 1-line block ×3, first 2 shown]
	v_cmp_lt_u32_e32 vcc, 23, v1
	s_waitcnt vmcnt(3) lgkmcnt(2)
	v_mul_f64 v[32:33], v[20:21], v[6:7]
	v_mul_f64 v[6:7], v[22:23], v[6:7]
	s_waitcnt vmcnt(2) lgkmcnt(1)
	v_mul_f64 v[34:35], v[24:25], v[10:11]
	v_mul_f64 v[10:11], v[26:27], v[10:11]
	v_fmac_f64_e32 v[32:33], v[22:23], v[4:5]
	v_fma_f64 v[4:5], v[20:21], v[4:5], -v[6:7]
	s_waitcnt vmcnt(1) lgkmcnt(0)
	v_mul_f64 v[36:37], v[28:29], v[14:15]
	v_mul_f64 v[14:15], v[30:31], v[14:15]
	v_fmac_f64_e32 v[34:35], v[26:27], v[8:9]
	v_fma_f64 v[6:7], v[24:25], v[8:9], -v[10:11]
	v_add_f64 v[10:11], v[32:33], 0
	v_add_f64 v[4:5], v[4:5], 0
	v_fmac_f64_e32 v[36:37], v[30:31], v[12:13]
	v_fma_f64 v[8:9], v[28:29], v[12:13], -v[14:15]
	v_add_f64 v[10:11], v[10:11], v[34:35]
	v_add_f64 v[4:5], v[4:5], v[6:7]
	;; [unrolled: 1-line block ×4, first 2 shown]
	s_waitcnt vmcnt(0)
	v_add_f64 v[4:5], v[16:17], -v[4:5]
	v_add_f64 v[6:7], v[18:19], -v[6:7]
	scratch_store_dwordx4 off, v[4:7], off offset:384
	s_and_saveexec_b64 s[2:3], vcc
	s_cbranch_execz .LBB91_135
; %bb.134:
	scratch_load_dwordx4 v[6:9], off, s22
	v_mov_b32_e32 v3, v2
	v_mov_b32_e32 v4, v2
	;; [unrolled: 1-line block ×3, first 2 shown]
	scratch_store_dwordx4 off, v[2:5], off offset:368
	s_waitcnt vmcnt(1)
	ds_write_b128 v226, v[6:9]
.LBB91_135:
	s_or_b64 exec, exec, s[2:3]
	s_waitcnt lgkmcnt(0)
	; wave barrier
	scratch_load_dwordx4 v[4:7], off, off offset:384
	scratch_load_dwordx4 v[8:11], off, off offset:400
	;; [unrolled: 1-line block ×5, first 2 shown]
	ds_read_b128 v[24:27], v2 offset:832
	ds_read_b128 v[28:31], v2 offset:848
	;; [unrolled: 1-line block ×4, first 2 shown]
	v_cmp_lt_u32_e32 vcc, 22, v1
	s_waitcnt vmcnt(4) lgkmcnt(3)
	v_mul_f64 v[2:3], v[24:25], v[6:7]
	v_mul_f64 v[6:7], v[26:27], v[6:7]
	s_waitcnt vmcnt(3) lgkmcnt(2)
	v_mul_f64 v[40:41], v[28:29], v[10:11]
	v_mul_f64 v[10:11], v[30:31], v[10:11]
	v_fmac_f64_e32 v[2:3], v[26:27], v[4:5]
	v_fma_f64 v[4:5], v[24:25], v[4:5], -v[6:7]
	s_waitcnt vmcnt(2) lgkmcnt(1)
	v_mul_f64 v[42:43], v[32:33], v[14:15]
	v_mul_f64 v[14:15], v[34:35], v[14:15]
	v_fmac_f64_e32 v[40:41], v[30:31], v[8:9]
	v_fma_f64 v[6:7], v[28:29], v[8:9], -v[10:11]
	v_add_f64 v[2:3], v[2:3], 0
	v_add_f64 v[4:5], v[4:5], 0
	s_waitcnt vmcnt(1) lgkmcnt(0)
	v_mul_f64 v[44:45], v[36:37], v[18:19]
	v_mul_f64 v[18:19], v[38:39], v[18:19]
	v_fmac_f64_e32 v[42:43], v[34:35], v[12:13]
	v_fma_f64 v[8:9], v[32:33], v[12:13], -v[14:15]
	v_add_f64 v[2:3], v[2:3], v[40:41]
	v_add_f64 v[4:5], v[4:5], v[6:7]
	v_fmac_f64_e32 v[44:45], v[38:39], v[16:17]
	v_fma_f64 v[10:11], v[36:37], v[16:17], -v[18:19]
	v_add_f64 v[2:3], v[2:3], v[42:43]
	v_add_f64 v[4:5], v[4:5], v[8:9]
	;; [unrolled: 1-line block ×4, first 2 shown]
	s_waitcnt vmcnt(0)
	v_add_f64 v[2:3], v[20:21], -v[2:3]
	v_add_f64 v[4:5], v[22:23], -v[6:7]
	scratch_store_dwordx4 off, v[2:5], off offset:368
	s_and_saveexec_b64 s[2:3], vcc
	s_cbranch_execz .LBB91_137
; %bb.136:
	scratch_load_dwordx4 v[2:5], off, s23
	v_mov_b32_e32 v6, 0
	v_mov_b32_e32 v7, v6
	;; [unrolled: 1-line block ×4, first 2 shown]
	scratch_store_dwordx4 off, v[6:9], off offset:352
	s_waitcnt vmcnt(1)
	ds_write_b128 v226, v[2:5]
.LBB91_137:
	s_or_b64 exec, exec, s[2:3]
	s_waitcnt lgkmcnt(0)
	; wave barrier
	scratch_load_dwordx4 v[4:7], off, off offset:368
	scratch_load_dwordx4 v[8:11], off, off offset:384
	;; [unrolled: 1-line block ×6, first 2 shown]
	v_mov_b32_e32 v2, 0
	ds_read_b128 v[28:31], v2 offset:816
	ds_read_b128 v[32:35], v2 offset:832
	;; [unrolled: 1-line block ×5, first 2 shown]
	v_cmp_lt_u32_e32 vcc, 21, v1
	s_waitcnt vmcnt(5) lgkmcnt(4)
	v_mul_f64 v[48:49], v[28:29], v[6:7]
	v_mul_f64 v[6:7], v[30:31], v[6:7]
	s_waitcnt vmcnt(4) lgkmcnt(3)
	v_mul_f64 v[50:51], v[32:33], v[10:11]
	s_waitcnt vmcnt(3) lgkmcnt(2)
	v_mul_f64 v[52:53], v[36:37], v[14:15]
	v_mul_f64 v[10:11], v[34:35], v[10:11]
	;; [unrolled: 1-line block ×3, first 2 shown]
	v_fmac_f64_e32 v[48:49], v[30:31], v[4:5]
	v_fma_f64 v[4:5], v[28:29], v[4:5], -v[6:7]
	v_fmac_f64_e32 v[50:51], v[34:35], v[8:9]
	v_fma_f64 v[6:7], v[32:33], v[8:9], -v[10:11]
	v_fma_f64 v[8:9], v[36:37], v[12:13], -v[14:15]
	v_add_f64 v[14:15], v[48:49], 0
	v_add_f64 v[4:5], v[4:5], 0
	s_waitcnt vmcnt(2) lgkmcnt(1)
	v_mul_f64 v[54:55], v[40:41], v[18:19]
	v_mul_f64 v[18:19], v[42:43], v[18:19]
	v_fmac_f64_e32 v[52:53], v[38:39], v[12:13]
	v_add_f64 v[14:15], v[14:15], v[50:51]
	v_add_f64 v[4:5], v[4:5], v[6:7]
	s_waitcnt vmcnt(1) lgkmcnt(0)
	v_mul_f64 v[56:57], v[44:45], v[22:23]
	v_mul_f64 v[22:23], v[46:47], v[22:23]
	v_fmac_f64_e32 v[54:55], v[42:43], v[16:17]
	v_fma_f64 v[10:11], v[40:41], v[16:17], -v[18:19]
	v_add_f64 v[6:7], v[14:15], v[52:53]
	v_add_f64 v[4:5], v[4:5], v[8:9]
	v_fmac_f64_e32 v[56:57], v[46:47], v[20:21]
	v_fma_f64 v[12:13], v[44:45], v[20:21], -v[22:23]
	v_add_f64 v[6:7], v[6:7], v[54:55]
	v_add_f64 v[4:5], v[4:5], v[10:11]
	;; [unrolled: 1-line block ×4, first 2 shown]
	s_waitcnt vmcnt(0)
	v_add_f64 v[4:5], v[24:25], -v[4:5]
	v_add_f64 v[6:7], v[26:27], -v[6:7]
	scratch_store_dwordx4 off, v[4:7], off offset:352
	s_and_saveexec_b64 s[2:3], vcc
	s_cbranch_execz .LBB91_139
; %bb.138:
	scratch_load_dwordx4 v[6:9], off, s24
	v_mov_b32_e32 v3, v2
	v_mov_b32_e32 v4, v2
	;; [unrolled: 1-line block ×3, first 2 shown]
	scratch_store_dwordx4 off, v[2:5], off offset:336
	s_waitcnt vmcnt(1)
	ds_write_b128 v226, v[6:9]
.LBB91_139:
	s_or_b64 exec, exec, s[2:3]
	s_waitcnt lgkmcnt(0)
	; wave barrier
	scratch_load_dwordx4 v[4:7], off, off offset:352
	scratch_load_dwordx4 v[8:11], off, off offset:368
	scratch_load_dwordx4 v[12:15], off, off offset:384
	scratch_load_dwordx4 v[16:19], off, off offset:400
	scratch_load_dwordx4 v[20:23], off, off offset:416
	scratch_load_dwordx4 v[24:27], off, off offset:432
	scratch_load_dwordx4 v[28:31], off, off offset:336
	ds_read_b128 v[32:35], v2 offset:800
	ds_read_b128 v[36:39], v2 offset:816
	;; [unrolled: 1-line block ×6, first 2 shown]
	v_cmp_lt_u32_e32 vcc, 20, v1
	s_waitcnt vmcnt(6) lgkmcnt(5)
	v_mul_f64 v[2:3], v[32:33], v[6:7]
	v_mul_f64 v[6:7], v[34:35], v[6:7]
	s_waitcnt vmcnt(5) lgkmcnt(4)
	v_mul_f64 v[56:57], v[36:37], v[10:11]
	v_mul_f64 v[10:11], v[38:39], v[10:11]
	v_fmac_f64_e32 v[2:3], v[34:35], v[4:5]
	v_fma_f64 v[4:5], v[32:33], v[4:5], -v[6:7]
	s_waitcnt vmcnt(4) lgkmcnt(3)
	v_mul_f64 v[58:59], v[40:41], v[14:15]
	v_mul_f64 v[14:15], v[42:43], v[14:15]
	v_fmac_f64_e32 v[56:57], v[38:39], v[8:9]
	v_fma_f64 v[6:7], v[36:37], v[8:9], -v[10:11]
	v_add_f64 v[2:3], v[2:3], 0
	v_add_f64 v[4:5], v[4:5], 0
	s_waitcnt vmcnt(3) lgkmcnt(2)
	v_mul_f64 v[60:61], v[44:45], v[18:19]
	v_mul_f64 v[18:19], v[46:47], v[18:19]
	v_fmac_f64_e32 v[58:59], v[42:43], v[12:13]
	v_fma_f64 v[8:9], v[40:41], v[12:13], -v[14:15]
	v_add_f64 v[2:3], v[2:3], v[56:57]
	v_add_f64 v[4:5], v[4:5], v[6:7]
	;; [unrolled: 7-line block ×4, first 2 shown]
	v_fmac_f64_e32 v[64:65], v[54:55], v[24:25]
	v_fma_f64 v[14:15], v[52:53], v[24:25], -v[26:27]
	v_add_f64 v[2:3], v[2:3], v[62:63]
	v_add_f64 v[4:5], v[4:5], v[12:13]
	;; [unrolled: 1-line block ×4, first 2 shown]
	s_waitcnt vmcnt(0)
	v_add_f64 v[2:3], v[28:29], -v[2:3]
	v_add_f64 v[4:5], v[30:31], -v[6:7]
	scratch_store_dwordx4 off, v[2:5], off offset:336
	s_and_saveexec_b64 s[2:3], vcc
	s_cbranch_execz .LBB91_141
; %bb.140:
	scratch_load_dwordx4 v[2:5], off, s25
	v_mov_b32_e32 v6, 0
	v_mov_b32_e32 v7, v6
	;; [unrolled: 1-line block ×4, first 2 shown]
	scratch_store_dwordx4 off, v[6:9], off offset:320
	s_waitcnt vmcnt(1)
	ds_write_b128 v226, v[2:5]
.LBB91_141:
	s_or_b64 exec, exec, s[2:3]
	v_mov_b32_e32 v2, 0
	s_waitcnt lgkmcnt(0)
	; wave barrier
	ds_read_b128 v[4:7], v2 offset:784
	ds_read_b128 v[8:11], v2 offset:800
	;; [unrolled: 1-line block ×4, first 2 shown]
	scratch_load_dwordx4 v[20:23], off, off offset:336
	scratch_load_dwordx4 v[40:43], off, off offset:400
	v_cmp_lt_u32_e32 vcc, 19, v1
	scratch_load_dwordx4 v[48:51], off, off offset:416
	scratch_load_dwordx4 v[56:59], off, off offset:432
	s_waitcnt vmcnt(3) lgkmcnt(3)
	v_mul_f64 v[24:25], v[4:5], v[22:23]
	v_fmac_f64_e32 v[24:25], v[6:7], v[20:21]
	v_add_f64 v[28:29], v[24:25], 0
	scratch_load_dwordx4 v[24:27], off, off offset:352
	v_mul_f64 v[6:7], v[6:7], v[22:23]
	v_fma_f64 v[4:5], v[4:5], v[20:21], -v[6:7]
	v_add_f64 v[4:5], v[4:5], 0
	s_waitcnt vmcnt(0) lgkmcnt(2)
	v_mul_f64 v[30:31], v[8:9], v[26:27]
	v_fmac_f64_e32 v[30:31], v[10:11], v[24:25]
	v_add_f64 v[32:33], v[28:29], v[30:31]
	scratch_load_dwordx4 v[28:31], off, off offset:368
	v_mul_f64 v[6:7], v[10:11], v[26:27]
	v_fma_f64 v[6:7], v[8:9], v[24:25], -v[6:7]
	v_add_f64 v[4:5], v[4:5], v[6:7]
	;; [unrolled: 8-line block ×3, first 2 shown]
	s_waitcnt vmcnt(0) lgkmcnt(0)
	v_mul_f64 v[38:39], v[16:17], v[34:35]
	v_fmac_f64_e32 v[38:39], v[18:19], v[32:33]
	v_add_f64 v[44:45], v[36:37], v[38:39]
	ds_read_b128 v[36:39], v2 offset:848
	v_mul_f64 v[6:7], v[18:19], v[34:35]
	v_fma_f64 v[6:7], v[16:17], v[32:33], -v[6:7]
	v_add_f64 v[4:5], v[4:5], v[6:7]
	s_waitcnt lgkmcnt(0)
	v_mul_f64 v[46:47], v[36:37], v[42:43]
	v_fmac_f64_e32 v[46:47], v[38:39], v[40:41]
	v_add_f64 v[52:53], v[44:45], v[46:47]
	ds_read_b128 v[44:47], v2 offset:864
	v_mul_f64 v[6:7], v[38:39], v[42:43]
	v_fma_f64 v[6:7], v[36:37], v[40:41], -v[6:7]
	v_add_f64 v[4:5], v[4:5], v[6:7]
	s_waitcnt lgkmcnt(0)
	;; [unrolled: 8-line block ×3, first 2 shown]
	v_mul_f64 v[6:7], v[54:55], v[58:59]
	v_fma_f64 v[6:7], v[52:53], v[56:57], -v[6:7]
	v_add_f64 v[8:9], v[4:5], v[6:7]
	scratch_load_dwordx4 v[4:7], off, off offset:320
	v_mul_f64 v[62:63], v[52:53], v[58:59]
	v_fmac_f64_e32 v[62:63], v[54:55], v[56:57]
	v_add_f64 v[60:61], v[60:61], v[62:63]
	s_waitcnt vmcnt(0)
	v_add_f64 v[4:5], v[4:5], -v[8:9]
	v_add_f64 v[6:7], v[6:7], -v[60:61]
	scratch_store_dwordx4 off, v[4:7], off offset:320
	s_and_saveexec_b64 s[2:3], vcc
	s_cbranch_execz .LBB91_143
; %bb.142:
	scratch_load_dwordx4 v[6:9], off, s26
	v_mov_b32_e32 v3, v2
	v_mov_b32_e32 v4, v2
	;; [unrolled: 1-line block ×3, first 2 shown]
	scratch_store_dwordx4 off, v[2:5], off offset:304
	s_waitcnt vmcnt(1)
	ds_write_b128 v226, v[6:9]
.LBB91_143:
	s_or_b64 exec, exec, s[2:3]
	s_waitcnt lgkmcnt(0)
	; wave barrier
	scratch_load_dwordx4 v[4:7], off, off offset:320
	scratch_load_dwordx4 v[8:11], off, off offset:336
	;; [unrolled: 1-line block ×9, first 2 shown]
	ds_read_b128 v[40:43], v2 offset:768
	ds_read_b128 v[44:47], v2 offset:784
	;; [unrolled: 1-line block ×8, first 2 shown]
	v_cmp_lt_u32_e32 vcc, 18, v1
	s_waitcnt vmcnt(8) lgkmcnt(7)
	v_mul_f64 v[2:3], v[40:41], v[6:7]
	v_mul_f64 v[6:7], v[42:43], v[6:7]
	s_waitcnt vmcnt(7) lgkmcnt(6)
	v_mul_f64 v[72:73], v[44:45], v[10:11]
	v_mul_f64 v[10:11], v[46:47], v[10:11]
	v_fmac_f64_e32 v[2:3], v[42:43], v[4:5]
	v_fma_f64 v[4:5], v[40:41], v[4:5], -v[6:7]
	s_waitcnt vmcnt(6) lgkmcnt(5)
	v_mul_f64 v[74:75], v[48:49], v[14:15]
	v_mul_f64 v[14:15], v[50:51], v[14:15]
	v_fmac_f64_e32 v[72:73], v[46:47], v[8:9]
	v_fma_f64 v[6:7], v[44:45], v[8:9], -v[10:11]
	v_add_f64 v[2:3], v[2:3], 0
	v_add_f64 v[4:5], v[4:5], 0
	s_waitcnt vmcnt(5) lgkmcnt(4)
	v_mul_f64 v[76:77], v[52:53], v[18:19]
	v_mul_f64 v[18:19], v[54:55], v[18:19]
	v_fmac_f64_e32 v[74:75], v[50:51], v[12:13]
	v_fma_f64 v[8:9], v[48:49], v[12:13], -v[14:15]
	v_add_f64 v[2:3], v[2:3], v[72:73]
	v_add_f64 v[4:5], v[4:5], v[6:7]
	;; [unrolled: 7-line block ×6, first 2 shown]
	v_fmac_f64_e32 v[84:85], v[70:71], v[32:33]
	v_fma_f64 v[18:19], v[68:69], v[32:33], -v[34:35]
	v_add_f64 v[2:3], v[2:3], v[82:83]
	v_add_f64 v[4:5], v[4:5], v[16:17]
	;; [unrolled: 1-line block ×4, first 2 shown]
	s_waitcnt vmcnt(0)
	v_add_f64 v[2:3], v[36:37], -v[2:3]
	v_add_f64 v[4:5], v[38:39], -v[6:7]
	scratch_store_dwordx4 off, v[2:5], off offset:304
	s_and_saveexec_b64 s[2:3], vcc
	s_cbranch_execz .LBB91_145
; %bb.144:
	scratch_load_dwordx4 v[2:5], off, s27
	v_mov_b32_e32 v6, 0
	v_mov_b32_e32 v7, v6
	;; [unrolled: 1-line block ×4, first 2 shown]
	scratch_store_dwordx4 off, v[6:9], off offset:288
	s_waitcnt vmcnt(1)
	ds_write_b128 v226, v[2:5]
.LBB91_145:
	s_or_b64 exec, exec, s[2:3]
	s_waitcnt lgkmcnt(0)
	; wave barrier
	scratch_load_dwordx4 v[4:7], off, off offset:304
	scratch_load_dwordx4 v[8:11], off, off offset:320
	scratch_load_dwordx4 v[12:15], off, off offset:336
	scratch_load_dwordx4 v[16:19], off, off offset:352
	scratch_load_dwordx4 v[20:23], off, off offset:368
	scratch_load_dwordx4 v[24:27], off, off offset:384
	scratch_load_dwordx4 v[28:31], off, off offset:400
	scratch_load_dwordx4 v[32:35], off, off offset:416
	scratch_load_dwordx4 v[36:39], off, off offset:432
	scratch_load_dwordx4 v[40:43], off, off offset:288
	v_mov_b32_e32 v2, 0
	ds_read_b128 v[44:47], v2 offset:752
	ds_read_b128 v[48:51], v2 offset:768
	;; [unrolled: 1-line block ×9, first 2 shown]
	v_cmp_lt_u32_e32 vcc, 17, v1
	s_waitcnt vmcnt(9) lgkmcnt(8)
	v_mul_f64 v[80:81], v[44:45], v[6:7]
	v_mul_f64 v[6:7], v[46:47], v[6:7]
	s_waitcnt vmcnt(8) lgkmcnt(7)
	v_mul_f64 v[82:83], v[48:49], v[10:11]
	s_waitcnt vmcnt(7) lgkmcnt(6)
	;; [unrolled: 2-line block ×3, first 2 shown]
	v_mul_f64 v[88:89], v[60:61], v[22:23]
	v_mul_f64 v[10:11], v[50:51], v[10:11]
	v_mul_f64 v[14:15], v[54:55], v[14:15]
	v_mul_f64 v[22:23], v[62:63], v[22:23]
	v_fmac_f64_e32 v[80:81], v[46:47], v[4:5]
	v_fma_f64 v[4:5], v[44:45], v[4:5], -v[6:7]
	v_fmac_f64_e32 v[82:83], v[50:51], v[8:9]
	v_fmac_f64_e32 v[84:85], v[54:55], v[12:13]
	v_fma_f64 v[6:7], v[48:49], v[8:9], -v[10:11]
	v_fma_f64 v[8:9], v[52:53], v[12:13], -v[14:15]
	;; [unrolled: 1-line block ×3, first 2 shown]
	v_add_f64 v[22:23], v[80:81], 0
	v_add_f64 v[4:5], v[4:5], 0
	v_mul_f64 v[86:87], v[56:57], v[18:19]
	v_mul_f64 v[18:19], v[58:59], v[18:19]
	v_add_f64 v[22:23], v[22:23], v[82:83]
	v_add_f64 v[4:5], v[4:5], v[6:7]
	v_fmac_f64_e32 v[86:87], v[58:59], v[16:17]
	v_fma_f64 v[10:11], v[56:57], v[16:17], -v[18:19]
	v_add_f64 v[6:7], v[22:23], v[84:85]
	v_add_f64 v[4:5], v[4:5], v[8:9]
	s_waitcnt vmcnt(4) lgkmcnt(3)
	v_mul_f64 v[90:91], v[64:65], v[26:27]
	v_mul_f64 v[26:27], v[66:67], v[26:27]
	v_fmac_f64_e32 v[88:89], v[62:63], v[20:21]
	v_add_f64 v[6:7], v[6:7], v[86:87]
	v_add_f64 v[4:5], v[4:5], v[10:11]
	s_waitcnt vmcnt(3) lgkmcnt(2)
	v_mul_f64 v[92:93], v[68:69], v[30:31]
	v_mul_f64 v[30:31], v[70:71], v[30:31]
	v_fmac_f64_e32 v[90:91], v[66:67], v[24:25]
	v_fma_f64 v[14:15], v[64:65], v[24:25], -v[26:27]
	v_add_f64 v[6:7], v[6:7], v[88:89]
	v_add_f64 v[4:5], v[4:5], v[12:13]
	s_waitcnt vmcnt(2) lgkmcnt(1)
	v_mul_f64 v[94:95], v[72:73], v[34:35]
	v_mul_f64 v[34:35], v[74:75], v[34:35]
	v_fmac_f64_e32 v[92:93], v[70:71], v[28:29]
	v_fma_f64 v[16:17], v[68:69], v[28:29], -v[30:31]
	;; [unrolled: 7-line block ×3, first 2 shown]
	v_add_f64 v[6:7], v[6:7], v[92:93]
	v_add_f64 v[4:5], v[4:5], v[16:17]
	v_fmac_f64_e32 v[96:97], v[78:79], v[36:37]
	v_fma_f64 v[20:21], v[76:77], v[36:37], -v[38:39]
	v_add_f64 v[6:7], v[6:7], v[94:95]
	v_add_f64 v[4:5], v[4:5], v[18:19]
	;; [unrolled: 1-line block ×4, first 2 shown]
	s_waitcnt vmcnt(0)
	v_add_f64 v[4:5], v[40:41], -v[4:5]
	v_add_f64 v[6:7], v[42:43], -v[6:7]
	scratch_store_dwordx4 off, v[4:7], off offset:288
	s_and_saveexec_b64 s[2:3], vcc
	s_cbranch_execz .LBB91_147
; %bb.146:
	scratch_load_dwordx4 v[6:9], off, s28
	v_mov_b32_e32 v3, v2
	v_mov_b32_e32 v4, v2
	;; [unrolled: 1-line block ×3, first 2 shown]
	scratch_store_dwordx4 off, v[2:5], off offset:272
	s_waitcnt vmcnt(1)
	ds_write_b128 v226, v[6:9]
.LBB91_147:
	s_or_b64 exec, exec, s[2:3]
	s_waitcnt lgkmcnt(0)
	; wave barrier
	scratch_load_dwordx4 v[4:7], off, off offset:288
	scratch_load_dwordx4 v[8:11], off, off offset:304
	scratch_load_dwordx4 v[12:15], off, off offset:320
	scratch_load_dwordx4 v[16:19], off, off offset:336
	scratch_load_dwordx4 v[20:23], off, off offset:352
	scratch_load_dwordx4 v[24:27], off, off offset:368
	scratch_load_dwordx4 v[28:31], off, off offset:384
	scratch_load_dwordx4 v[32:35], off, off offset:400
	scratch_load_dwordx4 v[36:39], off, off offset:416
	scratch_load_dwordx4 v[40:43], off, off offset:432
	scratch_load_dwordx4 v[44:47], off, off offset:272
	ds_read_b128 v[48:51], v2 offset:736
	ds_read_b128 v[52:55], v2 offset:752
	;; [unrolled: 1-line block ×10, first 2 shown]
	v_cmp_lt_u32_e32 vcc, 16, v1
	s_waitcnt vmcnt(10) lgkmcnt(9)
	v_mul_f64 v[2:3], v[48:49], v[6:7]
	v_mul_f64 v[6:7], v[50:51], v[6:7]
	s_waitcnt vmcnt(9) lgkmcnt(8)
	v_mul_f64 v[88:89], v[52:53], v[10:11]
	v_mul_f64 v[10:11], v[54:55], v[10:11]
	v_fmac_f64_e32 v[2:3], v[50:51], v[4:5]
	v_fma_f64 v[4:5], v[48:49], v[4:5], -v[6:7]
	s_waitcnt vmcnt(8) lgkmcnt(7)
	v_mul_f64 v[90:91], v[56:57], v[14:15]
	v_mul_f64 v[14:15], v[58:59], v[14:15]
	v_fmac_f64_e32 v[88:89], v[54:55], v[8:9]
	v_fma_f64 v[6:7], v[52:53], v[8:9], -v[10:11]
	v_add_f64 v[2:3], v[2:3], 0
	v_add_f64 v[4:5], v[4:5], 0
	s_waitcnt vmcnt(7) lgkmcnt(6)
	v_mul_f64 v[92:93], v[60:61], v[18:19]
	v_mul_f64 v[18:19], v[62:63], v[18:19]
	v_fmac_f64_e32 v[90:91], v[58:59], v[12:13]
	v_fma_f64 v[8:9], v[56:57], v[12:13], -v[14:15]
	v_add_f64 v[2:3], v[2:3], v[88:89]
	v_add_f64 v[4:5], v[4:5], v[6:7]
	;; [unrolled: 7-line block ×8, first 2 shown]
	v_fmac_f64_e32 v[104:105], v[86:87], v[40:41]
	v_fma_f64 v[22:23], v[84:85], v[40:41], -v[42:43]
	v_add_f64 v[2:3], v[2:3], v[102:103]
	v_add_f64 v[4:5], v[4:5], v[20:21]
	;; [unrolled: 1-line block ×4, first 2 shown]
	s_waitcnt vmcnt(0)
	v_add_f64 v[2:3], v[44:45], -v[2:3]
	v_add_f64 v[4:5], v[46:47], -v[6:7]
	scratch_store_dwordx4 off, v[2:5], off offset:272
	s_and_saveexec_b64 s[2:3], vcc
	s_cbranch_execz .LBB91_149
; %bb.148:
	scratch_load_dwordx4 v[2:5], off, s29
	v_mov_b32_e32 v6, 0
	v_mov_b32_e32 v7, v6
	;; [unrolled: 1-line block ×4, first 2 shown]
	scratch_store_dwordx4 off, v[6:9], off offset:256
	s_waitcnt vmcnt(1)
	ds_write_b128 v226, v[2:5]
.LBB91_149:
	s_or_b64 exec, exec, s[2:3]
	v_mov_b32_e32 v2, 0
	s_waitcnt lgkmcnt(0)
	; wave barrier
	ds_read_b128 v[4:7], v2 offset:720
	ds_read_b128 v[8:11], v2 offset:736
	;; [unrolled: 1-line block ×4, first 2 shown]
	scratch_load_dwordx4 v[20:23], off, off offset:272
	scratch_load_dwordx4 v[40:43], off, off offset:336
	;; [unrolled: 1-line block ×5, first 2 shown]
	v_cmp_lt_u32_e32 vcc, 15, v1
	scratch_load_dwordx4 v[48:51], off, off offset:352
	scratch_load_dwordx4 v[56:59], off, off offset:368
	;; [unrolled: 1-line block ×3, first 2 shown]
	s_waitcnt vmcnt(7) lgkmcnt(3)
	v_mul_f64 v[24:25], v[4:5], v[22:23]
	v_fmac_f64_e32 v[24:25], v[6:7], v[20:21]
	v_add_f64 v[28:29], v[24:25], 0
	scratch_load_dwordx4 v[24:27], off, off offset:288
	v_mul_f64 v[6:7], v[6:7], v[22:23]
	v_fma_f64 v[4:5], v[4:5], v[20:21], -v[6:7]
	v_add_f64 v[4:5], v[4:5], 0
	s_waitcnt vmcnt(0) lgkmcnt(2)
	v_mul_f64 v[30:31], v[8:9], v[26:27]
	v_fmac_f64_e32 v[30:31], v[10:11], v[24:25]
	v_add_f64 v[32:33], v[28:29], v[30:31]
	scratch_load_dwordx4 v[28:31], off, off offset:304
	v_mul_f64 v[6:7], v[10:11], v[26:27]
	v_fma_f64 v[6:7], v[8:9], v[24:25], -v[6:7]
	v_add_f64 v[4:5], v[4:5], v[6:7]
	;; [unrolled: 8-line block ×3, first 2 shown]
	s_waitcnt vmcnt(0) lgkmcnt(0)
	v_mul_f64 v[38:39], v[16:17], v[34:35]
	v_fmac_f64_e32 v[38:39], v[18:19], v[32:33]
	v_add_f64 v[44:45], v[36:37], v[38:39]
	ds_read_b128 v[36:39], v2 offset:784
	v_mul_f64 v[6:7], v[18:19], v[34:35]
	v_fma_f64 v[6:7], v[16:17], v[32:33], -v[6:7]
	v_add_f64 v[4:5], v[4:5], v[6:7]
	s_waitcnt lgkmcnt(0)
	v_mul_f64 v[46:47], v[36:37], v[42:43]
	v_fmac_f64_e32 v[46:47], v[38:39], v[40:41]
	v_add_f64 v[52:53], v[44:45], v[46:47]
	ds_read_b128 v[44:47], v2 offset:800
	v_mul_f64 v[6:7], v[38:39], v[42:43]
	v_fma_f64 v[6:7], v[36:37], v[40:41], -v[6:7]
	v_add_f64 v[4:5], v[4:5], v[6:7]
	s_waitcnt lgkmcnt(0)
	;; [unrolled: 8-line block ×7, first 2 shown]
	v_mul_f64 v[6:7], v[86:87], v[90:91]
	v_fma_f64 v[6:7], v[84:85], v[88:89], -v[6:7]
	v_add_f64 v[8:9], v[4:5], v[6:7]
	scratch_load_dwordx4 v[4:7], off, off offset:256
	v_mul_f64 v[94:95], v[84:85], v[90:91]
	v_fmac_f64_e32 v[94:95], v[86:87], v[88:89]
	v_add_f64 v[92:93], v[92:93], v[94:95]
	s_waitcnt vmcnt(0)
	v_add_f64 v[4:5], v[4:5], -v[8:9]
	v_add_f64 v[6:7], v[6:7], -v[92:93]
	scratch_store_dwordx4 off, v[4:7], off offset:256
	s_and_saveexec_b64 s[2:3], vcc
	s_cbranch_execz .LBB91_151
; %bb.150:
	scratch_load_dwordx4 v[6:9], off, s30
	v_mov_b32_e32 v3, v2
	v_mov_b32_e32 v4, v2
	;; [unrolled: 1-line block ×3, first 2 shown]
	scratch_store_dwordx4 off, v[2:5], off offset:240
	s_waitcnt vmcnt(1)
	ds_write_b128 v226, v[6:9]
.LBB91_151:
	s_or_b64 exec, exec, s[2:3]
	s_waitcnt lgkmcnt(0)
	; wave barrier
	ds_read_b128 v[4:7], v2 offset:704
	ds_read_b128 v[8:11], v2 offset:720
	;; [unrolled: 1-line block ×4, first 2 shown]
	scratch_load_dwordx4 v[20:23], off, off offset:256
	scratch_load_dwordx4 v[40:43], off, off offset:320
	;; [unrolled: 1-line block ×6, first 2 shown]
	v_cmp_lt_u32_e32 vcc, 14, v1
	scratch_load_dwordx4 v[48:51], off, off offset:336
	scratch_load_dwordx4 v[56:59], off, off offset:352
	scratch_load_dwordx4 v[64:67], off, off offset:368
	s_waitcnt vmcnt(8) lgkmcnt(3)
	v_mul_f64 v[24:25], v[4:5], v[22:23]
	v_fmac_f64_e32 v[24:25], v[6:7], v[20:21]
	v_add_f64 v[28:29], v[24:25], 0
	scratch_load_dwordx4 v[24:27], off, off offset:272
	s_waitcnt vmcnt(0) lgkmcnt(2)
	v_mul_f64 v[30:31], v[8:9], v[26:27]
	v_fmac_f64_e32 v[30:31], v[10:11], v[24:25]
	v_add_f64 v[32:33], v[28:29], v[30:31]
	scratch_load_dwordx4 v[28:31], off, off offset:288
	;; [unrolled: 5-line block ×3, first 2 shown]
	s_waitcnt vmcnt(0) lgkmcnt(0)
	v_mul_f64 v[38:39], v[16:17], v[34:35]
	v_fmac_f64_e32 v[38:39], v[18:19], v[32:33]
	v_add_f64 v[44:45], v[36:37], v[38:39]
	ds_read_b128 v[36:39], v2 offset:768
	s_waitcnt lgkmcnt(0)
	v_mul_f64 v[46:47], v[36:37], v[42:43]
	v_fmac_f64_e32 v[46:47], v[38:39], v[40:41]
	v_add_f64 v[52:53], v[44:45], v[46:47]
	ds_read_b128 v[44:47], v2 offset:784
	s_waitcnt lgkmcnt(0)
	;; [unrolled: 5-line block ×8, first 2 shown]
	v_mul_f64 v[2:3], v[92:93], v[98:99]
	v_fmac_f64_e32 v[2:3], v[94:95], v[96:97]
	v_add_f64 v[100:101], v[100:101], v[2:3]
	v_mul_f64 v[2:3], v[6:7], v[22:23]
	v_fma_f64 v[2:3], v[4:5], v[20:21], -v[2:3]
	v_mul_f64 v[4:5], v[10:11], v[26:27]
	v_add_f64 v[2:3], v[2:3], 0
	v_fma_f64 v[4:5], v[8:9], v[24:25], -v[4:5]
	v_add_f64 v[2:3], v[2:3], v[4:5]
	v_mul_f64 v[4:5], v[14:15], v[30:31]
	v_fma_f64 v[4:5], v[12:13], v[28:29], -v[4:5]
	v_add_f64 v[2:3], v[2:3], v[4:5]
	v_mul_f64 v[4:5], v[18:19], v[34:35]
	;; [unrolled: 3-line block ×10, first 2 shown]
	v_fma_f64 v[4:5], v[92:93], v[96:97], -v[4:5]
	v_add_f64 v[6:7], v[2:3], v[4:5]
	scratch_load_dwordx4 v[2:5], off, off offset:240
	s_waitcnt vmcnt(0)
	v_add_f64 v[2:3], v[2:3], -v[6:7]
	v_add_f64 v[4:5], v[4:5], -v[100:101]
	scratch_store_dwordx4 off, v[2:5], off offset:240
	s_and_saveexec_b64 s[2:3], vcc
	s_cbranch_execz .LBB91_153
; %bb.152:
	scratch_load_dwordx4 v[2:5], off, s31
	v_mov_b32_e32 v6, 0
	v_mov_b32_e32 v7, v6
	;; [unrolled: 1-line block ×4, first 2 shown]
	scratch_store_dwordx4 off, v[6:9], off offset:224
	s_waitcnt vmcnt(1)
	ds_write_b128 v226, v[2:5]
.LBB91_153:
	s_or_b64 exec, exec, s[2:3]
	s_waitcnt lgkmcnt(0)
	; wave barrier
	scratch_load_dwordx4 v[4:7], off, off offset:240
	scratch_load_dwordx4 v[8:11], off, off offset:256
	;; [unrolled: 1-line block ×14, first 2 shown]
	v_mov_b32_e32 v2, 0
	ds_read_b128 v[60:63], v2 offset:688
	ds_read_b128 v[64:67], v2 offset:704
	ds_read_b128 v[68:71], v2 offset:720
	ds_read_b128 v[72:75], v2 offset:736
	ds_read_b128 v[76:79], v2 offset:752
	ds_read_b128 v[80:83], v2 offset:768
	ds_read_b128 v[84:87], v2 offset:784
	ds_read_b128 v[88:91], v2 offset:800
	ds_read_b128 v[92:95], v2 offset:816
	ds_read_b128 v[96:99], v2 offset:832
	ds_read_b128 v[100:103], v2 offset:848
	ds_read_b128 v[104:107], v2 offset:864
	ds_read_b128 v[108:111], v2 offset:880
	v_cmp_lt_u32_e32 vcc, 13, v1
	s_waitcnt vmcnt(13) lgkmcnt(12)
	v_mul_f64 v[112:113], v[60:61], v[6:7]
	v_mul_f64 v[6:7], v[62:63], v[6:7]
	s_waitcnt vmcnt(12) lgkmcnt(11)
	v_mul_f64 v[114:115], v[64:65], v[10:11]
	v_mul_f64 v[10:11], v[66:67], v[10:11]
	v_fmac_f64_e32 v[112:113], v[62:63], v[4:5]
	v_fma_f64 v[4:5], v[60:61], v[4:5], -v[6:7]
	s_waitcnt vmcnt(11) lgkmcnt(10)
	v_mul_f64 v[116:117], v[68:69], v[14:15]
	v_mul_f64 v[14:15], v[70:71], v[14:15]
	v_fma_f64 v[6:7], v[64:65], v[8:9], -v[10:11]
	v_add_f64 v[4:5], v[4:5], 0
	s_waitcnt vmcnt(10) lgkmcnt(9)
	v_mul_f64 v[118:119], v[72:73], v[18:19]
	v_mul_f64 v[18:19], v[74:75], v[18:19]
	v_fmac_f64_e32 v[114:115], v[66:67], v[8:9]
	v_fma_f64 v[8:9], v[68:69], v[12:13], -v[14:15]
	v_add_f64 v[4:5], v[4:5], v[6:7]
	s_waitcnt vmcnt(9) lgkmcnt(8)
	v_mul_f64 v[120:121], v[76:77], v[22:23]
	v_mul_f64 v[22:23], v[78:79], v[22:23]
	v_fma_f64 v[10:11], v[72:73], v[16:17], -v[18:19]
	v_add_f64 v[4:5], v[4:5], v[8:9]
	s_waitcnt vmcnt(8) lgkmcnt(7)
	v_mul_f64 v[122:123], v[80:81], v[26:27]
	v_mul_f64 v[26:27], v[82:83], v[26:27]
	v_fmac_f64_e32 v[116:117], v[70:71], v[12:13]
	v_fma_f64 v[12:13], v[76:77], v[20:21], -v[22:23]
	v_add_f64 v[22:23], v[112:113], 0
	v_add_f64 v[4:5], v[4:5], v[10:11]
	s_waitcnt vmcnt(7) lgkmcnt(6)
	v_mul_f64 v[124:125], v[84:85], v[30:31]
	v_mul_f64 v[30:31], v[86:87], v[30:31]
	v_fma_f64 v[14:15], v[80:81], v[24:25], -v[26:27]
	v_add_f64 v[22:23], v[22:23], v[114:115]
	v_add_f64 v[4:5], v[4:5], v[12:13]
	s_waitcnt vmcnt(6) lgkmcnt(5)
	v_mul_f64 v[126:127], v[88:89], v[34:35]
	v_mul_f64 v[34:35], v[90:91], v[34:35]
	v_fmac_f64_e32 v[118:119], v[74:75], v[16:17]
	v_fma_f64 v[16:17], v[84:85], v[28:29], -v[30:31]
	v_add_f64 v[6:7], v[22:23], v[116:117]
	v_add_f64 v[4:5], v[4:5], v[14:15]
	s_waitcnt vmcnt(5) lgkmcnt(4)
	v_mul_f64 v[128:129], v[92:93], v[38:39]
	v_mul_f64 v[38:39], v[94:95], v[38:39]
	v_fmac_f64_e32 v[120:121], v[78:79], v[20:21]
	v_fma_f64 v[18:19], v[88:89], v[32:33], -v[34:35]
	v_add_f64 v[6:7], v[6:7], v[118:119]
	v_add_f64 v[4:5], v[4:5], v[16:17]
	v_fmac_f64_e32 v[122:123], v[82:83], v[24:25]
	v_fma_f64 v[20:21], v[92:93], v[36:37], -v[38:39]
	v_add_f64 v[6:7], v[6:7], v[120:121]
	v_add_f64 v[4:5], v[4:5], v[18:19]
	s_waitcnt vmcnt(4) lgkmcnt(3)
	v_mul_f64 v[8:9], v[98:99], v[42:43]
	v_fmac_f64_e32 v[124:125], v[86:87], v[28:29]
	v_add_f64 v[6:7], v[6:7], v[122:123]
	v_add_f64 v[4:5], v[4:5], v[20:21]
	v_fma_f64 v[8:9], v[96:97], v[40:41], -v[8:9]
	v_fmac_f64_e32 v[126:127], v[90:91], v[32:33]
	v_add_f64 v[6:7], v[6:7], v[124:125]
	v_add_f64 v[4:5], v[4:5], v[8:9]
	s_waitcnt vmcnt(3) lgkmcnt(2)
	v_mul_f64 v[8:9], v[102:103], v[46:47]
	v_mul_f64 v[130:131], v[96:97], v[42:43]
	v_fmac_f64_e32 v[128:129], v[94:95], v[36:37]
	v_add_f64 v[6:7], v[6:7], v[126:127]
	v_fma_f64 v[8:9], v[100:101], v[44:45], -v[8:9]
	v_mul_f64 v[132:133], v[100:101], v[46:47]
	v_fmac_f64_e32 v[130:131], v[98:99], v[40:41]
	v_add_f64 v[6:7], v[6:7], v[128:129]
	v_add_f64 v[4:5], v[4:5], v[8:9]
	s_waitcnt vmcnt(2) lgkmcnt(1)
	v_mul_f64 v[8:9], v[106:107], v[50:51]
	v_mul_f64 v[134:135], v[104:105], v[50:51]
	v_fmac_f64_e32 v[132:133], v[102:103], v[44:45]
	v_add_f64 v[6:7], v[6:7], v[130:131]
	v_fma_f64 v[8:9], v[104:105], v[48:49], -v[8:9]
	s_waitcnt vmcnt(1) lgkmcnt(0)
	v_mul_f64 v[136:137], v[108:109], v[54:55]
	v_fmac_f64_e32 v[134:135], v[106:107], v[48:49]
	v_add_f64 v[6:7], v[6:7], v[132:133]
	v_add_f64 v[4:5], v[4:5], v[8:9]
	v_mul_f64 v[8:9], v[110:111], v[54:55]
	v_fmac_f64_e32 v[136:137], v[110:111], v[52:53]
	v_add_f64 v[6:7], v[6:7], v[134:135]
	v_fma_f64 v[8:9], v[108:109], v[52:53], -v[8:9]
	v_add_f64 v[6:7], v[6:7], v[136:137]
	v_add_f64 v[4:5], v[4:5], v[8:9]
	s_waitcnt vmcnt(0)
	v_add_f64 v[4:5], v[56:57], -v[4:5]
	v_add_f64 v[6:7], v[58:59], -v[6:7]
	scratch_store_dwordx4 off, v[4:7], off offset:224
	s_and_saveexec_b64 s[2:3], vcc
	s_cbranch_execz .LBB91_155
; %bb.154:
	scratch_load_dwordx4 v[6:9], off, s33
	v_mov_b32_e32 v3, v2
	v_mov_b32_e32 v4, v2
	;; [unrolled: 1-line block ×3, first 2 shown]
	scratch_store_dwordx4 off, v[2:5], off offset:208
	s_waitcnt vmcnt(1)
	ds_write_b128 v226, v[6:9]
.LBB91_155:
	s_or_b64 exec, exec, s[2:3]
	s_waitcnt lgkmcnt(0)
	; wave barrier
	scratch_load_dwordx4 v[4:7], off, off offset:224
	scratch_load_dwordx4 v[8:11], off, off offset:240
	;; [unrolled: 1-line block ×14, first 2 shown]
	ds_read_b128 v[60:63], v2 offset:672
	ds_read_b128 v[64:67], v2 offset:688
	;; [unrolled: 1-line block ×14, first 2 shown]
	scratch_load_dwordx4 v[116:119], off, off offset:208
	v_cmp_lt_u32_e32 vcc, 12, v1
	s_waitcnt vmcnt(14) lgkmcnt(13)
	v_mul_f64 v[2:3], v[60:61], v[6:7]
	s_waitcnt vmcnt(13) lgkmcnt(12)
	v_mul_f64 v[120:121], v[64:65], v[10:11]
	v_fmac_f64_e32 v[2:3], v[62:63], v[4:5]
	s_waitcnt vmcnt(12) lgkmcnt(11)
	v_mul_f64 v[122:123], v[68:69], v[14:15]
	v_fmac_f64_e32 v[120:121], v[66:67], v[8:9]
	v_add_f64 v[2:3], v[2:3], 0
	s_waitcnt vmcnt(11) lgkmcnt(10)
	v_mul_f64 v[124:125], v[72:73], v[18:19]
	v_fmac_f64_e32 v[122:123], v[70:71], v[12:13]
	v_add_f64 v[2:3], v[2:3], v[120:121]
	;; [unrolled: 4-line block ×4, first 2 shown]
	s_waitcnt vmcnt(8) lgkmcnt(7)
	v_mul_f64 v[130:131], v[84:85], v[30:31]
	v_mul_f64 v[6:7], v[62:63], v[6:7]
	v_fmac_f64_e32 v[128:129], v[82:83], v[24:25]
	v_add_f64 v[2:3], v[2:3], v[126:127]
	s_waitcnt vmcnt(7) lgkmcnt(6)
	v_mul_f64 v[132:133], v[88:89], v[34:35]
	v_mul_f64 v[10:11], v[66:67], v[10:11]
	v_fmac_f64_e32 v[130:131], v[86:87], v[28:29]
	v_fma_f64 v[4:5], v[60:61], v[4:5], -v[6:7]
	v_add_f64 v[2:3], v[2:3], v[128:129]
	s_waitcnt vmcnt(6) lgkmcnt(5)
	v_mul_f64 v[134:135], v[92:93], v[38:39]
	v_mul_f64 v[14:15], v[70:71], v[14:15]
	v_fmac_f64_e32 v[132:133], v[90:91], v[32:33]
	v_fma_f64 v[6:7], v[64:65], v[8:9], -v[10:11]
	v_add_f64 v[4:5], v[4:5], 0
	v_add_f64 v[2:3], v[2:3], v[130:131]
	s_waitcnt vmcnt(5) lgkmcnt(4)
	v_mul_f64 v[136:137], v[96:97], v[42:43]
	v_mul_f64 v[18:19], v[74:75], v[18:19]
	v_fmac_f64_e32 v[134:135], v[94:95], v[36:37]
	v_fma_f64 v[8:9], v[68:69], v[12:13], -v[14:15]
	v_add_f64 v[4:5], v[4:5], v[6:7]
	;; [unrolled: 7-line block ×6, first 2 shown]
	v_add_f64 v[2:3], v[2:3], v[140:141]
	v_fmac_f64_e32 v[144:145], v[114:115], v[56:57]
	v_fma_f64 v[18:19], v[88:89], v[32:33], -v[34:35]
	v_add_f64 v[4:5], v[4:5], v[16:17]
	v_add_f64 v[2:3], v[2:3], v[142:143]
	;; [unrolled: 1-line block ×4, first 2 shown]
	v_mul_f64 v[4:5], v[94:95], v[38:39]
	v_fma_f64 v[4:5], v[92:93], v[36:37], -v[4:5]
	v_add_f64 v[2:3], v[2:3], v[4:5]
	v_mul_f64 v[4:5], v[98:99], v[42:43]
	v_fma_f64 v[4:5], v[96:97], v[40:41], -v[4:5]
	v_add_f64 v[2:3], v[2:3], v[4:5]
	;; [unrolled: 3-line block ×6, first 2 shown]
	s_waitcnt vmcnt(0)
	v_add_f64 v[2:3], v[116:117], -v[2:3]
	v_add_f64 v[4:5], v[118:119], -v[6:7]
	scratch_store_dwordx4 off, v[2:5], off offset:208
	s_and_saveexec_b64 s[2:3], vcc
	s_cbranch_execz .LBB91_157
; %bb.156:
	scratch_load_dwordx4 v[2:5], off, s34
	v_mov_b32_e32 v6, 0
	v_mov_b32_e32 v7, v6
	;; [unrolled: 1-line block ×4, first 2 shown]
	scratch_store_dwordx4 off, v[6:9], off offset:192
	s_waitcnt vmcnt(1)
	ds_write_b128 v226, v[2:5]
.LBB91_157:
	s_or_b64 exec, exec, s[2:3]
	s_waitcnt lgkmcnt(0)
	; wave barrier
	scratch_load_dwordx4 v[4:7], off, off offset:208
	scratch_load_dwordx4 v[8:11], off, off offset:224
	;; [unrolled: 1-line block ×16, first 2 shown]
	v_mov_b32_e32 v2, 0
	ds_read_b128 v[68:71], v2 offset:656
	ds_read_b128 v[72:75], v2 offset:672
	;; [unrolled: 1-line block ×15, first 2 shown]
	v_cmp_lt_u32_e32 vcc, 11, v1
	s_waitcnt vmcnt(15) lgkmcnt(14)
	v_mul_f64 v[128:129], v[68:69], v[6:7]
	v_mul_f64 v[6:7], v[70:71], v[6:7]
	s_waitcnt vmcnt(14) lgkmcnt(13)
	v_mul_f64 v[130:131], v[72:73], v[10:11]
	v_mul_f64 v[10:11], v[74:75], v[10:11]
	v_fmac_f64_e32 v[128:129], v[70:71], v[4:5]
	v_fma_f64 v[4:5], v[68:69], v[4:5], -v[6:7]
	s_waitcnt vmcnt(13) lgkmcnt(12)
	v_mul_f64 v[132:133], v[76:77], v[14:15]
	v_mul_f64 v[14:15], v[78:79], v[14:15]
	v_fma_f64 v[6:7], v[72:73], v[8:9], -v[10:11]
	v_add_f64 v[4:5], v[4:5], 0
	s_waitcnt vmcnt(12) lgkmcnt(11)
	v_mul_f64 v[134:135], v[80:81], v[18:19]
	v_mul_f64 v[18:19], v[82:83], v[18:19]
	v_fmac_f64_e32 v[130:131], v[74:75], v[8:9]
	v_fma_f64 v[8:9], v[76:77], v[12:13], -v[14:15]
	v_add_f64 v[4:5], v[4:5], v[6:7]
	s_waitcnt vmcnt(11) lgkmcnt(10)
	v_mul_f64 v[136:137], v[84:85], v[22:23]
	v_mul_f64 v[22:23], v[86:87], v[22:23]
	v_fma_f64 v[10:11], v[80:81], v[16:17], -v[18:19]
	v_add_f64 v[4:5], v[4:5], v[8:9]
	s_waitcnt vmcnt(10) lgkmcnt(9)
	v_mul_f64 v[138:139], v[88:89], v[26:27]
	v_mul_f64 v[26:27], v[90:91], v[26:27]
	v_fmac_f64_e32 v[132:133], v[78:79], v[12:13]
	v_fma_f64 v[12:13], v[84:85], v[20:21], -v[22:23]
	v_add_f64 v[4:5], v[4:5], v[10:11]
	v_fma_f64 v[14:15], v[88:89], v[24:25], -v[26:27]
	v_add_f64 v[4:5], v[4:5], v[12:13]
	s_waitcnt vmcnt(9) lgkmcnt(8)
	v_mul_f64 v[8:9], v[94:95], v[30:31]
	v_add_f64 v[4:5], v[4:5], v[14:15]
	v_fma_f64 v[8:9], v[92:93], v[28:29], -v[8:9]
	v_add_f64 v[4:5], v[4:5], v[8:9]
	s_waitcnt vmcnt(8) lgkmcnt(7)
	v_mul_f64 v[8:9], v[98:99], v[34:35]
	v_fma_f64 v[8:9], v[96:97], v[32:33], -v[8:9]
	v_fmac_f64_e32 v[134:135], v[82:83], v[16:17]
	v_add_f64 v[16:17], v[128:129], 0
	v_add_f64 v[4:5], v[4:5], v[8:9]
	s_waitcnt vmcnt(7) lgkmcnt(6)
	v_mul_f64 v[8:9], v[102:103], v[38:39]
	v_add_f64 v[16:17], v[16:17], v[130:131]
	v_fma_f64 v[8:9], v[100:101], v[36:37], -v[8:9]
	v_add_f64 v[6:7], v[16:17], v[132:133]
	v_add_f64 v[4:5], v[4:5], v[8:9]
	s_waitcnt vmcnt(6) lgkmcnt(5)
	v_mul_f64 v[8:9], v[106:107], v[42:43]
	v_fmac_f64_e32 v[136:137], v[86:87], v[20:21]
	v_add_f64 v[6:7], v[6:7], v[134:135]
	v_fma_f64 v[8:9], v[104:105], v[40:41], -v[8:9]
	v_mul_f64 v[140:141], v[92:93], v[30:31]
	v_fmac_f64_e32 v[138:139], v[90:91], v[24:25]
	v_add_f64 v[6:7], v[6:7], v[136:137]
	v_add_f64 v[4:5], v[4:5], v[8:9]
	s_waitcnt vmcnt(5) lgkmcnt(4)
	v_mul_f64 v[8:9], v[110:111], v[46:47]
	v_mul_f64 v[142:143], v[96:97], v[34:35]
	v_fmac_f64_e32 v[140:141], v[94:95], v[28:29]
	v_add_f64 v[6:7], v[6:7], v[138:139]
	v_fma_f64 v[8:9], v[108:109], v[44:45], -v[8:9]
	v_mul_f64 v[144:145], v[100:101], v[38:39]
	v_fmac_f64_e32 v[142:143], v[98:99], v[32:33]
	v_add_f64 v[6:7], v[6:7], v[140:141]
	v_add_f64 v[4:5], v[4:5], v[8:9]
	s_waitcnt vmcnt(4) lgkmcnt(3)
	v_mul_f64 v[8:9], v[114:115], v[50:51]
	;; [unrolled: 10-line block ×4, first 2 shown]
	v_mul_f64 v[154:155], v[120:121], v[58:59]
	v_fmac_f64_e32 v[152:153], v[118:119], v[52:53]
	v_add_f64 v[6:7], v[6:7], v[150:151]
	v_fma_f64 v[8:9], v[120:121], v[56:57], -v[8:9]
	s_waitcnt vmcnt(1) lgkmcnt(0)
	v_mul_f64 v[156:157], v[124:125], v[62:63]
	v_fmac_f64_e32 v[154:155], v[122:123], v[56:57]
	v_add_f64 v[6:7], v[6:7], v[152:153]
	v_add_f64 v[4:5], v[4:5], v[8:9]
	v_mul_f64 v[8:9], v[126:127], v[62:63]
	v_fmac_f64_e32 v[156:157], v[126:127], v[60:61]
	v_add_f64 v[6:7], v[6:7], v[154:155]
	v_fma_f64 v[8:9], v[124:125], v[60:61], -v[8:9]
	v_add_f64 v[6:7], v[6:7], v[156:157]
	v_add_f64 v[4:5], v[4:5], v[8:9]
	s_waitcnt vmcnt(0)
	v_add_f64 v[4:5], v[64:65], -v[4:5]
	v_add_f64 v[6:7], v[66:67], -v[6:7]
	scratch_store_dwordx4 off, v[4:7], off offset:192
	s_and_saveexec_b64 s[2:3], vcc
	s_cbranch_execz .LBB91_159
; %bb.158:
	scratch_load_dwordx4 v[6:9], off, s35
	v_mov_b32_e32 v3, v2
	v_mov_b32_e32 v4, v2
	;; [unrolled: 1-line block ×3, first 2 shown]
	scratch_store_dwordx4 off, v[2:5], off offset:176
	s_waitcnt vmcnt(1)
	ds_write_b128 v226, v[6:9]
.LBB91_159:
	s_or_b64 exec, exec, s[2:3]
	s_waitcnt lgkmcnt(0)
	; wave barrier
	scratch_load_dwordx4 v[4:7], off, off offset:192
	scratch_load_dwordx4 v[8:11], off, off offset:208
	;; [unrolled: 1-line block ×16, first 2 shown]
	ds_read_b128 v[68:71], v2 offset:640
	ds_read_b128 v[72:75], v2 offset:656
	;; [unrolled: 1-line block ×16, first 2 shown]
	scratch_load_dwordx4 v[132:135], off, off offset:176
	v_cmp_lt_u32_e32 vcc, 10, v1
	s_waitcnt vmcnt(16) lgkmcnt(14)
	v_mul_f64 v[2:3], v[68:69], v[6:7]
	s_waitcnt vmcnt(15)
	v_mul_f64 v[136:137], v[72:73], v[10:11]
	v_fmac_f64_e32 v[2:3], v[70:71], v[4:5]
	s_waitcnt vmcnt(14) lgkmcnt(13)
	v_mul_f64 v[138:139], v[76:77], v[14:15]
	v_fmac_f64_e32 v[136:137], v[74:75], v[8:9]
	v_add_f64 v[2:3], v[2:3], 0
	s_waitcnt vmcnt(13) lgkmcnt(12)
	v_mul_f64 v[140:141], v[80:81], v[18:19]
	v_fmac_f64_e32 v[138:139], v[78:79], v[12:13]
	v_add_f64 v[2:3], v[2:3], v[136:137]
	;; [unrolled: 4-line block ×10, first 2 shown]
	s_waitcnt vmcnt(4) lgkmcnt(3)
	v_mul_f64 v[158:159], v[116:117], v[54:55]
	v_mul_f64 v[6:7], v[70:71], v[6:7]
	v_fmac_f64_e32 v[156:157], v[114:115], v[48:49]
	v_add_f64 v[2:3], v[2:3], v[154:155]
	s_waitcnt vmcnt(3) lgkmcnt(2)
	v_mul_f64 v[160:161], v[120:121], v[58:59]
	v_mul_f64 v[10:11], v[74:75], v[10:11]
	v_fmac_f64_e32 v[158:159], v[118:119], v[52:53]
	v_fma_f64 v[4:5], v[68:69], v[4:5], -v[6:7]
	v_add_f64 v[2:3], v[2:3], v[156:157]
	s_waitcnt vmcnt(2) lgkmcnt(1)
	v_mul_f64 v[162:163], v[124:125], v[62:63]
	v_mul_f64 v[14:15], v[78:79], v[14:15]
	v_fmac_f64_e32 v[160:161], v[122:123], v[56:57]
	v_fma_f64 v[6:7], v[72:73], v[8:9], -v[10:11]
	v_add_f64 v[4:5], v[4:5], 0
	v_add_f64 v[2:3], v[2:3], v[158:159]
	s_waitcnt vmcnt(1) lgkmcnt(0)
	v_mul_f64 v[164:165], v[128:129], v[66:67]
	v_mul_f64 v[18:19], v[82:83], v[18:19]
	v_fmac_f64_e32 v[162:163], v[126:127], v[60:61]
	v_fma_f64 v[8:9], v[76:77], v[12:13], -v[14:15]
	v_add_f64 v[4:5], v[4:5], v[6:7]
	v_add_f64 v[2:3], v[2:3], v[160:161]
	v_mul_f64 v[26:27], v[86:87], v[26:27]
	v_fmac_f64_e32 v[164:165], v[130:131], v[64:65]
	v_fma_f64 v[10:11], v[80:81], v[16:17], -v[18:19]
	v_add_f64 v[4:5], v[4:5], v[8:9]
	v_add_f64 v[2:3], v[2:3], v[162:163]
	v_fma_f64 v[12:13], v[84:85], v[24:25], -v[26:27]
	v_add_f64 v[4:5], v[4:5], v[10:11]
	v_add_f64 v[6:7], v[2:3], v[164:165]
	v_mul_f64 v[2:3], v[90:91], v[22:23]
	v_add_f64 v[4:5], v[4:5], v[12:13]
	v_fma_f64 v[2:3], v[88:89], v[20:21], -v[2:3]
	v_add_f64 v[2:3], v[4:5], v[2:3]
	v_mul_f64 v[4:5], v[94:95], v[30:31]
	v_fma_f64 v[4:5], v[92:93], v[28:29], -v[4:5]
	v_add_f64 v[2:3], v[2:3], v[4:5]
	v_mul_f64 v[4:5], v[98:99], v[34:35]
	;; [unrolled: 3-line block ×10, first 2 shown]
	v_fma_f64 v[4:5], v[128:129], v[64:65], -v[4:5]
	v_add_f64 v[2:3], v[2:3], v[4:5]
	s_waitcnt vmcnt(0)
	v_add_f64 v[2:3], v[132:133], -v[2:3]
	v_add_f64 v[4:5], v[134:135], -v[6:7]
	scratch_store_dwordx4 off, v[2:5], off offset:176
	s_and_saveexec_b64 s[2:3], vcc
	s_cbranch_execz .LBB91_161
; %bb.160:
	scratch_load_dwordx4 v[2:5], off, s36
	v_mov_b32_e32 v6, 0
	v_mov_b32_e32 v7, v6
	v_mov_b32_e32 v8, v6
	v_mov_b32_e32 v9, v6
	scratch_store_dwordx4 off, v[6:9], off offset:160
	s_waitcnt vmcnt(1)
	ds_write_b128 v226, v[2:5]
.LBB91_161:
	s_or_b64 exec, exec, s[2:3]
	s_waitcnt lgkmcnt(0)
	; wave barrier
	scratch_load_dwordx4 v[4:7], off, off offset:176
	scratch_load_dwordx4 v[8:11], off, off offset:192
	;; [unrolled: 1-line block ×18, first 2 shown]
	v_mov_b32_e32 v2, 0
	ds_read_b128 v[76:79], v2 offset:624
	ds_read_b128 v[80:83], v2 offset:640
	;; [unrolled: 1-line block ×17, first 2 shown]
	v_cmp_lt_u32_e32 vcc, 9, v1
	s_waitcnt vmcnt(17) lgkmcnt(14)
	v_mul_f64 v[144:145], v[76:77], v[6:7]
	v_mul_f64 v[6:7], v[78:79], v[6:7]
	s_waitcnt vmcnt(16)
	v_mul_f64 v[146:147], v[80:81], v[10:11]
	v_mul_f64 v[10:11], v[82:83], v[10:11]
	v_fmac_f64_e32 v[144:145], v[78:79], v[4:5]
	v_fma_f64 v[4:5], v[76:77], v[4:5], -v[6:7]
	s_waitcnt vmcnt(15)
	v_mul_f64 v[148:149], v[84:85], v[18:19]
	v_mul_f64 v[18:19], v[86:87], v[18:19]
	v_fma_f64 v[6:7], v[80:81], v[8:9], -v[10:11]
	v_add_f64 v[4:5], v[4:5], 0
	s_waitcnt vmcnt(14) lgkmcnt(13)
	v_mul_f64 v[150:151], v[88:89], v[14:15]
	v_mul_f64 v[14:15], v[90:91], v[14:15]
	v_fmac_f64_e32 v[146:147], v[82:83], v[8:9]
	v_fma_f64 v[8:9], v[84:85], v[16:17], -v[18:19]
	v_add_f64 v[4:5], v[4:5], v[6:7]
	v_add_f64 v[4:5], v[4:5], v[8:9]
	v_fma_f64 v[8:9], v[88:89], v[12:13], -v[14:15]
	v_add_f64 v[4:5], v[4:5], v[8:9]
	s_waitcnt vmcnt(13) lgkmcnt(12)
	v_mul_f64 v[8:9], v[94:95], v[22:23]
	v_fma_f64 v[8:9], v[92:93], v[20:21], -v[8:9]
	v_add_f64 v[4:5], v[4:5], v[8:9]
	s_waitcnt vmcnt(12) lgkmcnt(11)
	v_mul_f64 v[8:9], v[98:99], v[26:27]
	;; [unrolled: 4-line block ×5, first 2 shown]
	v_fma_f64 v[8:9], v[108:109], v[36:37], -v[8:9]
	v_add_f64 v[10:11], v[144:145], 0
	v_add_f64 v[4:5], v[4:5], v[8:9]
	s_waitcnt vmcnt(8) lgkmcnt(7)
	v_mul_f64 v[8:9], v[114:115], v[42:43]
	v_fmac_f64_e32 v[148:149], v[86:87], v[16:17]
	v_add_f64 v[10:11], v[10:11], v[146:147]
	v_fma_f64 v[8:9], v[112:113], v[40:41], -v[8:9]
	v_mul_f64 v[152:153], v[92:93], v[22:23]
	v_fmac_f64_e32 v[150:151], v[90:91], v[12:13]
	v_add_f64 v[6:7], v[10:11], v[148:149]
	v_add_f64 v[4:5], v[4:5], v[8:9]
	s_waitcnt vmcnt(7) lgkmcnt(6)
	v_mul_f64 v[8:9], v[118:119], v[46:47]
	v_mul_f64 v[154:155], v[96:97], v[26:27]
	v_fmac_f64_e32 v[152:153], v[94:95], v[20:21]
	v_add_f64 v[6:7], v[6:7], v[150:151]
	v_fma_f64 v[8:9], v[116:117], v[44:45], -v[8:9]
	v_mul_f64 v[156:157], v[100:101], v[30:31]
	v_fmac_f64_e32 v[154:155], v[98:99], v[24:25]
	v_add_f64 v[6:7], v[6:7], v[152:153]
	v_add_f64 v[4:5], v[4:5], v[8:9]
	s_waitcnt vmcnt(6) lgkmcnt(5)
	v_mul_f64 v[8:9], v[122:123], v[50:51]
	v_mul_f64 v[158:159], v[104:105], v[34:35]
	v_fmac_f64_e32 v[156:157], v[102:103], v[28:29]
	v_add_f64 v[6:7], v[6:7], v[154:155]
	v_fma_f64 v[8:9], v[120:121], v[48:49], -v[8:9]
	v_mul_f64 v[160:161], v[108:109], v[38:39]
	v_fmac_f64_e32 v[158:159], v[106:107], v[32:33]
	v_add_f64 v[6:7], v[6:7], v[156:157]
	v_add_f64 v[4:5], v[4:5], v[8:9]
	s_waitcnt vmcnt(5) lgkmcnt(4)
	v_mul_f64 v[8:9], v[126:127], v[54:55]
	v_mul_f64 v[162:163], v[112:113], v[42:43]
	v_fmac_f64_e32 v[160:161], v[110:111], v[36:37]
	v_add_f64 v[6:7], v[6:7], v[158:159]
	v_fma_f64 v[8:9], v[124:125], v[52:53], -v[8:9]
	v_mul_f64 v[164:165], v[116:117], v[46:47]
	v_fmac_f64_e32 v[162:163], v[114:115], v[40:41]
	v_add_f64 v[6:7], v[6:7], v[160:161]
	v_add_f64 v[4:5], v[4:5], v[8:9]
	s_waitcnt vmcnt(4) lgkmcnt(3)
	v_mul_f64 v[8:9], v[130:131], v[58:59]
	v_mul_f64 v[166:167], v[120:121], v[50:51]
	v_fmac_f64_e32 v[164:165], v[118:119], v[44:45]
	v_add_f64 v[6:7], v[6:7], v[162:163]
	v_fma_f64 v[8:9], v[128:129], v[56:57], -v[8:9]
	v_mul_f64 v[170:171], v[124:125], v[54:55]
	v_fmac_f64_e32 v[166:167], v[122:123], v[48:49]
	v_add_f64 v[6:7], v[6:7], v[164:165]
	v_add_f64 v[4:5], v[4:5], v[8:9]
	s_waitcnt vmcnt(3) lgkmcnt(2)
	v_mul_f64 v[8:9], v[134:135], v[62:63]
	v_mul_f64 v[172:173], v[128:129], v[58:59]
	v_fmac_f64_e32 v[170:171], v[126:127], v[52:53]
	v_add_f64 v[6:7], v[6:7], v[166:167]
	v_fma_f64 v[8:9], v[132:133], v[60:61], -v[8:9]
	v_mul_f64 v[174:175], v[132:133], v[62:63]
	v_fmac_f64_e32 v[172:173], v[130:131], v[56:57]
	v_add_f64 v[6:7], v[6:7], v[170:171]
	v_add_f64 v[4:5], v[4:5], v[8:9]
	s_waitcnt vmcnt(2) lgkmcnt(1)
	v_mul_f64 v[8:9], v[138:139], v[66:67]
	v_mul_f64 v[176:177], v[136:137], v[66:67]
	v_fmac_f64_e32 v[174:175], v[134:135], v[60:61]
	v_add_f64 v[6:7], v[6:7], v[172:173]
	v_fma_f64 v[8:9], v[136:137], v[64:65], -v[8:9]
	s_waitcnt vmcnt(1) lgkmcnt(0)
	v_mul_f64 v[178:179], v[140:141], v[70:71]
	v_fmac_f64_e32 v[176:177], v[138:139], v[64:65]
	v_add_f64 v[6:7], v[6:7], v[174:175]
	v_add_f64 v[4:5], v[4:5], v[8:9]
	v_mul_f64 v[8:9], v[142:143], v[70:71]
	v_fmac_f64_e32 v[178:179], v[142:143], v[68:69]
	v_add_f64 v[6:7], v[6:7], v[176:177]
	v_fma_f64 v[8:9], v[140:141], v[68:69], -v[8:9]
	v_add_f64 v[6:7], v[6:7], v[178:179]
	v_add_f64 v[4:5], v[4:5], v[8:9]
	s_waitcnt vmcnt(0)
	v_add_f64 v[4:5], v[72:73], -v[4:5]
	v_add_f64 v[6:7], v[74:75], -v[6:7]
	scratch_store_dwordx4 off, v[4:7], off offset:160
	s_and_saveexec_b64 s[2:3], vcc
	s_cbranch_execz .LBB91_163
; %bb.162:
	scratch_load_dwordx4 v[6:9], off, s37
	v_mov_b32_e32 v3, v2
	v_mov_b32_e32 v4, v2
	;; [unrolled: 1-line block ×3, first 2 shown]
	scratch_store_dwordx4 off, v[2:5], off offset:144
	s_waitcnt vmcnt(1)
	ds_write_b128 v226, v[6:9]
.LBB91_163:
	s_or_b64 exec, exec, s[2:3]
	s_waitcnt lgkmcnt(0)
	; wave barrier
	scratch_load_dwordx4 v[4:7], off, off offset:160
	scratch_load_dwordx4 v[12:15], off, off offset:176
	;; [unrolled: 1-line block ×18, first 2 shown]
	ds_read_b128 v[76:79], v2 offset:608
	ds_read_b128 v[80:83], v2 offset:624
	;; [unrolled: 1-line block ×18, first 2 shown]
	scratch_load_dwordx4 v[148:151], off, off offset:144
	v_cmp_lt_u32_e32 vcc, 8, v1
	s_waitcnt vmcnt(18) lgkmcnt(14)
	v_mul_f64 v[2:3], v[76:77], v[6:7]
	s_waitcnt vmcnt(17)
	v_mul_f64 v[152:153], v[80:81], v[14:15]
	v_fmac_f64_e32 v[2:3], v[78:79], v[4:5]
	s_waitcnt vmcnt(16)
	v_mul_f64 v[154:155], v[84:85], v[10:11]
	v_fmac_f64_e32 v[152:153], v[82:83], v[12:13]
	v_add_f64 v[2:3], v[2:3], 0
	s_waitcnt vmcnt(15)
	v_mul_f64 v[156:157], v[88:89], v[18:19]
	v_fmac_f64_e32 v[154:155], v[86:87], v[8:9]
	v_add_f64 v[2:3], v[2:3], v[152:153]
	s_waitcnt vmcnt(14) lgkmcnt(13)
	v_mul_f64 v[158:159], v[92:93], v[22:23]
	v_fmac_f64_e32 v[156:157], v[90:91], v[16:17]
	v_add_f64 v[2:3], v[2:3], v[154:155]
	s_waitcnt vmcnt(13) lgkmcnt(12)
	;; [unrolled: 4-line block ×13, first 2 shown]
	v_mul_f64 v[184:185], v[140:141], v[70:71]
	v_mul_f64 v[6:7], v[78:79], v[6:7]
	v_fmac_f64_e32 v[182:183], v[138:139], v[64:65]
	v_add_f64 v[2:3], v[2:3], v[180:181]
	s_waitcnt vmcnt(1) lgkmcnt(0)
	v_mul_f64 v[186:187], v[144:145], v[74:75]
	v_mul_f64 v[14:15], v[82:83], v[14:15]
	v_fmac_f64_e32 v[184:185], v[142:143], v[68:69]
	v_fma_f64 v[4:5], v[76:77], v[4:5], -v[6:7]
	v_add_f64 v[2:3], v[2:3], v[182:183]
	v_mul_f64 v[10:11], v[86:87], v[10:11]
	v_fmac_f64_e32 v[186:187], v[146:147], v[72:73]
	v_fma_f64 v[6:7], v[80:81], v[12:13], -v[14:15]
	v_add_f64 v[4:5], v[4:5], 0
	v_add_f64 v[2:3], v[2:3], v[184:185]
	;; [unrolled: 1-line block ×4, first 2 shown]
	v_fma_f64 v[2:3], v[84:85], v[8:9], -v[10:11]
	v_add_f64 v[2:3], v[4:5], v[2:3]
	v_mul_f64 v[4:5], v[90:91], v[18:19]
	v_fma_f64 v[4:5], v[88:89], v[16:17], -v[4:5]
	v_add_f64 v[2:3], v[2:3], v[4:5]
	v_mul_f64 v[4:5], v[94:95], v[22:23]
	;; [unrolled: 3-line block ×15, first 2 shown]
	v_fma_f64 v[4:5], v[144:145], v[72:73], -v[4:5]
	v_add_f64 v[2:3], v[2:3], v[4:5]
	s_waitcnt vmcnt(0)
	v_add_f64 v[2:3], v[148:149], -v[2:3]
	v_add_f64 v[4:5], v[150:151], -v[6:7]
	scratch_store_dwordx4 off, v[2:5], off offset:144
	s_and_saveexec_b64 s[2:3], vcc
	s_cbranch_execz .LBB91_165
; %bb.164:
	scratch_load_dwordx4 v[2:5], off, s38
	v_mov_b32_e32 v6, 0
	v_mov_b32_e32 v7, v6
	;; [unrolled: 1-line block ×4, first 2 shown]
	scratch_store_dwordx4 off, v[6:9], off offset:128
	s_waitcnt vmcnt(1)
	ds_write_b128 v226, v[2:5]
.LBB91_165:
	s_or_b64 exec, exec, s[2:3]
	s_waitcnt lgkmcnt(0)
	; wave barrier
	scratch_load_dwordx4 v[8:11], off, off offset:144
	scratch_load_dwordx4 v[4:7], off, off offset:160
	;; [unrolled: 1-line block ×20, first 2 shown]
	v_mov_b32_e32 v2, 0
	ds_read_b128 v[84:87], v2 offset:592
	ds_read_b128 v[88:91], v2 offset:608
	;; [unrolled: 1-line block ×19, first 2 shown]
	v_cmp_lt_u32_e32 vcc, 7, v1
	s_waitcnt vmcnt(19) lgkmcnt(14)
	v_mul_f64 v[160:161], v[84:85], v[10:11]
	v_mul_f64 v[10:11], v[86:87], v[10:11]
	s_waitcnt vmcnt(18)
	v_mul_f64 v[162:163], v[88:89], v[6:7]
	v_fmac_f64_e32 v[160:161], v[86:87], v[8:9]
	v_fma_f64 v[8:9], v[84:85], v[8:9], -v[10:11]
	v_mul_f64 v[6:7], v[90:91], v[6:7]
	v_fmac_f64_e32 v[162:163], v[90:91], v[4:5]
	v_add_f64 v[8:9], v[8:9], 0
	v_fma_f64 v[4:5], v[88:89], v[4:5], -v[6:7]
	s_waitcnt vmcnt(17)
	v_mul_f64 v[6:7], v[94:95], v[14:15]
	v_add_f64 v[4:5], v[8:9], v[4:5]
	v_fma_f64 v[6:7], v[92:93], v[12:13], -v[6:7]
	v_add_f64 v[4:5], v[4:5], v[6:7]
	s_waitcnt vmcnt(16)
	v_mul_f64 v[6:7], v[98:99], v[18:19]
	v_fma_f64 v[6:7], v[96:97], v[16:17], -v[6:7]
	v_add_f64 v[4:5], v[4:5], v[6:7]
	s_waitcnt vmcnt(15)
	v_mul_f64 v[6:7], v[102:103], v[22:23]
	v_fma_f64 v[6:7], v[100:101], v[20:21], -v[6:7]
	v_add_f64 v[4:5], v[4:5], v[6:7]
	s_waitcnt vmcnt(14) lgkmcnt(13)
	v_mul_f64 v[6:7], v[106:107], v[26:27]
	v_fma_f64 v[6:7], v[104:105], v[24:25], -v[6:7]
	v_add_f64 v[4:5], v[4:5], v[6:7]
	s_waitcnt vmcnt(13) lgkmcnt(12)
	;; [unrolled: 4-line block ×5, first 2 shown]
	v_mul_f64 v[6:7], v[122:123], v[42:43]
	v_fma_f64 v[6:7], v[120:121], v[40:41], -v[6:7]
	v_mul_f64 v[164:165], v[92:93], v[14:15]
	v_add_f64 v[10:11], v[160:161], 0
	v_add_f64 v[4:5], v[4:5], v[6:7]
	s_waitcnt vmcnt(9) lgkmcnt(8)
	v_mul_f64 v[6:7], v[126:127], v[46:47]
	v_mul_f64 v[166:167], v[96:97], v[18:19]
	v_fmac_f64_e32 v[164:165], v[94:95], v[12:13]
	v_add_f64 v[10:11], v[10:11], v[162:163]
	v_fma_f64 v[6:7], v[124:125], v[44:45], -v[6:7]
	v_mul_f64 v[170:171], v[100:101], v[22:23]
	v_fmac_f64_e32 v[166:167], v[98:99], v[16:17]
	v_add_f64 v[10:11], v[10:11], v[164:165]
	v_add_f64 v[4:5], v[4:5], v[6:7]
	s_waitcnt vmcnt(8) lgkmcnt(7)
	v_mul_f64 v[6:7], v[130:131], v[50:51]
	v_mul_f64 v[172:173], v[104:105], v[26:27]
	v_fmac_f64_e32 v[170:171], v[102:103], v[20:21]
	v_add_f64 v[10:11], v[10:11], v[166:167]
	v_fma_f64 v[6:7], v[128:129], v[48:49], -v[6:7]
	v_mul_f64 v[174:175], v[108:109], v[30:31]
	v_fmac_f64_e32 v[172:173], v[106:107], v[24:25]
	;; [unrolled: 10-line block ×7, first 2 shown]
	v_add_f64 v[10:11], v[10:11], v[190:191]
	v_add_f64 v[4:5], v[4:5], v[6:7]
	s_waitcnt vmcnt(2) lgkmcnt(1)
	v_mul_f64 v[6:7], v[154:155], v[74:75]
	v_mul_f64 v[228:229], v[152:153], v[74:75]
	v_fmac_f64_e32 v[224:225], v[150:151], v[68:69]
	v_add_f64 v[10:11], v[10:11], v[192:193]
	v_fma_f64 v[6:7], v[152:153], v[72:73], -v[6:7]
	s_waitcnt vmcnt(1) lgkmcnt(0)
	v_mul_f64 v[230:231], v[156:157], v[78:79]
	v_fmac_f64_e32 v[228:229], v[154:155], v[72:73]
	v_add_f64 v[10:11], v[10:11], v[224:225]
	v_add_f64 v[4:5], v[4:5], v[6:7]
	v_mul_f64 v[6:7], v[158:159], v[78:79]
	v_fmac_f64_e32 v[230:231], v[158:159], v[76:77]
	v_add_f64 v[10:11], v[10:11], v[228:229]
	v_fma_f64 v[6:7], v[156:157], v[76:77], -v[6:7]
	v_add_f64 v[10:11], v[10:11], v[230:231]
	v_add_f64 v[4:5], v[4:5], v[6:7]
	s_waitcnt vmcnt(0)
	v_add_f64 v[4:5], v[80:81], -v[4:5]
	v_add_f64 v[6:7], v[82:83], -v[10:11]
	scratch_store_dwordx4 off, v[4:7], off offset:128
	s_and_saveexec_b64 s[2:3], vcc
	s_cbranch_execz .LBB91_167
; %bb.166:
	scratch_load_dwordx4 v[6:9], off, s39
	v_mov_b32_e32 v3, v2
	v_mov_b32_e32 v4, v2
	v_mov_b32_e32 v5, v2
	scratch_store_dwordx4 off, v[2:5], off offset:112
	s_waitcnt vmcnt(1)
	ds_write_b128 v226, v[6:9]
.LBB91_167:
	s_or_b64 exec, exec, s[2:3]
	s_waitcnt lgkmcnt(0)
	; wave barrier
	ds_read_b128 v[16:19], v2 offset:576
	ds_read_b128 v[12:15], v2 offset:592
	;; [unrolled: 1-line block ×4, first 2 shown]
	scratch_load_dwordx4 v[20:23], off, off offset:128
	scratch_load_dwordx4 v[40:43], off, off offset:192
	;; [unrolled: 1-line block ×14, first 2 shown]
	v_cmp_lt_u32_e32 vcc, 6, v1
	scratch_load_dwordx4 v[48:51], off, off offset:208
	scratch_load_dwordx4 v[56:59], off, off offset:224
	;; [unrolled: 1-line block ×3, first 2 shown]
	s_waitcnt vmcnt(16) lgkmcnt(3)
	v_mul_f64 v[24:25], v[16:17], v[22:23]
	v_fmac_f64_e32 v[24:25], v[18:19], v[20:21]
	v_add_f64 v[28:29], v[24:25], 0
	scratch_load_dwordx4 v[24:27], off, off offset:144
	s_waitcnt vmcnt(0) lgkmcnt(2)
	v_mul_f64 v[30:31], v[12:13], v[26:27]
	v_fmac_f64_e32 v[30:31], v[14:15], v[24:25]
	v_add_f64 v[32:33], v[28:29], v[30:31]
	scratch_load_dwordx4 v[28:31], off, off offset:160
	v_mul_f64 v[14:15], v[14:15], v[26:27]
	v_fma_f64 v[12:13], v[12:13], v[24:25], -v[14:15]
	s_waitcnt vmcnt(0) lgkmcnt(1)
	v_mul_f64 v[34:35], v[8:9], v[30:31]
	v_fmac_f64_e32 v[34:35], v[10:11], v[28:29]
	v_add_f64 v[36:37], v[32:33], v[34:35]
	scratch_load_dwordx4 v[32:35], off, off offset:176
	v_mul_f64 v[10:11], v[10:11], v[30:31]
	v_fma_f64 v[8:9], v[8:9], v[28:29], -v[10:11]
	s_waitcnt vmcnt(0) lgkmcnt(0)
	v_mul_f64 v[38:39], v[4:5], v[34:35]
	v_fmac_f64_e32 v[38:39], v[6:7], v[32:33]
	v_add_f64 v[44:45], v[36:37], v[38:39]
	ds_read_b128 v[36:39], v2 offset:640
	v_mul_f64 v[6:7], v[6:7], v[34:35]
	v_fma_f64 v[4:5], v[4:5], v[32:33], -v[6:7]
	s_waitcnt lgkmcnt(0)
	v_mul_f64 v[46:47], v[36:37], v[42:43]
	v_fmac_f64_e32 v[46:47], v[38:39], v[40:41]
	v_add_f64 v[52:53], v[44:45], v[46:47]
	ds_read_b128 v[44:47], v2 offset:656
	s_waitcnt lgkmcnt(0)
	v_mul_f64 v[54:55], v[44:45], v[50:51]
	v_fmac_f64_e32 v[54:55], v[46:47], v[48:49]
	v_add_f64 v[60:61], v[52:53], v[54:55]
	ds_read_b128 v[52:55], v2 offset:672
	;; [unrolled: 5-line block ×15, first 2 shown]
	s_waitcnt lgkmcnt(0)
	v_mul_f64 v[2:3], v[158:159], v[164:165]
	v_fmac_f64_e32 v[2:3], v[160:161], v[162:163]
	v_add_f64 v[96:97], v[96:97], v[2:3]
	v_mul_f64 v[2:3], v[18:19], v[22:23]
	v_fma_f64 v[2:3], v[16:17], v[20:21], -v[2:3]
	v_add_f64 v[2:3], v[2:3], 0
	v_add_f64 v[2:3], v[2:3], v[12:13]
	;; [unrolled: 1-line block ×4, first 2 shown]
	v_mul_f64 v[4:5], v[38:39], v[42:43]
	v_fma_f64 v[4:5], v[36:37], v[40:41], -v[4:5]
	v_add_f64 v[2:3], v[2:3], v[4:5]
	v_mul_f64 v[4:5], v[46:47], v[50:51]
	v_fma_f64 v[4:5], v[44:45], v[48:49], -v[4:5]
	v_add_f64 v[2:3], v[2:3], v[4:5]
	;; [unrolled: 3-line block ×16, first 2 shown]
	scratch_load_dwordx4 v[2:5], off, off offset:112
	s_waitcnt vmcnt(0)
	v_add_f64 v[2:3], v[2:3], -v[6:7]
	v_add_f64 v[4:5], v[4:5], -v[96:97]
	scratch_store_dwordx4 off, v[2:5], off offset:112
	s_and_saveexec_b64 s[2:3], vcc
	s_cbranch_execz .LBB91_169
; %bb.168:
	scratch_load_dwordx4 v[2:5], off, s40
	v_mov_b32_e32 v6, 0
	v_mov_b32_e32 v7, v6
	;; [unrolled: 1-line block ×4, first 2 shown]
	scratch_store_dwordx4 off, v[6:9], off offset:96
	s_waitcnt vmcnt(1)
	ds_write_b128 v226, v[2:5]
.LBB91_169:
	s_or_b64 exec, exec, s[2:3]
	v_mov_b32_e32 v2, 0
	s_waitcnt lgkmcnt(0)
	; wave barrier
	ds_read_b128 v[16:19], v2 offset:560
	ds_read_b128 v[12:15], v2 offset:576
	ds_read_b128 v[8:11], v2 offset:592
	ds_read_b128 v[4:7], v2 offset:608
	scratch_load_dwordx4 v[20:23], off, off offset:112
	scratch_load_dwordx4 v[40:43], off, off offset:176
	;; [unrolled: 1-line block ×15, first 2 shown]
	v_cmp_lt_u32_e32 vcc, 5, v1
	scratch_load_dwordx4 v[48:51], off, off offset:192
	scratch_load_dwordx4 v[56:59], off, off offset:208
	;; [unrolled: 1-line block ×3, first 2 shown]
	ds_read_b128 v[228:231], v2 offset:880
	s_waitcnt vmcnt(17) lgkmcnt(4)
	v_mul_f64 v[24:25], v[16:17], v[22:23]
	v_fmac_f64_e32 v[24:25], v[18:19], v[20:21]
	v_add_f64 v[28:29], v[24:25], 0
	scratch_load_dwordx4 v[24:27], off, off offset:128
	v_mul_f64 v[18:19], v[18:19], v[22:23]
	v_fma_f64 v[16:17], v[16:17], v[20:21], -v[18:19]
	v_add_f64 v[16:17], v[16:17], 0
	s_waitcnt vmcnt(0) lgkmcnt(3)
	v_mul_f64 v[30:31], v[12:13], v[26:27]
	v_fmac_f64_e32 v[30:31], v[14:15], v[24:25]
	v_add_f64 v[32:33], v[28:29], v[30:31]
	scratch_load_dwordx4 v[28:31], off, off offset:144
	v_mul_f64 v[14:15], v[14:15], v[26:27]
	v_fma_f64 v[12:13], v[12:13], v[24:25], -v[14:15]
	v_add_f64 v[12:13], v[16:17], v[12:13]
	;; [unrolled: 8-line block ×3, first 2 shown]
	s_waitcnt vmcnt(0) lgkmcnt(1)
	v_mul_f64 v[38:39], v[4:5], v[34:35]
	v_fmac_f64_e32 v[38:39], v[6:7], v[32:33]
	v_add_f64 v[44:45], v[36:37], v[38:39]
	ds_read_b128 v[36:39], v2 offset:624
	v_mul_f64 v[6:7], v[6:7], v[34:35]
	v_fma_f64 v[4:5], v[4:5], v[32:33], -v[6:7]
	v_add_f64 v[4:5], v[8:9], v[4:5]
	s_waitcnt lgkmcnt(0)
	v_mul_f64 v[46:47], v[36:37], v[42:43]
	v_fmac_f64_e32 v[46:47], v[38:39], v[40:41]
	v_add_f64 v[52:53], v[44:45], v[46:47]
	ds_read_b128 v[44:47], v2 offset:640
	v_mul_f64 v[6:7], v[38:39], v[42:43]
	v_fma_f64 v[6:7], v[36:37], v[40:41], -v[6:7]
	v_add_f64 v[4:5], v[4:5], v[6:7]
	s_waitcnt lgkmcnt(0)
	;; [unrolled: 8-line block ×16, first 2 shown]
	v_mul_f64 v[6:7], v[160:161], v[164:165]
	v_fma_f64 v[6:7], v[158:159], v[162:163], -v[6:7]
	v_add_f64 v[4:5], v[4:5], v[6:7]
	v_mul_f64 v[6:7], v[230:231], v[234:235]
	v_fma_f64 v[6:7], v[228:229], v[232:233], -v[6:7]
	v_add_f64 v[8:9], v[4:5], v[6:7]
	scratch_load_dwordx4 v[4:7], off, off offset:96
	v_mul_f64 v[166:167], v[158:159], v[164:165]
	v_fmac_f64_e32 v[166:167], v[160:161], v[162:163]
	v_add_f64 v[104:105], v[104:105], v[166:167]
	v_mul_f64 v[166:167], v[228:229], v[234:235]
	v_fmac_f64_e32 v[166:167], v[230:231], v[232:233]
	v_add_f64 v[104:105], v[104:105], v[166:167]
	s_waitcnt vmcnt(0)
	v_add_f64 v[4:5], v[4:5], -v[8:9]
	v_add_f64 v[6:7], v[6:7], -v[104:105]
	scratch_store_dwordx4 off, v[4:7], off offset:96
	s_and_saveexec_b64 s[2:3], vcc
	s_cbranch_execz .LBB91_171
; %bb.170:
	scratch_load_dwordx4 v[6:9], off, s41
	v_mov_b32_e32 v3, v2
	v_mov_b32_e32 v4, v2
	;; [unrolled: 1-line block ×3, first 2 shown]
	scratch_store_dwordx4 off, v[2:5], off offset:80
	s_waitcnt vmcnt(1)
	ds_write_b128 v226, v[6:9]
.LBB91_171:
	s_or_b64 exec, exec, s[2:3]
	s_waitcnt lgkmcnt(0)
	; wave barrier
	ds_read_b128 v[16:19], v2 offset:544
	ds_read_b128 v[12:15], v2 offset:560
	;; [unrolled: 1-line block ×4, first 2 shown]
	scratch_load_dwordx4 v[20:23], off, off offset:96
	scratch_load_dwordx4 v[40:43], off, off offset:160
	;; [unrolled: 1-line block ×16, first 2 shown]
	v_cmp_lt_u32_e32 vcc, 4, v1
	scratch_load_dwordx4 v[48:51], off, off offset:176
	scratch_load_dwordx4 v[56:59], off, off offset:192
	;; [unrolled: 1-line block ×3, first 2 shown]
	ds_read_b128 v[228:231], v2 offset:864
	ds_read_b128 v[236:239], v2 offset:880
	s_waitcnt vmcnt(18) lgkmcnt(5)
	v_mul_f64 v[24:25], v[16:17], v[22:23]
	v_fmac_f64_e32 v[24:25], v[18:19], v[20:21]
	v_add_f64 v[28:29], v[24:25], 0
	scratch_load_dwordx4 v[24:27], off, off offset:112
	s_waitcnt vmcnt(0) lgkmcnt(4)
	v_mul_f64 v[30:31], v[12:13], v[26:27]
	v_fmac_f64_e32 v[30:31], v[14:15], v[24:25]
	v_add_f64 v[32:33], v[28:29], v[30:31]
	scratch_load_dwordx4 v[28:31], off, off offset:128
	v_mul_f64 v[14:15], v[14:15], v[26:27]
	v_fma_f64 v[12:13], v[12:13], v[24:25], -v[14:15]
	s_waitcnt vmcnt(0) lgkmcnt(3)
	v_mul_f64 v[34:35], v[8:9], v[30:31]
	v_fmac_f64_e32 v[34:35], v[10:11], v[28:29]
	v_add_f64 v[36:37], v[32:33], v[34:35]
	scratch_load_dwordx4 v[32:35], off, off offset:144
	v_mul_f64 v[10:11], v[10:11], v[30:31]
	v_fma_f64 v[8:9], v[8:9], v[28:29], -v[10:11]
	s_waitcnt vmcnt(0) lgkmcnt(2)
	v_mul_f64 v[38:39], v[4:5], v[34:35]
	v_fmac_f64_e32 v[38:39], v[6:7], v[32:33]
	v_add_f64 v[44:45], v[36:37], v[38:39]
	ds_read_b128 v[36:39], v2 offset:608
	v_mul_f64 v[6:7], v[6:7], v[34:35]
	v_fma_f64 v[4:5], v[4:5], v[32:33], -v[6:7]
	s_waitcnt lgkmcnt(0)
	v_mul_f64 v[46:47], v[36:37], v[42:43]
	v_fmac_f64_e32 v[46:47], v[38:39], v[40:41]
	v_add_f64 v[52:53], v[44:45], v[46:47]
	ds_read_b128 v[44:47], v2 offset:624
	s_waitcnt lgkmcnt(0)
	v_mul_f64 v[54:55], v[44:45], v[50:51]
	v_fmac_f64_e32 v[54:55], v[46:47], v[48:49]
	v_add_f64 v[60:61], v[52:53], v[54:55]
	ds_read_b128 v[52:55], v2 offset:640
	;; [unrolled: 5-line block ×15, first 2 shown]
	v_mul_f64 v[2:3], v[236:237], v[242:243]
	v_fmac_f64_e32 v[2:3], v[238:239], v[240:241]
	s_waitcnt lgkmcnt(0)
	v_mul_f64 v[166:167], v[158:159], v[164:165]
	v_fmac_f64_e32 v[166:167], v[160:161], v[162:163]
	v_add_f64 v[120:121], v[120:121], v[166:167]
	v_mul_f64 v[166:167], v[228:229], v[234:235]
	v_fmac_f64_e32 v[166:167], v[230:231], v[232:233]
	v_add_f64 v[120:121], v[120:121], v[166:167]
	v_add_f64 v[120:121], v[120:121], v[2:3]
	v_mul_f64 v[2:3], v[18:19], v[22:23]
	v_fma_f64 v[2:3], v[16:17], v[20:21], -v[2:3]
	v_add_f64 v[2:3], v[2:3], 0
	v_add_f64 v[2:3], v[2:3], v[12:13]
	;; [unrolled: 1-line block ×4, first 2 shown]
	v_mul_f64 v[4:5], v[38:39], v[42:43]
	v_fma_f64 v[4:5], v[36:37], v[40:41], -v[4:5]
	v_add_f64 v[2:3], v[2:3], v[4:5]
	v_mul_f64 v[4:5], v[46:47], v[50:51]
	v_fma_f64 v[4:5], v[44:45], v[48:49], -v[4:5]
	v_add_f64 v[2:3], v[2:3], v[4:5]
	;; [unrolled: 3-line block ×18, first 2 shown]
	scratch_load_dwordx4 v[2:5], off, off offset:80
	s_waitcnt vmcnt(0)
	v_add_f64 v[2:3], v[2:3], -v[6:7]
	v_add_f64 v[4:5], v[4:5], -v[120:121]
	scratch_store_dwordx4 off, v[2:5], off offset:80
	s_and_saveexec_b64 s[2:3], vcc
	s_cbranch_execz .LBB91_173
; %bb.172:
	scratch_load_dwordx4 v[2:5], off, s42
	v_mov_b32_e32 v6, 0
	v_mov_b32_e32 v7, v6
	;; [unrolled: 1-line block ×4, first 2 shown]
	scratch_store_dwordx4 off, v[6:9], off offset:64
	s_waitcnt vmcnt(1)
	ds_write_b128 v226, v[2:5]
.LBB91_173:
	s_or_b64 exec, exec, s[2:3]
	v_mov_b32_e32 v2, 0
	s_waitcnt lgkmcnt(0)
	; wave barrier
	ds_read_b128 v[16:19], v2 offset:528
	ds_read_b128 v[12:15], v2 offset:544
	;; [unrolled: 1-line block ×4, first 2 shown]
	scratch_load_dwordx4 v[20:23], off, off offset:80
	scratch_load_dwordx4 v[40:43], off, off offset:144
	;; [unrolled: 1-line block ×17, first 2 shown]
	v_cmp_lt_u32_e32 vcc, 3, v1
	scratch_load_dwordx4 v[48:51], off, off offset:160
	scratch_load_dwordx4 v[56:59], off, off offset:176
	;; [unrolled: 1-line block ×3, first 2 shown]
	ds_read_b128 v[228:231], v2 offset:848
	ds_read_b128 v[236:239], v2 offset:864
	;; [unrolled: 1-line block ×3, first 2 shown]
	s_waitcnt vmcnt(19) lgkmcnt(6)
	v_mul_f64 v[24:25], v[16:17], v[22:23]
	v_fmac_f64_e32 v[24:25], v[18:19], v[20:21]
	v_add_f64 v[28:29], v[24:25], 0
	scratch_load_dwordx4 v[24:27], off, off offset:96
	v_mul_f64 v[18:19], v[18:19], v[22:23]
	v_fma_f64 v[16:17], v[16:17], v[20:21], -v[18:19]
	v_add_f64 v[16:17], v[16:17], 0
	s_waitcnt vmcnt(0) lgkmcnt(5)
	v_mul_f64 v[30:31], v[12:13], v[26:27]
	v_fmac_f64_e32 v[30:31], v[14:15], v[24:25]
	v_add_f64 v[32:33], v[28:29], v[30:31]
	scratch_load_dwordx4 v[28:31], off, off offset:112
	v_mul_f64 v[14:15], v[14:15], v[26:27]
	v_fma_f64 v[12:13], v[12:13], v[24:25], -v[14:15]
	v_add_f64 v[12:13], v[16:17], v[12:13]
	;; [unrolled: 8-line block ×3, first 2 shown]
	s_waitcnt vmcnt(0) lgkmcnt(3)
	v_mul_f64 v[38:39], v[4:5], v[34:35]
	v_fmac_f64_e32 v[38:39], v[6:7], v[32:33]
	v_add_f64 v[44:45], v[36:37], v[38:39]
	ds_read_b128 v[36:39], v2 offset:592
	v_mul_f64 v[6:7], v[6:7], v[34:35]
	v_fma_f64 v[4:5], v[4:5], v[32:33], -v[6:7]
	v_add_f64 v[4:5], v[8:9], v[4:5]
	s_waitcnt lgkmcnt(0)
	v_mul_f64 v[46:47], v[36:37], v[42:43]
	v_fmac_f64_e32 v[46:47], v[38:39], v[40:41]
	v_add_f64 v[52:53], v[44:45], v[46:47]
	ds_read_b128 v[44:47], v2 offset:608
	v_mul_f64 v[6:7], v[38:39], v[42:43]
	v_fma_f64 v[6:7], v[36:37], v[40:41], -v[6:7]
	v_add_f64 v[4:5], v[4:5], v[6:7]
	s_waitcnt lgkmcnt(0)
	v_mul_f64 v[54:55], v[44:45], v[50:51]
	v_fmac_f64_e32 v[54:55], v[46:47], v[48:49]
	v_add_f64 v[60:61], v[52:53], v[54:55]
	ds_read_b128 v[52:55], v2 offset:624
	v_mul_f64 v[6:7], v[46:47], v[50:51]
	v_fma_f64 v[6:7], v[44:45], v[48:49], -v[6:7]
	v_add_f64 v[4:5], v[4:5], v[6:7]
	s_waitcnt lgkmcnt(0)
	v_mul_f64 v[62:63], v[52:53], v[58:59]
	v_fmac_f64_e32 v[62:63], v[54:55], v[56:57]
	v_add_f64 v[68:69], v[60:61], v[62:63]
	ds_read_b128 v[60:63], v2 offset:640
	v_mul_f64 v[6:7], v[54:55], v[58:59]
	v_fma_f64 v[6:7], v[52:53], v[56:57], -v[6:7]
	v_add_f64 v[4:5], v[4:5], v[6:7]
	s_waitcnt lgkmcnt(0)
	v_mul_f64 v[70:71], v[60:61], v[66:67]
	v_fmac_f64_e32 v[70:71], v[62:63], v[64:65]
	v_add_f64 v[76:77], v[68:69], v[70:71]
	ds_read_b128 v[68:71], v2 offset:656
	v_mul_f64 v[6:7], v[62:63], v[66:67]
	v_fma_f64 v[6:7], v[60:61], v[64:65], -v[6:7]
	v_add_f64 v[4:5], v[4:5], v[6:7]
	s_waitcnt lgkmcnt(0)
	v_mul_f64 v[78:79], v[68:69], v[74:75]
	v_fmac_f64_e32 v[78:79], v[70:71], v[72:73]
	v_add_f64 v[84:85], v[76:77], v[78:79]
	ds_read_b128 v[76:79], v2 offset:672
	v_mul_f64 v[6:7], v[70:71], v[74:75]
	v_fma_f64 v[6:7], v[68:69], v[72:73], -v[6:7]
	v_add_f64 v[4:5], v[4:5], v[6:7]
	s_waitcnt lgkmcnt(0)
	v_mul_f64 v[86:87], v[76:77], v[82:83]
	v_fmac_f64_e32 v[86:87], v[78:79], v[80:81]
	v_add_f64 v[92:93], v[84:85], v[86:87]
	ds_read_b128 v[84:87], v2 offset:688
	v_mul_f64 v[6:7], v[78:79], v[82:83]
	v_fma_f64 v[6:7], v[76:77], v[80:81], -v[6:7]
	v_add_f64 v[4:5], v[4:5], v[6:7]
	s_waitcnt lgkmcnt(0)
	v_mul_f64 v[94:95], v[84:85], v[90:91]
	v_fmac_f64_e32 v[94:95], v[86:87], v[88:89]
	v_add_f64 v[100:101], v[92:93], v[94:95]
	ds_read_b128 v[92:95], v2 offset:704
	v_mul_f64 v[6:7], v[86:87], v[90:91]
	v_fma_f64 v[6:7], v[84:85], v[88:89], -v[6:7]
	v_add_f64 v[4:5], v[4:5], v[6:7]
	s_waitcnt lgkmcnt(0)
	v_mul_f64 v[102:103], v[92:93], v[98:99]
	v_fmac_f64_e32 v[102:103], v[94:95], v[96:97]
	v_add_f64 v[108:109], v[100:101], v[102:103]
	ds_read_b128 v[100:103], v2 offset:720
	v_mul_f64 v[6:7], v[94:95], v[98:99]
	v_fma_f64 v[6:7], v[92:93], v[96:97], -v[6:7]
	v_add_f64 v[4:5], v[4:5], v[6:7]
	s_waitcnt lgkmcnt(0)
	v_mul_f64 v[110:111], v[100:101], v[106:107]
	v_fmac_f64_e32 v[110:111], v[102:103], v[104:105]
	v_add_f64 v[116:117], v[108:109], v[110:111]
	ds_read_b128 v[108:111], v2 offset:736
	v_mul_f64 v[6:7], v[102:103], v[106:107]
	v_fma_f64 v[6:7], v[100:101], v[104:105], -v[6:7]
	v_add_f64 v[4:5], v[4:5], v[6:7]
	s_waitcnt lgkmcnt(0)
	v_mul_f64 v[118:119], v[108:109], v[114:115]
	v_fmac_f64_e32 v[118:119], v[110:111], v[112:113]
	v_add_f64 v[124:125], v[116:117], v[118:119]
	ds_read_b128 v[116:119], v2 offset:752
	v_mul_f64 v[6:7], v[110:111], v[114:115]
	v_fma_f64 v[6:7], v[108:109], v[112:113], -v[6:7]
	v_add_f64 v[4:5], v[4:5], v[6:7]
	s_waitcnt lgkmcnt(0)
	v_mul_f64 v[126:127], v[116:117], v[122:123]
	v_fmac_f64_e32 v[126:127], v[118:119], v[120:121]
	v_add_f64 v[128:129], v[124:125], v[126:127]
	ds_read_b128 v[124:127], v2 offset:768
	v_mul_f64 v[6:7], v[118:119], v[122:123]
	v_fma_f64 v[6:7], v[116:117], v[120:121], -v[6:7]
	v_add_f64 v[4:5], v[4:5], v[6:7]
	s_waitcnt lgkmcnt(0)
	v_mul_f64 v[134:135], v[124:125], v[132:133]
	v_fmac_f64_e32 v[134:135], v[126:127], v[130:131]
	v_add_f64 v[128:129], v[128:129], v[134:135]
	ds_read_b128 v[134:137], v2 offset:784
	v_mul_f64 v[6:7], v[126:127], v[132:133]
	v_fma_f64 v[6:7], v[124:125], v[130:131], -v[6:7]
	v_add_f64 v[4:5], v[4:5], v[6:7]
	s_waitcnt lgkmcnt(0)
	v_mul_f64 v[142:143], v[134:135], v[140:141]
	v_fmac_f64_e32 v[142:143], v[136:137], v[138:139]
	v_add_f64 v[128:129], v[128:129], v[142:143]
	ds_read_b128 v[142:145], v2 offset:800
	v_mul_f64 v[6:7], v[136:137], v[140:141]
	v_fma_f64 v[6:7], v[134:135], v[138:139], -v[6:7]
	v_add_f64 v[4:5], v[4:5], v[6:7]
	s_waitcnt lgkmcnt(0)
	v_mul_f64 v[150:151], v[142:143], v[148:149]
	v_fmac_f64_e32 v[150:151], v[144:145], v[146:147]
	v_add_f64 v[128:129], v[128:129], v[150:151]
	ds_read_b128 v[150:153], v2 offset:816
	v_mul_f64 v[6:7], v[144:145], v[148:149]
	v_fma_f64 v[6:7], v[142:143], v[146:147], -v[6:7]
	v_add_f64 v[4:5], v[4:5], v[6:7]
	s_waitcnt lgkmcnt(0)
	v_mul_f64 v[158:159], v[150:151], v[156:157]
	v_fmac_f64_e32 v[158:159], v[152:153], v[154:155]
	v_add_f64 v[128:129], v[128:129], v[158:159]
	ds_read_b128 v[158:161], v2 offset:832
	v_mul_f64 v[6:7], v[152:153], v[156:157]
	v_fma_f64 v[6:7], v[150:151], v[154:155], -v[6:7]
	v_add_f64 v[4:5], v[4:5], v[6:7]
	s_waitcnt lgkmcnt(0)
	v_mul_f64 v[6:7], v[160:161], v[164:165]
	v_fma_f64 v[6:7], v[158:159], v[162:163], -v[6:7]
	v_add_f64 v[4:5], v[4:5], v[6:7]
	v_mul_f64 v[6:7], v[230:231], v[234:235]
	v_fma_f64 v[6:7], v[228:229], v[232:233], -v[6:7]
	v_add_f64 v[4:5], v[4:5], v[6:7]
	;; [unrolled: 3-line block ×4, first 2 shown]
	scratch_load_dwordx4 v[4:7], off, off offset:64
	v_mul_f64 v[166:167], v[158:159], v[164:165]
	v_fmac_f64_e32 v[166:167], v[160:161], v[162:163]
	v_add_f64 v[128:129], v[128:129], v[166:167]
	v_mul_f64 v[166:167], v[228:229], v[234:235]
	v_fmac_f64_e32 v[166:167], v[230:231], v[232:233]
	v_add_f64 v[128:129], v[128:129], v[166:167]
	;; [unrolled: 3-line block ×4, first 2 shown]
	s_waitcnt vmcnt(0)
	v_add_f64 v[4:5], v[4:5], -v[8:9]
	v_add_f64 v[6:7], v[6:7], -v[128:129]
	scratch_store_dwordx4 off, v[4:7], off offset:64
	s_and_saveexec_b64 s[2:3], vcc
	s_cbranch_execz .LBB91_175
; %bb.174:
	scratch_load_dwordx4 v[6:9], off, s43
	v_mov_b32_e32 v3, v2
	v_mov_b32_e32 v4, v2
	v_mov_b32_e32 v5, v2
	scratch_store_dwordx4 off, v[2:5], off offset:48
	s_waitcnt vmcnt(1)
	ds_write_b128 v226, v[6:9]
.LBB91_175:
	s_or_b64 exec, exec, s[2:3]
	s_waitcnt lgkmcnt(0)
	; wave barrier
	ds_read_b128 v[16:19], v2 offset:512
	ds_read_b128 v[12:15], v2 offset:528
	;; [unrolled: 1-line block ×4, first 2 shown]
	scratch_load_dwordx4 v[20:23], off, off offset:64
	scratch_load_dwordx4 v[40:43], off, off offset:128
	;; [unrolled: 1-line block ×18, first 2 shown]
	v_cmp_lt_u32_e32 vcc, 2, v1
	scratch_load_dwordx4 v[48:51], off, off offset:144
	scratch_load_dwordx4 v[56:59], off, off offset:160
	;; [unrolled: 1-line block ×3, first 2 shown]
	ds_read_b128 v[228:231], v2 offset:832
	ds_read_b128 v[236:239], v2 offset:848
	;; [unrolled: 1-line block ×4, first 2 shown]
	s_waitcnt vmcnt(20) lgkmcnt(7)
	v_mul_f64 v[24:25], v[16:17], v[22:23]
	v_fmac_f64_e32 v[24:25], v[18:19], v[20:21]
	v_add_f64 v[28:29], v[24:25], 0
	scratch_load_dwordx4 v[24:27], off, off offset:80
	s_waitcnt vmcnt(0) lgkmcnt(6)
	v_mul_f64 v[30:31], v[12:13], v[26:27]
	v_fmac_f64_e32 v[30:31], v[14:15], v[24:25]
	v_add_f64 v[32:33], v[28:29], v[30:31]
	scratch_load_dwordx4 v[28:31], off, off offset:96
	v_mul_f64 v[14:15], v[14:15], v[26:27]
	v_fma_f64 v[12:13], v[12:13], v[24:25], -v[14:15]
	s_waitcnt vmcnt(0) lgkmcnt(5)
	v_mul_f64 v[34:35], v[8:9], v[30:31]
	v_fmac_f64_e32 v[34:35], v[10:11], v[28:29]
	v_add_f64 v[36:37], v[32:33], v[34:35]
	scratch_load_dwordx4 v[32:35], off, off offset:112
	v_mul_f64 v[10:11], v[10:11], v[30:31]
	v_fma_f64 v[8:9], v[8:9], v[28:29], -v[10:11]
	s_waitcnt vmcnt(0) lgkmcnt(4)
	v_mul_f64 v[38:39], v[4:5], v[34:35]
	v_fmac_f64_e32 v[38:39], v[6:7], v[32:33]
	v_add_f64 v[44:45], v[36:37], v[38:39]
	ds_read_b128 v[36:39], v2 offset:576
	v_mul_f64 v[6:7], v[6:7], v[34:35]
	v_fma_f64 v[4:5], v[4:5], v[32:33], -v[6:7]
	s_waitcnt lgkmcnt(0)
	v_mul_f64 v[46:47], v[36:37], v[42:43]
	v_fmac_f64_e32 v[46:47], v[38:39], v[40:41]
	v_add_f64 v[52:53], v[44:45], v[46:47]
	ds_read_b128 v[44:47], v2 offset:592
	s_waitcnt lgkmcnt(0)
	v_mul_f64 v[54:55], v[44:45], v[50:51]
	v_fmac_f64_e32 v[54:55], v[46:47], v[48:49]
	v_add_f64 v[60:61], v[52:53], v[54:55]
	ds_read_b128 v[52:55], v2 offset:608
	s_waitcnt lgkmcnt(0)
	v_mul_f64 v[62:63], v[52:53], v[58:59]
	v_fmac_f64_e32 v[62:63], v[54:55], v[56:57]
	v_add_f64 v[68:69], v[60:61], v[62:63]
	ds_read_b128 v[60:63], v2 offset:624
	s_waitcnt lgkmcnt(0)
	v_mul_f64 v[70:71], v[60:61], v[66:67]
	v_fmac_f64_e32 v[70:71], v[62:63], v[64:65]
	v_add_f64 v[76:77], v[68:69], v[70:71]
	ds_read_b128 v[68:71], v2 offset:640
	s_waitcnt lgkmcnt(0)
	v_mul_f64 v[78:79], v[68:69], v[74:75]
	v_fmac_f64_e32 v[78:79], v[70:71], v[72:73]
	v_add_f64 v[84:85], v[76:77], v[78:79]
	ds_read_b128 v[76:79], v2 offset:656
	s_waitcnt lgkmcnt(0)
	v_mul_f64 v[86:87], v[76:77], v[82:83]
	v_fmac_f64_e32 v[86:87], v[78:79], v[80:81]
	v_add_f64 v[92:93], v[84:85], v[86:87]
	ds_read_b128 v[84:87], v2 offset:672
	s_waitcnt lgkmcnt(0)
	v_mul_f64 v[94:95], v[84:85], v[90:91]
	v_fmac_f64_e32 v[94:95], v[86:87], v[88:89]
	v_add_f64 v[100:101], v[92:93], v[94:95]
	ds_read_b128 v[92:95], v2 offset:688
	s_waitcnt lgkmcnt(0)
	v_mul_f64 v[102:103], v[92:93], v[98:99]
	v_fmac_f64_e32 v[102:103], v[94:95], v[96:97]
	v_add_f64 v[108:109], v[100:101], v[102:103]
	ds_read_b128 v[100:103], v2 offset:704
	s_waitcnt lgkmcnt(0)
	v_mul_f64 v[110:111], v[100:101], v[106:107]
	v_fmac_f64_e32 v[110:111], v[102:103], v[104:105]
	v_add_f64 v[116:117], v[108:109], v[110:111]
	ds_read_b128 v[108:111], v2 offset:720
	s_waitcnt lgkmcnt(0)
	v_mul_f64 v[118:119], v[108:109], v[114:115]
	v_fmac_f64_e32 v[118:119], v[110:111], v[112:113]
	v_add_f64 v[124:125], v[116:117], v[118:119]
	ds_read_b128 v[116:119], v2 offset:736
	s_waitcnt lgkmcnt(0)
	v_mul_f64 v[126:127], v[116:117], v[122:123]
	v_fmac_f64_e32 v[126:127], v[118:119], v[120:121]
	v_add_f64 v[132:133], v[124:125], v[126:127]
	ds_read_b128 v[124:127], v2 offset:752
	s_waitcnt lgkmcnt(0)
	v_mul_f64 v[134:135], v[124:125], v[130:131]
	v_fmac_f64_e32 v[134:135], v[126:127], v[128:129]
	v_add_f64 v[140:141], v[132:133], v[134:135]
	ds_read_b128 v[132:135], v2 offset:768
	s_waitcnt lgkmcnt(0)
	v_mul_f64 v[142:143], v[132:133], v[138:139]
	v_fmac_f64_e32 v[142:143], v[134:135], v[136:137]
	v_add_f64 v[148:149], v[140:141], v[142:143]
	ds_read_b128 v[140:143], v2 offset:784
	s_waitcnt lgkmcnt(0)
	v_mul_f64 v[150:151], v[140:141], v[146:147]
	v_fmac_f64_e32 v[150:151], v[142:143], v[144:145]
	v_add_f64 v[148:149], v[148:149], v[150:151]
	ds_read_b128 v[150:153], v2 offset:800
	s_waitcnt lgkmcnt(0)
	v_mul_f64 v[158:159], v[150:151], v[156:157]
	v_fmac_f64_e32 v[158:159], v[152:153], v[154:155]
	v_add_f64 v[148:149], v[148:149], v[158:159]
	ds_read_b128 v[158:161], v2 offset:816
	v_mul_f64 v[2:3], v[252:253], v[172:173]
	v_fmac_f64_e32 v[2:3], v[254:255], v[170:171]
	s_waitcnt lgkmcnt(0)
	v_mul_f64 v[166:167], v[158:159], v[164:165]
	v_fmac_f64_e32 v[166:167], v[160:161], v[162:163]
	v_add_f64 v[148:149], v[148:149], v[166:167]
	v_mul_f64 v[166:167], v[228:229], v[234:235]
	v_fmac_f64_e32 v[166:167], v[230:231], v[232:233]
	v_add_f64 v[148:149], v[148:149], v[166:167]
	;; [unrolled: 3-line block ×4, first 2 shown]
	v_add_f64 v[148:149], v[148:149], v[2:3]
	v_mul_f64 v[2:3], v[18:19], v[22:23]
	v_fma_f64 v[2:3], v[16:17], v[20:21], -v[2:3]
	v_add_f64 v[2:3], v[2:3], 0
	v_add_f64 v[2:3], v[2:3], v[12:13]
	;; [unrolled: 1-line block ×4, first 2 shown]
	v_mul_f64 v[4:5], v[38:39], v[42:43]
	v_fma_f64 v[4:5], v[36:37], v[40:41], -v[4:5]
	v_add_f64 v[2:3], v[2:3], v[4:5]
	v_mul_f64 v[4:5], v[46:47], v[50:51]
	v_fma_f64 v[4:5], v[44:45], v[48:49], -v[4:5]
	v_add_f64 v[2:3], v[2:3], v[4:5]
	;; [unrolled: 3-line block ×20, first 2 shown]
	scratch_load_dwordx4 v[2:5], off, off offset:48
	s_waitcnt vmcnt(0)
	v_add_f64 v[2:3], v[2:3], -v[6:7]
	v_add_f64 v[4:5], v[4:5], -v[148:149]
	scratch_store_dwordx4 off, v[2:5], off offset:48
	s_and_saveexec_b64 s[2:3], vcc
	s_cbranch_execz .LBB91_177
; %bb.176:
	scratch_load_dwordx4 v[2:5], off, s44
	v_mov_b32_e32 v6, 0
	v_mov_b32_e32 v7, v6
	;; [unrolled: 1-line block ×4, first 2 shown]
	scratch_store_dwordx4 off, v[6:9], off offset:32
	s_waitcnt vmcnt(1)
	ds_write_b128 v226, v[2:5]
.LBB91_177:
	s_or_b64 exec, exec, s[2:3]
	v_mov_b32_e32 v2, 0
	s_waitcnt lgkmcnt(0)
	; wave barrier
	ds_read_b128 v[16:19], v2 offset:496
	ds_read_b128 v[12:15], v2 offset:512
	;; [unrolled: 1-line block ×4, first 2 shown]
	scratch_load_dwordx4 v[20:23], off, off offset:48
	scratch_load_dwordx4 v[40:43], off, off offset:112
	;; [unrolled: 1-line block ×19, first 2 shown]
	v_cmp_lt_u32_e32 vcc, 1, v1
	scratch_load_dwordx4 v[48:51], off, off offset:128
	scratch_load_dwordx4 v[56:59], off, off offset:144
	;; [unrolled: 1-line block ×3, first 2 shown]
	ds_read_b128 v[170:173], v2 offset:816
	ds_read_b128 v[232:235], v2 offset:832
	ds_read_b128 v[240:243], v2 offset:848
	ds_read_b128 v[248:251], v2 offset:864
	ds_read_b128 v[174:177], v2 offset:880
	s_waitcnt vmcnt(21) lgkmcnt(8)
	v_mul_f64 v[24:25], v[16:17], v[22:23]
	v_fmac_f64_e32 v[24:25], v[18:19], v[20:21]
	v_add_f64 v[28:29], v[24:25], 0
	scratch_load_dwordx4 v[24:27], off, off offset:64
	v_mul_f64 v[18:19], v[18:19], v[22:23]
	v_fma_f64 v[16:17], v[16:17], v[20:21], -v[18:19]
	v_add_f64 v[16:17], v[16:17], 0
	s_waitcnt vmcnt(0) lgkmcnt(7)
	v_mul_f64 v[30:31], v[12:13], v[26:27]
	v_fmac_f64_e32 v[30:31], v[14:15], v[24:25]
	v_add_f64 v[32:33], v[28:29], v[30:31]
	scratch_load_dwordx4 v[28:31], off, off offset:80
	v_mul_f64 v[14:15], v[14:15], v[26:27]
	v_fma_f64 v[12:13], v[12:13], v[24:25], -v[14:15]
	v_add_f64 v[12:13], v[16:17], v[12:13]
	;; [unrolled: 8-line block ×3, first 2 shown]
	s_waitcnt vmcnt(0) lgkmcnt(5)
	v_mul_f64 v[38:39], v[4:5], v[34:35]
	v_fmac_f64_e32 v[38:39], v[6:7], v[32:33]
	v_add_f64 v[44:45], v[36:37], v[38:39]
	ds_read_b128 v[36:39], v2 offset:560
	v_mul_f64 v[6:7], v[6:7], v[34:35]
	v_fma_f64 v[4:5], v[4:5], v[32:33], -v[6:7]
	v_add_f64 v[4:5], v[8:9], v[4:5]
	s_waitcnt lgkmcnt(0)
	v_mul_f64 v[46:47], v[36:37], v[42:43]
	v_fmac_f64_e32 v[46:47], v[38:39], v[40:41]
	v_add_f64 v[52:53], v[44:45], v[46:47]
	ds_read_b128 v[44:47], v2 offset:576
	v_mul_f64 v[6:7], v[38:39], v[42:43]
	v_fma_f64 v[6:7], v[36:37], v[40:41], -v[6:7]
	v_add_f64 v[4:5], v[4:5], v[6:7]
	s_waitcnt lgkmcnt(0)
	;; [unrolled: 8-line block ×16, first 2 shown]
	v_mul_f64 v[6:7], v[160:161], v[164:165]
	v_fma_f64 v[6:7], v[158:159], v[162:163], -v[6:7]
	v_add_f64 v[4:5], v[4:5], v[6:7]
	v_mul_f64 v[6:7], v[172:173], v[230:231]
	v_fma_f64 v[6:7], v[170:171], v[228:229], -v[6:7]
	v_add_f64 v[4:5], v[4:5], v[6:7]
	;; [unrolled: 3-line block ×6, first 2 shown]
	scratch_load_dwordx4 v[4:7], off, off offset:32
	v_mul_f64 v[166:167], v[158:159], v[164:165]
	v_fmac_f64_e32 v[166:167], v[160:161], v[162:163]
	v_add_f64 v[144:145], v[144:145], v[166:167]
	v_mul_f64 v[166:167], v[170:171], v[230:231]
	v_fmac_f64_e32 v[166:167], v[172:173], v[228:229]
	v_add_f64 v[144:145], v[144:145], v[166:167]
	;; [unrolled: 3-line block ×6, first 2 shown]
	s_waitcnt vmcnt(0)
	v_add_f64 v[4:5], v[4:5], -v[8:9]
	v_add_f64 v[6:7], v[6:7], -v[144:145]
	scratch_store_dwordx4 off, v[4:7], off offset:32
	s_and_saveexec_b64 s[2:3], vcc
	s_cbranch_execz .LBB91_179
; %bb.178:
	scratch_load_dwordx4 v[6:9], off, s45
	v_mov_b32_e32 v3, v2
	v_mov_b32_e32 v4, v2
	;; [unrolled: 1-line block ×3, first 2 shown]
	scratch_store_dwordx4 off, v[2:5], off offset:16
	s_waitcnt vmcnt(1)
	ds_write_b128 v226, v[6:9]
.LBB91_179:
	s_or_b64 exec, exec, s[2:3]
	s_waitcnt lgkmcnt(0)
	; wave barrier
	ds_read_b128 v[16:19], v2 offset:480
	ds_read_b128 v[12:15], v2 offset:496
	;; [unrolled: 1-line block ×4, first 2 shown]
	scratch_load_dwordx4 v[20:23], off, off offset:32
	scratch_load_dwordx4 v[40:43], off, off offset:96
	;; [unrolled: 1-line block ×19, first 2 shown]
	v_cmp_ne_u32_e32 vcc, 0, v1
	scratch_load_dwordx4 v[48:51], off, off offset:112
	scratch_load_dwordx4 v[56:59], off, off offset:128
	;; [unrolled: 1-line block ×3, first 2 shown]
	ds_read_b128 v[228:231], v2 offset:832
	ds_read_b128 v[236:239], v2 offset:848
	;; [unrolled: 1-line block ×4, first 2 shown]
	s_waitcnt vmcnt(21) lgkmcnt(7)
	v_mul_f64 v[24:25], v[16:17], v[22:23]
	v_fmac_f64_e32 v[24:25], v[18:19], v[20:21]
	v_add_f64 v[28:29], v[24:25], 0
	scratch_load_dwordx4 v[24:27], off, off offset:48
	s_waitcnt vmcnt(0) lgkmcnt(6)
	v_mul_f64 v[30:31], v[12:13], v[26:27]
	v_fmac_f64_e32 v[30:31], v[14:15], v[24:25]
	v_add_f64 v[32:33], v[28:29], v[30:31]
	scratch_load_dwordx4 v[28:31], off, off offset:64
	v_mul_f64 v[14:15], v[14:15], v[26:27]
	v_fma_f64 v[12:13], v[12:13], v[24:25], -v[14:15]
	s_waitcnt vmcnt(0) lgkmcnt(5)
	v_mul_f64 v[34:35], v[8:9], v[30:31]
	v_fmac_f64_e32 v[34:35], v[10:11], v[28:29]
	v_add_f64 v[36:37], v[32:33], v[34:35]
	scratch_load_dwordx4 v[32:35], off, off offset:80
	v_mul_f64 v[10:11], v[10:11], v[30:31]
	v_fma_f64 v[8:9], v[8:9], v[28:29], -v[10:11]
	s_waitcnt vmcnt(0) lgkmcnt(4)
	v_mul_f64 v[38:39], v[4:5], v[34:35]
	v_fmac_f64_e32 v[38:39], v[6:7], v[32:33]
	v_add_f64 v[44:45], v[36:37], v[38:39]
	ds_read_b128 v[36:39], v2 offset:544
	v_mul_f64 v[6:7], v[6:7], v[34:35]
	v_fma_f64 v[4:5], v[4:5], v[32:33], -v[6:7]
	s_waitcnt lgkmcnt(0)
	v_mul_f64 v[46:47], v[36:37], v[42:43]
	v_fmac_f64_e32 v[46:47], v[38:39], v[40:41]
	v_add_f64 v[52:53], v[44:45], v[46:47]
	ds_read_b128 v[44:47], v2 offset:560
	s_waitcnt lgkmcnt(0)
	v_mul_f64 v[54:55], v[44:45], v[50:51]
	v_fmac_f64_e32 v[54:55], v[46:47], v[48:49]
	v_add_f64 v[60:61], v[52:53], v[54:55]
	ds_read_b128 v[52:55], v2 offset:576
	;; [unrolled: 5-line block ×17, first 2 shown]
	s_waitcnt lgkmcnt(0)
	v_mul_f64 v[184:185], v[174:175], v[180:181]
	v_fmac_f64_e32 v[184:185], v[176:177], v[178:179]
	v_add_f64 v[182:183], v[182:183], v[184:185]
	v_mul_f64 v[184:185], v[228:229], v[234:235]
	v_fmac_f64_e32 v[184:185], v[230:231], v[232:233]
	v_add_f64 v[182:183], v[182:183], v[184:185]
	v_mul_f64 v[184:185], v[236:237], v[242:243]
	v_fmac_f64_e32 v[184:185], v[238:239], v[240:241]
	v_add_f64 v[182:183], v[182:183], v[184:185]
	v_mul_f64 v[184:185], v[244:245], v[250:251]
	v_fmac_f64_e32 v[184:185], v[246:247], v[248:249]
	v_add_f64 v[186:187], v[182:183], v[184:185]
	scratch_load_dwordx4 v[182:185], off, off offset:432
	s_waitcnt vmcnt(0)
	v_mul_f64 v[2:3], v[252:253], v[184:185]
	v_fmac_f64_e32 v[2:3], v[254:255], v[182:183]
	v_add_f64 v[224:225], v[186:187], v[2:3]
	v_mul_f64 v[2:3], v[18:19], v[22:23]
	v_fma_f64 v[2:3], v[16:17], v[20:21], -v[2:3]
	v_add_f64 v[2:3], v[2:3], 0
	v_add_f64 v[2:3], v[2:3], v[12:13]
	;; [unrolled: 1-line block ×4, first 2 shown]
	v_mul_f64 v[4:5], v[38:39], v[42:43]
	v_fma_f64 v[4:5], v[36:37], v[40:41], -v[4:5]
	v_add_f64 v[2:3], v[2:3], v[4:5]
	v_mul_f64 v[4:5], v[46:47], v[50:51]
	v_fma_f64 v[4:5], v[44:45], v[48:49], -v[4:5]
	v_add_f64 v[2:3], v[2:3], v[4:5]
	;; [unrolled: 3-line block ×22, first 2 shown]
	scratch_load_dwordx4 v[2:5], off, off offset:16
	s_waitcnt vmcnt(0)
	v_add_f64 v[2:3], v[2:3], -v[6:7]
	v_add_f64 v[4:5], v[4:5], -v[224:225]
	scratch_store_dwordx4 off, v[2:5], off offset:16
	s_and_saveexec_b64 s[2:3], vcc
	s_cbranch_execz .LBB91_181
; %bb.180:
	scratch_load_dwordx4 v[2:5], off, off
	v_mov_b32_e32 v6, 0
	v_mov_b32_e32 v7, v6
	;; [unrolled: 1-line block ×4, first 2 shown]
	scratch_store_dwordx4 off, v[6:9], off
	s_waitcnt vmcnt(1)
	ds_write_b128 v226, v[2:5]
.LBB91_181:
	s_or_b64 exec, exec, s[2:3]
	v_mov_b32_e32 v160, 0
	s_waitcnt lgkmcnt(0)
	; wave barrier
	ds_read_b128 v[14:17], v160 offset:464
	ds_read_b128 v[10:13], v160 offset:480
	ds_read_b128 v[6:9], v160 offset:496
	ds_read_b128 v[2:5], v160 offset:512
	scratch_load_dwordx4 v[18:21], off, off offset:16
	scratch_load_dwordx4 v[38:41], off, off offset:80
	;; [unrolled: 1-line block ×21, first 2 shown]
	s_and_b64 vcc, exec, s[14:15]
	scratch_load_dwordx4 v[46:49], off, off offset:96
	scratch_load_dwordx4 v[54:57], off, off offset:112
	;; [unrolled: 1-line block ×3, first 2 shown]
	ds_read_b128 v[170:173], v160 offset:784
	ds_read_b128 v[178:181], v160 offset:800
	;; [unrolled: 1-line block ×7, first 2 shown]
	s_waitcnt vmcnt(23) lgkmcnt(10)
	v_mul_f64 v[22:23], v[14:15], v[20:21]
	v_fmac_f64_e32 v[22:23], v[16:17], v[18:19]
	v_add_f64 v[26:27], v[22:23], 0
	scratch_load_dwordx4 v[22:25], off, off offset:32
	v_mul_f64 v[16:17], v[16:17], v[20:21]
	v_fma_f64 v[14:15], v[14:15], v[18:19], -v[16:17]
	v_add_f64 v[14:15], v[14:15], 0
	s_waitcnt vmcnt(0) lgkmcnt(9)
	v_mul_f64 v[28:29], v[10:11], v[24:25]
	v_fmac_f64_e32 v[28:29], v[12:13], v[22:23]
	v_add_f64 v[30:31], v[26:27], v[28:29]
	scratch_load_dwordx4 v[26:29], off, off offset:48
	v_mul_f64 v[12:13], v[12:13], v[24:25]
	v_fma_f64 v[10:11], v[10:11], v[22:23], -v[12:13]
	v_add_f64 v[10:11], v[14:15], v[10:11]
	s_waitcnt vmcnt(0) lgkmcnt(8)
	v_mul_f64 v[32:33], v[6:7], v[28:29]
	v_fmac_f64_e32 v[32:33], v[8:9], v[26:27]
	v_add_f64 v[34:35], v[30:31], v[32:33]
	scratch_load_dwordx4 v[30:33], off, off offset:64
	v_mul_f64 v[8:9], v[8:9], v[28:29]
	v_fma_f64 v[6:7], v[6:7], v[26:27], -v[8:9]
	v_add_f64 v[6:7], v[10:11], v[6:7]
	s_waitcnt vmcnt(0) lgkmcnt(7)
	v_mul_f64 v[36:37], v[2:3], v[32:33]
	v_fmac_f64_e32 v[36:37], v[4:5], v[30:31]
	v_add_f64 v[42:43], v[34:35], v[36:37]
	ds_read_b128 v[34:37], v160 offset:528
	v_mul_f64 v[4:5], v[4:5], v[32:33]
	v_fma_f64 v[2:3], v[2:3], v[30:31], -v[4:5]
	v_add_f64 v[2:3], v[6:7], v[2:3]
	s_waitcnt lgkmcnt(0)
	v_mul_f64 v[44:45], v[34:35], v[40:41]
	v_fmac_f64_e32 v[44:45], v[36:37], v[38:39]
	v_add_f64 v[50:51], v[42:43], v[44:45]
	ds_read_b128 v[42:45], v160 offset:544
	v_mul_f64 v[4:5], v[36:37], v[40:41]
	v_fma_f64 v[4:5], v[34:35], v[38:39], -v[4:5]
	v_add_f64 v[2:3], v[2:3], v[4:5]
	s_waitcnt lgkmcnt(0)
	;; [unrolled: 8-line block ×16, first 2 shown]
	v_mul_f64 v[4:5], v[156:157], v[164:165]
	v_fma_f64 v[4:5], v[154:155], v[162:163], -v[4:5]
	v_add_f64 v[2:3], v[2:3], v[4:5]
	v_mul_f64 v[4:5], v[172:173], v[176:177]
	v_fma_f64 v[4:5], v[170:171], v[174:175], -v[4:5]
	v_add_f64 v[2:3], v[2:3], v[4:5]
	v_mul_f64 v[4:5], v[180:181], v[184:185]
	v_fma_f64 v[4:5], v[178:179], v[182:183], -v[4:5]
	v_add_f64 v[2:3], v[2:3], v[4:5]
	v_mul_f64 v[4:5], v[226:227], v[230:231]
	v_fma_f64 v[4:5], v[224:225], v[228:229], -v[4:5]
	v_add_f64 v[2:3], v[2:3], v[4:5]
	v_mul_f64 v[4:5], v[234:235], v[238:239]
	v_fma_f64 v[4:5], v[232:233], v[236:237], -v[4:5]
	v_add_f64 v[2:3], v[2:3], v[4:5]
	v_mul_f64 v[4:5], v[242:243], v[246:247]
	v_fma_f64 v[4:5], v[240:241], v[244:245], -v[4:5]
	v_add_f64 v[2:3], v[2:3], v[4:5]
	v_mul_f64 v[4:5], v[250:251], v[254:255]
	v_fma_f64 v[4:5], v[248:249], v[252:253], -v[4:5]
	v_add_f64 v[2:3], v[2:3], v[4:5]
	v_mul_f64 v[4:5], v[188:189], v[192:193]
	v_fma_f64 v[4:5], v[186:187], v[190:191], -v[4:5]
	v_add_f64 v[6:7], v[2:3], v[4:5]
	scratch_load_dwordx4 v[2:5], off, off
	v_mul_f64 v[166:167], v[154:155], v[164:165]
	v_fmac_f64_e32 v[166:167], v[156:157], v[162:163]
	v_add_f64 v[158:159], v[158:159], v[166:167]
	v_mul_f64 v[166:167], v[170:171], v[176:177]
	v_fmac_f64_e32 v[166:167], v[172:173], v[174:175]
	v_add_f64 v[158:159], v[158:159], v[166:167]
	;; [unrolled: 3-line block ×8, first 2 shown]
	s_waitcnt vmcnt(0)
	v_add_f64 v[2:3], v[2:3], -v[6:7]
	v_add_f64 v[4:5], v[4:5], -v[158:159]
	scratch_store_dwordx4 off, v[2:5], off
	s_cbranch_vccz .LBB91_236
; %bb.182:
	global_load_dword v2, v160, s[12:13] offset:104
	s_load_dwordx2 s[2:3], s[0:1], 0x4
	v_bfe_u32 v3, v0, 10, 10
	v_bfe_u32 v0, v0, 20, 10
	s_waitcnt lgkmcnt(0)
	s_lshr_b32 s0, s2, 16
	s_mul_i32 s0, s0, s3
	v_mul_u32_u24_e32 v1, s0, v1
	v_mul_u32_u24_e32 v3, s3, v3
	v_add3_u32 v0, v1, v3, v0
	v_mov_b32_e32 v1, 0x388
	v_lshl_add_u32 v0, v0, 4, v1
	s_waitcnt vmcnt(0)
	v_readfirstlane_b32 s0, v2
	s_add_i32 s0, s0, -1
	s_cmp_lg_u32 s0, 26
	s_cbranch_scc0 .LBB91_184
; %bb.183:
	s_lshl_b32 s0, s0, 4
	scratch_load_dwordx4 v[2:5], off, s19
	scratch_load_dwordx4 v[6:9], off, s0
	s_waitcnt vmcnt(1)
	ds_write2_b64 v0, v[2:3], v[4:5] offset1:1
	s_waitcnt vmcnt(0)
	scratch_store_dwordx4 off, v[6:9], s19
	scratch_store_dwordx4 off, v[2:5], s0
.LBB91_184:
	v_mov_b32_e32 v1, 0
	global_load_dword v2, v1, s[12:13] offset:100
	s_waitcnt vmcnt(0)
	v_readfirstlane_b32 s0, v2
	s_add_i32 s0, s0, -1
	s_cmp_eq_u32 s0, 25
	s_cbranch_scc1 .LBB91_186
; %bb.185:
	s_lshl_b32 s0, s0, 4
	scratch_load_dwordx4 v[2:5], off, s20
	scratch_load_dwordx4 v[6:9], off, s0
	s_waitcnt vmcnt(1)
	ds_write2_b64 v0, v[2:3], v[4:5] offset1:1
	s_waitcnt vmcnt(0)
	scratch_store_dwordx4 off, v[6:9], s20
	scratch_store_dwordx4 off, v[2:5], s0
.LBB91_186:
	global_load_dword v1, v1, s[12:13] offset:96
	s_waitcnt vmcnt(0)
	v_readfirstlane_b32 s0, v1
	s_add_i32 s0, s0, -1
	s_cmp_eq_u32 s0, 24
	s_cbranch_scc1 .LBB91_188
; %bb.187:
	s_lshl_b32 s0, s0, 4
	scratch_load_dwordx4 v[2:5], off, s21
	scratch_load_dwordx4 v[6:9], off, s0
	s_waitcnt vmcnt(1)
	ds_write2_b64 v0, v[2:3], v[4:5] offset1:1
	s_waitcnt vmcnt(0)
	scratch_store_dwordx4 off, v[6:9], s21
	scratch_store_dwordx4 off, v[2:5], s0
.LBB91_188:
	v_mov_b32_e32 v1, 0
	global_load_dword v2, v1, s[12:13] offset:92
	s_waitcnt vmcnt(0)
	v_readfirstlane_b32 s0, v2
	s_add_i32 s0, s0, -1
	s_cmp_eq_u32 s0, 23
	s_cbranch_scc1 .LBB91_190
; %bb.189:
	s_lshl_b32 s0, s0, 4
	scratch_load_dwordx4 v[2:5], off, s22
	scratch_load_dwordx4 v[6:9], off, s0
	s_waitcnt vmcnt(1)
	ds_write2_b64 v0, v[2:3], v[4:5] offset1:1
	s_waitcnt vmcnt(0)
	scratch_store_dwordx4 off, v[6:9], s22
	scratch_store_dwordx4 off, v[2:5], s0
.LBB91_190:
	global_load_dword v1, v1, s[12:13] offset:88
	s_waitcnt vmcnt(0)
	v_readfirstlane_b32 s0, v1
	s_add_i32 s0, s0, -1
	s_cmp_eq_u32 s0, 22
	s_cbranch_scc1 .LBB91_192
; %bb.191:
	s_lshl_b32 s0, s0, 4
	scratch_load_dwordx4 v[2:5], off, s23
	scratch_load_dwordx4 v[6:9], off, s0
	s_waitcnt vmcnt(1)
	ds_write2_b64 v0, v[2:3], v[4:5] offset1:1
	s_waitcnt vmcnt(0)
	scratch_store_dwordx4 off, v[6:9], s23
	scratch_store_dwordx4 off, v[2:5], s0
.LBB91_192:
	;; [unrolled: 33-line block ×12, first 2 shown]
	v_mov_b32_e32 v1, 0
	global_load_dword v2, v1, s[12:13] offset:4
	s_waitcnt vmcnt(0)
	v_readfirstlane_b32 s0, v2
	s_add_i32 s0, s0, -1
	s_cmp_eq_u32 s0, 1
	s_cbranch_scc1 .LBB91_234
; %bb.233:
	s_lshl_b32 s0, s0, 4
	scratch_load_dwordx4 v[2:5], off, s45
	scratch_load_dwordx4 v[6:9], off, s0
	s_waitcnt vmcnt(1)
	ds_write2_b64 v0, v[2:3], v[4:5] offset1:1
	s_waitcnt vmcnt(0)
	scratch_store_dwordx4 off, v[6:9], s45
	scratch_store_dwordx4 off, v[2:5], s0
.LBB91_234:
	global_load_dword v1, v1, s[12:13]
	s_waitcnt vmcnt(0)
	v_readfirstlane_b32 s0, v1
	s_add_i32 s0, s0, -1
	s_cmp_eq_u32 s0, 0
	s_cbranch_scc1 .LBB91_236
; %bb.235:
	s_lshl_b32 s0, s0, 4
	scratch_load_dwordx4 v[2:5], off, off
	scratch_load_dwordx4 v[6:9], off, s0
	s_waitcnt vmcnt(1)
	ds_write2_b64 v0, v[2:3], v[4:5] offset1:1
	s_waitcnt vmcnt(0)
	scratch_store_dwordx4 off, v[6:9], off
	scratch_store_dwordx4 off, v[2:5], s0
.LBB91_236:
	scratch_load_dwordx4 v[0:3], off, off
	s_nop 0
	v_accvgpr_read_b32 v5, a1
	v_accvgpr_read_b32 v4, a0
	s_waitcnt vmcnt(0)
	flat_store_dwordx4 v[168:169], v[0:3]
	scratch_load_dwordx4 v[0:3], off, s45
	s_waitcnt vmcnt(0)
	flat_store_dwordx4 v[4:5], v[0:3]
	scratch_load_dwordx4 v[0:3], off, s44
	v_accvgpr_read_b32 v5, a3
	v_accvgpr_read_b32 v4, a2
	s_waitcnt vmcnt(0)
	flat_store_dwordx4 v[4:5], v[0:3]
	scratch_load_dwordx4 v[0:3], off, s43
	v_accvgpr_read_b32 v4, a4
	v_accvgpr_read_b32 v5, a5
	s_waitcnt vmcnt(0)
	flat_store_dwordx4 v[4:5], v[0:3]
	scratch_load_dwordx4 v[0:3], off, s42
	v_accvgpr_read_b32 v4, a6
	v_accvgpr_read_b32 v5, a7
	s_waitcnt vmcnt(0)
	flat_store_dwordx4 v[4:5], v[0:3]
	scratch_load_dwordx4 v[0:3], off, s41
	v_accvgpr_read_b32 v4, a8
	v_accvgpr_read_b32 v5, a9
	s_waitcnt vmcnt(0)
	flat_store_dwordx4 v[4:5], v[0:3]
	scratch_load_dwordx4 v[0:3], off, s40
	v_accvgpr_read_b32 v4, a10
	v_accvgpr_read_b32 v5, a11
	s_waitcnt vmcnt(0)
	flat_store_dwordx4 v[4:5], v[0:3]
	scratch_load_dwordx4 v[0:3], off, s39
	v_accvgpr_read_b32 v4, a12
	v_accvgpr_read_b32 v5, a13
	s_waitcnt vmcnt(0)
	flat_store_dwordx4 v[4:5], v[0:3]
	scratch_load_dwordx4 v[0:3], off, s38
	v_accvgpr_read_b32 v4, a14
	v_accvgpr_read_b32 v5, a15
	s_waitcnt vmcnt(0)
	flat_store_dwordx4 v[4:5], v[0:3]
	scratch_load_dwordx4 v[0:3], off, s37
	v_accvgpr_read_b32 v4, a16
	v_accvgpr_read_b32 v5, a17
	s_waitcnt vmcnt(0)
	flat_store_dwordx4 v[4:5], v[0:3]
	scratch_load_dwordx4 v[0:3], off, s36
	v_accvgpr_read_b32 v4, a18
	v_accvgpr_read_b32 v5, a19
	s_waitcnt vmcnt(0)
	flat_store_dwordx4 v[4:5], v[0:3]
	scratch_load_dwordx4 v[0:3], off, s35
	v_accvgpr_read_b32 v4, a20
	v_accvgpr_read_b32 v5, a21
	s_waitcnt vmcnt(0)
	flat_store_dwordx4 v[4:5], v[0:3]
	scratch_load_dwordx4 v[0:3], off, s34
	v_accvgpr_read_b32 v4, a22
	v_accvgpr_read_b32 v5, a23
	s_waitcnt vmcnt(0)
	flat_store_dwordx4 v[4:5], v[0:3]
	scratch_load_dwordx4 v[0:3], off, s33
	s_waitcnt vmcnt(0)
	flat_store_dwordx4 v[194:195], v[0:3]
	scratch_load_dwordx4 v[0:3], off, s31
	;; [unrolled: 3-line block ×15, first 2 shown]
	s_waitcnt vmcnt(0)
	flat_store_dwordx4 v[222:223], v[0:3]
	s_endpgm
	.section	.rodata,"a",@progbits
	.p2align	6, 0x0
	.amdhsa_kernel _ZN9rocsolver6v33100L18getri_kernel_smallILi28E19rocblas_complex_numIdEPKPS3_EEvT1_iilPiilS8_bb
		.amdhsa_group_segment_fixed_size 1928
		.amdhsa_private_segment_fixed_size 464
		.amdhsa_kernarg_size 60
		.amdhsa_user_sgpr_count 4
		.amdhsa_user_sgpr_dispatch_ptr 1
		.amdhsa_user_sgpr_queue_ptr 0
		.amdhsa_user_sgpr_kernarg_segment_ptr 1
		.amdhsa_user_sgpr_dispatch_id 0
		.amdhsa_user_sgpr_kernarg_preload_length 0
		.amdhsa_user_sgpr_kernarg_preload_offset 0
		.amdhsa_user_sgpr_private_segment_size 0
		.amdhsa_uses_dynamic_stack 0
		.amdhsa_enable_private_segment 1
		.amdhsa_system_sgpr_workgroup_id_x 1
		.amdhsa_system_sgpr_workgroup_id_y 0
		.amdhsa_system_sgpr_workgroup_id_z 0
		.amdhsa_system_sgpr_workgroup_info 0
		.amdhsa_system_vgpr_workitem_id 2
		.amdhsa_next_free_vgpr 280
		.amdhsa_next_free_sgpr 54
		.amdhsa_accum_offset 256
		.amdhsa_reserve_vcc 1
		.amdhsa_float_round_mode_32 0
		.amdhsa_float_round_mode_16_64 0
		.amdhsa_float_denorm_mode_32 3
		.amdhsa_float_denorm_mode_16_64 3
		.amdhsa_dx10_clamp 1
		.amdhsa_ieee_mode 1
		.amdhsa_fp16_overflow 0
		.amdhsa_tg_split 0
		.amdhsa_exception_fp_ieee_invalid_op 0
		.amdhsa_exception_fp_denorm_src 0
		.amdhsa_exception_fp_ieee_div_zero 0
		.amdhsa_exception_fp_ieee_overflow 0
		.amdhsa_exception_fp_ieee_underflow 0
		.amdhsa_exception_fp_ieee_inexact 0
		.amdhsa_exception_int_div_zero 0
	.end_amdhsa_kernel
	.section	.text._ZN9rocsolver6v33100L18getri_kernel_smallILi28E19rocblas_complex_numIdEPKPS3_EEvT1_iilPiilS8_bb,"axG",@progbits,_ZN9rocsolver6v33100L18getri_kernel_smallILi28E19rocblas_complex_numIdEPKPS3_EEvT1_iilPiilS8_bb,comdat
.Lfunc_end91:
	.size	_ZN9rocsolver6v33100L18getri_kernel_smallILi28E19rocblas_complex_numIdEPKPS3_EEvT1_iilPiilS8_bb, .Lfunc_end91-_ZN9rocsolver6v33100L18getri_kernel_smallILi28E19rocblas_complex_numIdEPKPS3_EEvT1_iilPiilS8_bb
                                        ; -- End function
	.set _ZN9rocsolver6v33100L18getri_kernel_smallILi28E19rocblas_complex_numIdEPKPS3_EEvT1_iilPiilS8_bb.num_vgpr, 256
	.set _ZN9rocsolver6v33100L18getri_kernel_smallILi28E19rocblas_complex_numIdEPKPS3_EEvT1_iilPiilS8_bb.num_agpr, 24
	.set _ZN9rocsolver6v33100L18getri_kernel_smallILi28E19rocblas_complex_numIdEPKPS3_EEvT1_iilPiilS8_bb.numbered_sgpr, 54
	.set _ZN9rocsolver6v33100L18getri_kernel_smallILi28E19rocblas_complex_numIdEPKPS3_EEvT1_iilPiilS8_bb.num_named_barrier, 0
	.set _ZN9rocsolver6v33100L18getri_kernel_smallILi28E19rocblas_complex_numIdEPKPS3_EEvT1_iilPiilS8_bb.private_seg_size, 464
	.set _ZN9rocsolver6v33100L18getri_kernel_smallILi28E19rocblas_complex_numIdEPKPS3_EEvT1_iilPiilS8_bb.uses_vcc, 1
	.set _ZN9rocsolver6v33100L18getri_kernel_smallILi28E19rocblas_complex_numIdEPKPS3_EEvT1_iilPiilS8_bb.uses_flat_scratch, 0
	.set _ZN9rocsolver6v33100L18getri_kernel_smallILi28E19rocblas_complex_numIdEPKPS3_EEvT1_iilPiilS8_bb.has_dyn_sized_stack, 0
	.set _ZN9rocsolver6v33100L18getri_kernel_smallILi28E19rocblas_complex_numIdEPKPS3_EEvT1_iilPiilS8_bb.has_recursion, 0
	.set _ZN9rocsolver6v33100L18getri_kernel_smallILi28E19rocblas_complex_numIdEPKPS3_EEvT1_iilPiilS8_bb.has_indirect_call, 0
	.section	.AMDGPU.csdata,"",@progbits
; Kernel info:
; codeLenInByte = 37956
; TotalNumSgprs: 60
; NumVgprs: 256
; NumAgprs: 24
; TotalNumVgprs: 280
; ScratchSize: 464
; MemoryBound: 0
; FloatMode: 240
; IeeeMode: 1
; LDSByteSize: 1928 bytes/workgroup (compile time only)
; SGPRBlocks: 7
; VGPRBlocks: 34
; NumSGPRsForWavesPerEU: 60
; NumVGPRsForWavesPerEU: 280
; AccumOffset: 256
; Occupancy: 1
; WaveLimiterHint : 1
; COMPUTE_PGM_RSRC2:SCRATCH_EN: 1
; COMPUTE_PGM_RSRC2:USER_SGPR: 4
; COMPUTE_PGM_RSRC2:TRAP_HANDLER: 0
; COMPUTE_PGM_RSRC2:TGID_X_EN: 1
; COMPUTE_PGM_RSRC2:TGID_Y_EN: 0
; COMPUTE_PGM_RSRC2:TGID_Z_EN: 0
; COMPUTE_PGM_RSRC2:TIDIG_COMP_CNT: 2
; COMPUTE_PGM_RSRC3_GFX90A:ACCUM_OFFSET: 63
; COMPUTE_PGM_RSRC3_GFX90A:TG_SPLIT: 0
	.section	.text._ZN9rocsolver6v33100L18getri_kernel_smallILi29E19rocblas_complex_numIdEPKPS3_EEvT1_iilPiilS8_bb,"axG",@progbits,_ZN9rocsolver6v33100L18getri_kernel_smallILi29E19rocblas_complex_numIdEPKPS3_EEvT1_iilPiilS8_bb,comdat
	.globl	_ZN9rocsolver6v33100L18getri_kernel_smallILi29E19rocblas_complex_numIdEPKPS3_EEvT1_iilPiilS8_bb ; -- Begin function _ZN9rocsolver6v33100L18getri_kernel_smallILi29E19rocblas_complex_numIdEPKPS3_EEvT1_iilPiilS8_bb
	.p2align	8
	.type	_ZN9rocsolver6v33100L18getri_kernel_smallILi29E19rocblas_complex_numIdEPKPS3_EEvT1_iilPiilS8_bb,@function
_ZN9rocsolver6v33100L18getri_kernel_smallILi29E19rocblas_complex_numIdEPKPS3_EEvT1_iilPiilS8_bb: ; @_ZN9rocsolver6v33100L18getri_kernel_smallILi29E19rocblas_complex_numIdEPKPS3_EEvT1_iilPiilS8_bb
; %bb.0:
	v_and_b32_e32 v1, 0x3ff, v0
	v_cmp_gt_u32_e32 vcc, 29, v1
	s_and_saveexec_b64 s[6:7], vcc
	s_cbranch_execz .LBB92_130
; %bb.1:
	s_load_dword s18, s[2:3], 0x38
	s_load_dwordx2 s[6:7], s[2:3], 0x0
	s_load_dwordx4 s[8:11], s[2:3], 0x28
	s_waitcnt lgkmcnt(0)
	s_bitcmp1_b32 s18, 8
	s_cselect_b64 s[14:15], -1, 0
	s_ashr_i32 s5, s4, 31
	s_lshl_b64 s[12:13], s[4:5], 3
	s_add_u32 s6, s6, s12
	s_addc_u32 s7, s7, s13
	s_load_dwordx2 s[16:17], s[6:7], 0x0
	s_bfe_u32 s6, s18, 0x10008
	s_cmp_eq_u32 s6, 0
                                        ; implicit-def: $sgpr12_sgpr13
	s_cbranch_scc1 .LBB92_3
; %bb.2:
	s_load_dword s6, s[2:3], 0x20
	s_load_dwordx2 s[12:13], s[2:3], 0x18
	s_mul_i32 s7, s8, s5
	s_mul_hi_u32 s18, s8, s4
	s_add_i32 s18, s18, s7
	s_mul_i32 s9, s9, s4
	s_add_i32 s9, s18, s9
	s_mul_i32 s8, s8, s4
	s_waitcnt lgkmcnt(0)
	s_ashr_i32 s7, s6, 31
	s_lshl_b64 s[8:9], s[8:9], 2
	s_add_u32 s8, s12, s8
	s_addc_u32 s9, s13, s9
	s_lshl_b64 s[6:7], s[6:7], 2
	s_add_u32 s12, s8, s6
	s_addc_u32 s13, s9, s7
.LBB92_3:
	s_load_dwordx2 s[6:7], s[2:3], 0x8
	s_load_dword s8, s[2:3], 0x38
	v_lshlrev_b32_e32 v14, 4, v1
	v_mov_b32_e32 v15, 0
	s_movk_i32 s47, 0x150
	s_waitcnt lgkmcnt(0)
	s_ashr_i32 s3, s6, 31
	s_mov_b32 s2, s6
	s_lshl_b64 s[2:3], s[2:3], 4
	s_add_u32 s2, s16, s2
	s_addc_u32 s3, s17, s3
	v_lshl_add_u64 v[176:177], s[2:3], 0, v[14:15]
	flat_load_dwordx4 v[2:5], v[176:177]
	s_mov_b32 s16, s7
	s_ashr_i32 s17, s7, 31
	v_lshl_add_u64 v[6:7], s[16:17], 4, v[176:177]
	v_accvgpr_write_b32 a0, v6
	s_add_i32 s6, s7, s7
	v_accvgpr_write_b32 a1, v7
	s_movk_i32 s48, 0x160
	s_movk_i32 s49, 0x170
	s_movk_i32 s50, 0x180
	s_movk_i32 s51, 0x190
	s_movk_i32 s52, 0x1a0
	s_movk_i32 s53, 0x1b0
	s_movk_i32 s54, 0x1c0
	s_movk_i32 s42, 0x50
	s_movk_i32 s41, 0x60
	s_movk_i32 s40, 0x70
	s_movk_i32 s39, 0x80
	s_movk_i32 s38, 0x90
	s_movk_i32 s37, 0xa0
	s_movk_i32 s36, 0xb0
	s_movk_i32 s35, 0xc0
	s_movk_i32 s34, 0xd0
	s_movk_i32 s33, 0xe0
	s_movk_i32 s31, 0xf0
	s_movk_i32 s30, 0x100
	s_movk_i32 s29, 0x110
	s_movk_i32 s28, 0x120
	s_movk_i32 s27, 0x130
	s_movk_i32 s26, 0x140
	s_mov_b32 s46, 16
	s_mov_b32 s45, 32
	;; [unrolled: 1-line block ×12, first 2 shown]
	s_bitcmp0_b32 s8, 0
	s_waitcnt vmcnt(0) lgkmcnt(0)
	scratch_store_dwordx4 off, v[2:5], off
	flat_load_dwordx4 v[2:5], v[6:7]
	v_add_u32_e32 v6, s6, v1
	v_ashrrev_i32_e32 v7, 31, v6
	v_lshl_add_u64 v[8:9], v[6:7], 4, s[2:3]
	v_add_u32_e32 v6, s7, v6
	v_accvgpr_write_b32 a2, v8
	v_ashrrev_i32_e32 v7, 31, v6
	v_accvgpr_write_b32 a3, v9
	s_waitcnt vmcnt(0) lgkmcnt(0)
	scratch_store_dwordx4 off, v[2:5], off offset:16
	flat_load_dwordx4 v[2:5], v[8:9]
	v_lshl_add_u64 v[8:9], v[6:7], 4, s[2:3]
	v_add_u32_e32 v6, s7, v6
	v_accvgpr_write_b32 a4, v8
	v_ashrrev_i32_e32 v7, 31, v6
	v_accvgpr_write_b32 a5, v9
	s_waitcnt vmcnt(0) lgkmcnt(0)
	scratch_store_dwordx4 off, v[2:5], off offset:32
	flat_load_dwordx4 v[2:5], v[8:9]
	;; [unrolled: 8-line block ×14, first 2 shown]
	v_lshl_add_u64 v[8:9], v[6:7], 4, s[2:3]
	v_add_u32_e32 v6, s7, v6
	v_ashrrev_i32_e32 v7, 31, v6
	v_lshl_add_u64 v[210:211], v[6:7], 4, s[2:3]
	v_add_u32_e32 v6, s7, v6
	v_ashrrev_i32_e32 v7, 31, v6
	;; [unrolled: 3-line block ×12, first 2 shown]
	v_lshl_add_u64 v[232:233], v[6:7], 4, s[2:3]
	v_accvgpr_write_b32 a31, v9
	v_accvgpr_write_b32 a30, v8
	s_mov_b64 s[6:7], -1
	s_waitcnt vmcnt(0) lgkmcnt(0)
	scratch_store_dwordx4 off, v[2:5], off offset:240
	flat_load_dwordx4 v[2:5], v[8:9]
	s_waitcnt vmcnt(0) lgkmcnt(0)
	scratch_store_dwordx4 off, v[2:5], off offset:256
	flat_load_dwordx4 v[2:5], v[210:211]
	s_waitcnt vmcnt(0) lgkmcnt(0)
	scratch_store_dwordx4 off, v[2:5], off offset:272
	flat_load_dwordx4 v[2:5], v[212:213]
	s_waitcnt vmcnt(0) lgkmcnt(0)
	scratch_store_dwordx4 off, v[2:5], off offset:288
	flat_load_dwordx4 v[2:5], v[214:215]
	s_waitcnt vmcnt(0) lgkmcnt(0)
	scratch_store_dwordx4 off, v[2:5], off offset:304
	flat_load_dwordx4 v[2:5], v[216:217]
	s_waitcnt vmcnt(0) lgkmcnt(0)
	scratch_store_dwordx4 off, v[2:5], off offset:320
	flat_load_dwordx4 v[2:5], v[218:219]
	s_waitcnt vmcnt(0) lgkmcnt(0)
	scratch_store_dwordx4 off, v[2:5], off offset:336
	flat_load_dwordx4 v[2:5], v[220:221]
	s_waitcnt vmcnt(0) lgkmcnt(0)
	scratch_store_dwordx4 off, v[2:5], off offset:352
	flat_load_dwordx4 v[2:5], v[222:223]
	s_waitcnt vmcnt(0) lgkmcnt(0)
	scratch_store_dwordx4 off, v[2:5], off offset:368
	flat_load_dwordx4 v[2:5], v[224:225]
	s_waitcnt vmcnt(0) lgkmcnt(0)
	scratch_store_dwordx4 off, v[2:5], off offset:384
	flat_load_dwordx4 v[2:5], v[226:227]
	s_waitcnt vmcnt(0) lgkmcnt(0)
	scratch_store_dwordx4 off, v[2:5], off offset:400
	flat_load_dwordx4 v[2:5], v[228:229]
	s_waitcnt vmcnt(0) lgkmcnt(0)
	scratch_store_dwordx4 off, v[2:5], off offset:416
	flat_load_dwordx4 v[2:5], v[230:231]
	s_waitcnt vmcnt(0) lgkmcnt(0)
	scratch_store_dwordx4 off, v[2:5], off offset:432
	flat_load_dwordx4 v[2:5], v[232:233]
	s_waitcnt vmcnt(0) lgkmcnt(0)
	scratch_store_dwordx4 off, v[2:5], off offset:448
	s_cbranch_scc1 .LBB92_128
; %bb.4:
	v_cmp_eq_u32_e64 s[2:3], 0, v1
	s_and_saveexec_b64 s[6:7], s[2:3]
; %bb.5:
	v_mov_b32_e32 v2, 0
	ds_write_b32 v2, v2 offset:928
; %bb.6:
	s_or_b64 exec, exec, s[6:7]
	s_waitcnt lgkmcnt(0)
	; wave barrier
	scratch_load_dwordx4 v[2:5], v14, off
	s_waitcnt vmcnt(0)
	v_cmp_eq_f64_e32 vcc, 0, v[2:3]
	v_cmp_eq_f64_e64 s[6:7], 0, v[4:5]
	s_and_b64 s[6:7], vcc, s[6:7]
	s_and_saveexec_b64 s[8:9], s[6:7]
	s_cbranch_execz .LBB92_10
; %bb.7:
	v_mov_b32_e32 v2, 0
	ds_read_b32 v4, v2 offset:928
	v_add_u32_e32 v3, 1, v1
	s_waitcnt lgkmcnt(0)
	v_readfirstlane_b32 s6, v4
	s_cmp_eq_u32 s6, 0
	s_cselect_b64 s[16:17], -1, 0
	v_cmp_gt_i32_e32 vcc, s6, v3
	s_or_b64 s[16:17], s[16:17], vcc
	s_and_b64 exec, exec, s[16:17]
	s_cbranch_execz .LBB92_10
; %bb.8:
	s_mov_b64 s[16:17], 0
	v_mov_b32_e32 v4, s6
.LBB92_9:                               ; =>This Inner Loop Header: Depth=1
	ds_cmpst_rtn_b32 v4, v2, v4, v3 offset:928
	s_waitcnt lgkmcnt(0)
	v_cmp_ne_u32_e32 vcc, 0, v4
	v_cmp_le_i32_e64 s[6:7], v4, v3
	s_and_b64 s[6:7], vcc, s[6:7]
	s_and_b64 s[6:7], exec, s[6:7]
	s_or_b64 s[16:17], s[6:7], s[16:17]
	s_andn2_b64 exec, exec, s[16:17]
	s_cbranch_execnz .LBB92_9
.LBB92_10:
	s_or_b64 exec, exec, s[8:9]
	v_mov_b32_e32 v3, 0
	; wave barrier
	ds_read_b32 v2, v3 offset:928
	s_and_saveexec_b64 s[6:7], s[2:3]
	s_cbranch_execz .LBB92_12
; %bb.11:
	s_lshl_b64 s[8:9], s[4:5], 2
	s_add_u32 s8, s10, s8
	s_addc_u32 s9, s11, s9
	s_waitcnt lgkmcnt(0)
	global_store_dword v3, v2, s[8:9]
.LBB92_12:
	s_or_b64 exec, exec, s[6:7]
	s_waitcnt lgkmcnt(0)
	v_cmp_ne_u32_e32 vcc, 0, v2
	s_mov_b64 s[6:7], 0
	s_cbranch_vccnz .LBB92_128
; %bb.13:
	v_mov_b32_e32 v15, v14
	scratch_load_dwordx4 v[2:5], v15, off
                                        ; implicit-def: $vgpr6_vgpr7
                                        ; implicit-def: $vgpr10_vgpr11
	s_waitcnt vmcnt(0)
	v_cmp_ngt_f64_e64 s[6:7], |v[2:3]|, |v[4:5]|
	s_and_saveexec_b64 s[8:9], s[6:7]
	s_xor_b64 s[6:7], exec, s[8:9]
	s_cbranch_execz .LBB92_15
; %bb.14:
	v_div_scale_f64 v[6:7], s[8:9], v[4:5], v[4:5], v[2:3]
	v_rcp_f64_e32 v[8:9], v[6:7]
	v_div_scale_f64 v[10:11], vcc, v[2:3], v[4:5], v[2:3]
	v_fma_f64 v[12:13], -v[6:7], v[8:9], 1.0
	v_fmac_f64_e32 v[8:9], v[8:9], v[12:13]
	v_fma_f64 v[12:13], -v[6:7], v[8:9], 1.0
	v_fmac_f64_e32 v[8:9], v[8:9], v[12:13]
	v_mul_f64 v[12:13], v[10:11], v[8:9]
	v_fma_f64 v[6:7], -v[6:7], v[12:13], v[10:11]
	v_div_fmas_f64 v[6:7], v[6:7], v[8:9], v[12:13]
	v_div_fixup_f64 v[6:7], v[6:7], v[4:5], v[2:3]
	v_fmac_f64_e32 v[4:5], v[2:3], v[6:7]
	v_div_scale_f64 v[2:3], s[8:9], v[4:5], v[4:5], 1.0
	v_rcp_f64_e32 v[8:9], v[2:3]
	s_nop 0
	v_fma_f64 v[10:11], -v[2:3], v[8:9], 1.0
	v_fmac_f64_e32 v[8:9], v[8:9], v[10:11]
	v_fma_f64 v[10:11], -v[2:3], v[8:9], 1.0
	v_fmac_f64_e32 v[8:9], v[8:9], v[10:11]
	v_div_scale_f64 v[10:11], vcc, 1.0, v[4:5], 1.0
	v_mul_f64 v[12:13], v[10:11], v[8:9]
	v_fma_f64 v[2:3], -v[2:3], v[12:13], v[10:11]
	s_nop 1
	v_div_fmas_f64 v[2:3], v[2:3], v[8:9], v[12:13]
	v_div_fixup_f64 v[8:9], v[2:3], v[4:5], 1.0
	v_mul_f64 v[6:7], v[6:7], v[8:9]
	v_xor_b32_e32 v9, 0x80000000, v9
	v_xor_b32_e32 v11, 0x80000000, v7
	v_mov_b32_e32 v10, v6
                                        ; implicit-def: $vgpr2_vgpr3
.LBB92_15:
	s_andn2_saveexec_b64 s[6:7], s[6:7]
	s_cbranch_execz .LBB92_17
; %bb.16:
	v_div_scale_f64 v[6:7], s[8:9], v[2:3], v[2:3], v[4:5]
	v_rcp_f64_e32 v[8:9], v[6:7]
	v_div_scale_f64 v[10:11], vcc, v[4:5], v[2:3], v[4:5]
	v_fma_f64 v[12:13], -v[6:7], v[8:9], 1.0
	v_fmac_f64_e32 v[8:9], v[8:9], v[12:13]
	v_fma_f64 v[12:13], -v[6:7], v[8:9], 1.0
	v_fmac_f64_e32 v[8:9], v[8:9], v[12:13]
	v_mul_f64 v[12:13], v[10:11], v[8:9]
	v_fma_f64 v[6:7], -v[6:7], v[12:13], v[10:11]
	v_div_fmas_f64 v[6:7], v[6:7], v[8:9], v[12:13]
	v_div_fixup_f64 v[8:9], v[6:7], v[2:3], v[4:5]
	v_fmac_f64_e32 v[2:3], v[4:5], v[8:9]
	v_div_scale_f64 v[4:5], s[8:9], v[2:3], v[2:3], 1.0
	v_rcp_f64_e32 v[6:7], v[4:5]
	s_nop 0
	v_fma_f64 v[10:11], -v[4:5], v[6:7], 1.0
	v_fmac_f64_e32 v[6:7], v[6:7], v[10:11]
	v_fma_f64 v[10:11], -v[4:5], v[6:7], 1.0
	v_fmac_f64_e32 v[6:7], v[6:7], v[10:11]
	v_div_scale_f64 v[10:11], vcc, 1.0, v[2:3], 1.0
	v_mul_f64 v[12:13], v[10:11], v[6:7]
	v_fma_f64 v[4:5], -v[4:5], v[12:13], v[10:11]
	s_nop 1
	v_div_fmas_f64 v[4:5], v[4:5], v[6:7], v[12:13]
	v_div_fixup_f64 v[6:7], v[4:5], v[2:3], 1.0
	v_xor_b32_e32 v11, 0x80000000, v7
	v_mov_b32_e32 v10, v6
	v_mul_f64 v[8:9], v[8:9], -v[6:7]
.LBB92_17:
	s_or_b64 exec, exec, s[6:7]
	scratch_store_dwordx4 v15, v[6:9], off
	scratch_load_dwordx4 v[2:5], off, s46
	v_xor_b32_e32 v13, 0x80000000, v9
	v_mov_b32_e32 v12, v8
	v_add_u32_e32 v6, 0x1d0, v14
	ds_write_b128 v14, v[10:13]
	s_waitcnt vmcnt(0)
	ds_write_b128 v14, v[2:5] offset:464
	s_waitcnt lgkmcnt(0)
	; wave barrier
	s_and_saveexec_b64 s[6:7], s[2:3]
	s_cbranch_execz .LBB92_19
; %bb.18:
	scratch_load_dwordx4 v[2:5], v15, off
	ds_read_b128 v[8:11], v6
	v_mov_b32_e32 v7, 0
	ds_read_b128 v[16:19], v7 offset:16
	s_waitcnt vmcnt(0) lgkmcnt(1)
	v_mul_f64 v[12:13], v[10:11], v[4:5]
	v_mul_f64 v[4:5], v[8:9], v[4:5]
	v_fma_f64 v[8:9], v[8:9], v[2:3], -v[12:13]
	v_fmac_f64_e32 v[4:5], v[10:11], v[2:3]
	v_add_f64 v[2:3], v[8:9], 0
	v_add_f64 v[8:9], v[4:5], 0
	s_waitcnt lgkmcnt(0)
	v_mul_f64 v[10:11], v[8:9], v[18:19]
	v_mul_f64 v[4:5], v[2:3], v[18:19]
	v_fma_f64 v[2:3], v[2:3], v[16:17], -v[10:11]
	v_fmac_f64_e32 v[4:5], v[8:9], v[16:17]
	scratch_store_dwordx4 off, v[2:5], off offset:16
.LBB92_19:
	s_or_b64 exec, exec, s[6:7]
	; wave barrier
	scratch_load_dwordx4 v[2:5], off, s45
	v_cmp_gt_u32_e32 vcc, 2, v1
	s_waitcnt vmcnt(0)
	ds_write_b128 v6, v[2:5]
	s_waitcnt lgkmcnt(0)
	; wave barrier
	s_and_saveexec_b64 s[6:7], vcc
	s_cbranch_execz .LBB92_23
; %bb.20:
	scratch_load_dwordx4 v[2:5], v15, off
	ds_read_b128 v[8:11], v6
	s_waitcnt vmcnt(0) lgkmcnt(0)
	v_mul_f64 v[12:13], v[10:11], v[4:5]
	v_mul_f64 v[16:17], v[8:9], v[4:5]
	v_fma_f64 v[4:5], v[8:9], v[2:3], -v[12:13]
	v_fmac_f64_e32 v[16:17], v[10:11], v[2:3]
	v_add_f64 v[4:5], v[4:5], 0
	v_add_f64 v[2:3], v[16:17], 0
	s_and_saveexec_b64 s[8:9], s[2:3]
	s_cbranch_execz .LBB92_22
; %bb.21:
	scratch_load_dwordx4 v[8:11], off, off offset:16
	v_mov_b32_e32 v7, 0
	ds_read_b128 v[16:19], v7 offset:480
	s_waitcnt vmcnt(0) lgkmcnt(0)
	v_mul_f64 v[12:13], v[16:17], v[10:11]
	v_mul_f64 v[10:11], v[18:19], v[10:11]
	v_fmac_f64_e32 v[12:13], v[18:19], v[8:9]
	v_fma_f64 v[8:9], v[16:17], v[8:9], -v[10:11]
	v_add_f64 v[2:3], v[2:3], v[12:13]
	v_add_f64 v[4:5], v[4:5], v[8:9]
.LBB92_22:
	s_or_b64 exec, exec, s[8:9]
	v_mov_b32_e32 v7, 0
	ds_read_b128 v[8:11], v7 offset:32
	s_waitcnt lgkmcnt(0)
	v_mul_f64 v[16:17], v[2:3], v[10:11]
	v_mul_f64 v[12:13], v[4:5], v[10:11]
	v_fma_f64 v[10:11], v[4:5], v[8:9], -v[16:17]
	v_fmac_f64_e32 v[12:13], v[2:3], v[8:9]
	scratch_store_dwordx4 off, v[10:13], off offset:32
.LBB92_23:
	s_or_b64 exec, exec, s[6:7]
	; wave barrier
	scratch_load_dwordx4 v[2:5], off, s44
	v_cmp_gt_u32_e32 vcc, 3, v1
	v_add_u32_e32 v7, -1, v1
	s_waitcnt vmcnt(0)
	ds_write_b128 v6, v[2:5]
	s_waitcnt lgkmcnt(0)
	; wave barrier
	s_and_saveexec_b64 s[2:3], vcc
	s_cbranch_execz .LBB92_27
; %bb.24:
	v_add_u32_e32 v8, -1, v1
	v_add_u32_e32 v9, 0x1d0, v14
	v_mov_b32_e32 v10, v14
	v_mov_b64_e32 v[2:3], 0
	s_mov_b64 s[6:7], 0
	v_mov_b64_e32 v[4:5], 0
.LBB92_25:                              ; =>This Inner Loop Header: Depth=1
	scratch_load_dwordx4 v[16:19], v10, off
	ds_read_b128 v[20:23], v9
	v_add_u32_e32 v8, 1, v8
	v_cmp_lt_u32_e32 vcc, 1, v8
	v_add_u32_e32 v9, 16, v9
	v_add_u32_e32 v10, 16, v10
	s_or_b64 s[6:7], vcc, s[6:7]
	s_waitcnt vmcnt(0) lgkmcnt(0)
	v_mul_f64 v[12:13], v[22:23], v[18:19]
	v_mul_f64 v[18:19], v[20:21], v[18:19]
	v_fma_f64 v[12:13], v[20:21], v[16:17], -v[12:13]
	v_fmac_f64_e32 v[18:19], v[22:23], v[16:17]
	v_add_f64 v[4:5], v[4:5], v[12:13]
	v_add_f64 v[2:3], v[2:3], v[18:19]
	s_andn2_b64 exec, exec, s[6:7]
	s_cbranch_execnz .LBB92_25
; %bb.26:
	s_or_b64 exec, exec, s[6:7]
	v_mov_b32_e32 v8, 0
	ds_read_b128 v[8:11], v8 offset:48
	s_waitcnt lgkmcnt(0)
	v_mul_f64 v[16:17], v[2:3], v[10:11]
	v_mul_f64 v[12:13], v[4:5], v[10:11]
	v_fma_f64 v[10:11], v[4:5], v[8:9], -v[16:17]
	v_fmac_f64_e32 v[12:13], v[2:3], v[8:9]
	scratch_store_dwordx4 off, v[10:13], off offset:48
.LBB92_27:
	s_or_b64 exec, exec, s[2:3]
	; wave barrier
	scratch_load_dwordx4 v[2:5], off, s43
	v_cmp_gt_u32_e32 vcc, 4, v1
	s_waitcnt vmcnt(0)
	ds_write_b128 v6, v[2:5]
	s_waitcnt lgkmcnt(0)
	; wave barrier
	s_and_saveexec_b64 s[2:3], vcc
	s_cbranch_execz .LBB92_31
; %bb.28:
	v_add_u32_e32 v8, -1, v1
	v_add_u32_e32 v9, 0x1d0, v14
	v_mov_b32_e32 v10, v14
	v_mov_b64_e32 v[2:3], 0
	s_mov_b64 s[6:7], 0
	v_mov_b64_e32 v[4:5], 0
.LBB92_29:                              ; =>This Inner Loop Header: Depth=1
	scratch_load_dwordx4 v[16:19], v10, off
	ds_read_b128 v[20:23], v9
	v_add_u32_e32 v8, 1, v8
	v_cmp_lt_u32_e32 vcc, 2, v8
	v_add_u32_e32 v9, 16, v9
	v_add_u32_e32 v10, 16, v10
	s_or_b64 s[6:7], vcc, s[6:7]
	s_waitcnt vmcnt(0) lgkmcnt(0)
	v_mul_f64 v[12:13], v[22:23], v[18:19]
	v_mul_f64 v[18:19], v[20:21], v[18:19]
	v_fma_f64 v[12:13], v[20:21], v[16:17], -v[12:13]
	v_fmac_f64_e32 v[18:19], v[22:23], v[16:17]
	v_add_f64 v[4:5], v[4:5], v[12:13]
	v_add_f64 v[2:3], v[2:3], v[18:19]
	s_andn2_b64 exec, exec, s[6:7]
	s_cbranch_execnz .LBB92_29
; %bb.30:
	s_or_b64 exec, exec, s[6:7]
	v_mov_b32_e32 v8, 0
	ds_read_b128 v[8:11], v8 offset:64
	s_waitcnt lgkmcnt(0)
	v_mul_f64 v[16:17], v[2:3], v[10:11]
	v_mul_f64 v[12:13], v[4:5], v[10:11]
	v_fma_f64 v[10:11], v[4:5], v[8:9], -v[16:17]
	v_fmac_f64_e32 v[12:13], v[2:3], v[8:9]
	scratch_store_dwordx4 off, v[10:13], off offset:64
.LBB92_31:
	s_or_b64 exec, exec, s[2:3]
	; wave barrier
	scratch_load_dwordx4 v[2:5], off, s42
	v_cmp_gt_u32_e32 vcc, 5, v1
	;; [unrolled: 45-line block ×19, first 2 shown]
	s_waitcnt vmcnt(0)
	ds_write_b128 v6, v[2:5]
	s_waitcnt lgkmcnt(0)
	; wave barrier
	s_and_saveexec_b64 s[2:3], vcc
	s_cbranch_execz .LBB92_103
; %bb.100:
	v_add_u32_e32 v8, -1, v1
	v_add_u32_e32 v9, 0x1d0, v14
	v_mov_b32_e32 v10, v14
	v_mov_b64_e32 v[2:3], 0
	s_mov_b64 s[6:7], 0
	v_mov_b64_e32 v[4:5], 0
.LBB92_101:                             ; =>This Inner Loop Header: Depth=1
	scratch_load_dwordx4 v[16:19], v10, off
	ds_read_b128 v[20:23], v9
	v_add_u32_e32 v8, 1, v8
	v_cmp_lt_u32_e32 vcc, 20, v8
	v_add_u32_e32 v9, 16, v9
	v_add_u32_e32 v10, 16, v10
	s_or_b64 s[6:7], vcc, s[6:7]
	s_waitcnt vmcnt(0) lgkmcnt(0)
	v_mul_f64 v[12:13], v[22:23], v[18:19]
	v_mul_f64 v[18:19], v[20:21], v[18:19]
	v_fma_f64 v[12:13], v[20:21], v[16:17], -v[12:13]
	v_fmac_f64_e32 v[18:19], v[22:23], v[16:17]
	v_add_f64 v[4:5], v[4:5], v[12:13]
	v_add_f64 v[2:3], v[2:3], v[18:19]
	s_andn2_b64 exec, exec, s[6:7]
	s_cbranch_execnz .LBB92_101
; %bb.102:
	s_or_b64 exec, exec, s[6:7]
	v_mov_b32_e32 v8, 0
	ds_read_b128 v[8:11], v8 offset:352
	s_waitcnt lgkmcnt(0)
	v_mul_f64 v[16:17], v[2:3], v[10:11]
	v_mul_f64 v[12:13], v[4:5], v[10:11]
	v_fma_f64 v[10:11], v[4:5], v[8:9], -v[16:17]
	v_fmac_f64_e32 v[12:13], v[2:3], v[8:9]
	scratch_store_dwordx4 off, v[10:13], off offset:352
.LBB92_103:
	s_or_b64 exec, exec, s[2:3]
	; wave barrier
	scratch_load_dwordx4 v[2:5], off, s23
	v_cmp_gt_u32_e32 vcc, 23, v1
	s_waitcnt vmcnt(0)
	ds_write_b128 v6, v[2:5]
	s_waitcnt lgkmcnt(0)
	; wave barrier
	s_and_saveexec_b64 s[2:3], vcc
	s_cbranch_execz .LBB92_107
; %bb.104:
	v_add_u32_e32 v8, -1, v1
	v_add_u32_e32 v9, 0x1d0, v14
	v_mov_b32_e32 v10, v14
	v_mov_b64_e32 v[2:3], 0
	s_mov_b64 s[6:7], 0
	v_mov_b64_e32 v[4:5], 0
.LBB92_105:                             ; =>This Inner Loop Header: Depth=1
	scratch_load_dwordx4 v[16:19], v10, off
	ds_read_b128 v[20:23], v9
	v_add_u32_e32 v8, 1, v8
	v_cmp_lt_u32_e32 vcc, 21, v8
	v_add_u32_e32 v9, 16, v9
	v_add_u32_e32 v10, 16, v10
	s_or_b64 s[6:7], vcc, s[6:7]
	s_waitcnt vmcnt(0) lgkmcnt(0)
	v_mul_f64 v[12:13], v[22:23], v[18:19]
	v_mul_f64 v[18:19], v[20:21], v[18:19]
	v_fma_f64 v[12:13], v[20:21], v[16:17], -v[12:13]
	v_fmac_f64_e32 v[18:19], v[22:23], v[16:17]
	v_add_f64 v[4:5], v[4:5], v[12:13]
	v_add_f64 v[2:3], v[2:3], v[18:19]
	s_andn2_b64 exec, exec, s[6:7]
	s_cbranch_execnz .LBB92_105
; %bb.106:
	s_or_b64 exec, exec, s[6:7]
	v_mov_b32_e32 v8, 0
	ds_read_b128 v[8:11], v8 offset:368
	s_waitcnt lgkmcnt(0)
	v_mul_f64 v[16:17], v[2:3], v[10:11]
	v_mul_f64 v[12:13], v[4:5], v[10:11]
	v_fma_f64 v[10:11], v[4:5], v[8:9], -v[16:17]
	v_fmac_f64_e32 v[12:13], v[2:3], v[8:9]
	scratch_store_dwordx4 off, v[10:13], off offset:368
.LBB92_107:
	s_or_b64 exec, exec, s[2:3]
	; wave barrier
	scratch_load_dwordx4 v[2:5], off, s22
	v_cmp_gt_u32_e32 vcc, 24, v1
	;; [unrolled: 45-line block ×5, first 2 shown]
	s_waitcnt vmcnt(0)
	ds_write_b128 v6, v[2:5]
	s_waitcnt lgkmcnt(0)
	; wave barrier
	s_and_saveexec_b64 s[2:3], vcc
	s_cbranch_execz .LBB92_123
; %bb.120:
	v_add_u32_e32 v8, -1, v1
	v_add_u32_e32 v9, 0x1d0, v14
	v_mov_b32_e32 v10, v14
	v_mov_b64_e32 v[2:3], 0
	s_mov_b64 s[6:7], 0
	v_mov_b64_e32 v[4:5], 0
.LBB92_121:                             ; =>This Inner Loop Header: Depth=1
	scratch_load_dwordx4 v[16:19], v10, off
	ds_read_b128 v[20:23], v9
	v_add_u32_e32 v8, 1, v8
	v_cmp_lt_u32_e32 vcc, 25, v8
	v_add_u32_e32 v9, 16, v9
	v_add_u32_e32 v10, 16, v10
	s_or_b64 s[6:7], vcc, s[6:7]
	s_waitcnt vmcnt(0) lgkmcnt(0)
	v_mul_f64 v[12:13], v[22:23], v[18:19]
	v_mul_f64 v[18:19], v[20:21], v[18:19]
	v_fma_f64 v[12:13], v[20:21], v[16:17], -v[12:13]
	v_fmac_f64_e32 v[18:19], v[22:23], v[16:17]
	v_add_f64 v[4:5], v[4:5], v[12:13]
	v_add_f64 v[2:3], v[2:3], v[18:19]
	s_andn2_b64 exec, exec, s[6:7]
	s_cbranch_execnz .LBB92_121
; %bb.122:
	s_or_b64 exec, exec, s[6:7]
	v_mov_b32_e32 v8, 0
	ds_read_b128 v[8:11], v8 offset:432
	s_waitcnt lgkmcnt(0)
	v_mul_f64 v[16:17], v[2:3], v[10:11]
	v_mul_f64 v[12:13], v[4:5], v[10:11]
	v_fma_f64 v[10:11], v[4:5], v[8:9], -v[16:17]
	v_fmac_f64_e32 v[12:13], v[2:3], v[8:9]
	scratch_store_dwordx4 off, v[10:13], off offset:432
.LBB92_123:
	s_or_b64 exec, exec, s[2:3]
	; wave barrier
	scratch_load_dwordx4 v[2:5], off, s18
	v_cmp_ne_u32_e32 vcc, 28, v1
	s_waitcnt vmcnt(0)
	ds_write_b128 v6, v[2:5]
	s_waitcnt lgkmcnt(0)
	; wave barrier
	s_and_saveexec_b64 s[2:3], vcc
	s_cbranch_execz .LBB92_127
; %bb.124:
	v_add_u32_e32 v6, 0x1d0, v14
	v_mov_b32_e32 v8, v14
	v_mov_b64_e32 v[2:3], 0
	s_mov_b64 s[6:7], 0
	v_mov_b64_e32 v[4:5], 0
.LBB92_125:                             ; =>This Inner Loop Header: Depth=1
	scratch_load_dwordx4 v[10:13], v8, off
	ds_read_b128 v[14:17], v6
	v_add_u32_e32 v7, 1, v7
	v_cmp_lt_u32_e32 vcc, 26, v7
	v_add_u32_e32 v6, 16, v6
	v_add_u32_e32 v8, 16, v8
	s_or_b64 s[6:7], vcc, s[6:7]
	s_waitcnt vmcnt(0) lgkmcnt(0)
	v_mul_f64 v[18:19], v[16:17], v[12:13]
	v_mul_f64 v[12:13], v[14:15], v[12:13]
	v_fma_f64 v[14:15], v[14:15], v[10:11], -v[18:19]
	v_fmac_f64_e32 v[12:13], v[16:17], v[10:11]
	v_add_f64 v[4:5], v[4:5], v[14:15]
	v_add_f64 v[2:3], v[2:3], v[12:13]
	s_andn2_b64 exec, exec, s[6:7]
	s_cbranch_execnz .LBB92_125
; %bb.126:
	s_or_b64 exec, exec, s[6:7]
	v_mov_b32_e32 v6, 0
	ds_read_b128 v[6:9], v6 offset:448
	s_waitcnt lgkmcnt(0)
	v_mul_f64 v[12:13], v[2:3], v[8:9]
	v_mul_f64 v[10:11], v[4:5], v[8:9]
	v_fma_f64 v[8:9], v[4:5], v[6:7], -v[12:13]
	v_fmac_f64_e32 v[10:11], v[2:3], v[6:7]
	scratch_store_dwordx4 off, v[8:11], off offset:448
.LBB92_127:
	s_or_b64 exec, exec, s[2:3]
	s_mov_b64 s[6:7], -1
	; wave barrier
.LBB92_128:
	s_and_b64 vcc, exec, s[6:7]
	s_cbranch_vccz .LBB92_130
; %bb.129:
	s_lshl_b64 s[2:3], s[4:5], 2
	s_add_u32 s2, s10, s2
	s_addc_u32 s3, s11, s3
	v_mov_b32_e32 v2, 0
	global_load_dword v2, v2, s[2:3]
	s_waitcnt vmcnt(0)
	v_cmp_ne_u32_e32 vcc, 0, v2
	s_cbranch_vccz .LBB92_131
.LBB92_130:
	s_endpgm
.LBB92_131:
	v_mov_b32_e32 v2, 0x1d0
	v_lshl_add_u32 v170, v1, 4, v2
	v_cmp_eq_u32_e32 vcc, 28, v1
	s_and_saveexec_b64 s[2:3], vcc
	s_cbranch_execz .LBB92_133
; %bb.132:
	scratch_load_dwordx4 v[2:5], off, s19
	v_mov_b32_e32 v6, 0
	v_mov_b32_e32 v7, v6
	v_mov_b32_e32 v8, v6
	v_mov_b32_e32 v9, v6
	scratch_store_dwordx4 off, v[6:9], off offset:432
	s_waitcnt vmcnt(1)
	ds_write_b128 v170, v[2:5]
.LBB92_133:
	s_or_b64 exec, exec, s[2:3]
	s_waitcnt lgkmcnt(0)
	; wave barrier
	scratch_load_dwordx4 v[4:7], off, off offset:448
	scratch_load_dwordx4 v[8:11], off, off offset:432
	v_mov_b32_e32 v2, 0
	ds_read_b128 v[12:15], v2 offset:912
	v_cmp_lt_u32_e32 vcc, 26, v1
	s_waitcnt vmcnt(1) lgkmcnt(0)
	v_mul_f64 v[16:17], v[12:13], v[6:7]
	v_mul_f64 v[6:7], v[14:15], v[6:7]
	v_fmac_f64_e32 v[16:17], v[14:15], v[4:5]
	v_fma_f64 v[4:5], v[12:13], v[4:5], -v[6:7]
	v_add_f64 v[6:7], v[16:17], 0
	v_add_f64 v[4:5], v[4:5], 0
	s_waitcnt vmcnt(0)
	v_add_f64 v[4:5], v[8:9], -v[4:5]
	v_add_f64 v[6:7], v[10:11], -v[6:7]
	scratch_store_dwordx4 off, v[4:7], off offset:432
	s_and_saveexec_b64 s[2:3], vcc
	s_cbranch_execz .LBB92_135
; %bb.134:
	scratch_load_dwordx4 v[6:9], off, s20
	v_mov_b32_e32 v3, v2
	v_mov_b32_e32 v4, v2
	;; [unrolled: 1-line block ×3, first 2 shown]
	scratch_store_dwordx4 off, v[2:5], off offset:416
	s_waitcnt vmcnt(1)
	ds_write_b128 v170, v[6:9]
.LBB92_135:
	s_or_b64 exec, exec, s[2:3]
	s_waitcnt lgkmcnt(0)
	; wave barrier
	scratch_load_dwordx4 v[4:7], off, off offset:432
	scratch_load_dwordx4 v[8:11], off, off offset:448
	;; [unrolled: 1-line block ×3, first 2 shown]
	ds_read_b128 v[16:19], v2 offset:896
	ds_read_b128 v[20:23], v2 offset:912
	v_cmp_lt_u32_e32 vcc, 25, v1
	s_waitcnt vmcnt(2) lgkmcnt(1)
	v_mul_f64 v[2:3], v[16:17], v[6:7]
	v_mul_f64 v[6:7], v[18:19], v[6:7]
	s_waitcnt vmcnt(1) lgkmcnt(0)
	v_mul_f64 v[24:25], v[20:21], v[10:11]
	v_mul_f64 v[10:11], v[22:23], v[10:11]
	v_fmac_f64_e32 v[2:3], v[18:19], v[4:5]
	v_fma_f64 v[4:5], v[16:17], v[4:5], -v[6:7]
	v_fmac_f64_e32 v[24:25], v[22:23], v[8:9]
	v_fma_f64 v[6:7], v[20:21], v[8:9], -v[10:11]
	v_add_f64 v[2:3], v[2:3], 0
	v_add_f64 v[4:5], v[4:5], 0
	;; [unrolled: 1-line block ×4, first 2 shown]
	s_waitcnt vmcnt(0)
	v_add_f64 v[2:3], v[12:13], -v[2:3]
	v_add_f64 v[4:5], v[14:15], -v[8:9]
	scratch_store_dwordx4 off, v[2:5], off offset:416
	s_and_saveexec_b64 s[2:3], vcc
	s_cbranch_execz .LBB92_137
; %bb.136:
	scratch_load_dwordx4 v[2:5], off, s21
	v_mov_b32_e32 v6, 0
	v_mov_b32_e32 v7, v6
	;; [unrolled: 1-line block ×4, first 2 shown]
	scratch_store_dwordx4 off, v[6:9], off offset:400
	s_waitcnt vmcnt(1)
	ds_write_b128 v170, v[2:5]
.LBB92_137:
	s_or_b64 exec, exec, s[2:3]
	s_waitcnt lgkmcnt(0)
	; wave barrier
	scratch_load_dwordx4 v[4:7], off, off offset:416
	scratch_load_dwordx4 v[8:11], off, off offset:432
	;; [unrolled: 1-line block ×4, first 2 shown]
	v_mov_b32_e32 v2, 0
	ds_read_b128 v[20:23], v2 offset:880
	ds_read_b128 v[24:27], v2 offset:896
	;; [unrolled: 1-line block ×3, first 2 shown]
	v_cmp_lt_u32_e32 vcc, 24, v1
	s_waitcnt vmcnt(3) lgkmcnt(2)
	v_mul_f64 v[32:33], v[20:21], v[6:7]
	v_mul_f64 v[6:7], v[22:23], v[6:7]
	s_waitcnt vmcnt(2) lgkmcnt(1)
	v_mul_f64 v[34:35], v[24:25], v[10:11]
	v_mul_f64 v[10:11], v[26:27], v[10:11]
	v_fmac_f64_e32 v[32:33], v[22:23], v[4:5]
	v_fma_f64 v[4:5], v[20:21], v[4:5], -v[6:7]
	s_waitcnt vmcnt(1) lgkmcnt(0)
	v_mul_f64 v[36:37], v[28:29], v[14:15]
	v_mul_f64 v[14:15], v[30:31], v[14:15]
	v_fmac_f64_e32 v[34:35], v[26:27], v[8:9]
	v_fma_f64 v[6:7], v[24:25], v[8:9], -v[10:11]
	v_add_f64 v[10:11], v[32:33], 0
	v_add_f64 v[4:5], v[4:5], 0
	v_fmac_f64_e32 v[36:37], v[30:31], v[12:13]
	v_fma_f64 v[8:9], v[28:29], v[12:13], -v[14:15]
	v_add_f64 v[10:11], v[10:11], v[34:35]
	v_add_f64 v[4:5], v[4:5], v[6:7]
	;; [unrolled: 1-line block ×4, first 2 shown]
	s_waitcnt vmcnt(0)
	v_add_f64 v[4:5], v[16:17], -v[4:5]
	v_add_f64 v[6:7], v[18:19], -v[6:7]
	scratch_store_dwordx4 off, v[4:7], off offset:400
	s_and_saveexec_b64 s[2:3], vcc
	s_cbranch_execz .LBB92_139
; %bb.138:
	scratch_load_dwordx4 v[6:9], off, s22
	v_mov_b32_e32 v3, v2
	v_mov_b32_e32 v4, v2
	;; [unrolled: 1-line block ×3, first 2 shown]
	scratch_store_dwordx4 off, v[2:5], off offset:384
	s_waitcnt vmcnt(1)
	ds_write_b128 v170, v[6:9]
.LBB92_139:
	s_or_b64 exec, exec, s[2:3]
	s_waitcnt lgkmcnt(0)
	; wave barrier
	scratch_load_dwordx4 v[4:7], off, off offset:400
	scratch_load_dwordx4 v[8:11], off, off offset:416
	;; [unrolled: 1-line block ×5, first 2 shown]
	ds_read_b128 v[24:27], v2 offset:864
	ds_read_b128 v[28:31], v2 offset:880
	;; [unrolled: 1-line block ×4, first 2 shown]
	v_cmp_lt_u32_e32 vcc, 23, v1
	s_waitcnt vmcnt(4) lgkmcnt(3)
	v_mul_f64 v[2:3], v[24:25], v[6:7]
	v_mul_f64 v[6:7], v[26:27], v[6:7]
	s_waitcnt vmcnt(3) lgkmcnt(2)
	v_mul_f64 v[40:41], v[28:29], v[10:11]
	v_mul_f64 v[10:11], v[30:31], v[10:11]
	v_fmac_f64_e32 v[2:3], v[26:27], v[4:5]
	v_fma_f64 v[4:5], v[24:25], v[4:5], -v[6:7]
	s_waitcnt vmcnt(2) lgkmcnt(1)
	v_mul_f64 v[42:43], v[32:33], v[14:15]
	v_mul_f64 v[14:15], v[34:35], v[14:15]
	v_fmac_f64_e32 v[40:41], v[30:31], v[8:9]
	v_fma_f64 v[6:7], v[28:29], v[8:9], -v[10:11]
	v_add_f64 v[2:3], v[2:3], 0
	v_add_f64 v[4:5], v[4:5], 0
	s_waitcnt vmcnt(1) lgkmcnt(0)
	v_mul_f64 v[44:45], v[36:37], v[18:19]
	v_mul_f64 v[18:19], v[38:39], v[18:19]
	v_fmac_f64_e32 v[42:43], v[34:35], v[12:13]
	v_fma_f64 v[8:9], v[32:33], v[12:13], -v[14:15]
	v_add_f64 v[2:3], v[2:3], v[40:41]
	v_add_f64 v[4:5], v[4:5], v[6:7]
	v_fmac_f64_e32 v[44:45], v[38:39], v[16:17]
	v_fma_f64 v[10:11], v[36:37], v[16:17], -v[18:19]
	v_add_f64 v[2:3], v[2:3], v[42:43]
	v_add_f64 v[4:5], v[4:5], v[8:9]
	;; [unrolled: 1-line block ×4, first 2 shown]
	s_waitcnt vmcnt(0)
	v_add_f64 v[2:3], v[20:21], -v[2:3]
	v_add_f64 v[4:5], v[22:23], -v[6:7]
	scratch_store_dwordx4 off, v[2:5], off offset:384
	s_and_saveexec_b64 s[2:3], vcc
	s_cbranch_execz .LBB92_141
; %bb.140:
	scratch_load_dwordx4 v[2:5], off, s23
	v_mov_b32_e32 v6, 0
	v_mov_b32_e32 v7, v6
	;; [unrolled: 1-line block ×4, first 2 shown]
	scratch_store_dwordx4 off, v[6:9], off offset:368
	s_waitcnt vmcnt(1)
	ds_write_b128 v170, v[2:5]
.LBB92_141:
	s_or_b64 exec, exec, s[2:3]
	s_waitcnt lgkmcnt(0)
	; wave barrier
	scratch_load_dwordx4 v[4:7], off, off offset:384
	scratch_load_dwordx4 v[8:11], off, off offset:400
	;; [unrolled: 1-line block ×6, first 2 shown]
	v_mov_b32_e32 v2, 0
	ds_read_b128 v[28:31], v2 offset:848
	ds_read_b128 v[32:35], v2 offset:864
	;; [unrolled: 1-line block ×5, first 2 shown]
	v_cmp_lt_u32_e32 vcc, 22, v1
	s_waitcnt vmcnt(5) lgkmcnt(4)
	v_mul_f64 v[48:49], v[28:29], v[6:7]
	v_mul_f64 v[6:7], v[30:31], v[6:7]
	s_waitcnt vmcnt(4) lgkmcnt(3)
	v_mul_f64 v[50:51], v[32:33], v[10:11]
	s_waitcnt vmcnt(3) lgkmcnt(2)
	v_mul_f64 v[52:53], v[36:37], v[14:15]
	v_mul_f64 v[10:11], v[34:35], v[10:11]
	;; [unrolled: 1-line block ×3, first 2 shown]
	v_fmac_f64_e32 v[48:49], v[30:31], v[4:5]
	v_fma_f64 v[4:5], v[28:29], v[4:5], -v[6:7]
	v_fmac_f64_e32 v[50:51], v[34:35], v[8:9]
	v_fma_f64 v[6:7], v[32:33], v[8:9], -v[10:11]
	v_fma_f64 v[8:9], v[36:37], v[12:13], -v[14:15]
	v_add_f64 v[14:15], v[48:49], 0
	v_add_f64 v[4:5], v[4:5], 0
	s_waitcnt vmcnt(2) lgkmcnt(1)
	v_mul_f64 v[54:55], v[40:41], v[18:19]
	v_mul_f64 v[18:19], v[42:43], v[18:19]
	v_fmac_f64_e32 v[52:53], v[38:39], v[12:13]
	v_add_f64 v[14:15], v[14:15], v[50:51]
	v_add_f64 v[4:5], v[4:5], v[6:7]
	s_waitcnt vmcnt(1) lgkmcnt(0)
	v_mul_f64 v[56:57], v[44:45], v[22:23]
	v_mul_f64 v[22:23], v[46:47], v[22:23]
	v_fmac_f64_e32 v[54:55], v[42:43], v[16:17]
	v_fma_f64 v[10:11], v[40:41], v[16:17], -v[18:19]
	v_add_f64 v[6:7], v[14:15], v[52:53]
	v_add_f64 v[4:5], v[4:5], v[8:9]
	v_fmac_f64_e32 v[56:57], v[46:47], v[20:21]
	v_fma_f64 v[12:13], v[44:45], v[20:21], -v[22:23]
	v_add_f64 v[6:7], v[6:7], v[54:55]
	v_add_f64 v[4:5], v[4:5], v[10:11]
	;; [unrolled: 1-line block ×4, first 2 shown]
	s_waitcnt vmcnt(0)
	v_add_f64 v[4:5], v[24:25], -v[4:5]
	v_add_f64 v[6:7], v[26:27], -v[6:7]
	scratch_store_dwordx4 off, v[4:7], off offset:368
	s_and_saveexec_b64 s[2:3], vcc
	s_cbranch_execz .LBB92_143
; %bb.142:
	scratch_load_dwordx4 v[6:9], off, s24
	v_mov_b32_e32 v3, v2
	v_mov_b32_e32 v4, v2
	;; [unrolled: 1-line block ×3, first 2 shown]
	scratch_store_dwordx4 off, v[2:5], off offset:352
	s_waitcnt vmcnt(1)
	ds_write_b128 v170, v[6:9]
.LBB92_143:
	s_or_b64 exec, exec, s[2:3]
	s_waitcnt lgkmcnt(0)
	; wave barrier
	scratch_load_dwordx4 v[4:7], off, off offset:368
	scratch_load_dwordx4 v[8:11], off, off offset:384
	;; [unrolled: 1-line block ×7, first 2 shown]
	ds_read_b128 v[32:35], v2 offset:832
	ds_read_b128 v[36:39], v2 offset:848
	;; [unrolled: 1-line block ×6, first 2 shown]
	v_cmp_lt_u32_e32 vcc, 21, v1
	s_waitcnt vmcnt(6) lgkmcnt(5)
	v_mul_f64 v[2:3], v[32:33], v[6:7]
	v_mul_f64 v[6:7], v[34:35], v[6:7]
	s_waitcnt vmcnt(5) lgkmcnt(4)
	v_mul_f64 v[56:57], v[36:37], v[10:11]
	v_mul_f64 v[10:11], v[38:39], v[10:11]
	v_fmac_f64_e32 v[2:3], v[34:35], v[4:5]
	v_fma_f64 v[4:5], v[32:33], v[4:5], -v[6:7]
	s_waitcnt vmcnt(4) lgkmcnt(3)
	v_mul_f64 v[58:59], v[40:41], v[14:15]
	v_mul_f64 v[14:15], v[42:43], v[14:15]
	v_fmac_f64_e32 v[56:57], v[38:39], v[8:9]
	v_fma_f64 v[6:7], v[36:37], v[8:9], -v[10:11]
	v_add_f64 v[2:3], v[2:3], 0
	v_add_f64 v[4:5], v[4:5], 0
	s_waitcnt vmcnt(3) lgkmcnt(2)
	v_mul_f64 v[60:61], v[44:45], v[18:19]
	v_mul_f64 v[18:19], v[46:47], v[18:19]
	v_fmac_f64_e32 v[58:59], v[42:43], v[12:13]
	v_fma_f64 v[8:9], v[40:41], v[12:13], -v[14:15]
	v_add_f64 v[2:3], v[2:3], v[56:57]
	v_add_f64 v[4:5], v[4:5], v[6:7]
	;; [unrolled: 7-line block ×4, first 2 shown]
	v_fmac_f64_e32 v[64:65], v[54:55], v[24:25]
	v_fma_f64 v[14:15], v[52:53], v[24:25], -v[26:27]
	v_add_f64 v[2:3], v[2:3], v[62:63]
	v_add_f64 v[4:5], v[4:5], v[12:13]
	;; [unrolled: 1-line block ×4, first 2 shown]
	s_waitcnt vmcnt(0)
	v_add_f64 v[2:3], v[28:29], -v[2:3]
	v_add_f64 v[4:5], v[30:31], -v[6:7]
	scratch_store_dwordx4 off, v[2:5], off offset:352
	s_and_saveexec_b64 s[2:3], vcc
	s_cbranch_execz .LBB92_145
; %bb.144:
	scratch_load_dwordx4 v[2:5], off, s25
	v_mov_b32_e32 v6, 0
	v_mov_b32_e32 v7, v6
	;; [unrolled: 1-line block ×4, first 2 shown]
	scratch_store_dwordx4 off, v[6:9], off offset:336
	s_waitcnt vmcnt(1)
	ds_write_b128 v170, v[2:5]
.LBB92_145:
	s_or_b64 exec, exec, s[2:3]
	v_mov_b32_e32 v2, 0
	s_waitcnt lgkmcnt(0)
	; wave barrier
	ds_read_b128 v[4:7], v2 offset:816
	ds_read_b128 v[8:11], v2 offset:832
	;; [unrolled: 1-line block ×4, first 2 shown]
	scratch_load_dwordx4 v[20:23], off, off offset:352
	scratch_load_dwordx4 v[40:43], off, off offset:416
	v_cmp_lt_u32_e32 vcc, 20, v1
	scratch_load_dwordx4 v[48:51], off, off offset:432
	scratch_load_dwordx4 v[56:59], off, off offset:448
	s_waitcnt vmcnt(3) lgkmcnt(3)
	v_mul_f64 v[24:25], v[4:5], v[22:23]
	v_fmac_f64_e32 v[24:25], v[6:7], v[20:21]
	v_add_f64 v[28:29], v[24:25], 0
	scratch_load_dwordx4 v[24:27], off, off offset:368
	v_mul_f64 v[6:7], v[6:7], v[22:23]
	v_fma_f64 v[4:5], v[4:5], v[20:21], -v[6:7]
	v_add_f64 v[4:5], v[4:5], 0
	s_waitcnt vmcnt(0) lgkmcnt(2)
	v_mul_f64 v[30:31], v[8:9], v[26:27]
	v_fmac_f64_e32 v[30:31], v[10:11], v[24:25]
	v_add_f64 v[32:33], v[28:29], v[30:31]
	scratch_load_dwordx4 v[28:31], off, off offset:384
	v_mul_f64 v[6:7], v[10:11], v[26:27]
	v_fma_f64 v[6:7], v[8:9], v[24:25], -v[6:7]
	v_add_f64 v[4:5], v[4:5], v[6:7]
	s_waitcnt vmcnt(0) lgkmcnt(1)
	v_mul_f64 v[34:35], v[12:13], v[30:31]
	v_fmac_f64_e32 v[34:35], v[14:15], v[28:29]
	v_add_f64 v[36:37], v[32:33], v[34:35]
	scratch_load_dwordx4 v[32:35], off, off offset:400
	v_mul_f64 v[6:7], v[14:15], v[30:31]
	v_fma_f64 v[6:7], v[12:13], v[28:29], -v[6:7]
	v_add_f64 v[4:5], v[4:5], v[6:7]
	s_waitcnt vmcnt(0) lgkmcnt(0)
	v_mul_f64 v[38:39], v[16:17], v[34:35]
	v_fmac_f64_e32 v[38:39], v[18:19], v[32:33]
	v_add_f64 v[44:45], v[36:37], v[38:39]
	ds_read_b128 v[36:39], v2 offset:880
	v_mul_f64 v[6:7], v[18:19], v[34:35]
	v_fma_f64 v[6:7], v[16:17], v[32:33], -v[6:7]
	v_add_f64 v[4:5], v[4:5], v[6:7]
	s_waitcnt lgkmcnt(0)
	v_mul_f64 v[46:47], v[36:37], v[42:43]
	v_fmac_f64_e32 v[46:47], v[38:39], v[40:41]
	v_add_f64 v[52:53], v[44:45], v[46:47]
	ds_read_b128 v[44:47], v2 offset:896
	v_mul_f64 v[6:7], v[38:39], v[42:43]
	v_fma_f64 v[6:7], v[36:37], v[40:41], -v[6:7]
	v_add_f64 v[4:5], v[4:5], v[6:7]
	s_waitcnt lgkmcnt(0)
	;; [unrolled: 8-line block ×3, first 2 shown]
	v_mul_f64 v[6:7], v[54:55], v[58:59]
	v_fma_f64 v[6:7], v[52:53], v[56:57], -v[6:7]
	v_add_f64 v[8:9], v[4:5], v[6:7]
	scratch_load_dwordx4 v[4:7], off, off offset:336
	v_mul_f64 v[62:63], v[52:53], v[58:59]
	v_fmac_f64_e32 v[62:63], v[54:55], v[56:57]
	v_add_f64 v[60:61], v[60:61], v[62:63]
	s_waitcnt vmcnt(0)
	v_add_f64 v[4:5], v[4:5], -v[8:9]
	v_add_f64 v[6:7], v[6:7], -v[60:61]
	scratch_store_dwordx4 off, v[4:7], off offset:336
	s_and_saveexec_b64 s[2:3], vcc
	s_cbranch_execz .LBB92_147
; %bb.146:
	scratch_load_dwordx4 v[6:9], off, s26
	v_mov_b32_e32 v3, v2
	v_mov_b32_e32 v4, v2
	;; [unrolled: 1-line block ×3, first 2 shown]
	scratch_store_dwordx4 off, v[2:5], off offset:320
	s_waitcnt vmcnt(1)
	ds_write_b128 v170, v[6:9]
.LBB92_147:
	s_or_b64 exec, exec, s[2:3]
	s_waitcnt lgkmcnt(0)
	; wave barrier
	scratch_load_dwordx4 v[4:7], off, off offset:336
	scratch_load_dwordx4 v[8:11], off, off offset:352
	;; [unrolled: 1-line block ×9, first 2 shown]
	ds_read_b128 v[40:43], v2 offset:800
	ds_read_b128 v[44:47], v2 offset:816
	;; [unrolled: 1-line block ×8, first 2 shown]
	v_cmp_lt_u32_e32 vcc, 19, v1
	s_waitcnt vmcnt(8) lgkmcnt(7)
	v_mul_f64 v[2:3], v[40:41], v[6:7]
	v_mul_f64 v[6:7], v[42:43], v[6:7]
	s_waitcnt vmcnt(7) lgkmcnt(6)
	v_mul_f64 v[72:73], v[44:45], v[10:11]
	v_mul_f64 v[10:11], v[46:47], v[10:11]
	v_fmac_f64_e32 v[2:3], v[42:43], v[4:5]
	v_fma_f64 v[4:5], v[40:41], v[4:5], -v[6:7]
	s_waitcnt vmcnt(6) lgkmcnt(5)
	v_mul_f64 v[74:75], v[48:49], v[14:15]
	v_mul_f64 v[14:15], v[50:51], v[14:15]
	v_fmac_f64_e32 v[72:73], v[46:47], v[8:9]
	v_fma_f64 v[6:7], v[44:45], v[8:9], -v[10:11]
	v_add_f64 v[2:3], v[2:3], 0
	v_add_f64 v[4:5], v[4:5], 0
	s_waitcnt vmcnt(5) lgkmcnt(4)
	v_mul_f64 v[76:77], v[52:53], v[18:19]
	v_mul_f64 v[18:19], v[54:55], v[18:19]
	v_fmac_f64_e32 v[74:75], v[50:51], v[12:13]
	v_fma_f64 v[8:9], v[48:49], v[12:13], -v[14:15]
	v_add_f64 v[2:3], v[2:3], v[72:73]
	v_add_f64 v[4:5], v[4:5], v[6:7]
	;; [unrolled: 7-line block ×6, first 2 shown]
	v_fmac_f64_e32 v[84:85], v[70:71], v[32:33]
	v_fma_f64 v[18:19], v[68:69], v[32:33], -v[34:35]
	v_add_f64 v[2:3], v[2:3], v[82:83]
	v_add_f64 v[4:5], v[4:5], v[16:17]
	;; [unrolled: 1-line block ×4, first 2 shown]
	s_waitcnt vmcnt(0)
	v_add_f64 v[2:3], v[36:37], -v[2:3]
	v_add_f64 v[4:5], v[38:39], -v[6:7]
	scratch_store_dwordx4 off, v[2:5], off offset:320
	s_and_saveexec_b64 s[2:3], vcc
	s_cbranch_execz .LBB92_149
; %bb.148:
	scratch_load_dwordx4 v[2:5], off, s27
	v_mov_b32_e32 v6, 0
	v_mov_b32_e32 v7, v6
	v_mov_b32_e32 v8, v6
	v_mov_b32_e32 v9, v6
	scratch_store_dwordx4 off, v[6:9], off offset:304
	s_waitcnt vmcnt(1)
	ds_write_b128 v170, v[2:5]
.LBB92_149:
	s_or_b64 exec, exec, s[2:3]
	s_waitcnt lgkmcnt(0)
	; wave barrier
	scratch_load_dwordx4 v[4:7], off, off offset:320
	scratch_load_dwordx4 v[8:11], off, off offset:336
	;; [unrolled: 1-line block ×10, first 2 shown]
	v_mov_b32_e32 v2, 0
	ds_read_b128 v[44:47], v2 offset:784
	ds_read_b128 v[48:51], v2 offset:800
	;; [unrolled: 1-line block ×9, first 2 shown]
	v_cmp_lt_u32_e32 vcc, 18, v1
	s_waitcnt vmcnt(9) lgkmcnt(8)
	v_mul_f64 v[80:81], v[44:45], v[6:7]
	v_mul_f64 v[6:7], v[46:47], v[6:7]
	s_waitcnt vmcnt(8) lgkmcnt(7)
	v_mul_f64 v[82:83], v[48:49], v[10:11]
	s_waitcnt vmcnt(7) lgkmcnt(6)
	;; [unrolled: 2-line block ×3, first 2 shown]
	v_mul_f64 v[88:89], v[60:61], v[22:23]
	v_mul_f64 v[10:11], v[50:51], v[10:11]
	;; [unrolled: 1-line block ×4, first 2 shown]
	v_fmac_f64_e32 v[80:81], v[46:47], v[4:5]
	v_fma_f64 v[4:5], v[44:45], v[4:5], -v[6:7]
	v_fmac_f64_e32 v[82:83], v[50:51], v[8:9]
	v_fmac_f64_e32 v[84:85], v[54:55], v[12:13]
	v_fma_f64 v[6:7], v[48:49], v[8:9], -v[10:11]
	v_fma_f64 v[8:9], v[52:53], v[12:13], -v[14:15]
	;; [unrolled: 1-line block ×3, first 2 shown]
	v_add_f64 v[22:23], v[80:81], 0
	v_add_f64 v[4:5], v[4:5], 0
	v_mul_f64 v[86:87], v[56:57], v[18:19]
	v_mul_f64 v[18:19], v[58:59], v[18:19]
	v_add_f64 v[22:23], v[22:23], v[82:83]
	v_add_f64 v[4:5], v[4:5], v[6:7]
	v_fmac_f64_e32 v[86:87], v[58:59], v[16:17]
	v_fma_f64 v[10:11], v[56:57], v[16:17], -v[18:19]
	v_add_f64 v[6:7], v[22:23], v[84:85]
	v_add_f64 v[4:5], v[4:5], v[8:9]
	s_waitcnt vmcnt(4) lgkmcnt(3)
	v_mul_f64 v[90:91], v[64:65], v[26:27]
	v_mul_f64 v[26:27], v[66:67], v[26:27]
	v_fmac_f64_e32 v[88:89], v[62:63], v[20:21]
	v_add_f64 v[6:7], v[6:7], v[86:87]
	v_add_f64 v[4:5], v[4:5], v[10:11]
	s_waitcnt vmcnt(3) lgkmcnt(2)
	v_mul_f64 v[92:93], v[68:69], v[30:31]
	v_mul_f64 v[30:31], v[70:71], v[30:31]
	v_fmac_f64_e32 v[90:91], v[66:67], v[24:25]
	v_fma_f64 v[14:15], v[64:65], v[24:25], -v[26:27]
	v_add_f64 v[6:7], v[6:7], v[88:89]
	v_add_f64 v[4:5], v[4:5], v[12:13]
	s_waitcnt vmcnt(2) lgkmcnt(1)
	v_mul_f64 v[94:95], v[72:73], v[34:35]
	v_mul_f64 v[34:35], v[74:75], v[34:35]
	v_fmac_f64_e32 v[92:93], v[70:71], v[28:29]
	v_fma_f64 v[16:17], v[68:69], v[28:29], -v[30:31]
	;; [unrolled: 7-line block ×3, first 2 shown]
	v_add_f64 v[6:7], v[6:7], v[92:93]
	v_add_f64 v[4:5], v[4:5], v[16:17]
	v_fmac_f64_e32 v[96:97], v[78:79], v[36:37]
	v_fma_f64 v[20:21], v[76:77], v[36:37], -v[38:39]
	v_add_f64 v[6:7], v[6:7], v[94:95]
	v_add_f64 v[4:5], v[4:5], v[18:19]
	;; [unrolled: 1-line block ×4, first 2 shown]
	s_waitcnt vmcnt(0)
	v_add_f64 v[4:5], v[40:41], -v[4:5]
	v_add_f64 v[6:7], v[42:43], -v[6:7]
	scratch_store_dwordx4 off, v[4:7], off offset:304
	s_and_saveexec_b64 s[2:3], vcc
	s_cbranch_execz .LBB92_151
; %bb.150:
	scratch_load_dwordx4 v[6:9], off, s28
	v_mov_b32_e32 v3, v2
	v_mov_b32_e32 v4, v2
	;; [unrolled: 1-line block ×3, first 2 shown]
	scratch_store_dwordx4 off, v[2:5], off offset:288
	s_waitcnt vmcnt(1)
	ds_write_b128 v170, v[6:9]
.LBB92_151:
	s_or_b64 exec, exec, s[2:3]
	s_waitcnt lgkmcnt(0)
	; wave barrier
	scratch_load_dwordx4 v[4:7], off, off offset:304
	scratch_load_dwordx4 v[8:11], off, off offset:320
	scratch_load_dwordx4 v[12:15], off, off offset:336
	scratch_load_dwordx4 v[16:19], off, off offset:352
	scratch_load_dwordx4 v[20:23], off, off offset:368
	scratch_load_dwordx4 v[24:27], off, off offset:384
	scratch_load_dwordx4 v[28:31], off, off offset:400
	scratch_load_dwordx4 v[32:35], off, off offset:416
	scratch_load_dwordx4 v[36:39], off, off offset:432
	scratch_load_dwordx4 v[40:43], off, off offset:448
	scratch_load_dwordx4 v[44:47], off, off offset:288
	ds_read_b128 v[48:51], v2 offset:768
	ds_read_b128 v[52:55], v2 offset:784
	;; [unrolled: 1-line block ×10, first 2 shown]
	v_cmp_lt_u32_e32 vcc, 17, v1
	s_waitcnt vmcnt(10) lgkmcnt(9)
	v_mul_f64 v[2:3], v[48:49], v[6:7]
	v_mul_f64 v[6:7], v[50:51], v[6:7]
	s_waitcnt vmcnt(9) lgkmcnt(8)
	v_mul_f64 v[88:89], v[52:53], v[10:11]
	v_mul_f64 v[10:11], v[54:55], v[10:11]
	v_fmac_f64_e32 v[2:3], v[50:51], v[4:5]
	v_fma_f64 v[4:5], v[48:49], v[4:5], -v[6:7]
	s_waitcnt vmcnt(8) lgkmcnt(7)
	v_mul_f64 v[90:91], v[56:57], v[14:15]
	v_mul_f64 v[14:15], v[58:59], v[14:15]
	v_fmac_f64_e32 v[88:89], v[54:55], v[8:9]
	v_fma_f64 v[6:7], v[52:53], v[8:9], -v[10:11]
	v_add_f64 v[2:3], v[2:3], 0
	v_add_f64 v[4:5], v[4:5], 0
	s_waitcnt vmcnt(7) lgkmcnt(6)
	v_mul_f64 v[92:93], v[60:61], v[18:19]
	v_mul_f64 v[18:19], v[62:63], v[18:19]
	v_fmac_f64_e32 v[90:91], v[58:59], v[12:13]
	v_fma_f64 v[8:9], v[56:57], v[12:13], -v[14:15]
	v_add_f64 v[2:3], v[2:3], v[88:89]
	v_add_f64 v[4:5], v[4:5], v[6:7]
	;; [unrolled: 7-line block ×8, first 2 shown]
	v_fmac_f64_e32 v[104:105], v[86:87], v[40:41]
	v_fma_f64 v[22:23], v[84:85], v[40:41], -v[42:43]
	v_add_f64 v[2:3], v[2:3], v[102:103]
	v_add_f64 v[4:5], v[4:5], v[20:21]
	;; [unrolled: 1-line block ×4, first 2 shown]
	s_waitcnt vmcnt(0)
	v_add_f64 v[2:3], v[44:45], -v[2:3]
	v_add_f64 v[4:5], v[46:47], -v[6:7]
	scratch_store_dwordx4 off, v[2:5], off offset:288
	s_and_saveexec_b64 s[2:3], vcc
	s_cbranch_execz .LBB92_153
; %bb.152:
	scratch_load_dwordx4 v[2:5], off, s29
	v_mov_b32_e32 v6, 0
	v_mov_b32_e32 v7, v6
	v_mov_b32_e32 v8, v6
	v_mov_b32_e32 v9, v6
	scratch_store_dwordx4 off, v[6:9], off offset:272
	s_waitcnt vmcnt(1)
	ds_write_b128 v170, v[2:5]
.LBB92_153:
	s_or_b64 exec, exec, s[2:3]
	v_mov_b32_e32 v2, 0
	s_waitcnt lgkmcnt(0)
	; wave barrier
	ds_read_b128 v[4:7], v2 offset:752
	ds_read_b128 v[8:11], v2 offset:768
	;; [unrolled: 1-line block ×4, first 2 shown]
	scratch_load_dwordx4 v[20:23], off, off offset:288
	scratch_load_dwordx4 v[40:43], off, off offset:352
	;; [unrolled: 1-line block ×5, first 2 shown]
	v_cmp_lt_u32_e32 vcc, 16, v1
	scratch_load_dwordx4 v[48:51], off, off offset:368
	scratch_load_dwordx4 v[56:59], off, off offset:384
	;; [unrolled: 1-line block ×3, first 2 shown]
	s_waitcnt vmcnt(7) lgkmcnt(3)
	v_mul_f64 v[24:25], v[4:5], v[22:23]
	v_fmac_f64_e32 v[24:25], v[6:7], v[20:21]
	v_add_f64 v[28:29], v[24:25], 0
	scratch_load_dwordx4 v[24:27], off, off offset:304
	v_mul_f64 v[6:7], v[6:7], v[22:23]
	v_fma_f64 v[4:5], v[4:5], v[20:21], -v[6:7]
	v_add_f64 v[4:5], v[4:5], 0
	s_waitcnt vmcnt(0) lgkmcnt(2)
	v_mul_f64 v[30:31], v[8:9], v[26:27]
	v_fmac_f64_e32 v[30:31], v[10:11], v[24:25]
	v_add_f64 v[32:33], v[28:29], v[30:31]
	scratch_load_dwordx4 v[28:31], off, off offset:320
	v_mul_f64 v[6:7], v[10:11], v[26:27]
	v_fma_f64 v[6:7], v[8:9], v[24:25], -v[6:7]
	v_add_f64 v[4:5], v[4:5], v[6:7]
	;; [unrolled: 8-line block ×3, first 2 shown]
	s_waitcnt vmcnt(0) lgkmcnt(0)
	v_mul_f64 v[38:39], v[16:17], v[34:35]
	v_fmac_f64_e32 v[38:39], v[18:19], v[32:33]
	v_add_f64 v[44:45], v[36:37], v[38:39]
	ds_read_b128 v[36:39], v2 offset:816
	v_mul_f64 v[6:7], v[18:19], v[34:35]
	v_fma_f64 v[6:7], v[16:17], v[32:33], -v[6:7]
	v_add_f64 v[4:5], v[4:5], v[6:7]
	s_waitcnt lgkmcnt(0)
	v_mul_f64 v[46:47], v[36:37], v[42:43]
	v_fmac_f64_e32 v[46:47], v[38:39], v[40:41]
	v_add_f64 v[52:53], v[44:45], v[46:47]
	ds_read_b128 v[44:47], v2 offset:832
	v_mul_f64 v[6:7], v[38:39], v[42:43]
	v_fma_f64 v[6:7], v[36:37], v[40:41], -v[6:7]
	v_add_f64 v[4:5], v[4:5], v[6:7]
	s_waitcnt lgkmcnt(0)
	;; [unrolled: 8-line block ×7, first 2 shown]
	v_mul_f64 v[6:7], v[86:87], v[90:91]
	v_fma_f64 v[6:7], v[84:85], v[88:89], -v[6:7]
	v_add_f64 v[8:9], v[4:5], v[6:7]
	scratch_load_dwordx4 v[4:7], off, off offset:272
	v_mul_f64 v[94:95], v[84:85], v[90:91]
	v_fmac_f64_e32 v[94:95], v[86:87], v[88:89]
	v_add_f64 v[92:93], v[92:93], v[94:95]
	s_waitcnt vmcnt(0)
	v_add_f64 v[4:5], v[4:5], -v[8:9]
	v_add_f64 v[6:7], v[6:7], -v[92:93]
	scratch_store_dwordx4 off, v[4:7], off offset:272
	s_and_saveexec_b64 s[2:3], vcc
	s_cbranch_execz .LBB92_155
; %bb.154:
	scratch_load_dwordx4 v[6:9], off, s30
	v_mov_b32_e32 v3, v2
	v_mov_b32_e32 v4, v2
	;; [unrolled: 1-line block ×3, first 2 shown]
	scratch_store_dwordx4 off, v[2:5], off offset:256
	s_waitcnt vmcnt(1)
	ds_write_b128 v170, v[6:9]
.LBB92_155:
	s_or_b64 exec, exec, s[2:3]
	s_waitcnt lgkmcnt(0)
	; wave barrier
	ds_read_b128 v[4:7], v2 offset:736
	ds_read_b128 v[8:11], v2 offset:752
	;; [unrolled: 1-line block ×4, first 2 shown]
	scratch_load_dwordx4 v[20:23], off, off offset:272
	scratch_load_dwordx4 v[40:43], off, off offset:336
	;; [unrolled: 1-line block ×6, first 2 shown]
	v_cmp_lt_u32_e32 vcc, 15, v1
	scratch_load_dwordx4 v[48:51], off, off offset:352
	scratch_load_dwordx4 v[56:59], off, off offset:368
	;; [unrolled: 1-line block ×3, first 2 shown]
	s_waitcnt vmcnt(8) lgkmcnt(3)
	v_mul_f64 v[24:25], v[4:5], v[22:23]
	v_fmac_f64_e32 v[24:25], v[6:7], v[20:21]
	v_add_f64 v[28:29], v[24:25], 0
	scratch_load_dwordx4 v[24:27], off, off offset:288
	s_waitcnt vmcnt(0) lgkmcnt(2)
	v_mul_f64 v[30:31], v[8:9], v[26:27]
	v_fmac_f64_e32 v[30:31], v[10:11], v[24:25]
	v_add_f64 v[32:33], v[28:29], v[30:31]
	scratch_load_dwordx4 v[28:31], off, off offset:304
	;; [unrolled: 5-line block ×3, first 2 shown]
	s_waitcnt vmcnt(0) lgkmcnt(0)
	v_mul_f64 v[38:39], v[16:17], v[34:35]
	v_fmac_f64_e32 v[38:39], v[18:19], v[32:33]
	v_add_f64 v[44:45], v[36:37], v[38:39]
	ds_read_b128 v[36:39], v2 offset:800
	s_waitcnt lgkmcnt(0)
	v_mul_f64 v[46:47], v[36:37], v[42:43]
	v_fmac_f64_e32 v[46:47], v[38:39], v[40:41]
	v_add_f64 v[52:53], v[44:45], v[46:47]
	ds_read_b128 v[44:47], v2 offset:816
	s_waitcnt lgkmcnt(0)
	;; [unrolled: 5-line block ×8, first 2 shown]
	v_mul_f64 v[2:3], v[92:93], v[98:99]
	v_fmac_f64_e32 v[2:3], v[94:95], v[96:97]
	v_add_f64 v[100:101], v[100:101], v[2:3]
	v_mul_f64 v[2:3], v[6:7], v[22:23]
	v_fma_f64 v[2:3], v[4:5], v[20:21], -v[2:3]
	v_mul_f64 v[4:5], v[10:11], v[26:27]
	v_add_f64 v[2:3], v[2:3], 0
	v_fma_f64 v[4:5], v[8:9], v[24:25], -v[4:5]
	v_add_f64 v[2:3], v[2:3], v[4:5]
	v_mul_f64 v[4:5], v[14:15], v[30:31]
	v_fma_f64 v[4:5], v[12:13], v[28:29], -v[4:5]
	v_add_f64 v[2:3], v[2:3], v[4:5]
	v_mul_f64 v[4:5], v[18:19], v[34:35]
	;; [unrolled: 3-line block ×10, first 2 shown]
	v_fma_f64 v[4:5], v[92:93], v[96:97], -v[4:5]
	v_add_f64 v[6:7], v[2:3], v[4:5]
	scratch_load_dwordx4 v[2:5], off, off offset:256
	s_waitcnt vmcnt(0)
	v_add_f64 v[2:3], v[2:3], -v[6:7]
	v_add_f64 v[4:5], v[4:5], -v[100:101]
	scratch_store_dwordx4 off, v[2:5], off offset:256
	s_and_saveexec_b64 s[2:3], vcc
	s_cbranch_execz .LBB92_157
; %bb.156:
	scratch_load_dwordx4 v[2:5], off, s31
	v_mov_b32_e32 v6, 0
	v_mov_b32_e32 v7, v6
	;; [unrolled: 1-line block ×4, first 2 shown]
	scratch_store_dwordx4 off, v[6:9], off offset:240
	s_waitcnt vmcnt(1)
	ds_write_b128 v170, v[2:5]
.LBB92_157:
	s_or_b64 exec, exec, s[2:3]
	s_waitcnt lgkmcnt(0)
	; wave barrier
	scratch_load_dwordx4 v[4:7], off, off offset:256
	scratch_load_dwordx4 v[8:11], off, off offset:272
	;; [unrolled: 1-line block ×14, first 2 shown]
	v_mov_b32_e32 v2, 0
	ds_read_b128 v[60:63], v2 offset:720
	ds_read_b128 v[64:67], v2 offset:736
	;; [unrolled: 1-line block ×13, first 2 shown]
	v_cmp_lt_u32_e32 vcc, 14, v1
	s_waitcnt vmcnt(13) lgkmcnt(12)
	v_mul_f64 v[112:113], v[60:61], v[6:7]
	v_mul_f64 v[6:7], v[62:63], v[6:7]
	s_waitcnt vmcnt(12) lgkmcnt(11)
	v_mul_f64 v[114:115], v[64:65], v[10:11]
	v_mul_f64 v[10:11], v[66:67], v[10:11]
	v_fmac_f64_e32 v[112:113], v[62:63], v[4:5]
	v_fma_f64 v[4:5], v[60:61], v[4:5], -v[6:7]
	s_waitcnt vmcnt(11) lgkmcnt(10)
	v_mul_f64 v[116:117], v[68:69], v[14:15]
	v_mul_f64 v[14:15], v[70:71], v[14:15]
	v_fma_f64 v[6:7], v[64:65], v[8:9], -v[10:11]
	v_add_f64 v[4:5], v[4:5], 0
	s_waitcnt vmcnt(10) lgkmcnt(9)
	v_mul_f64 v[118:119], v[72:73], v[18:19]
	v_mul_f64 v[18:19], v[74:75], v[18:19]
	v_fmac_f64_e32 v[114:115], v[66:67], v[8:9]
	v_fma_f64 v[8:9], v[68:69], v[12:13], -v[14:15]
	v_add_f64 v[4:5], v[4:5], v[6:7]
	s_waitcnt vmcnt(9) lgkmcnt(8)
	v_mul_f64 v[120:121], v[76:77], v[22:23]
	v_mul_f64 v[22:23], v[78:79], v[22:23]
	v_fma_f64 v[10:11], v[72:73], v[16:17], -v[18:19]
	v_add_f64 v[4:5], v[4:5], v[8:9]
	s_waitcnt vmcnt(8) lgkmcnt(7)
	v_mul_f64 v[122:123], v[80:81], v[26:27]
	v_mul_f64 v[26:27], v[82:83], v[26:27]
	v_fmac_f64_e32 v[116:117], v[70:71], v[12:13]
	v_fma_f64 v[12:13], v[76:77], v[20:21], -v[22:23]
	v_add_f64 v[22:23], v[112:113], 0
	v_add_f64 v[4:5], v[4:5], v[10:11]
	s_waitcnt vmcnt(7) lgkmcnt(6)
	v_mul_f64 v[124:125], v[84:85], v[30:31]
	v_mul_f64 v[30:31], v[86:87], v[30:31]
	v_fma_f64 v[14:15], v[80:81], v[24:25], -v[26:27]
	v_add_f64 v[22:23], v[22:23], v[114:115]
	v_add_f64 v[4:5], v[4:5], v[12:13]
	s_waitcnt vmcnt(6) lgkmcnt(5)
	v_mul_f64 v[126:127], v[88:89], v[34:35]
	v_mul_f64 v[34:35], v[90:91], v[34:35]
	v_fmac_f64_e32 v[118:119], v[74:75], v[16:17]
	v_fma_f64 v[16:17], v[84:85], v[28:29], -v[30:31]
	v_add_f64 v[6:7], v[22:23], v[116:117]
	v_add_f64 v[4:5], v[4:5], v[14:15]
	s_waitcnt vmcnt(5) lgkmcnt(4)
	v_mul_f64 v[128:129], v[92:93], v[38:39]
	v_mul_f64 v[38:39], v[94:95], v[38:39]
	v_fmac_f64_e32 v[120:121], v[78:79], v[20:21]
	v_fma_f64 v[18:19], v[88:89], v[32:33], -v[34:35]
	v_add_f64 v[6:7], v[6:7], v[118:119]
	v_add_f64 v[4:5], v[4:5], v[16:17]
	v_fmac_f64_e32 v[122:123], v[82:83], v[24:25]
	v_fma_f64 v[20:21], v[92:93], v[36:37], -v[38:39]
	v_add_f64 v[6:7], v[6:7], v[120:121]
	v_add_f64 v[4:5], v[4:5], v[18:19]
	s_waitcnt vmcnt(4) lgkmcnt(3)
	v_mul_f64 v[8:9], v[98:99], v[42:43]
	v_fmac_f64_e32 v[124:125], v[86:87], v[28:29]
	v_add_f64 v[6:7], v[6:7], v[122:123]
	v_add_f64 v[4:5], v[4:5], v[20:21]
	v_fma_f64 v[8:9], v[96:97], v[40:41], -v[8:9]
	v_fmac_f64_e32 v[126:127], v[90:91], v[32:33]
	v_add_f64 v[6:7], v[6:7], v[124:125]
	v_add_f64 v[4:5], v[4:5], v[8:9]
	s_waitcnt vmcnt(3) lgkmcnt(2)
	v_mul_f64 v[8:9], v[102:103], v[46:47]
	v_mul_f64 v[130:131], v[96:97], v[42:43]
	v_fmac_f64_e32 v[128:129], v[94:95], v[36:37]
	v_add_f64 v[6:7], v[6:7], v[126:127]
	v_fma_f64 v[8:9], v[100:101], v[44:45], -v[8:9]
	v_mul_f64 v[132:133], v[100:101], v[46:47]
	v_fmac_f64_e32 v[130:131], v[98:99], v[40:41]
	v_add_f64 v[6:7], v[6:7], v[128:129]
	v_add_f64 v[4:5], v[4:5], v[8:9]
	s_waitcnt vmcnt(2) lgkmcnt(1)
	v_mul_f64 v[8:9], v[106:107], v[50:51]
	v_mul_f64 v[134:135], v[104:105], v[50:51]
	v_fmac_f64_e32 v[132:133], v[102:103], v[44:45]
	v_add_f64 v[6:7], v[6:7], v[130:131]
	v_fma_f64 v[8:9], v[104:105], v[48:49], -v[8:9]
	s_waitcnt vmcnt(1) lgkmcnt(0)
	v_mul_f64 v[136:137], v[108:109], v[54:55]
	v_fmac_f64_e32 v[134:135], v[106:107], v[48:49]
	v_add_f64 v[6:7], v[6:7], v[132:133]
	v_add_f64 v[4:5], v[4:5], v[8:9]
	v_mul_f64 v[8:9], v[110:111], v[54:55]
	v_fmac_f64_e32 v[136:137], v[110:111], v[52:53]
	v_add_f64 v[6:7], v[6:7], v[134:135]
	v_fma_f64 v[8:9], v[108:109], v[52:53], -v[8:9]
	v_add_f64 v[6:7], v[6:7], v[136:137]
	v_add_f64 v[4:5], v[4:5], v[8:9]
	s_waitcnt vmcnt(0)
	v_add_f64 v[4:5], v[56:57], -v[4:5]
	v_add_f64 v[6:7], v[58:59], -v[6:7]
	scratch_store_dwordx4 off, v[4:7], off offset:240
	s_and_saveexec_b64 s[2:3], vcc
	s_cbranch_execz .LBB92_159
; %bb.158:
	scratch_load_dwordx4 v[6:9], off, s33
	v_mov_b32_e32 v3, v2
	v_mov_b32_e32 v4, v2
	;; [unrolled: 1-line block ×3, first 2 shown]
	scratch_store_dwordx4 off, v[2:5], off offset:224
	s_waitcnt vmcnt(1)
	ds_write_b128 v170, v[6:9]
.LBB92_159:
	s_or_b64 exec, exec, s[2:3]
	s_waitcnt lgkmcnt(0)
	; wave barrier
	scratch_load_dwordx4 v[4:7], off, off offset:240
	scratch_load_dwordx4 v[8:11], off, off offset:256
	;; [unrolled: 1-line block ×14, first 2 shown]
	ds_read_b128 v[60:63], v2 offset:704
	ds_read_b128 v[64:67], v2 offset:720
	;; [unrolled: 1-line block ×14, first 2 shown]
	scratch_load_dwordx4 v[116:119], off, off offset:224
	v_cmp_lt_u32_e32 vcc, 13, v1
	s_waitcnt vmcnt(14) lgkmcnt(13)
	v_mul_f64 v[2:3], v[60:61], v[6:7]
	s_waitcnt vmcnt(13) lgkmcnt(12)
	v_mul_f64 v[120:121], v[64:65], v[10:11]
	v_fmac_f64_e32 v[2:3], v[62:63], v[4:5]
	s_waitcnt vmcnt(12) lgkmcnt(11)
	v_mul_f64 v[122:123], v[68:69], v[14:15]
	v_fmac_f64_e32 v[120:121], v[66:67], v[8:9]
	v_add_f64 v[2:3], v[2:3], 0
	s_waitcnt vmcnt(11) lgkmcnt(10)
	v_mul_f64 v[124:125], v[72:73], v[18:19]
	v_fmac_f64_e32 v[122:123], v[70:71], v[12:13]
	v_add_f64 v[2:3], v[2:3], v[120:121]
	;; [unrolled: 4-line block ×4, first 2 shown]
	s_waitcnt vmcnt(8) lgkmcnt(7)
	v_mul_f64 v[130:131], v[84:85], v[30:31]
	v_mul_f64 v[6:7], v[62:63], v[6:7]
	v_fmac_f64_e32 v[128:129], v[82:83], v[24:25]
	v_add_f64 v[2:3], v[2:3], v[126:127]
	s_waitcnt vmcnt(7) lgkmcnt(6)
	v_mul_f64 v[132:133], v[88:89], v[34:35]
	v_mul_f64 v[10:11], v[66:67], v[10:11]
	v_fmac_f64_e32 v[130:131], v[86:87], v[28:29]
	v_fma_f64 v[4:5], v[60:61], v[4:5], -v[6:7]
	v_add_f64 v[2:3], v[2:3], v[128:129]
	s_waitcnt vmcnt(6) lgkmcnt(5)
	v_mul_f64 v[134:135], v[92:93], v[38:39]
	v_mul_f64 v[14:15], v[70:71], v[14:15]
	v_fmac_f64_e32 v[132:133], v[90:91], v[32:33]
	v_fma_f64 v[6:7], v[64:65], v[8:9], -v[10:11]
	v_add_f64 v[4:5], v[4:5], 0
	v_add_f64 v[2:3], v[2:3], v[130:131]
	s_waitcnt vmcnt(5) lgkmcnt(4)
	v_mul_f64 v[136:137], v[96:97], v[42:43]
	v_mul_f64 v[18:19], v[74:75], v[18:19]
	v_fmac_f64_e32 v[134:135], v[94:95], v[36:37]
	v_fma_f64 v[8:9], v[68:69], v[12:13], -v[14:15]
	v_add_f64 v[4:5], v[4:5], v[6:7]
	;; [unrolled: 7-line block ×6, first 2 shown]
	v_add_f64 v[2:3], v[2:3], v[140:141]
	v_fmac_f64_e32 v[144:145], v[114:115], v[56:57]
	v_fma_f64 v[18:19], v[88:89], v[32:33], -v[34:35]
	v_add_f64 v[4:5], v[4:5], v[16:17]
	v_add_f64 v[2:3], v[2:3], v[142:143]
	;; [unrolled: 1-line block ×4, first 2 shown]
	v_mul_f64 v[4:5], v[94:95], v[38:39]
	v_fma_f64 v[4:5], v[92:93], v[36:37], -v[4:5]
	v_add_f64 v[2:3], v[2:3], v[4:5]
	v_mul_f64 v[4:5], v[98:99], v[42:43]
	v_fma_f64 v[4:5], v[96:97], v[40:41], -v[4:5]
	v_add_f64 v[2:3], v[2:3], v[4:5]
	;; [unrolled: 3-line block ×6, first 2 shown]
	s_waitcnt vmcnt(0)
	v_add_f64 v[2:3], v[116:117], -v[2:3]
	v_add_f64 v[4:5], v[118:119], -v[6:7]
	scratch_store_dwordx4 off, v[2:5], off offset:224
	s_and_saveexec_b64 s[2:3], vcc
	s_cbranch_execz .LBB92_161
; %bb.160:
	scratch_load_dwordx4 v[2:5], off, s34
	v_mov_b32_e32 v6, 0
	v_mov_b32_e32 v7, v6
	;; [unrolled: 1-line block ×4, first 2 shown]
	scratch_store_dwordx4 off, v[6:9], off offset:208
	s_waitcnt vmcnt(1)
	ds_write_b128 v170, v[2:5]
.LBB92_161:
	s_or_b64 exec, exec, s[2:3]
	s_waitcnt lgkmcnt(0)
	; wave barrier
	scratch_load_dwordx4 v[4:7], off, off offset:224
	scratch_load_dwordx4 v[8:11], off, off offset:240
	;; [unrolled: 1-line block ×16, first 2 shown]
	v_mov_b32_e32 v2, 0
	ds_read_b128 v[68:71], v2 offset:688
	ds_read_b128 v[72:75], v2 offset:704
	;; [unrolled: 1-line block ×15, first 2 shown]
	v_cmp_lt_u32_e32 vcc, 12, v1
	s_waitcnt vmcnt(15) lgkmcnt(14)
	v_mul_f64 v[128:129], v[68:69], v[6:7]
	v_mul_f64 v[6:7], v[70:71], v[6:7]
	s_waitcnt vmcnt(14) lgkmcnt(13)
	v_mul_f64 v[130:131], v[72:73], v[10:11]
	v_mul_f64 v[10:11], v[74:75], v[10:11]
	v_fmac_f64_e32 v[128:129], v[70:71], v[4:5]
	v_fma_f64 v[4:5], v[68:69], v[4:5], -v[6:7]
	s_waitcnt vmcnt(13) lgkmcnt(12)
	v_mul_f64 v[132:133], v[76:77], v[14:15]
	v_mul_f64 v[14:15], v[78:79], v[14:15]
	v_fma_f64 v[6:7], v[72:73], v[8:9], -v[10:11]
	v_add_f64 v[4:5], v[4:5], 0
	s_waitcnt vmcnt(12) lgkmcnt(11)
	v_mul_f64 v[134:135], v[80:81], v[18:19]
	v_mul_f64 v[18:19], v[82:83], v[18:19]
	v_fmac_f64_e32 v[130:131], v[74:75], v[8:9]
	v_fma_f64 v[8:9], v[76:77], v[12:13], -v[14:15]
	v_add_f64 v[4:5], v[4:5], v[6:7]
	s_waitcnt vmcnt(11) lgkmcnt(10)
	v_mul_f64 v[136:137], v[84:85], v[22:23]
	v_mul_f64 v[22:23], v[86:87], v[22:23]
	v_fma_f64 v[10:11], v[80:81], v[16:17], -v[18:19]
	v_add_f64 v[4:5], v[4:5], v[8:9]
	s_waitcnt vmcnt(10) lgkmcnt(9)
	v_mul_f64 v[138:139], v[88:89], v[26:27]
	v_mul_f64 v[26:27], v[90:91], v[26:27]
	v_fmac_f64_e32 v[132:133], v[78:79], v[12:13]
	v_fma_f64 v[12:13], v[84:85], v[20:21], -v[22:23]
	v_add_f64 v[4:5], v[4:5], v[10:11]
	v_fma_f64 v[14:15], v[88:89], v[24:25], -v[26:27]
	v_add_f64 v[4:5], v[4:5], v[12:13]
	s_waitcnt vmcnt(9) lgkmcnt(8)
	v_mul_f64 v[8:9], v[94:95], v[30:31]
	v_add_f64 v[4:5], v[4:5], v[14:15]
	v_fma_f64 v[8:9], v[92:93], v[28:29], -v[8:9]
	v_add_f64 v[4:5], v[4:5], v[8:9]
	s_waitcnt vmcnt(8) lgkmcnt(7)
	v_mul_f64 v[8:9], v[98:99], v[34:35]
	v_fma_f64 v[8:9], v[96:97], v[32:33], -v[8:9]
	v_fmac_f64_e32 v[134:135], v[82:83], v[16:17]
	v_add_f64 v[16:17], v[128:129], 0
	v_add_f64 v[4:5], v[4:5], v[8:9]
	s_waitcnt vmcnt(7) lgkmcnt(6)
	v_mul_f64 v[8:9], v[102:103], v[38:39]
	v_add_f64 v[16:17], v[16:17], v[130:131]
	v_fma_f64 v[8:9], v[100:101], v[36:37], -v[8:9]
	v_add_f64 v[6:7], v[16:17], v[132:133]
	v_add_f64 v[4:5], v[4:5], v[8:9]
	s_waitcnt vmcnt(6) lgkmcnt(5)
	v_mul_f64 v[8:9], v[106:107], v[42:43]
	v_fmac_f64_e32 v[136:137], v[86:87], v[20:21]
	v_add_f64 v[6:7], v[6:7], v[134:135]
	v_fma_f64 v[8:9], v[104:105], v[40:41], -v[8:9]
	v_mul_f64 v[140:141], v[92:93], v[30:31]
	v_fmac_f64_e32 v[138:139], v[90:91], v[24:25]
	v_add_f64 v[6:7], v[6:7], v[136:137]
	v_add_f64 v[4:5], v[4:5], v[8:9]
	s_waitcnt vmcnt(5) lgkmcnt(4)
	v_mul_f64 v[8:9], v[110:111], v[46:47]
	v_mul_f64 v[142:143], v[96:97], v[34:35]
	v_fmac_f64_e32 v[140:141], v[94:95], v[28:29]
	v_add_f64 v[6:7], v[6:7], v[138:139]
	v_fma_f64 v[8:9], v[108:109], v[44:45], -v[8:9]
	v_mul_f64 v[144:145], v[100:101], v[38:39]
	v_fmac_f64_e32 v[142:143], v[98:99], v[32:33]
	v_add_f64 v[6:7], v[6:7], v[140:141]
	v_add_f64 v[4:5], v[4:5], v[8:9]
	s_waitcnt vmcnt(4) lgkmcnt(3)
	v_mul_f64 v[8:9], v[114:115], v[50:51]
	;; [unrolled: 10-line block ×4, first 2 shown]
	v_mul_f64 v[154:155], v[120:121], v[58:59]
	v_fmac_f64_e32 v[152:153], v[118:119], v[52:53]
	v_add_f64 v[6:7], v[6:7], v[150:151]
	v_fma_f64 v[8:9], v[120:121], v[56:57], -v[8:9]
	s_waitcnt vmcnt(1) lgkmcnt(0)
	v_mul_f64 v[156:157], v[124:125], v[62:63]
	v_fmac_f64_e32 v[154:155], v[122:123], v[56:57]
	v_add_f64 v[6:7], v[6:7], v[152:153]
	v_add_f64 v[4:5], v[4:5], v[8:9]
	v_mul_f64 v[8:9], v[126:127], v[62:63]
	v_fmac_f64_e32 v[156:157], v[126:127], v[60:61]
	v_add_f64 v[6:7], v[6:7], v[154:155]
	v_fma_f64 v[8:9], v[124:125], v[60:61], -v[8:9]
	v_add_f64 v[6:7], v[6:7], v[156:157]
	v_add_f64 v[4:5], v[4:5], v[8:9]
	s_waitcnt vmcnt(0)
	v_add_f64 v[4:5], v[64:65], -v[4:5]
	v_add_f64 v[6:7], v[66:67], -v[6:7]
	scratch_store_dwordx4 off, v[4:7], off offset:208
	s_and_saveexec_b64 s[2:3], vcc
	s_cbranch_execz .LBB92_163
; %bb.162:
	scratch_load_dwordx4 v[6:9], off, s35
	v_mov_b32_e32 v3, v2
	v_mov_b32_e32 v4, v2
	;; [unrolled: 1-line block ×3, first 2 shown]
	scratch_store_dwordx4 off, v[2:5], off offset:192
	s_waitcnt vmcnt(1)
	ds_write_b128 v170, v[6:9]
.LBB92_163:
	s_or_b64 exec, exec, s[2:3]
	s_waitcnt lgkmcnt(0)
	; wave barrier
	scratch_load_dwordx4 v[4:7], off, off offset:208
	scratch_load_dwordx4 v[8:11], off, off offset:224
	;; [unrolled: 1-line block ×16, first 2 shown]
	ds_read_b128 v[68:71], v2 offset:672
	ds_read_b128 v[72:75], v2 offset:688
	;; [unrolled: 1-line block ×16, first 2 shown]
	scratch_load_dwordx4 v[132:135], off, off offset:192
	v_cmp_lt_u32_e32 vcc, 11, v1
	s_waitcnt vmcnt(16) lgkmcnt(14)
	v_mul_f64 v[2:3], v[68:69], v[6:7]
	s_waitcnt vmcnt(15)
	v_mul_f64 v[136:137], v[72:73], v[10:11]
	v_fmac_f64_e32 v[2:3], v[70:71], v[4:5]
	s_waitcnt vmcnt(14) lgkmcnt(13)
	v_mul_f64 v[138:139], v[76:77], v[14:15]
	v_fmac_f64_e32 v[136:137], v[74:75], v[8:9]
	v_add_f64 v[2:3], v[2:3], 0
	s_waitcnt vmcnt(13) lgkmcnt(12)
	v_mul_f64 v[140:141], v[80:81], v[18:19]
	v_fmac_f64_e32 v[138:139], v[78:79], v[12:13]
	v_add_f64 v[2:3], v[2:3], v[136:137]
	s_waitcnt vmcnt(12) lgkmcnt(11)
	v_mul_f64 v[142:143], v[84:85], v[26:27]
	v_fmac_f64_e32 v[140:141], v[82:83], v[16:17]
	v_add_f64 v[2:3], v[2:3], v[138:139]
	s_waitcnt vmcnt(11) lgkmcnt(10)
	v_mul_f64 v[144:145], v[88:89], v[22:23]
	v_fmac_f64_e32 v[142:143], v[86:87], v[24:25]
	v_add_f64 v[2:3], v[2:3], v[140:141]
	s_waitcnt vmcnt(10) lgkmcnt(9)
	v_mul_f64 v[146:147], v[92:93], v[30:31]
	v_fmac_f64_e32 v[144:145], v[90:91], v[20:21]
	v_add_f64 v[2:3], v[2:3], v[142:143]
	s_waitcnt vmcnt(9) lgkmcnt(8)
	v_mul_f64 v[148:149], v[96:97], v[34:35]
	v_fmac_f64_e32 v[146:147], v[94:95], v[28:29]
	v_add_f64 v[2:3], v[2:3], v[144:145]
	s_waitcnt vmcnt(8) lgkmcnt(7)
	v_mul_f64 v[150:151], v[100:101], v[38:39]
	v_fmac_f64_e32 v[148:149], v[98:99], v[32:33]
	v_add_f64 v[2:3], v[2:3], v[146:147]
	s_waitcnt vmcnt(7) lgkmcnt(6)
	v_mul_f64 v[152:153], v[104:105], v[42:43]
	v_fmac_f64_e32 v[150:151], v[102:103], v[36:37]
	v_add_f64 v[2:3], v[2:3], v[148:149]
	s_waitcnt vmcnt(6) lgkmcnt(5)
	v_mul_f64 v[154:155], v[108:109], v[46:47]
	v_fmac_f64_e32 v[152:153], v[106:107], v[40:41]
	v_add_f64 v[2:3], v[2:3], v[150:151]
	s_waitcnt vmcnt(5) lgkmcnt(4)
	v_mul_f64 v[156:157], v[112:113], v[50:51]
	v_fmac_f64_e32 v[154:155], v[110:111], v[44:45]
	v_add_f64 v[2:3], v[2:3], v[152:153]
	s_waitcnt vmcnt(4) lgkmcnt(3)
	v_mul_f64 v[158:159], v[116:117], v[54:55]
	v_mul_f64 v[6:7], v[70:71], v[6:7]
	v_fmac_f64_e32 v[156:157], v[114:115], v[48:49]
	v_add_f64 v[2:3], v[2:3], v[154:155]
	s_waitcnt vmcnt(3) lgkmcnt(2)
	v_mul_f64 v[160:161], v[120:121], v[58:59]
	v_mul_f64 v[10:11], v[74:75], v[10:11]
	v_fmac_f64_e32 v[158:159], v[118:119], v[52:53]
	v_fma_f64 v[4:5], v[68:69], v[4:5], -v[6:7]
	v_add_f64 v[2:3], v[2:3], v[156:157]
	s_waitcnt vmcnt(2) lgkmcnt(1)
	v_mul_f64 v[162:163], v[124:125], v[62:63]
	v_mul_f64 v[14:15], v[78:79], v[14:15]
	v_fmac_f64_e32 v[160:161], v[122:123], v[56:57]
	v_fma_f64 v[6:7], v[72:73], v[8:9], -v[10:11]
	v_add_f64 v[4:5], v[4:5], 0
	v_add_f64 v[2:3], v[2:3], v[158:159]
	s_waitcnt vmcnt(1) lgkmcnt(0)
	v_mul_f64 v[164:165], v[128:129], v[66:67]
	v_mul_f64 v[18:19], v[82:83], v[18:19]
	v_fmac_f64_e32 v[162:163], v[126:127], v[60:61]
	v_fma_f64 v[8:9], v[76:77], v[12:13], -v[14:15]
	v_add_f64 v[4:5], v[4:5], v[6:7]
	v_add_f64 v[2:3], v[2:3], v[160:161]
	v_mul_f64 v[26:27], v[86:87], v[26:27]
	v_fmac_f64_e32 v[164:165], v[130:131], v[64:65]
	v_fma_f64 v[10:11], v[80:81], v[16:17], -v[18:19]
	v_add_f64 v[4:5], v[4:5], v[8:9]
	v_add_f64 v[2:3], v[2:3], v[162:163]
	v_fma_f64 v[12:13], v[84:85], v[24:25], -v[26:27]
	v_add_f64 v[4:5], v[4:5], v[10:11]
	v_add_f64 v[6:7], v[2:3], v[164:165]
	v_mul_f64 v[2:3], v[90:91], v[22:23]
	v_add_f64 v[4:5], v[4:5], v[12:13]
	v_fma_f64 v[2:3], v[88:89], v[20:21], -v[2:3]
	v_add_f64 v[2:3], v[4:5], v[2:3]
	v_mul_f64 v[4:5], v[94:95], v[30:31]
	v_fma_f64 v[4:5], v[92:93], v[28:29], -v[4:5]
	v_add_f64 v[2:3], v[2:3], v[4:5]
	v_mul_f64 v[4:5], v[98:99], v[34:35]
	;; [unrolled: 3-line block ×10, first 2 shown]
	v_fma_f64 v[4:5], v[128:129], v[64:65], -v[4:5]
	v_add_f64 v[2:3], v[2:3], v[4:5]
	s_waitcnt vmcnt(0)
	v_add_f64 v[2:3], v[132:133], -v[2:3]
	v_add_f64 v[4:5], v[134:135], -v[6:7]
	scratch_store_dwordx4 off, v[2:5], off offset:192
	s_and_saveexec_b64 s[2:3], vcc
	s_cbranch_execz .LBB92_165
; %bb.164:
	scratch_load_dwordx4 v[2:5], off, s36
	v_mov_b32_e32 v6, 0
	v_mov_b32_e32 v7, v6
	;; [unrolled: 1-line block ×4, first 2 shown]
	scratch_store_dwordx4 off, v[6:9], off offset:176
	s_waitcnt vmcnt(1)
	ds_write_b128 v170, v[2:5]
.LBB92_165:
	s_or_b64 exec, exec, s[2:3]
	s_waitcnt lgkmcnt(0)
	; wave barrier
	scratch_load_dwordx4 v[4:7], off, off offset:192
	scratch_load_dwordx4 v[8:11], off, off offset:208
	;; [unrolled: 1-line block ×18, first 2 shown]
	v_mov_b32_e32 v2, 0
	ds_read_b128 v[76:79], v2 offset:656
	ds_read_b128 v[80:83], v2 offset:672
	;; [unrolled: 1-line block ×17, first 2 shown]
	v_cmp_lt_u32_e32 vcc, 10, v1
	s_waitcnt vmcnt(17) lgkmcnt(14)
	v_mul_f64 v[144:145], v[76:77], v[6:7]
	v_mul_f64 v[6:7], v[78:79], v[6:7]
	s_waitcnt vmcnt(16)
	v_mul_f64 v[146:147], v[80:81], v[10:11]
	v_mul_f64 v[10:11], v[82:83], v[10:11]
	v_fmac_f64_e32 v[144:145], v[78:79], v[4:5]
	v_fma_f64 v[4:5], v[76:77], v[4:5], -v[6:7]
	s_waitcnt vmcnt(15)
	v_mul_f64 v[148:149], v[84:85], v[18:19]
	v_mul_f64 v[18:19], v[86:87], v[18:19]
	v_fma_f64 v[6:7], v[80:81], v[8:9], -v[10:11]
	v_add_f64 v[4:5], v[4:5], 0
	s_waitcnt vmcnt(14) lgkmcnt(13)
	v_mul_f64 v[150:151], v[88:89], v[14:15]
	v_mul_f64 v[14:15], v[90:91], v[14:15]
	v_fmac_f64_e32 v[146:147], v[82:83], v[8:9]
	v_fma_f64 v[8:9], v[84:85], v[16:17], -v[18:19]
	v_add_f64 v[4:5], v[4:5], v[6:7]
	v_add_f64 v[4:5], v[4:5], v[8:9]
	v_fma_f64 v[8:9], v[88:89], v[12:13], -v[14:15]
	v_add_f64 v[4:5], v[4:5], v[8:9]
	s_waitcnt vmcnt(13) lgkmcnt(12)
	v_mul_f64 v[8:9], v[94:95], v[22:23]
	v_fma_f64 v[8:9], v[92:93], v[20:21], -v[8:9]
	v_add_f64 v[4:5], v[4:5], v[8:9]
	s_waitcnt vmcnt(12) lgkmcnt(11)
	v_mul_f64 v[8:9], v[98:99], v[26:27]
	;; [unrolled: 4-line block ×5, first 2 shown]
	v_fma_f64 v[8:9], v[108:109], v[36:37], -v[8:9]
	v_add_f64 v[10:11], v[144:145], 0
	v_add_f64 v[4:5], v[4:5], v[8:9]
	s_waitcnt vmcnt(8) lgkmcnt(7)
	v_mul_f64 v[8:9], v[114:115], v[42:43]
	v_fmac_f64_e32 v[148:149], v[86:87], v[16:17]
	v_add_f64 v[10:11], v[10:11], v[146:147]
	v_fma_f64 v[8:9], v[112:113], v[40:41], -v[8:9]
	v_mul_f64 v[152:153], v[92:93], v[22:23]
	v_fmac_f64_e32 v[150:151], v[90:91], v[12:13]
	v_add_f64 v[6:7], v[10:11], v[148:149]
	v_add_f64 v[4:5], v[4:5], v[8:9]
	s_waitcnt vmcnt(7) lgkmcnt(6)
	v_mul_f64 v[8:9], v[118:119], v[46:47]
	v_mul_f64 v[154:155], v[96:97], v[26:27]
	v_fmac_f64_e32 v[152:153], v[94:95], v[20:21]
	v_add_f64 v[6:7], v[6:7], v[150:151]
	v_fma_f64 v[8:9], v[116:117], v[44:45], -v[8:9]
	v_mul_f64 v[156:157], v[100:101], v[30:31]
	v_fmac_f64_e32 v[154:155], v[98:99], v[24:25]
	v_add_f64 v[6:7], v[6:7], v[152:153]
	v_add_f64 v[4:5], v[4:5], v[8:9]
	s_waitcnt vmcnt(6) lgkmcnt(5)
	v_mul_f64 v[8:9], v[122:123], v[50:51]
	;; [unrolled: 10-line block ×6, first 2 shown]
	v_mul_f64 v[178:179], v[136:137], v[66:67]
	v_fmac_f64_e32 v[174:175], v[134:135], v[60:61]
	v_add_f64 v[6:7], v[6:7], v[172:173]
	v_fma_f64 v[8:9], v[136:137], v[64:65], -v[8:9]
	s_waitcnt vmcnt(1) lgkmcnt(0)
	v_mul_f64 v[180:181], v[140:141], v[70:71]
	v_fmac_f64_e32 v[178:179], v[138:139], v[64:65]
	v_add_f64 v[6:7], v[6:7], v[174:175]
	v_add_f64 v[4:5], v[4:5], v[8:9]
	v_mul_f64 v[8:9], v[142:143], v[70:71]
	v_fmac_f64_e32 v[180:181], v[142:143], v[68:69]
	v_add_f64 v[6:7], v[6:7], v[178:179]
	v_fma_f64 v[8:9], v[140:141], v[68:69], -v[8:9]
	v_add_f64 v[6:7], v[6:7], v[180:181]
	v_add_f64 v[4:5], v[4:5], v[8:9]
	s_waitcnt vmcnt(0)
	v_add_f64 v[4:5], v[72:73], -v[4:5]
	v_add_f64 v[6:7], v[74:75], -v[6:7]
	scratch_store_dwordx4 off, v[4:7], off offset:176
	s_and_saveexec_b64 s[2:3], vcc
	s_cbranch_execz .LBB92_167
; %bb.166:
	scratch_load_dwordx4 v[6:9], off, s37
	v_mov_b32_e32 v3, v2
	v_mov_b32_e32 v4, v2
	;; [unrolled: 1-line block ×3, first 2 shown]
	scratch_store_dwordx4 off, v[2:5], off offset:160
	s_waitcnt vmcnt(1)
	ds_write_b128 v170, v[6:9]
.LBB92_167:
	s_or_b64 exec, exec, s[2:3]
	s_waitcnt lgkmcnt(0)
	; wave barrier
	scratch_load_dwordx4 v[4:7], off, off offset:176
	scratch_load_dwordx4 v[12:15], off, off offset:192
	;; [unrolled: 1-line block ×18, first 2 shown]
	ds_read_b128 v[76:79], v2 offset:640
	ds_read_b128 v[80:83], v2 offset:656
	;; [unrolled: 1-line block ×18, first 2 shown]
	scratch_load_dwordx4 v[148:151], off, off offset:160
	v_cmp_lt_u32_e32 vcc, 9, v1
	s_waitcnt vmcnt(18) lgkmcnt(14)
	v_mul_f64 v[2:3], v[76:77], v[6:7]
	s_waitcnt vmcnt(17)
	v_mul_f64 v[152:153], v[80:81], v[14:15]
	v_fmac_f64_e32 v[2:3], v[78:79], v[4:5]
	s_waitcnt vmcnt(16)
	v_mul_f64 v[154:155], v[84:85], v[10:11]
	v_fmac_f64_e32 v[152:153], v[82:83], v[12:13]
	v_add_f64 v[2:3], v[2:3], 0
	s_waitcnt vmcnt(15)
	v_mul_f64 v[156:157], v[88:89], v[18:19]
	v_fmac_f64_e32 v[154:155], v[86:87], v[8:9]
	v_add_f64 v[2:3], v[2:3], v[152:153]
	s_waitcnt vmcnt(14) lgkmcnt(13)
	v_mul_f64 v[158:159], v[92:93], v[22:23]
	v_fmac_f64_e32 v[156:157], v[90:91], v[16:17]
	v_add_f64 v[2:3], v[2:3], v[154:155]
	s_waitcnt vmcnt(13) lgkmcnt(12)
	;; [unrolled: 4-line block ×13, first 2 shown]
	v_mul_f64 v[186:187], v[140:141], v[70:71]
	v_mul_f64 v[6:7], v[78:79], v[6:7]
	v_fmac_f64_e32 v[184:185], v[138:139], v[64:65]
	v_add_f64 v[2:3], v[2:3], v[182:183]
	s_waitcnt vmcnt(1) lgkmcnt(0)
	v_mul_f64 v[188:189], v[144:145], v[74:75]
	v_mul_f64 v[14:15], v[82:83], v[14:15]
	v_fmac_f64_e32 v[186:187], v[142:143], v[68:69]
	v_fma_f64 v[4:5], v[76:77], v[4:5], -v[6:7]
	v_add_f64 v[2:3], v[2:3], v[184:185]
	v_mul_f64 v[10:11], v[86:87], v[10:11]
	v_fmac_f64_e32 v[188:189], v[146:147], v[72:73]
	v_fma_f64 v[6:7], v[80:81], v[12:13], -v[14:15]
	v_add_f64 v[4:5], v[4:5], 0
	v_add_f64 v[2:3], v[2:3], v[186:187]
	;; [unrolled: 1-line block ×4, first 2 shown]
	v_fma_f64 v[2:3], v[84:85], v[8:9], -v[10:11]
	v_add_f64 v[2:3], v[4:5], v[2:3]
	v_mul_f64 v[4:5], v[90:91], v[18:19]
	v_fma_f64 v[4:5], v[88:89], v[16:17], -v[4:5]
	v_add_f64 v[2:3], v[2:3], v[4:5]
	v_mul_f64 v[4:5], v[94:95], v[22:23]
	;; [unrolled: 3-line block ×15, first 2 shown]
	v_fma_f64 v[4:5], v[144:145], v[72:73], -v[4:5]
	v_add_f64 v[2:3], v[2:3], v[4:5]
	s_waitcnt vmcnt(0)
	v_add_f64 v[2:3], v[148:149], -v[2:3]
	v_add_f64 v[4:5], v[150:151], -v[6:7]
	scratch_store_dwordx4 off, v[2:5], off offset:160
	s_and_saveexec_b64 s[2:3], vcc
	s_cbranch_execz .LBB92_169
; %bb.168:
	scratch_load_dwordx4 v[2:5], off, s38
	v_mov_b32_e32 v6, 0
	v_mov_b32_e32 v7, v6
	;; [unrolled: 1-line block ×4, first 2 shown]
	scratch_store_dwordx4 off, v[6:9], off offset:144
	s_waitcnt vmcnt(1)
	ds_write_b128 v170, v[2:5]
.LBB92_169:
	s_or_b64 exec, exec, s[2:3]
	v_mov_b32_e32 v2, 0
	s_waitcnt lgkmcnt(0)
	; wave barrier
	ds_read_b128 v[16:19], v2 offset:624
	ds_read_b128 v[12:15], v2 offset:640
	;; [unrolled: 1-line block ×4, first 2 shown]
	scratch_load_dwordx4 v[20:23], off, off offset:160
	scratch_load_dwordx4 v[40:43], off, off offset:224
	scratch_load_dwordx4 v[72:75], off, off offset:288
	scratch_load_dwordx4 v[80:83], off, off offset:304
	scratch_load_dwordx4 v[90:93], off, off offset:320
	scratch_load_dwordx4 v[98:101], off, off offset:336
	scratch_load_dwordx4 v[106:109], off, off offset:352
	scratch_load_dwordx4 v[114:117], off, off offset:368
	scratch_load_dwordx4 v[122:125], off, off offset:384
	scratch_load_dwordx4 v[130:133], off, off offset:400
	scratch_load_dwordx4 v[138:141], off, off offset:416
	scratch_load_dwordx4 v[146:149], off, off offset:432
	scratch_load_dwordx4 v[154:157], off, off offset:448
	v_cmp_lt_u32_e32 vcc, 8, v1
	scratch_load_dwordx4 v[48:51], off, off offset:240
	scratch_load_dwordx4 v[56:59], off, off offset:256
	;; [unrolled: 1-line block ×3, first 2 shown]
	s_waitcnt vmcnt(15) lgkmcnt(3)
	v_mul_f64 v[24:25], v[16:17], v[22:23]
	v_fmac_f64_e32 v[24:25], v[18:19], v[20:21]
	v_add_f64 v[28:29], v[24:25], 0
	scratch_load_dwordx4 v[24:27], off, off offset:176
	v_mul_f64 v[18:19], v[18:19], v[22:23]
	v_fma_f64 v[16:17], v[16:17], v[20:21], -v[18:19]
	v_add_f64 v[16:17], v[16:17], 0
	s_waitcnt vmcnt(0) lgkmcnt(2)
	v_mul_f64 v[30:31], v[12:13], v[26:27]
	v_fmac_f64_e32 v[30:31], v[14:15], v[24:25]
	v_add_f64 v[32:33], v[28:29], v[30:31]
	scratch_load_dwordx4 v[28:31], off, off offset:192
	v_mul_f64 v[14:15], v[14:15], v[26:27]
	v_fma_f64 v[12:13], v[12:13], v[24:25], -v[14:15]
	v_add_f64 v[12:13], v[16:17], v[12:13]
	;; [unrolled: 8-line block ×3, first 2 shown]
	s_waitcnt vmcnt(0) lgkmcnt(0)
	v_mul_f64 v[38:39], v[4:5], v[34:35]
	v_fmac_f64_e32 v[38:39], v[6:7], v[32:33]
	v_add_f64 v[44:45], v[36:37], v[38:39]
	ds_read_b128 v[36:39], v2 offset:688
	v_mul_f64 v[6:7], v[6:7], v[34:35]
	v_fma_f64 v[4:5], v[4:5], v[32:33], -v[6:7]
	v_add_f64 v[4:5], v[8:9], v[4:5]
	s_waitcnt lgkmcnt(0)
	v_mul_f64 v[46:47], v[36:37], v[42:43]
	v_fmac_f64_e32 v[46:47], v[38:39], v[40:41]
	v_add_f64 v[52:53], v[44:45], v[46:47]
	ds_read_b128 v[44:47], v2 offset:704
	v_mul_f64 v[6:7], v[38:39], v[42:43]
	v_fma_f64 v[6:7], v[36:37], v[40:41], -v[6:7]
	v_add_f64 v[4:5], v[4:5], v[6:7]
	s_waitcnt lgkmcnt(0)
	;; [unrolled: 8-line block ×15, first 2 shown]
	v_mul_f64 v[6:7], v[152:153], v[156:157]
	v_fma_f64 v[6:7], v[150:151], v[154:155], -v[6:7]
	v_add_f64 v[8:9], v[4:5], v[6:7]
	scratch_load_dwordx4 v[4:7], off, off offset:144
	v_mul_f64 v[158:159], v[150:151], v[156:157]
	v_fmac_f64_e32 v[158:159], v[152:153], v[154:155]
	v_add_f64 v[88:89], v[88:89], v[158:159]
	s_waitcnt vmcnt(0)
	v_add_f64 v[4:5], v[4:5], -v[8:9]
	v_add_f64 v[6:7], v[6:7], -v[88:89]
	scratch_store_dwordx4 off, v[4:7], off offset:144
	s_and_saveexec_b64 s[2:3], vcc
	s_cbranch_execz .LBB92_171
; %bb.170:
	scratch_load_dwordx4 v[6:9], off, s39
	v_mov_b32_e32 v3, v2
	v_mov_b32_e32 v4, v2
	;; [unrolled: 1-line block ×3, first 2 shown]
	scratch_store_dwordx4 off, v[2:5], off offset:128
	s_waitcnt vmcnt(1)
	ds_write_b128 v170, v[6:9]
.LBB92_171:
	s_or_b64 exec, exec, s[2:3]
	s_waitcnt lgkmcnt(0)
	; wave barrier
	ds_read_b128 v[16:19], v2 offset:608
	ds_read_b128 v[12:15], v2 offset:624
	;; [unrolled: 1-line block ×4, first 2 shown]
	scratch_load_dwordx4 v[20:23], off, off offset:144
	scratch_load_dwordx4 v[40:43], off, off offset:208
	;; [unrolled: 1-line block ×14, first 2 shown]
	v_cmp_lt_u32_e32 vcc, 7, v1
	scratch_load_dwordx4 v[48:51], off, off offset:224
	scratch_load_dwordx4 v[56:59], off, off offset:240
	;; [unrolled: 1-line block ×3, first 2 shown]
	s_waitcnt vmcnt(16) lgkmcnt(3)
	v_mul_f64 v[24:25], v[16:17], v[22:23]
	v_fmac_f64_e32 v[24:25], v[18:19], v[20:21]
	v_add_f64 v[28:29], v[24:25], 0
	scratch_load_dwordx4 v[24:27], off, off offset:160
	s_waitcnt vmcnt(0) lgkmcnt(2)
	v_mul_f64 v[30:31], v[12:13], v[26:27]
	v_fmac_f64_e32 v[30:31], v[14:15], v[24:25]
	v_add_f64 v[32:33], v[28:29], v[30:31]
	scratch_load_dwordx4 v[28:31], off, off offset:176
	v_mul_f64 v[14:15], v[14:15], v[26:27]
	v_fma_f64 v[12:13], v[12:13], v[24:25], -v[14:15]
	s_waitcnt vmcnt(0) lgkmcnt(1)
	v_mul_f64 v[34:35], v[8:9], v[30:31]
	v_fmac_f64_e32 v[34:35], v[10:11], v[28:29]
	v_add_f64 v[36:37], v[32:33], v[34:35]
	scratch_load_dwordx4 v[32:35], off, off offset:192
	v_mul_f64 v[10:11], v[10:11], v[30:31]
	v_fma_f64 v[8:9], v[8:9], v[28:29], -v[10:11]
	s_waitcnt vmcnt(0) lgkmcnt(0)
	v_mul_f64 v[38:39], v[4:5], v[34:35]
	v_fmac_f64_e32 v[38:39], v[6:7], v[32:33]
	v_add_f64 v[44:45], v[36:37], v[38:39]
	ds_read_b128 v[36:39], v2 offset:672
	v_mul_f64 v[6:7], v[6:7], v[34:35]
	v_fma_f64 v[4:5], v[4:5], v[32:33], -v[6:7]
	s_waitcnt lgkmcnt(0)
	v_mul_f64 v[46:47], v[36:37], v[42:43]
	v_fmac_f64_e32 v[46:47], v[38:39], v[40:41]
	v_add_f64 v[52:53], v[44:45], v[46:47]
	ds_read_b128 v[44:47], v2 offset:688
	s_waitcnt lgkmcnt(0)
	v_mul_f64 v[54:55], v[44:45], v[50:51]
	v_fmac_f64_e32 v[54:55], v[46:47], v[48:49]
	v_add_f64 v[60:61], v[52:53], v[54:55]
	ds_read_b128 v[52:55], v2 offset:704
	;; [unrolled: 5-line block ×15, first 2 shown]
	s_waitcnt lgkmcnt(0)
	v_mul_f64 v[2:3], v[158:159], v[164:165]
	v_fmac_f64_e32 v[2:3], v[160:161], v[162:163]
	v_add_f64 v[96:97], v[96:97], v[2:3]
	v_mul_f64 v[2:3], v[18:19], v[22:23]
	v_fma_f64 v[2:3], v[16:17], v[20:21], -v[2:3]
	v_add_f64 v[2:3], v[2:3], 0
	v_add_f64 v[2:3], v[2:3], v[12:13]
	;; [unrolled: 1-line block ×4, first 2 shown]
	v_mul_f64 v[4:5], v[38:39], v[42:43]
	v_fma_f64 v[4:5], v[36:37], v[40:41], -v[4:5]
	v_add_f64 v[2:3], v[2:3], v[4:5]
	v_mul_f64 v[4:5], v[46:47], v[50:51]
	v_fma_f64 v[4:5], v[44:45], v[48:49], -v[4:5]
	v_add_f64 v[2:3], v[2:3], v[4:5]
	;; [unrolled: 3-line block ×16, first 2 shown]
	scratch_load_dwordx4 v[2:5], off, off offset:128
	s_waitcnt vmcnt(0)
	v_add_f64 v[2:3], v[2:3], -v[6:7]
	v_add_f64 v[4:5], v[4:5], -v[96:97]
	scratch_store_dwordx4 off, v[2:5], off offset:128
	s_and_saveexec_b64 s[2:3], vcc
	s_cbranch_execz .LBB92_173
; %bb.172:
	scratch_load_dwordx4 v[2:5], off, s40
	v_mov_b32_e32 v6, 0
	v_mov_b32_e32 v7, v6
	;; [unrolled: 1-line block ×4, first 2 shown]
	scratch_store_dwordx4 off, v[6:9], off offset:112
	s_waitcnt vmcnt(1)
	ds_write_b128 v170, v[2:5]
.LBB92_173:
	s_or_b64 exec, exec, s[2:3]
	v_mov_b32_e32 v2, 0
	s_waitcnt lgkmcnt(0)
	; wave barrier
	ds_read_b128 v[16:19], v2 offset:592
	ds_read_b128 v[12:15], v2 offset:608
	;; [unrolled: 1-line block ×4, first 2 shown]
	scratch_load_dwordx4 v[20:23], off, off offset:128
	scratch_load_dwordx4 v[40:43], off, off offset:192
	;; [unrolled: 1-line block ×15, first 2 shown]
	v_cmp_lt_u32_e32 vcc, 6, v1
	scratch_load_dwordx4 v[48:51], off, off offset:208
	scratch_load_dwordx4 v[56:59], off, off offset:224
	;; [unrolled: 1-line block ×3, first 2 shown]
	s_waitcnt vmcnt(17) lgkmcnt(3)
	v_mul_f64 v[24:25], v[16:17], v[22:23]
	v_fmac_f64_e32 v[24:25], v[18:19], v[20:21]
	v_add_f64 v[28:29], v[24:25], 0
	scratch_load_dwordx4 v[24:27], off, off offset:144
	v_mul_f64 v[18:19], v[18:19], v[22:23]
	v_fma_f64 v[16:17], v[16:17], v[20:21], -v[18:19]
	v_add_f64 v[16:17], v[16:17], 0
	s_waitcnt vmcnt(0) lgkmcnt(2)
	v_mul_f64 v[30:31], v[12:13], v[26:27]
	v_fmac_f64_e32 v[30:31], v[14:15], v[24:25]
	v_add_f64 v[32:33], v[28:29], v[30:31]
	scratch_load_dwordx4 v[28:31], off, off offset:160
	v_mul_f64 v[14:15], v[14:15], v[26:27]
	v_fma_f64 v[12:13], v[12:13], v[24:25], -v[14:15]
	v_add_f64 v[12:13], v[16:17], v[12:13]
	;; [unrolled: 8-line block ×3, first 2 shown]
	s_waitcnt vmcnt(0) lgkmcnt(0)
	v_mul_f64 v[38:39], v[4:5], v[34:35]
	v_fmac_f64_e32 v[38:39], v[6:7], v[32:33]
	v_add_f64 v[44:45], v[36:37], v[38:39]
	ds_read_b128 v[36:39], v2 offset:656
	v_mul_f64 v[6:7], v[6:7], v[34:35]
	v_fma_f64 v[4:5], v[4:5], v[32:33], -v[6:7]
	v_add_f64 v[4:5], v[8:9], v[4:5]
	s_waitcnt lgkmcnt(0)
	v_mul_f64 v[46:47], v[36:37], v[42:43]
	v_fmac_f64_e32 v[46:47], v[38:39], v[40:41]
	v_add_f64 v[52:53], v[44:45], v[46:47]
	ds_read_b128 v[44:47], v2 offset:672
	v_mul_f64 v[6:7], v[38:39], v[42:43]
	v_fma_f64 v[6:7], v[36:37], v[40:41], -v[6:7]
	v_add_f64 v[4:5], v[4:5], v[6:7]
	s_waitcnt lgkmcnt(0)
	;; [unrolled: 8-line block ×17, first 2 shown]
	v_mul_f64 v[6:7], v[168:169], v[174:175]
	v_fma_f64 v[6:7], v[166:167], v[172:173], -v[6:7]
	v_add_f64 v[8:9], v[4:5], v[6:7]
	scratch_load_dwordx4 v[4:7], off, off offset:112
	v_mul_f64 v[178:179], v[166:167], v[174:175]
	v_fmac_f64_e32 v[178:179], v[168:169], v[172:173]
	v_add_f64 v[104:105], v[104:105], v[178:179]
	s_waitcnt vmcnt(0)
	v_add_f64 v[4:5], v[4:5], -v[8:9]
	v_add_f64 v[6:7], v[6:7], -v[104:105]
	scratch_store_dwordx4 off, v[4:7], off offset:112
	s_and_saveexec_b64 s[2:3], vcc
	s_cbranch_execz .LBB92_175
; %bb.174:
	scratch_load_dwordx4 v[6:9], off, s41
	v_mov_b32_e32 v3, v2
	v_mov_b32_e32 v4, v2
	;; [unrolled: 1-line block ×3, first 2 shown]
	scratch_store_dwordx4 off, v[2:5], off offset:96
	s_waitcnt vmcnt(1)
	ds_write_b128 v170, v[6:9]
.LBB92_175:
	s_or_b64 exec, exec, s[2:3]
	s_waitcnt lgkmcnt(0)
	; wave barrier
	ds_read_b128 v[16:19], v2 offset:576
	ds_read_b128 v[12:15], v2 offset:592
	;; [unrolled: 1-line block ×4, first 2 shown]
	scratch_load_dwordx4 v[20:23], off, off offset:112
	scratch_load_dwordx4 v[40:43], off, off offset:176
	;; [unrolled: 1-line block ×16, first 2 shown]
	v_cmp_lt_u32_e32 vcc, 5, v1
	scratch_load_dwordx4 v[48:51], off, off offset:192
	scratch_load_dwordx4 v[56:59], off, off offset:208
	;; [unrolled: 1-line block ×3, first 2 shown]
	ds_read_b128 v[234:237], v2 offset:912
	s_waitcnt vmcnt(18) lgkmcnt(4)
	v_mul_f64 v[24:25], v[16:17], v[22:23]
	v_fmac_f64_e32 v[24:25], v[18:19], v[20:21]
	v_add_f64 v[28:29], v[24:25], 0
	scratch_load_dwordx4 v[24:27], off, off offset:128
	s_waitcnt vmcnt(0) lgkmcnt(3)
	v_mul_f64 v[30:31], v[12:13], v[26:27]
	v_fmac_f64_e32 v[30:31], v[14:15], v[24:25]
	v_add_f64 v[32:33], v[28:29], v[30:31]
	scratch_load_dwordx4 v[28:31], off, off offset:144
	v_mul_f64 v[14:15], v[14:15], v[26:27]
	v_fma_f64 v[12:13], v[12:13], v[24:25], -v[14:15]
	s_waitcnt vmcnt(0) lgkmcnt(2)
	v_mul_f64 v[34:35], v[8:9], v[30:31]
	v_fmac_f64_e32 v[34:35], v[10:11], v[28:29]
	v_add_f64 v[36:37], v[32:33], v[34:35]
	scratch_load_dwordx4 v[32:35], off, off offset:160
	v_mul_f64 v[10:11], v[10:11], v[30:31]
	v_fma_f64 v[8:9], v[8:9], v[28:29], -v[10:11]
	s_waitcnt vmcnt(0) lgkmcnt(1)
	v_mul_f64 v[38:39], v[4:5], v[34:35]
	v_fmac_f64_e32 v[38:39], v[6:7], v[32:33]
	v_add_f64 v[44:45], v[36:37], v[38:39]
	ds_read_b128 v[36:39], v2 offset:640
	v_mul_f64 v[6:7], v[6:7], v[34:35]
	v_fma_f64 v[4:5], v[4:5], v[32:33], -v[6:7]
	s_waitcnt lgkmcnt(0)
	v_mul_f64 v[46:47], v[36:37], v[42:43]
	v_fmac_f64_e32 v[46:47], v[38:39], v[40:41]
	v_add_f64 v[52:53], v[44:45], v[46:47]
	ds_read_b128 v[44:47], v2 offset:656
	s_waitcnt lgkmcnt(0)
	v_mul_f64 v[54:55], v[44:45], v[50:51]
	v_fmac_f64_e32 v[54:55], v[46:47], v[48:49]
	v_add_f64 v[60:61], v[52:53], v[54:55]
	ds_read_b128 v[52:55], v2 offset:672
	;; [unrolled: 5-line block ×16, first 2 shown]
	v_mul_f64 v[2:3], v[234:235], v[240:241]
	v_fmac_f64_e32 v[2:3], v[236:237], v[238:239]
	s_waitcnt lgkmcnt(0)
	v_mul_f64 v[178:179], v[166:167], v[174:175]
	v_fmac_f64_e32 v[178:179], v[168:169], v[172:173]
	v_add_f64 v[120:121], v[120:121], v[178:179]
	v_add_f64 v[120:121], v[120:121], v[2:3]
	v_mul_f64 v[2:3], v[18:19], v[22:23]
	v_fma_f64 v[2:3], v[16:17], v[20:21], -v[2:3]
	v_add_f64 v[2:3], v[2:3], 0
	v_add_f64 v[2:3], v[2:3], v[12:13]
	;; [unrolled: 1-line block ×4, first 2 shown]
	v_mul_f64 v[4:5], v[38:39], v[42:43]
	v_fma_f64 v[4:5], v[36:37], v[40:41], -v[4:5]
	v_add_f64 v[2:3], v[2:3], v[4:5]
	v_mul_f64 v[4:5], v[46:47], v[50:51]
	v_fma_f64 v[4:5], v[44:45], v[48:49], -v[4:5]
	v_add_f64 v[2:3], v[2:3], v[4:5]
	;; [unrolled: 3-line block ×18, first 2 shown]
	scratch_load_dwordx4 v[2:5], off, off offset:96
	s_waitcnt vmcnt(0)
	v_add_f64 v[2:3], v[2:3], -v[6:7]
	v_add_f64 v[4:5], v[4:5], -v[120:121]
	scratch_store_dwordx4 off, v[2:5], off offset:96
	s_and_saveexec_b64 s[2:3], vcc
	s_cbranch_execz .LBB92_177
; %bb.176:
	scratch_load_dwordx4 v[2:5], off, s42
	v_mov_b32_e32 v6, 0
	v_mov_b32_e32 v7, v6
	;; [unrolled: 1-line block ×4, first 2 shown]
	scratch_store_dwordx4 off, v[6:9], off offset:80
	s_waitcnt vmcnt(1)
	ds_write_b128 v170, v[2:5]
.LBB92_177:
	s_or_b64 exec, exec, s[2:3]
	v_mov_b32_e32 v2, 0
	s_waitcnt lgkmcnt(0)
	; wave barrier
	ds_read_b128 v[16:19], v2 offset:560
	ds_read_b128 v[12:15], v2 offset:576
	;; [unrolled: 1-line block ×4, first 2 shown]
	scratch_load_dwordx4 v[20:23], off, off offset:96
	scratch_load_dwordx4 v[40:43], off, off offset:160
	scratch_load_dwordx4 v[72:75], off, off offset:224
	scratch_load_dwordx4 v[80:83], off, off offset:240
	scratch_load_dwordx4 v[88:91], off, off offset:256
	scratch_load_dwordx4 v[96:99], off, off offset:272
	scratch_load_dwordx4 v[104:107], off, off offset:288
	scratch_load_dwordx4 v[112:115], off, off offset:304
	scratch_load_dwordx4 v[120:123], off, off offset:320
	scratch_load_dwordx4 v[130:133], off, off offset:336
	scratch_load_dwordx4 v[138:141], off, off offset:352
	scratch_load_dwordx4 v[146:149], off, off offset:368
	scratch_load_dwordx4 v[154:157], off, off offset:384
	scratch_load_dwordx4 v[162:165], off, off offset:400
	scratch_load_dwordx4 v[172:175], off, off offset:416
	scratch_load_dwordx4 v[238:241], off, off offset:432
	scratch_load_dwordx4 v[246:249], off, off offset:448
	v_cmp_lt_u32_e32 vcc, 4, v1
	scratch_load_dwordx4 v[48:51], off, off offset:176
	scratch_load_dwordx4 v[56:59], off, off offset:192
	scratch_load_dwordx4 v[64:67], off, off offset:208
	ds_read_b128 v[234:237], v2 offset:896
	ds_read_b128 v[242:245], v2 offset:912
	s_waitcnt vmcnt(19) lgkmcnt(5)
	v_mul_f64 v[24:25], v[16:17], v[22:23]
	v_fmac_f64_e32 v[24:25], v[18:19], v[20:21]
	v_add_f64 v[28:29], v[24:25], 0
	scratch_load_dwordx4 v[24:27], off, off offset:112
	v_mul_f64 v[18:19], v[18:19], v[22:23]
	v_fma_f64 v[16:17], v[16:17], v[20:21], -v[18:19]
	v_add_f64 v[16:17], v[16:17], 0
	s_waitcnt vmcnt(0) lgkmcnt(4)
	v_mul_f64 v[30:31], v[12:13], v[26:27]
	v_fmac_f64_e32 v[30:31], v[14:15], v[24:25]
	v_add_f64 v[32:33], v[28:29], v[30:31]
	scratch_load_dwordx4 v[28:31], off, off offset:128
	v_mul_f64 v[14:15], v[14:15], v[26:27]
	v_fma_f64 v[12:13], v[12:13], v[24:25], -v[14:15]
	v_add_f64 v[12:13], v[16:17], v[12:13]
	;; [unrolled: 8-line block ×3, first 2 shown]
	s_waitcnt vmcnt(0) lgkmcnt(2)
	v_mul_f64 v[38:39], v[4:5], v[34:35]
	v_fmac_f64_e32 v[38:39], v[6:7], v[32:33]
	v_add_f64 v[44:45], v[36:37], v[38:39]
	ds_read_b128 v[36:39], v2 offset:624
	v_mul_f64 v[6:7], v[6:7], v[34:35]
	v_fma_f64 v[4:5], v[4:5], v[32:33], -v[6:7]
	v_add_f64 v[4:5], v[8:9], v[4:5]
	s_waitcnt lgkmcnt(0)
	v_mul_f64 v[46:47], v[36:37], v[42:43]
	v_fmac_f64_e32 v[46:47], v[38:39], v[40:41]
	v_add_f64 v[52:53], v[44:45], v[46:47]
	ds_read_b128 v[44:47], v2 offset:640
	v_mul_f64 v[6:7], v[38:39], v[42:43]
	v_fma_f64 v[6:7], v[36:37], v[40:41], -v[6:7]
	v_add_f64 v[4:5], v[4:5], v[6:7]
	s_waitcnt lgkmcnt(0)
	;; [unrolled: 8-line block ×17, first 2 shown]
	v_mul_f64 v[6:7], v[168:169], v[174:175]
	v_fma_f64 v[6:7], v[166:167], v[172:173], -v[6:7]
	v_add_f64 v[4:5], v[4:5], v[6:7]
	v_mul_f64 v[6:7], v[236:237], v[240:241]
	v_fma_f64 v[6:7], v[234:235], v[238:239], -v[6:7]
	v_add_f64 v[4:5], v[4:5], v[6:7]
	;; [unrolled: 3-line block ×3, first 2 shown]
	scratch_load_dwordx4 v[4:7], off, off offset:80
	v_mul_f64 v[178:179], v[166:167], v[174:175]
	v_fmac_f64_e32 v[178:179], v[168:169], v[172:173]
	v_add_f64 v[128:129], v[128:129], v[178:179]
	v_mul_f64 v[178:179], v[234:235], v[240:241]
	v_fmac_f64_e32 v[178:179], v[236:237], v[238:239]
	v_add_f64 v[128:129], v[128:129], v[178:179]
	;; [unrolled: 3-line block ×3, first 2 shown]
	s_waitcnt vmcnt(0)
	v_add_f64 v[4:5], v[4:5], -v[8:9]
	v_add_f64 v[6:7], v[6:7], -v[128:129]
	scratch_store_dwordx4 off, v[4:7], off offset:80
	s_and_saveexec_b64 s[2:3], vcc
	s_cbranch_execz .LBB92_179
; %bb.178:
	scratch_load_dwordx4 v[6:9], off, s43
	v_mov_b32_e32 v3, v2
	v_mov_b32_e32 v4, v2
	;; [unrolled: 1-line block ×3, first 2 shown]
	scratch_store_dwordx4 off, v[2:5], off offset:64
	s_waitcnt vmcnt(1)
	ds_write_b128 v170, v[6:9]
.LBB92_179:
	s_or_b64 exec, exec, s[2:3]
	s_waitcnt lgkmcnt(0)
	; wave barrier
	ds_read_b128 v[16:19], v2 offset:544
	ds_read_b128 v[12:15], v2 offset:560
	;; [unrolled: 1-line block ×4, first 2 shown]
	scratch_load_dwordx4 v[20:23], off, off offset:80
	scratch_load_dwordx4 v[40:43], off, off offset:144
	;; [unrolled: 1-line block ×17, first 2 shown]
	v_cmp_lt_u32_e32 vcc, 3, v1
	scratch_load_dwordx4 v[48:51], off, off offset:160
	scratch_load_dwordx4 v[56:59], off, off offset:176
	;; [unrolled: 1-line block ×3, first 2 shown]
	ds_read_b128 v[234:237], v2 offset:880
	ds_read_b128 v[242:245], v2 offset:896
	;; [unrolled: 1-line block ×3, first 2 shown]
	s_waitcnt vmcnt(19) lgkmcnt(6)
	v_mul_f64 v[24:25], v[16:17], v[22:23]
	v_fmac_f64_e32 v[24:25], v[18:19], v[20:21]
	v_add_f64 v[28:29], v[24:25], 0
	scratch_load_dwordx4 v[24:27], off, off offset:96
	s_waitcnt vmcnt(0) lgkmcnt(5)
	v_mul_f64 v[30:31], v[12:13], v[26:27]
	v_fmac_f64_e32 v[30:31], v[14:15], v[24:25]
	v_add_f64 v[32:33], v[28:29], v[30:31]
	scratch_load_dwordx4 v[28:31], off, off offset:112
	v_mul_f64 v[14:15], v[14:15], v[26:27]
	v_fma_f64 v[12:13], v[12:13], v[24:25], -v[14:15]
	s_waitcnt vmcnt(0) lgkmcnt(4)
	v_mul_f64 v[34:35], v[8:9], v[30:31]
	v_fmac_f64_e32 v[34:35], v[10:11], v[28:29]
	v_add_f64 v[36:37], v[32:33], v[34:35]
	scratch_load_dwordx4 v[32:35], off, off offset:128
	v_mul_f64 v[10:11], v[10:11], v[30:31]
	v_fma_f64 v[8:9], v[8:9], v[28:29], -v[10:11]
	s_waitcnt vmcnt(0) lgkmcnt(3)
	v_mul_f64 v[38:39], v[4:5], v[34:35]
	v_fmac_f64_e32 v[38:39], v[6:7], v[32:33]
	v_add_f64 v[44:45], v[36:37], v[38:39]
	ds_read_b128 v[36:39], v2 offset:608
	v_mul_f64 v[6:7], v[6:7], v[34:35]
	v_fma_f64 v[4:5], v[4:5], v[32:33], -v[6:7]
	s_waitcnt lgkmcnt(0)
	v_mul_f64 v[46:47], v[36:37], v[42:43]
	v_fmac_f64_e32 v[46:47], v[38:39], v[40:41]
	v_add_f64 v[52:53], v[44:45], v[46:47]
	ds_read_b128 v[44:47], v2 offset:624
	s_waitcnt lgkmcnt(0)
	v_mul_f64 v[54:55], v[44:45], v[50:51]
	v_fmac_f64_e32 v[54:55], v[46:47], v[48:49]
	v_add_f64 v[60:61], v[52:53], v[54:55]
	ds_read_b128 v[52:55], v2 offset:640
	;; [unrolled: 5-line block ×16, first 2 shown]
	s_waitcnt lgkmcnt(0)
	v_mul_f64 v[178:179], v[166:167], v[174:175]
	v_fmac_f64_e32 v[178:179], v[168:169], v[172:173]
	v_add_f64 v[148:149], v[148:149], v[178:179]
	v_mul_f64 v[178:179], v[234:235], v[240:241]
	v_fmac_f64_e32 v[178:179], v[236:237], v[238:239]
	v_add_f64 v[148:149], v[148:149], v[178:179]
	;; [unrolled: 3-line block ×3, first 2 shown]
	scratch_load_dwordx4 v[178:181], off, off offset:448
	s_waitcnt vmcnt(0)
	v_mul_f64 v[2:3], v[250:251], v[180:181]
	v_fmac_f64_e32 v[2:3], v[252:253], v[178:179]
	v_add_f64 v[148:149], v[148:149], v[2:3]
	v_mul_f64 v[2:3], v[18:19], v[22:23]
	v_fma_f64 v[2:3], v[16:17], v[20:21], -v[2:3]
	v_add_f64 v[2:3], v[2:3], 0
	v_add_f64 v[2:3], v[2:3], v[12:13]
	;; [unrolled: 1-line block ×4, first 2 shown]
	v_mul_f64 v[4:5], v[38:39], v[42:43]
	v_fma_f64 v[4:5], v[36:37], v[40:41], -v[4:5]
	v_add_f64 v[2:3], v[2:3], v[4:5]
	v_mul_f64 v[4:5], v[46:47], v[50:51]
	v_fma_f64 v[4:5], v[44:45], v[48:49], -v[4:5]
	v_add_f64 v[2:3], v[2:3], v[4:5]
	;; [unrolled: 3-line block ×20, first 2 shown]
	scratch_load_dwordx4 v[2:5], off, off offset:64
	s_waitcnt vmcnt(0)
	v_add_f64 v[2:3], v[2:3], -v[6:7]
	v_add_f64 v[4:5], v[4:5], -v[148:149]
	scratch_store_dwordx4 off, v[2:5], off offset:64
	s_and_saveexec_b64 s[2:3], vcc
	s_cbranch_execz .LBB92_181
; %bb.180:
	scratch_load_dwordx4 v[2:5], off, s44
	v_mov_b32_e32 v6, 0
	v_mov_b32_e32 v7, v6
	;; [unrolled: 1-line block ×4, first 2 shown]
	scratch_store_dwordx4 off, v[6:9], off offset:48
	s_waitcnt vmcnt(1)
	ds_write_b128 v170, v[2:5]
.LBB92_181:
	s_or_b64 exec, exec, s[2:3]
	v_mov_b32_e32 v2, 0
	s_waitcnt lgkmcnt(0)
	; wave barrier
	ds_read_b128 v[16:19], v2 offset:528
	ds_read_b128 v[12:15], v2 offset:544
	;; [unrolled: 1-line block ×4, first 2 shown]
	scratch_load_dwordx4 v[20:23], off, off offset:64
	scratch_load_dwordx4 v[40:43], off, off offset:128
	;; [unrolled: 1-line block ×19, first 2 shown]
	v_cmp_lt_u32_e32 vcc, 2, v1
	scratch_load_dwordx4 v[48:51], off, off offset:144
	scratch_load_dwordx4 v[56:59], off, off offset:160
	;; [unrolled: 1-line block ×3, first 2 shown]
	ds_read_b128 v[238:241], v2 offset:880
	ds_read_b128 v[246:249], v2 offset:896
	s_waitcnt vmcnt(21) lgkmcnt(5)
	v_mul_f64 v[24:25], v[16:17], v[22:23]
	v_fmac_f64_e32 v[24:25], v[18:19], v[20:21]
	v_add_f64 v[28:29], v[24:25], 0
	scratch_load_dwordx4 v[24:27], off, off offset:80
	v_mul_f64 v[18:19], v[18:19], v[22:23]
	v_fma_f64 v[16:17], v[16:17], v[20:21], -v[18:19]
	v_add_f64 v[16:17], v[16:17], 0
	s_waitcnt vmcnt(0) lgkmcnt(4)
	v_mul_f64 v[30:31], v[12:13], v[26:27]
	v_fmac_f64_e32 v[30:31], v[14:15], v[24:25]
	v_add_f64 v[32:33], v[28:29], v[30:31]
	scratch_load_dwordx4 v[28:31], off, off offset:96
	v_mul_f64 v[14:15], v[14:15], v[26:27]
	v_fma_f64 v[12:13], v[12:13], v[24:25], -v[14:15]
	v_add_f64 v[12:13], v[16:17], v[12:13]
	;; [unrolled: 8-line block ×3, first 2 shown]
	s_waitcnt vmcnt(0) lgkmcnt(2)
	v_mul_f64 v[38:39], v[4:5], v[34:35]
	v_fmac_f64_e32 v[38:39], v[6:7], v[32:33]
	v_add_f64 v[44:45], v[36:37], v[38:39]
	ds_read_b128 v[36:39], v2 offset:592
	v_mul_f64 v[6:7], v[6:7], v[34:35]
	v_fma_f64 v[4:5], v[4:5], v[32:33], -v[6:7]
	v_add_f64 v[4:5], v[8:9], v[4:5]
	s_waitcnt lgkmcnt(0)
	v_mul_f64 v[46:47], v[36:37], v[42:43]
	v_fmac_f64_e32 v[46:47], v[38:39], v[40:41]
	v_add_f64 v[52:53], v[44:45], v[46:47]
	ds_read_b128 v[44:47], v2 offset:608
	v_mul_f64 v[6:7], v[38:39], v[42:43]
	v_fma_f64 v[6:7], v[36:37], v[40:41], -v[6:7]
	v_add_f64 v[4:5], v[4:5], v[6:7]
	s_waitcnt lgkmcnt(0)
	;; [unrolled: 8-line block ×18, first 2 shown]
	v_mul_f64 v[182:183], v[178:179], v[236:237]
	v_fmac_f64_e32 v[182:183], v[180:181], v[234:235]
	v_add_f64 v[144:145], v[144:145], v[182:183]
	v_mul_f64 v[182:183], v[238:239], v[244:245]
	v_fmac_f64_e32 v[182:183], v[240:241], v[242:243]
	v_add_f64 v[144:145], v[144:145], v[182:183]
	v_mul_f64 v[182:183], v[246:247], v[252:253]
	v_fmac_f64_e32 v[182:183], v[248:249], v[250:251]
	v_mul_f64 v[6:7], v[180:181], v[236:237]
	v_add_f64 v[144:145], v[144:145], v[182:183]
	ds_read_b128 v[182:185], v2 offset:912
	v_fma_f64 v[6:7], v[178:179], v[234:235], -v[6:7]
	v_add_f64 v[4:5], v[4:5], v[6:7]
	v_mul_f64 v[6:7], v[240:241], v[244:245]
	v_fma_f64 v[6:7], v[238:239], v[242:243], -v[6:7]
	v_add_f64 v[4:5], v[4:5], v[6:7]
	v_mul_f64 v[6:7], v[248:249], v[252:253]
	v_fma_f64 v[6:7], v[246:247], v[250:251], -v[6:7]
	v_add_f64 v[4:5], v[4:5], v[6:7]
	s_waitcnt lgkmcnt(0)
	v_mul_f64 v[6:7], v[184:185], v[188:189]
	v_fma_f64 v[6:7], v[182:183], v[186:187], -v[6:7]
	v_add_f64 v[8:9], v[4:5], v[6:7]
	scratch_load_dwordx4 v[4:7], off, off offset:48
	v_mul_f64 v[190:191], v[182:183], v[188:189]
	v_fmac_f64_e32 v[190:191], v[184:185], v[186:187]
	v_add_f64 v[144:145], v[144:145], v[190:191]
	s_waitcnt vmcnt(0)
	v_add_f64 v[4:5], v[4:5], -v[8:9]
	v_add_f64 v[6:7], v[6:7], -v[144:145]
	scratch_store_dwordx4 off, v[4:7], off offset:48
	s_and_saveexec_b64 s[2:3], vcc
	s_cbranch_execz .LBB92_183
; %bb.182:
	scratch_load_dwordx4 v[6:9], off, s45
	v_mov_b32_e32 v3, v2
	v_mov_b32_e32 v4, v2
	;; [unrolled: 1-line block ×3, first 2 shown]
	scratch_store_dwordx4 off, v[2:5], off offset:32
	s_waitcnt vmcnt(1)
	ds_write_b128 v170, v[6:9]
.LBB92_183:
	s_or_b64 exec, exec, s[2:3]
	s_waitcnt lgkmcnt(0)
	; wave barrier
	ds_read_b128 v[16:19], v2 offset:512
	ds_read_b128 v[12:15], v2 offset:528
	ds_read_b128 v[8:11], v2 offset:544
	ds_read_b128 v[4:7], v2 offset:560
	scratch_load_dwordx4 v[20:23], off, off offset:48
	scratch_load_dwordx4 v[40:43], off, off offset:112
	;; [unrolled: 1-line block ×20, first 2 shown]
	v_cmp_lt_u32_e32 vcc, 1, v1
	scratch_load_dwordx4 v[48:51], off, off offset:128
	scratch_load_dwordx4 v[56:59], off, off offset:144
	;; [unrolled: 1-line block ×3, first 2 shown]
	ds_read_b128 v[238:241], v2 offset:880
	ds_read_b128 v[246:249], v2 offset:896
	s_waitcnt vmcnt(22) lgkmcnt(5)
	v_mul_f64 v[24:25], v[16:17], v[22:23]
	v_fmac_f64_e32 v[24:25], v[18:19], v[20:21]
	v_add_f64 v[28:29], v[24:25], 0
	scratch_load_dwordx4 v[24:27], off, off offset:64
	s_waitcnt vmcnt(0) lgkmcnt(4)
	v_mul_f64 v[30:31], v[12:13], v[26:27]
	v_fmac_f64_e32 v[30:31], v[14:15], v[24:25]
	v_add_f64 v[32:33], v[28:29], v[30:31]
	scratch_load_dwordx4 v[28:31], off, off offset:80
	v_mul_f64 v[14:15], v[14:15], v[26:27]
	v_fma_f64 v[12:13], v[12:13], v[24:25], -v[14:15]
	s_waitcnt vmcnt(0) lgkmcnt(3)
	v_mul_f64 v[34:35], v[8:9], v[30:31]
	v_fmac_f64_e32 v[34:35], v[10:11], v[28:29]
	v_add_f64 v[36:37], v[32:33], v[34:35]
	scratch_load_dwordx4 v[32:35], off, off offset:96
	v_mul_f64 v[10:11], v[10:11], v[30:31]
	v_fma_f64 v[8:9], v[8:9], v[28:29], -v[10:11]
	s_waitcnt vmcnt(0) lgkmcnt(2)
	v_mul_f64 v[38:39], v[4:5], v[34:35]
	v_fmac_f64_e32 v[38:39], v[6:7], v[32:33]
	v_add_f64 v[44:45], v[36:37], v[38:39]
	ds_read_b128 v[36:39], v2 offset:576
	v_mul_f64 v[6:7], v[6:7], v[34:35]
	v_fma_f64 v[4:5], v[4:5], v[32:33], -v[6:7]
	s_waitcnt lgkmcnt(0)
	v_mul_f64 v[46:47], v[36:37], v[42:43]
	v_fmac_f64_e32 v[46:47], v[38:39], v[40:41]
	v_add_f64 v[52:53], v[44:45], v[46:47]
	ds_read_b128 v[44:47], v2 offset:592
	s_waitcnt lgkmcnt(0)
	v_mul_f64 v[54:55], v[44:45], v[50:51]
	v_fmac_f64_e32 v[54:55], v[46:47], v[48:49]
	v_add_f64 v[60:61], v[52:53], v[54:55]
	ds_read_b128 v[52:55], v2 offset:608
	;; [unrolled: 5-line block ×18, first 2 shown]
	s_waitcnt lgkmcnt(0)
	v_mul_f64 v[190:191], v[186:187], v[236:237]
	v_fmac_f64_e32 v[190:191], v[188:189], v[234:235]
	v_add_f64 v[168:169], v[168:169], v[190:191]
	v_mul_f64 v[190:191], v[238:239], v[244:245]
	v_fmac_f64_e32 v[190:191], v[240:241], v[242:243]
	v_add_f64 v[168:169], v[168:169], v[190:191]
	;; [unrolled: 3-line block ×3, first 2 shown]
	ds_read_b128 v[190:193], v2 offset:912
	s_waitcnt lgkmcnt(0)
	v_mul_f64 v[2:3], v[190:191], v[196:197]
	v_fmac_f64_e32 v[2:3], v[192:193], v[194:195]
	v_add_f64 v[168:169], v[168:169], v[2:3]
	v_mul_f64 v[2:3], v[18:19], v[22:23]
	v_fma_f64 v[2:3], v[16:17], v[20:21], -v[2:3]
	v_add_f64 v[2:3], v[2:3], 0
	v_add_f64 v[2:3], v[2:3], v[12:13]
	;; [unrolled: 1-line block ×4, first 2 shown]
	v_mul_f64 v[4:5], v[38:39], v[42:43]
	v_fma_f64 v[4:5], v[36:37], v[40:41], -v[4:5]
	v_add_f64 v[2:3], v[2:3], v[4:5]
	v_mul_f64 v[4:5], v[46:47], v[50:51]
	v_fma_f64 v[4:5], v[44:45], v[48:49], -v[4:5]
	v_add_f64 v[2:3], v[2:3], v[4:5]
	;; [unrolled: 3-line block ×22, first 2 shown]
	scratch_load_dwordx4 v[2:5], off, off offset:32
	s_waitcnt vmcnt(0)
	v_add_f64 v[2:3], v[2:3], -v[6:7]
	v_add_f64 v[4:5], v[4:5], -v[168:169]
	scratch_store_dwordx4 off, v[2:5], off offset:32
	s_and_saveexec_b64 s[2:3], vcc
	s_cbranch_execz .LBB92_185
; %bb.184:
	scratch_load_dwordx4 v[2:5], off, s46
	v_mov_b32_e32 v6, 0
	v_mov_b32_e32 v7, v6
	;; [unrolled: 1-line block ×4, first 2 shown]
	scratch_store_dwordx4 off, v[6:9], off offset:16
	s_waitcnt vmcnt(1)
	ds_write_b128 v170, v[2:5]
.LBB92_185:
	s_or_b64 exec, exec, s[2:3]
	v_mov_b32_e32 v2, 0
	s_waitcnt lgkmcnt(0)
	; wave barrier
	ds_read_b128 v[16:19], v2 offset:496
	ds_read_b128 v[12:15], v2 offset:512
	;; [unrolled: 1-line block ×4, first 2 shown]
	scratch_load_dwordx4 v[20:23], off, off offset:32
	scratch_load_dwordx4 v[40:43], off, off offset:96
	;; [unrolled: 1-line block ×21, first 2 shown]
	v_cmp_ne_u32_e32 vcc, 0, v1
	scratch_load_dwordx4 v[48:51], off, off offset:112
	scratch_load_dwordx4 v[56:59], off, off offset:128
	;; [unrolled: 1-line block ×3, first 2 shown]
	ds_read_b128 v[238:241], v2 offset:880
	ds_read_b128 v[246:249], v2 offset:896
	s_waitcnt vmcnt(23) lgkmcnt(5)
	v_mul_f64 v[24:25], v[16:17], v[22:23]
	v_fmac_f64_e32 v[24:25], v[18:19], v[20:21]
	v_add_f64 v[28:29], v[24:25], 0
	scratch_load_dwordx4 v[24:27], off, off offset:48
	v_mul_f64 v[18:19], v[18:19], v[22:23]
	v_fma_f64 v[16:17], v[16:17], v[20:21], -v[18:19]
	v_add_f64 v[16:17], v[16:17], 0
	s_waitcnt vmcnt(0) lgkmcnt(4)
	v_mul_f64 v[30:31], v[12:13], v[26:27]
	v_fmac_f64_e32 v[30:31], v[14:15], v[24:25]
	v_add_f64 v[32:33], v[28:29], v[30:31]
	scratch_load_dwordx4 v[28:31], off, off offset:64
	v_mul_f64 v[14:15], v[14:15], v[26:27]
	v_fma_f64 v[12:13], v[12:13], v[24:25], -v[14:15]
	v_add_f64 v[12:13], v[16:17], v[12:13]
	;; [unrolled: 8-line block ×3, first 2 shown]
	s_waitcnt vmcnt(0) lgkmcnt(2)
	v_mul_f64 v[38:39], v[4:5], v[34:35]
	v_fmac_f64_e32 v[38:39], v[6:7], v[32:33]
	v_add_f64 v[44:45], v[36:37], v[38:39]
	ds_read_b128 v[36:39], v2 offset:560
	v_mul_f64 v[6:7], v[6:7], v[34:35]
	v_fma_f64 v[4:5], v[4:5], v[32:33], -v[6:7]
	v_add_f64 v[4:5], v[8:9], v[4:5]
	s_waitcnt lgkmcnt(0)
	v_mul_f64 v[46:47], v[36:37], v[42:43]
	v_fmac_f64_e32 v[46:47], v[38:39], v[40:41]
	v_add_f64 v[52:53], v[44:45], v[46:47]
	ds_read_b128 v[44:47], v2 offset:576
	v_mul_f64 v[6:7], v[38:39], v[42:43]
	v_fma_f64 v[6:7], v[36:37], v[40:41], -v[6:7]
	v_add_f64 v[4:5], v[4:5], v[6:7]
	s_waitcnt lgkmcnt(0)
	;; [unrolled: 8-line block ×20, first 2 shown]
	v_mul_f64 v[198:199], v[194:195], v[236:237]
	v_fmac_f64_e32 v[198:199], v[196:197], v[234:235]
	v_add_f64 v[160:161], v[160:161], v[198:199]
	v_mul_f64 v[198:199], v[238:239], v[244:245]
	v_fmac_f64_e32 v[198:199], v[240:241], v[242:243]
	v_add_f64 v[160:161], v[160:161], v[198:199]
	v_mul_f64 v[198:199], v[246:247], v[252:253]
	v_fmac_f64_e32 v[198:199], v[248:249], v[250:251]
	v_mul_f64 v[6:7], v[196:197], v[236:237]
	v_add_f64 v[160:161], v[160:161], v[198:199]
	ds_read_b128 v[198:201], v2 offset:912
	v_fma_f64 v[6:7], v[194:195], v[234:235], -v[6:7]
	v_add_f64 v[4:5], v[4:5], v[6:7]
	v_mul_f64 v[6:7], v[240:241], v[244:245]
	v_fma_f64 v[6:7], v[238:239], v[242:243], -v[6:7]
	v_add_f64 v[4:5], v[4:5], v[6:7]
	v_mul_f64 v[6:7], v[248:249], v[252:253]
	v_fma_f64 v[6:7], v[246:247], v[250:251], -v[6:7]
	v_add_f64 v[4:5], v[4:5], v[6:7]
	s_waitcnt lgkmcnt(0)
	v_mul_f64 v[6:7], v[200:201], v[204:205]
	v_fma_f64 v[6:7], v[198:199], v[202:203], -v[6:7]
	v_add_f64 v[8:9], v[4:5], v[6:7]
	scratch_load_dwordx4 v[4:7], off, off offset:16
	v_mul_f64 v[206:207], v[198:199], v[204:205]
	v_fmac_f64_e32 v[206:207], v[200:201], v[202:203]
	v_add_f64 v[160:161], v[160:161], v[206:207]
	s_waitcnt vmcnt(0)
	v_add_f64 v[4:5], v[4:5], -v[8:9]
	v_add_f64 v[6:7], v[6:7], -v[160:161]
	scratch_store_dwordx4 off, v[4:7], off offset:16
	s_and_saveexec_b64 s[2:3], vcc
	s_cbranch_execz .LBB92_187
; %bb.186:
	scratch_load_dwordx4 v[6:9], off, off
	v_mov_b32_e32 v3, v2
	v_mov_b32_e32 v4, v2
	;; [unrolled: 1-line block ×3, first 2 shown]
	scratch_store_dwordx4 off, v[2:5], off
	s_waitcnt vmcnt(1)
	ds_write_b128 v170, v[6:9]
.LBB92_187:
	s_or_b64 exec, exec, s[2:3]
	s_waitcnt lgkmcnt(0)
	; wave barrier
	ds_read_b128 v[16:19], v2 offset:480
	ds_read_b128 v[12:15], v2 offset:496
	;; [unrolled: 1-line block ×4, first 2 shown]
	scratch_load_dwordx4 v[20:23], off, off offset:16
	scratch_load_dwordx4 v[40:43], off, off offset:80
	;; [unrolled: 1-line block ×21, first 2 shown]
	s_and_b64 vcc, exec, s[14:15]
	scratch_load_dwordx4 v[48:51], off, off offset:96
	scratch_load_dwordx4 v[56:59], off, off offset:112
	scratch_load_dwordx4 v[64:67], off, off offset:128
	ds_read_b128 v[236:239], v2 offset:880
	ds_read_b128 v[244:247], v2 offset:896
	;; [unrolled: 1-line block ×3, first 2 shown]
	s_waitcnt vmcnt(23) lgkmcnt(6)
	v_mul_f64 v[24:25], v[16:17], v[22:23]
	v_fmac_f64_e32 v[24:25], v[18:19], v[20:21]
	v_add_f64 v[28:29], v[24:25], 0
	scratch_load_dwordx4 v[24:27], off, off offset:32
	s_waitcnt vmcnt(0) lgkmcnt(5)
	v_mul_f64 v[30:31], v[12:13], v[26:27]
	v_fmac_f64_e32 v[30:31], v[14:15], v[24:25]
	v_add_f64 v[32:33], v[28:29], v[30:31]
	scratch_load_dwordx4 v[28:31], off, off offset:48
	v_mul_f64 v[14:15], v[14:15], v[26:27]
	v_fma_f64 v[12:13], v[12:13], v[24:25], -v[14:15]
	s_waitcnt vmcnt(0) lgkmcnt(4)
	v_mul_f64 v[34:35], v[8:9], v[30:31]
	v_fmac_f64_e32 v[34:35], v[10:11], v[28:29]
	v_add_f64 v[36:37], v[32:33], v[34:35]
	scratch_load_dwordx4 v[32:35], off, off offset:64
	v_mul_f64 v[10:11], v[10:11], v[30:31]
	v_fma_f64 v[8:9], v[8:9], v[28:29], -v[10:11]
	s_waitcnt vmcnt(0) lgkmcnt(3)
	v_mul_f64 v[38:39], v[4:5], v[34:35]
	v_fmac_f64_e32 v[38:39], v[6:7], v[32:33]
	v_add_f64 v[44:45], v[36:37], v[38:39]
	ds_read_b128 v[36:39], v2 offset:544
	v_mul_f64 v[6:7], v[6:7], v[34:35]
	v_fma_f64 v[4:5], v[4:5], v[32:33], -v[6:7]
	s_waitcnt lgkmcnt(0)
	v_mul_f64 v[46:47], v[36:37], v[42:43]
	v_fmac_f64_e32 v[46:47], v[38:39], v[40:41]
	v_add_f64 v[52:53], v[44:45], v[46:47]
	ds_read_b128 v[44:47], v2 offset:560
	s_waitcnt lgkmcnt(0)
	v_mul_f64 v[54:55], v[44:45], v[50:51]
	v_fmac_f64_e32 v[54:55], v[46:47], v[48:49]
	v_add_f64 v[60:61], v[52:53], v[54:55]
	ds_read_b128 v[52:55], v2 offset:576
	;; [unrolled: 5-line block ×20, first 2 shown]
	s_waitcnt lgkmcnt(0)
	v_mul_f64 v[208:209], v[198:199], v[204:205]
	v_fmac_f64_e32 v[208:209], v[200:201], v[202:203]
	v_add_f64 v[206:207], v[206:207], v[208:209]
	v_mul_f64 v[208:209], v[236:237], v[242:243]
	v_fmac_f64_e32 v[208:209], v[238:239], v[240:241]
	v_add_f64 v[206:207], v[206:207], v[208:209]
	;; [unrolled: 3-line block ×3, first 2 shown]
	scratch_load_dwordx4 v[206:209], off, off offset:448
	s_waitcnt vmcnt(0)
	v_mul_f64 v[2:3], v[252:253], v[208:209]
	v_fmac_f64_e32 v[2:3], v[254:255], v[206:207]
	v_add_f64 v[234:235], v[234:235], v[2:3]
	v_mul_f64 v[2:3], v[18:19], v[22:23]
	v_fma_f64 v[2:3], v[16:17], v[20:21], -v[2:3]
	v_add_f64 v[2:3], v[2:3], 0
	v_add_f64 v[2:3], v[2:3], v[12:13]
	;; [unrolled: 1-line block ×4, first 2 shown]
	v_mul_f64 v[4:5], v[38:39], v[42:43]
	v_fma_f64 v[4:5], v[36:37], v[40:41], -v[4:5]
	v_add_f64 v[2:3], v[2:3], v[4:5]
	v_mul_f64 v[4:5], v[46:47], v[50:51]
	v_fma_f64 v[4:5], v[44:45], v[48:49], -v[4:5]
	v_add_f64 v[2:3], v[2:3], v[4:5]
	;; [unrolled: 3-line block ×24, first 2 shown]
	scratch_load_dwordx4 v[2:5], off, off
	s_waitcnt vmcnt(0)
	v_add_f64 v[2:3], v[2:3], -v[6:7]
	v_add_f64 v[4:5], v[4:5], -v[234:235]
	scratch_store_dwordx4 off, v[2:5], off
	s_cbranch_vccz .LBB92_244
; %bb.188:
	s_nop 0
	v_mov_b32_e32 v2, 0
	global_load_dword v3, v2, s[12:13] offset:108
	s_load_dwordx2 s[2:3], s[0:1], 0x4
	v_bfe_u32 v4, v0, 10, 10
	v_bfe_u32 v0, v0, 20, 10
	s_waitcnt lgkmcnt(0)
	s_lshr_b32 s0, s2, 16
	s_mul_i32 s0, s0, s3
	v_mul_u32_u24_e32 v1, s0, v1
	v_mul_u32_u24_e32 v4, s3, v4
	v_add3_u32 v0, v1, v4, v0
	v_mov_b32_e32 v1, 0x3a8
	v_lshl_add_u32 v0, v0, 4, v1
	s_waitcnt vmcnt(0)
	v_readfirstlane_b32 s0, v3
	s_add_i32 s0, s0, -1
	s_cmp_lg_u32 s0, 27
	s_cbranch_scc0 .LBB92_190
; %bb.189:
	s_lshl_b32 s0, s0, 4
	scratch_load_dwordx4 v[4:7], off, s19
	scratch_load_dwordx4 v[8:11], off, s0
	s_waitcnt vmcnt(1)
	ds_write2_b64 v0, v[4:5], v[6:7] offset1:1
	s_waitcnt vmcnt(0)
	scratch_store_dwordx4 off, v[8:11], s19
	scratch_store_dwordx4 off, v[4:7], s0
.LBB92_190:
	global_load_dword v1, v2, s[12:13] offset:104
	s_waitcnt vmcnt(0)
	v_readfirstlane_b32 s0, v1
	s_add_i32 s0, s0, -1
	s_cmp_eq_u32 s0, 26
	s_cbranch_scc1 .LBB92_192
; %bb.191:
	s_lshl_b32 s0, s0, 4
	scratch_load_dwordx4 v[2:5], off, s20
	scratch_load_dwordx4 v[6:9], off, s0
	s_waitcnt vmcnt(1)
	ds_write2_b64 v0, v[2:3], v[4:5] offset1:1
	s_waitcnt vmcnt(0)
	scratch_store_dwordx4 off, v[6:9], s20
	scratch_store_dwordx4 off, v[2:5], s0
.LBB92_192:
	v_mov_b32_e32 v1, 0
	global_load_dword v2, v1, s[12:13] offset:100
	s_waitcnt vmcnt(0)
	v_readfirstlane_b32 s0, v2
	s_add_i32 s0, s0, -1
	s_cmp_eq_u32 s0, 25
	s_cbranch_scc1 .LBB92_194
; %bb.193:
	s_lshl_b32 s0, s0, 4
	scratch_load_dwordx4 v[2:5], off, s21
	scratch_load_dwordx4 v[6:9], off, s0
	s_waitcnt vmcnt(1)
	ds_write2_b64 v0, v[2:3], v[4:5] offset1:1
	s_waitcnt vmcnt(0)
	scratch_store_dwordx4 off, v[6:9], s21
	scratch_store_dwordx4 off, v[2:5], s0
.LBB92_194:
	global_load_dword v1, v1, s[12:13] offset:96
	s_waitcnt vmcnt(0)
	v_readfirstlane_b32 s0, v1
	s_add_i32 s0, s0, -1
	s_cmp_eq_u32 s0, 24
	s_cbranch_scc1 .LBB92_196
; %bb.195:
	s_lshl_b32 s0, s0, 4
	scratch_load_dwordx4 v[2:5], off, s22
	scratch_load_dwordx4 v[6:9], off, s0
	s_waitcnt vmcnt(1)
	ds_write2_b64 v0, v[2:3], v[4:5] offset1:1
	s_waitcnt vmcnt(0)
	scratch_store_dwordx4 off, v[6:9], s22
	scratch_store_dwordx4 off, v[2:5], s0
.LBB92_196:
	v_mov_b32_e32 v1, 0
	global_load_dword v2, v1, s[12:13] offset:92
	s_waitcnt vmcnt(0)
	v_readfirstlane_b32 s0, v2
	s_add_i32 s0, s0, -1
	s_cmp_eq_u32 s0, 23
	s_cbranch_scc1 .LBB92_198
; %bb.197:
	s_lshl_b32 s0, s0, 4
	scratch_load_dwordx4 v[2:5], off, s23
	scratch_load_dwordx4 v[6:9], off, s0
	s_waitcnt vmcnt(1)
	ds_write2_b64 v0, v[2:3], v[4:5] offset1:1
	s_waitcnt vmcnt(0)
	scratch_store_dwordx4 off, v[6:9], s23
	scratch_store_dwordx4 off, v[2:5], s0
.LBB92_198:
	;; [unrolled: 33-line block ×13, first 2 shown]
	global_load_dword v1, v1, s[12:13]
	s_waitcnt vmcnt(0)
	v_readfirstlane_b32 s0, v1
	s_add_i32 s0, s0, -1
	s_cmp_eq_u32 s0, 0
	s_cbranch_scc1 .LBB92_244
; %bb.243:
	s_lshl_b32 s0, s0, 4
	scratch_load_dwordx4 v[2:5], off, off
	scratch_load_dwordx4 v[6:9], off, s0
	s_waitcnt vmcnt(1)
	ds_write2_b64 v0, v[2:3], v[4:5] offset1:1
	s_waitcnt vmcnt(0)
	scratch_store_dwordx4 off, v[6:9], off
	scratch_store_dwordx4 off, v[2:5], s0
.LBB92_244:
	scratch_load_dwordx4 v[0:3], off, off
	s_nop 0
	v_accvgpr_read_b32 v5, a1
	v_accvgpr_read_b32 v4, a0
	s_waitcnt vmcnt(0)
	flat_store_dwordx4 v[176:177], v[0:3]
	scratch_load_dwordx4 v[0:3], off, s46
	s_waitcnt vmcnt(0)
	flat_store_dwordx4 v[4:5], v[0:3]
	scratch_load_dwordx4 v[0:3], off, s45
	v_accvgpr_read_b32 v5, a3
	v_accvgpr_read_b32 v4, a2
	s_waitcnt vmcnt(0)
	flat_store_dwordx4 v[4:5], v[0:3]
	scratch_load_dwordx4 v[0:3], off, s44
	v_accvgpr_read_b32 v4, a4
	v_accvgpr_read_b32 v5, a5
	;; [unrolled: 5-line block ×15, first 2 shown]
	s_waitcnt vmcnt(0)
	flat_store_dwordx4 v[4:5], v[0:3]
	scratch_load_dwordx4 v[0:3], off, s29
	s_waitcnt vmcnt(0)
	flat_store_dwordx4 v[210:211], v[0:3]
	scratch_load_dwordx4 v[0:3], off, s28
	;; [unrolled: 3-line block ×12, first 2 shown]
	s_waitcnt vmcnt(0)
	flat_store_dwordx4 v[232:233], v[0:3]
	s_endpgm
	.section	.rodata,"a",@progbits
	.p2align	6, 0x0
	.amdhsa_kernel _ZN9rocsolver6v33100L18getri_kernel_smallILi29E19rocblas_complex_numIdEPKPS3_EEvT1_iilPiilS8_bb
		.amdhsa_group_segment_fixed_size 1960
		.amdhsa_private_segment_fixed_size 480
		.amdhsa_kernarg_size 60
		.amdhsa_user_sgpr_count 4
		.amdhsa_user_sgpr_dispatch_ptr 1
		.amdhsa_user_sgpr_queue_ptr 0
		.amdhsa_user_sgpr_kernarg_segment_ptr 1
		.amdhsa_user_sgpr_dispatch_id 0
		.amdhsa_user_sgpr_kernarg_preload_length 0
		.amdhsa_user_sgpr_kernarg_preload_offset 0
		.amdhsa_user_sgpr_private_segment_size 0
		.amdhsa_uses_dynamic_stack 0
		.amdhsa_enable_private_segment 1
		.amdhsa_system_sgpr_workgroup_id_x 1
		.amdhsa_system_sgpr_workgroup_id_y 0
		.amdhsa_system_sgpr_workgroup_id_z 0
		.amdhsa_system_sgpr_workgroup_info 0
		.amdhsa_system_vgpr_workitem_id 2
		.amdhsa_next_free_vgpr 288
		.amdhsa_next_free_sgpr 55
		.amdhsa_accum_offset 256
		.amdhsa_reserve_vcc 1
		.amdhsa_float_round_mode_32 0
		.amdhsa_float_round_mode_16_64 0
		.amdhsa_float_denorm_mode_32 3
		.amdhsa_float_denorm_mode_16_64 3
		.amdhsa_dx10_clamp 1
		.amdhsa_ieee_mode 1
		.amdhsa_fp16_overflow 0
		.amdhsa_tg_split 0
		.amdhsa_exception_fp_ieee_invalid_op 0
		.amdhsa_exception_fp_denorm_src 0
		.amdhsa_exception_fp_ieee_div_zero 0
		.amdhsa_exception_fp_ieee_overflow 0
		.amdhsa_exception_fp_ieee_underflow 0
		.amdhsa_exception_fp_ieee_inexact 0
		.amdhsa_exception_int_div_zero 0
	.end_amdhsa_kernel
	.section	.text._ZN9rocsolver6v33100L18getri_kernel_smallILi29E19rocblas_complex_numIdEPKPS3_EEvT1_iilPiilS8_bb,"axG",@progbits,_ZN9rocsolver6v33100L18getri_kernel_smallILi29E19rocblas_complex_numIdEPKPS3_EEvT1_iilPiilS8_bb,comdat
.Lfunc_end92:
	.size	_ZN9rocsolver6v33100L18getri_kernel_smallILi29E19rocblas_complex_numIdEPKPS3_EEvT1_iilPiilS8_bb, .Lfunc_end92-_ZN9rocsolver6v33100L18getri_kernel_smallILi29E19rocblas_complex_numIdEPKPS3_EEvT1_iilPiilS8_bb
                                        ; -- End function
	.set _ZN9rocsolver6v33100L18getri_kernel_smallILi29E19rocblas_complex_numIdEPKPS3_EEvT1_iilPiilS8_bb.num_vgpr, 256
	.set _ZN9rocsolver6v33100L18getri_kernel_smallILi29E19rocblas_complex_numIdEPKPS3_EEvT1_iilPiilS8_bb.num_agpr, 32
	.set _ZN9rocsolver6v33100L18getri_kernel_smallILi29E19rocblas_complex_numIdEPKPS3_EEvT1_iilPiilS8_bb.numbered_sgpr, 55
	.set _ZN9rocsolver6v33100L18getri_kernel_smallILi29E19rocblas_complex_numIdEPKPS3_EEvT1_iilPiilS8_bb.num_named_barrier, 0
	.set _ZN9rocsolver6v33100L18getri_kernel_smallILi29E19rocblas_complex_numIdEPKPS3_EEvT1_iilPiilS8_bb.private_seg_size, 480
	.set _ZN9rocsolver6v33100L18getri_kernel_smallILi29E19rocblas_complex_numIdEPKPS3_EEvT1_iilPiilS8_bb.uses_vcc, 1
	.set _ZN9rocsolver6v33100L18getri_kernel_smallILi29E19rocblas_complex_numIdEPKPS3_EEvT1_iilPiilS8_bb.uses_flat_scratch, 0
	.set _ZN9rocsolver6v33100L18getri_kernel_smallILi29E19rocblas_complex_numIdEPKPS3_EEvT1_iilPiilS8_bb.has_dyn_sized_stack, 0
	.set _ZN9rocsolver6v33100L18getri_kernel_smallILi29E19rocblas_complex_numIdEPKPS3_EEvT1_iilPiilS8_bb.has_recursion, 0
	.set _ZN9rocsolver6v33100L18getri_kernel_smallILi29E19rocblas_complex_numIdEPKPS3_EEvT1_iilPiilS8_bb.has_indirect_call, 0
	.section	.AMDGPU.csdata,"",@progbits
; Kernel info:
; codeLenInByte = 40384
; TotalNumSgprs: 61
; NumVgprs: 256
; NumAgprs: 32
; TotalNumVgprs: 288
; ScratchSize: 480
; MemoryBound: 0
; FloatMode: 240
; IeeeMode: 1
; LDSByteSize: 1960 bytes/workgroup (compile time only)
; SGPRBlocks: 7
; VGPRBlocks: 35
; NumSGPRsForWavesPerEU: 61
; NumVGPRsForWavesPerEU: 288
; AccumOffset: 256
; Occupancy: 1
; WaveLimiterHint : 1
; COMPUTE_PGM_RSRC2:SCRATCH_EN: 1
; COMPUTE_PGM_RSRC2:USER_SGPR: 4
; COMPUTE_PGM_RSRC2:TRAP_HANDLER: 0
; COMPUTE_PGM_RSRC2:TGID_X_EN: 1
; COMPUTE_PGM_RSRC2:TGID_Y_EN: 0
; COMPUTE_PGM_RSRC2:TGID_Z_EN: 0
; COMPUTE_PGM_RSRC2:TIDIG_COMP_CNT: 2
; COMPUTE_PGM_RSRC3_GFX90A:ACCUM_OFFSET: 63
; COMPUTE_PGM_RSRC3_GFX90A:TG_SPLIT: 0
	.section	.text._ZN9rocsolver6v33100L18getri_kernel_smallILi30E19rocblas_complex_numIdEPKPS3_EEvT1_iilPiilS8_bb,"axG",@progbits,_ZN9rocsolver6v33100L18getri_kernel_smallILi30E19rocblas_complex_numIdEPKPS3_EEvT1_iilPiilS8_bb,comdat
	.globl	_ZN9rocsolver6v33100L18getri_kernel_smallILi30E19rocblas_complex_numIdEPKPS3_EEvT1_iilPiilS8_bb ; -- Begin function _ZN9rocsolver6v33100L18getri_kernel_smallILi30E19rocblas_complex_numIdEPKPS3_EEvT1_iilPiilS8_bb
	.p2align	8
	.type	_ZN9rocsolver6v33100L18getri_kernel_smallILi30E19rocblas_complex_numIdEPKPS3_EEvT1_iilPiilS8_bb,@function
_ZN9rocsolver6v33100L18getri_kernel_smallILi30E19rocblas_complex_numIdEPKPS3_EEvT1_iilPiilS8_bb: ; @_ZN9rocsolver6v33100L18getri_kernel_smallILi30E19rocblas_complex_numIdEPKPS3_EEvT1_iilPiilS8_bb
; %bb.0:
	v_and_b32_e32 v1, 0x3ff, v0
	v_cmp_gt_u32_e32 vcc, 30, v1
	s_and_saveexec_b64 s[6:7], vcc
	s_cbranch_execz .LBB93_134
; %bb.1:
	s_load_dword s18, s[2:3], 0x38
	s_load_dwordx2 s[6:7], s[2:3], 0x0
	s_load_dwordx4 s[8:11], s[2:3], 0x28
	s_waitcnt lgkmcnt(0)
	s_bitcmp1_b32 s18, 8
	s_cselect_b64 s[14:15], -1, 0
	s_ashr_i32 s5, s4, 31
	s_lshl_b64 s[12:13], s[4:5], 3
	s_add_u32 s6, s6, s12
	s_addc_u32 s7, s7, s13
	s_load_dwordx2 s[16:17], s[6:7], 0x0
	s_bfe_u32 s6, s18, 0x10008
	s_cmp_eq_u32 s6, 0
                                        ; implicit-def: $sgpr12_sgpr13
	s_cbranch_scc1 .LBB93_3
; %bb.2:
	s_load_dword s6, s[2:3], 0x20
	s_load_dwordx2 s[12:13], s[2:3], 0x18
	s_mul_i32 s7, s8, s5
	s_mul_hi_u32 s18, s8, s4
	s_add_i32 s18, s18, s7
	s_mul_i32 s9, s9, s4
	s_add_i32 s9, s18, s9
	s_mul_i32 s8, s8, s4
	s_waitcnt lgkmcnt(0)
	s_ashr_i32 s7, s6, 31
	s_lshl_b64 s[8:9], s[8:9], 2
	s_add_u32 s8, s12, s8
	s_addc_u32 s9, s13, s9
	s_lshl_b64 s[6:7], s[6:7], 2
	s_add_u32 s12, s8, s6
	s_addc_u32 s13, s9, s7
.LBB93_3:
	s_load_dwordx2 s[6:7], s[2:3], 0x8
	s_load_dword s8, s[2:3], 0x38
	v_lshlrev_b32_e32 v14, 4, v1
	v_mov_b32_e32 v15, 0
	s_movk_i32 s48, 0x150
	s_waitcnt lgkmcnt(0)
	s_ashr_i32 s3, s6, 31
	s_mov_b32 s2, s6
	s_lshl_b64 s[2:3], s[2:3], 4
	s_add_u32 s2, s16, s2
	s_addc_u32 s3, s17, s3
	v_lshl_add_u64 v[176:177], s[2:3], 0, v[14:15]
	flat_load_dwordx4 v[2:5], v[176:177]
	s_mov_b32 s16, s7
	s_ashr_i32 s17, s7, 31
	v_lshl_add_u64 v[6:7], s[16:17], 4, v[176:177]
	v_accvgpr_write_b32 a0, v6
	s_add_i32 s6, s7, s7
	v_accvgpr_write_b32 a1, v7
	s_movk_i32 s49, 0x160
	s_movk_i32 s50, 0x170
	;; [unrolled: 1-line block ×24, first 2 shown]
	s_mov_b32 s47, 16
	s_mov_b32 s46, 32
	s_mov_b32 s45, 48
	s_mov_b32 s44, 64
	s_mov_b32 s26, s48
	s_mov_b32 s25, s49
	s_mov_b32 s24, s50
	s_mov_b32 s23, s51
	s_mov_b32 s22, s52
	s_mov_b32 s21, s53
	s_mov_b32 s20, s54
	s_mov_b32 s19, s55
	s_mov_b32 s18, s56
	s_bitcmp0_b32 s8, 0
	s_waitcnt vmcnt(0) lgkmcnt(0)
	scratch_store_dwordx4 off, v[2:5], off
	flat_load_dwordx4 v[2:5], v[6:7]
	v_add_u32_e32 v6, s6, v1
	v_ashrrev_i32_e32 v7, 31, v6
	v_lshl_add_u64 v[8:9], v[6:7], 4, s[2:3]
	v_add_u32_e32 v6, s7, v6
	v_accvgpr_write_b32 a2, v8
	v_ashrrev_i32_e32 v7, 31, v6
	v_accvgpr_write_b32 a3, v9
	s_waitcnt vmcnt(0) lgkmcnt(0)
	scratch_store_dwordx4 off, v[2:5], off offset:16
	flat_load_dwordx4 v[2:5], v[8:9]
	v_lshl_add_u64 v[8:9], v[6:7], 4, s[2:3]
	v_add_u32_e32 v6, s7, v6
	v_accvgpr_write_b32 a4, v8
	v_ashrrev_i32_e32 v7, 31, v6
	v_accvgpr_write_b32 a5, v9
	s_waitcnt vmcnt(0) lgkmcnt(0)
	scratch_store_dwordx4 off, v[2:5], off offset:32
	flat_load_dwordx4 v[2:5], v[8:9]
	;; [unrolled: 8-line block ×20, first 2 shown]
	v_lshl_add_u64 v[8:9], v[6:7], 4, s[2:3]
	v_add_u32_e32 v6, s7, v6
	v_ashrrev_i32_e32 v7, 31, v6
	v_lshl_add_u64 v[222:223], v[6:7], 4, s[2:3]
	v_add_u32_e32 v6, s7, v6
	v_ashrrev_i32_e32 v7, 31, v6
	v_lshl_add_u64 v[224:225], v[6:7], 4, s[2:3]
	v_add_u32_e32 v6, s7, v6
	v_ashrrev_i32_e32 v7, 31, v6
	v_lshl_add_u64 v[226:227], v[6:7], 4, s[2:3]
	v_add_u32_e32 v6, s7, v6
	v_ashrrev_i32_e32 v7, 31, v6
	v_lshl_add_u64 v[228:229], v[6:7], 4, s[2:3]
	v_add_u32_e32 v6, s7, v6
	v_ashrrev_i32_e32 v7, 31, v6
	v_lshl_add_u64 v[230:231], v[6:7], 4, s[2:3]
	v_add_u32_e32 v6, s7, v6
	v_ashrrev_i32_e32 v7, 31, v6
	v_lshl_add_u64 v[232:233], v[6:7], 4, s[2:3]
	v_add_u32_e32 v6, s7, v6
	v_ashrrev_i32_e32 v7, 31, v6
	v_lshl_add_u64 v[234:235], v[6:7], 4, s[2:3]
	v_accvgpr_write_b32 a43, v9
	v_accvgpr_write_b32 a42, v8
	s_mov_b64 s[6:7], -1
	s_waitcnt vmcnt(0) lgkmcnt(0)
	scratch_store_dwordx4 off, v[2:5], off offset:336
	flat_load_dwordx4 v[2:5], v[8:9]
	s_waitcnt vmcnt(0) lgkmcnt(0)
	scratch_store_dwordx4 off, v[2:5], off offset:352
	flat_load_dwordx4 v[2:5], v[222:223]
	;; [unrolled: 3-line block ×8, first 2 shown]
	s_waitcnt vmcnt(0) lgkmcnt(0)
	scratch_store_dwordx4 off, v[2:5], off offset:464
	s_cbranch_scc1 .LBB93_132
; %bb.4:
	v_cmp_eq_u32_e64 s[2:3], 0, v1
	s_and_saveexec_b64 s[6:7], s[2:3]
; %bb.5:
	v_mov_b32_e32 v2, 0
	ds_write_b32 v2, v2 offset:960
; %bb.6:
	s_or_b64 exec, exec, s[6:7]
	s_waitcnt lgkmcnt(0)
	; wave barrier
	scratch_load_dwordx4 v[2:5], v14, off
	s_waitcnt vmcnt(0)
	v_cmp_eq_f64_e32 vcc, 0, v[2:3]
	v_cmp_eq_f64_e64 s[6:7], 0, v[4:5]
	s_and_b64 s[6:7], vcc, s[6:7]
	s_and_saveexec_b64 s[8:9], s[6:7]
	s_cbranch_execz .LBB93_10
; %bb.7:
	v_mov_b32_e32 v2, 0
	ds_read_b32 v4, v2 offset:960
	v_add_u32_e32 v3, 1, v1
	s_waitcnt lgkmcnt(0)
	v_readfirstlane_b32 s6, v4
	s_cmp_eq_u32 s6, 0
	s_cselect_b64 s[16:17], -1, 0
	v_cmp_gt_i32_e32 vcc, s6, v3
	s_or_b64 s[16:17], s[16:17], vcc
	s_and_b64 exec, exec, s[16:17]
	s_cbranch_execz .LBB93_10
; %bb.8:
	s_mov_b64 s[16:17], 0
	v_mov_b32_e32 v4, s6
.LBB93_9:                               ; =>This Inner Loop Header: Depth=1
	ds_cmpst_rtn_b32 v4, v2, v4, v3 offset:960
	s_waitcnt lgkmcnt(0)
	v_cmp_ne_u32_e32 vcc, 0, v4
	v_cmp_le_i32_e64 s[6:7], v4, v3
	s_and_b64 s[6:7], vcc, s[6:7]
	s_and_b64 s[6:7], exec, s[6:7]
	s_or_b64 s[16:17], s[6:7], s[16:17]
	s_andn2_b64 exec, exec, s[16:17]
	s_cbranch_execnz .LBB93_9
.LBB93_10:
	s_or_b64 exec, exec, s[8:9]
	v_mov_b32_e32 v3, 0
	; wave barrier
	ds_read_b32 v2, v3 offset:960
	s_and_saveexec_b64 s[6:7], s[2:3]
	s_cbranch_execz .LBB93_12
; %bb.11:
	s_lshl_b64 s[8:9], s[4:5], 2
	s_add_u32 s8, s10, s8
	s_addc_u32 s9, s11, s9
	s_waitcnt lgkmcnt(0)
	global_store_dword v3, v2, s[8:9]
.LBB93_12:
	s_or_b64 exec, exec, s[6:7]
	s_waitcnt lgkmcnt(0)
	v_cmp_ne_u32_e32 vcc, 0, v2
	s_mov_b64 s[6:7], 0
	s_cbranch_vccnz .LBB93_132
; %bb.13:
	v_mov_b32_e32 v15, v14
	scratch_load_dwordx4 v[2:5], v15, off
                                        ; implicit-def: $vgpr6_vgpr7
                                        ; implicit-def: $vgpr10_vgpr11
	s_waitcnt vmcnt(0)
	v_cmp_ngt_f64_e64 s[6:7], |v[2:3]|, |v[4:5]|
	s_and_saveexec_b64 s[8:9], s[6:7]
	s_xor_b64 s[6:7], exec, s[8:9]
	s_cbranch_execz .LBB93_15
; %bb.14:
	v_div_scale_f64 v[6:7], s[8:9], v[4:5], v[4:5], v[2:3]
	v_rcp_f64_e32 v[8:9], v[6:7]
	v_div_scale_f64 v[10:11], vcc, v[2:3], v[4:5], v[2:3]
	v_fma_f64 v[12:13], -v[6:7], v[8:9], 1.0
	v_fmac_f64_e32 v[8:9], v[8:9], v[12:13]
	v_fma_f64 v[12:13], -v[6:7], v[8:9], 1.0
	v_fmac_f64_e32 v[8:9], v[8:9], v[12:13]
	v_mul_f64 v[12:13], v[10:11], v[8:9]
	v_fma_f64 v[6:7], -v[6:7], v[12:13], v[10:11]
	v_div_fmas_f64 v[6:7], v[6:7], v[8:9], v[12:13]
	v_div_fixup_f64 v[6:7], v[6:7], v[4:5], v[2:3]
	v_fmac_f64_e32 v[4:5], v[2:3], v[6:7]
	v_div_scale_f64 v[2:3], s[8:9], v[4:5], v[4:5], 1.0
	v_rcp_f64_e32 v[8:9], v[2:3]
	s_nop 0
	v_fma_f64 v[10:11], -v[2:3], v[8:9], 1.0
	v_fmac_f64_e32 v[8:9], v[8:9], v[10:11]
	v_fma_f64 v[10:11], -v[2:3], v[8:9], 1.0
	v_fmac_f64_e32 v[8:9], v[8:9], v[10:11]
	v_div_scale_f64 v[10:11], vcc, 1.0, v[4:5], 1.0
	v_mul_f64 v[12:13], v[10:11], v[8:9]
	v_fma_f64 v[2:3], -v[2:3], v[12:13], v[10:11]
	s_nop 1
	v_div_fmas_f64 v[2:3], v[2:3], v[8:9], v[12:13]
	v_div_fixup_f64 v[8:9], v[2:3], v[4:5], 1.0
	v_mul_f64 v[6:7], v[6:7], v[8:9]
	v_xor_b32_e32 v9, 0x80000000, v9
	v_xor_b32_e32 v11, 0x80000000, v7
	v_mov_b32_e32 v10, v6
                                        ; implicit-def: $vgpr2_vgpr3
.LBB93_15:
	s_andn2_saveexec_b64 s[6:7], s[6:7]
	s_cbranch_execz .LBB93_17
; %bb.16:
	v_div_scale_f64 v[6:7], s[8:9], v[2:3], v[2:3], v[4:5]
	v_rcp_f64_e32 v[8:9], v[6:7]
	v_div_scale_f64 v[10:11], vcc, v[4:5], v[2:3], v[4:5]
	v_fma_f64 v[12:13], -v[6:7], v[8:9], 1.0
	v_fmac_f64_e32 v[8:9], v[8:9], v[12:13]
	v_fma_f64 v[12:13], -v[6:7], v[8:9], 1.0
	v_fmac_f64_e32 v[8:9], v[8:9], v[12:13]
	v_mul_f64 v[12:13], v[10:11], v[8:9]
	v_fma_f64 v[6:7], -v[6:7], v[12:13], v[10:11]
	v_div_fmas_f64 v[6:7], v[6:7], v[8:9], v[12:13]
	v_div_fixup_f64 v[8:9], v[6:7], v[2:3], v[4:5]
	v_fmac_f64_e32 v[2:3], v[4:5], v[8:9]
	v_div_scale_f64 v[4:5], s[8:9], v[2:3], v[2:3], 1.0
	v_rcp_f64_e32 v[6:7], v[4:5]
	s_nop 0
	v_fma_f64 v[10:11], -v[4:5], v[6:7], 1.0
	v_fmac_f64_e32 v[6:7], v[6:7], v[10:11]
	v_fma_f64 v[10:11], -v[4:5], v[6:7], 1.0
	v_fmac_f64_e32 v[6:7], v[6:7], v[10:11]
	v_div_scale_f64 v[10:11], vcc, 1.0, v[2:3], 1.0
	v_mul_f64 v[12:13], v[10:11], v[6:7]
	v_fma_f64 v[4:5], -v[4:5], v[12:13], v[10:11]
	s_nop 1
	v_div_fmas_f64 v[4:5], v[4:5], v[6:7], v[12:13]
	v_div_fixup_f64 v[6:7], v[4:5], v[2:3], 1.0
	v_xor_b32_e32 v11, 0x80000000, v7
	v_mov_b32_e32 v10, v6
	v_mul_f64 v[8:9], v[8:9], -v[6:7]
.LBB93_17:
	s_or_b64 exec, exec, s[6:7]
	scratch_store_dwordx4 v15, v[6:9], off
	scratch_load_dwordx4 v[2:5], off, s47
	v_xor_b32_e32 v13, 0x80000000, v9
	v_mov_b32_e32 v12, v8
	v_add_u32_e32 v6, 0x1e0, v14
	ds_write_b128 v14, v[10:13]
	s_waitcnt vmcnt(0)
	ds_write_b128 v14, v[2:5] offset:480
	s_waitcnt lgkmcnt(0)
	; wave barrier
	s_and_saveexec_b64 s[6:7], s[2:3]
	s_cbranch_execz .LBB93_19
; %bb.18:
	scratch_load_dwordx4 v[2:5], v15, off
	ds_read_b128 v[8:11], v6
	v_mov_b32_e32 v7, 0
	ds_read_b128 v[16:19], v7 offset:16
	s_waitcnt vmcnt(0) lgkmcnt(1)
	v_mul_f64 v[12:13], v[10:11], v[4:5]
	v_mul_f64 v[4:5], v[8:9], v[4:5]
	v_fma_f64 v[8:9], v[8:9], v[2:3], -v[12:13]
	v_fmac_f64_e32 v[4:5], v[10:11], v[2:3]
	v_add_f64 v[2:3], v[8:9], 0
	v_add_f64 v[8:9], v[4:5], 0
	s_waitcnt lgkmcnt(0)
	v_mul_f64 v[10:11], v[8:9], v[18:19]
	v_mul_f64 v[4:5], v[2:3], v[18:19]
	v_fma_f64 v[2:3], v[2:3], v[16:17], -v[10:11]
	v_fmac_f64_e32 v[4:5], v[8:9], v[16:17]
	scratch_store_dwordx4 off, v[2:5], off offset:16
.LBB93_19:
	s_or_b64 exec, exec, s[6:7]
	; wave barrier
	scratch_load_dwordx4 v[2:5], off, s46
	v_cmp_gt_u32_e32 vcc, 2, v1
	s_waitcnt vmcnt(0)
	ds_write_b128 v6, v[2:5]
	s_waitcnt lgkmcnt(0)
	; wave barrier
	s_and_saveexec_b64 s[6:7], vcc
	s_cbranch_execz .LBB93_23
; %bb.20:
	scratch_load_dwordx4 v[2:5], v15, off
	ds_read_b128 v[8:11], v6
	s_waitcnt vmcnt(0) lgkmcnt(0)
	v_mul_f64 v[12:13], v[10:11], v[4:5]
	v_mul_f64 v[16:17], v[8:9], v[4:5]
	v_fma_f64 v[4:5], v[8:9], v[2:3], -v[12:13]
	v_fmac_f64_e32 v[16:17], v[10:11], v[2:3]
	v_add_f64 v[4:5], v[4:5], 0
	v_add_f64 v[2:3], v[16:17], 0
	s_and_saveexec_b64 s[8:9], s[2:3]
	s_cbranch_execz .LBB93_22
; %bb.21:
	scratch_load_dwordx4 v[8:11], off, off offset:16
	v_mov_b32_e32 v7, 0
	ds_read_b128 v[16:19], v7 offset:496
	s_waitcnt vmcnt(0) lgkmcnt(0)
	v_mul_f64 v[12:13], v[16:17], v[10:11]
	v_mul_f64 v[10:11], v[18:19], v[10:11]
	v_fmac_f64_e32 v[12:13], v[18:19], v[8:9]
	v_fma_f64 v[8:9], v[16:17], v[8:9], -v[10:11]
	v_add_f64 v[2:3], v[2:3], v[12:13]
	v_add_f64 v[4:5], v[4:5], v[8:9]
.LBB93_22:
	s_or_b64 exec, exec, s[8:9]
	v_mov_b32_e32 v7, 0
	ds_read_b128 v[8:11], v7 offset:32
	s_waitcnt lgkmcnt(0)
	v_mul_f64 v[16:17], v[2:3], v[10:11]
	v_mul_f64 v[12:13], v[4:5], v[10:11]
	v_fma_f64 v[10:11], v[4:5], v[8:9], -v[16:17]
	v_fmac_f64_e32 v[12:13], v[2:3], v[8:9]
	scratch_store_dwordx4 off, v[10:13], off offset:32
.LBB93_23:
	s_or_b64 exec, exec, s[6:7]
	; wave barrier
	scratch_load_dwordx4 v[2:5], off, s45
	v_cmp_gt_u32_e32 vcc, 3, v1
	v_add_u32_e32 v7, -1, v1
	s_waitcnt vmcnt(0)
	ds_write_b128 v6, v[2:5]
	s_waitcnt lgkmcnt(0)
	; wave barrier
	s_and_saveexec_b64 s[2:3], vcc
	s_cbranch_execz .LBB93_27
; %bb.24:
	v_add_u32_e32 v8, -1, v1
	v_add_u32_e32 v9, 0x1e0, v14
	v_mov_b32_e32 v10, v14
	v_mov_b64_e32 v[2:3], 0
	s_mov_b64 s[6:7], 0
	v_mov_b64_e32 v[4:5], 0
.LBB93_25:                              ; =>This Inner Loop Header: Depth=1
	scratch_load_dwordx4 v[16:19], v10, off
	ds_read_b128 v[20:23], v9
	v_add_u32_e32 v8, 1, v8
	v_cmp_lt_u32_e32 vcc, 1, v8
	v_add_u32_e32 v9, 16, v9
	v_add_u32_e32 v10, 16, v10
	s_or_b64 s[6:7], vcc, s[6:7]
	s_waitcnt vmcnt(0) lgkmcnt(0)
	v_mul_f64 v[12:13], v[22:23], v[18:19]
	v_mul_f64 v[18:19], v[20:21], v[18:19]
	v_fma_f64 v[12:13], v[20:21], v[16:17], -v[12:13]
	v_fmac_f64_e32 v[18:19], v[22:23], v[16:17]
	v_add_f64 v[4:5], v[4:5], v[12:13]
	v_add_f64 v[2:3], v[2:3], v[18:19]
	s_andn2_b64 exec, exec, s[6:7]
	s_cbranch_execnz .LBB93_25
; %bb.26:
	s_or_b64 exec, exec, s[6:7]
	v_mov_b32_e32 v8, 0
	ds_read_b128 v[8:11], v8 offset:48
	s_waitcnt lgkmcnt(0)
	v_mul_f64 v[16:17], v[2:3], v[10:11]
	v_mul_f64 v[12:13], v[4:5], v[10:11]
	v_fma_f64 v[10:11], v[4:5], v[8:9], -v[16:17]
	v_fmac_f64_e32 v[12:13], v[2:3], v[8:9]
	scratch_store_dwordx4 off, v[10:13], off offset:48
.LBB93_27:
	s_or_b64 exec, exec, s[2:3]
	; wave barrier
	scratch_load_dwordx4 v[2:5], off, s44
	v_cmp_gt_u32_e32 vcc, 4, v1
	s_waitcnt vmcnt(0)
	ds_write_b128 v6, v[2:5]
	s_waitcnt lgkmcnt(0)
	; wave barrier
	s_and_saveexec_b64 s[2:3], vcc
	s_cbranch_execz .LBB93_31
; %bb.28:
	v_add_u32_e32 v8, -1, v1
	v_add_u32_e32 v9, 0x1e0, v14
	v_mov_b32_e32 v10, v14
	v_mov_b64_e32 v[2:3], 0
	s_mov_b64 s[6:7], 0
	v_mov_b64_e32 v[4:5], 0
.LBB93_29:                              ; =>This Inner Loop Header: Depth=1
	scratch_load_dwordx4 v[16:19], v10, off
	ds_read_b128 v[20:23], v9
	v_add_u32_e32 v8, 1, v8
	v_cmp_lt_u32_e32 vcc, 2, v8
	v_add_u32_e32 v9, 16, v9
	v_add_u32_e32 v10, 16, v10
	s_or_b64 s[6:7], vcc, s[6:7]
	s_waitcnt vmcnt(0) lgkmcnt(0)
	v_mul_f64 v[12:13], v[22:23], v[18:19]
	v_mul_f64 v[18:19], v[20:21], v[18:19]
	v_fma_f64 v[12:13], v[20:21], v[16:17], -v[12:13]
	v_fmac_f64_e32 v[18:19], v[22:23], v[16:17]
	v_add_f64 v[4:5], v[4:5], v[12:13]
	v_add_f64 v[2:3], v[2:3], v[18:19]
	s_andn2_b64 exec, exec, s[6:7]
	s_cbranch_execnz .LBB93_29
; %bb.30:
	s_or_b64 exec, exec, s[6:7]
	v_mov_b32_e32 v8, 0
	ds_read_b128 v[8:11], v8 offset:64
	s_waitcnt lgkmcnt(0)
	v_mul_f64 v[16:17], v[2:3], v[10:11]
	v_mul_f64 v[12:13], v[4:5], v[10:11]
	v_fma_f64 v[10:11], v[4:5], v[8:9], -v[16:17]
	v_fmac_f64_e32 v[12:13], v[2:3], v[8:9]
	scratch_store_dwordx4 off, v[10:13], off offset:64
.LBB93_31:
	s_or_b64 exec, exec, s[2:3]
	; wave barrier
	scratch_load_dwordx4 v[2:5], off, s43
	v_cmp_gt_u32_e32 vcc, 5, v1
	;; [unrolled: 45-line block ×19, first 2 shown]
	s_waitcnt vmcnt(0)
	ds_write_b128 v6, v[2:5]
	s_waitcnt lgkmcnt(0)
	; wave barrier
	s_and_saveexec_b64 s[2:3], vcc
	s_cbranch_execz .LBB93_103
; %bb.100:
	v_add_u32_e32 v8, -1, v1
	v_add_u32_e32 v9, 0x1e0, v14
	v_mov_b32_e32 v10, v14
	v_mov_b64_e32 v[2:3], 0
	s_mov_b64 s[6:7], 0
	v_mov_b64_e32 v[4:5], 0
.LBB93_101:                             ; =>This Inner Loop Header: Depth=1
	scratch_load_dwordx4 v[16:19], v10, off
	ds_read_b128 v[20:23], v9
	v_add_u32_e32 v8, 1, v8
	v_cmp_lt_u32_e32 vcc, 20, v8
	v_add_u32_e32 v9, 16, v9
	v_add_u32_e32 v10, 16, v10
	s_or_b64 s[6:7], vcc, s[6:7]
	s_waitcnt vmcnt(0) lgkmcnt(0)
	v_mul_f64 v[12:13], v[22:23], v[18:19]
	v_mul_f64 v[18:19], v[20:21], v[18:19]
	v_fma_f64 v[12:13], v[20:21], v[16:17], -v[12:13]
	v_fmac_f64_e32 v[18:19], v[22:23], v[16:17]
	v_add_f64 v[4:5], v[4:5], v[12:13]
	v_add_f64 v[2:3], v[2:3], v[18:19]
	s_andn2_b64 exec, exec, s[6:7]
	s_cbranch_execnz .LBB93_101
; %bb.102:
	s_or_b64 exec, exec, s[6:7]
	v_mov_b32_e32 v8, 0
	ds_read_b128 v[8:11], v8 offset:352
	s_waitcnt lgkmcnt(0)
	v_mul_f64 v[16:17], v[2:3], v[10:11]
	v_mul_f64 v[12:13], v[4:5], v[10:11]
	v_fma_f64 v[10:11], v[4:5], v[8:9], -v[16:17]
	v_fmac_f64_e32 v[12:13], v[2:3], v[8:9]
	scratch_store_dwordx4 off, v[10:13], off offset:352
.LBB93_103:
	s_or_b64 exec, exec, s[2:3]
	; wave barrier
	scratch_load_dwordx4 v[2:5], off, s24
	v_cmp_gt_u32_e32 vcc, 23, v1
	s_waitcnt vmcnt(0)
	ds_write_b128 v6, v[2:5]
	s_waitcnt lgkmcnt(0)
	; wave barrier
	s_and_saveexec_b64 s[2:3], vcc
	s_cbranch_execz .LBB93_107
; %bb.104:
	v_add_u32_e32 v8, -1, v1
	v_add_u32_e32 v9, 0x1e0, v14
	v_mov_b32_e32 v10, v14
	v_mov_b64_e32 v[2:3], 0
	s_mov_b64 s[6:7], 0
	v_mov_b64_e32 v[4:5], 0
.LBB93_105:                             ; =>This Inner Loop Header: Depth=1
	scratch_load_dwordx4 v[16:19], v10, off
	ds_read_b128 v[20:23], v9
	v_add_u32_e32 v8, 1, v8
	v_cmp_lt_u32_e32 vcc, 21, v8
	v_add_u32_e32 v9, 16, v9
	v_add_u32_e32 v10, 16, v10
	s_or_b64 s[6:7], vcc, s[6:7]
	s_waitcnt vmcnt(0) lgkmcnt(0)
	v_mul_f64 v[12:13], v[22:23], v[18:19]
	v_mul_f64 v[18:19], v[20:21], v[18:19]
	v_fma_f64 v[12:13], v[20:21], v[16:17], -v[12:13]
	v_fmac_f64_e32 v[18:19], v[22:23], v[16:17]
	v_add_f64 v[4:5], v[4:5], v[12:13]
	v_add_f64 v[2:3], v[2:3], v[18:19]
	s_andn2_b64 exec, exec, s[6:7]
	s_cbranch_execnz .LBB93_105
; %bb.106:
	s_or_b64 exec, exec, s[6:7]
	v_mov_b32_e32 v8, 0
	ds_read_b128 v[8:11], v8 offset:368
	s_waitcnt lgkmcnt(0)
	v_mul_f64 v[16:17], v[2:3], v[10:11]
	v_mul_f64 v[12:13], v[4:5], v[10:11]
	v_fma_f64 v[10:11], v[4:5], v[8:9], -v[16:17]
	v_fmac_f64_e32 v[12:13], v[2:3], v[8:9]
	scratch_store_dwordx4 off, v[10:13], off offset:368
.LBB93_107:
	s_or_b64 exec, exec, s[2:3]
	; wave barrier
	scratch_load_dwordx4 v[2:5], off, s23
	v_cmp_gt_u32_e32 vcc, 24, v1
	s_waitcnt vmcnt(0)
	ds_write_b128 v6, v[2:5]
	s_waitcnt lgkmcnt(0)
	; wave barrier
	s_and_saveexec_b64 s[2:3], vcc
	s_cbranch_execz .LBB93_111
; %bb.108:
	v_add_u32_e32 v8, -1, v1
	v_add_u32_e32 v9, 0x1e0, v14
	v_mov_b32_e32 v10, v14
	v_mov_b64_e32 v[2:3], 0
	s_mov_b64 s[6:7], 0
	v_mov_b64_e32 v[4:5], 0
.LBB93_109:                             ; =>This Inner Loop Header: Depth=1
	scratch_load_dwordx4 v[16:19], v10, off
	ds_read_b128 v[20:23], v9
	v_add_u32_e32 v8, 1, v8
	v_cmp_lt_u32_e32 vcc, 22, v8
	v_add_u32_e32 v9, 16, v9
	v_add_u32_e32 v10, 16, v10
	s_or_b64 s[6:7], vcc, s[6:7]
	s_waitcnt vmcnt(0) lgkmcnt(0)
	v_mul_f64 v[12:13], v[22:23], v[18:19]
	v_mul_f64 v[18:19], v[20:21], v[18:19]
	v_fma_f64 v[12:13], v[20:21], v[16:17], -v[12:13]
	v_fmac_f64_e32 v[18:19], v[22:23], v[16:17]
	v_add_f64 v[4:5], v[4:5], v[12:13]
	v_add_f64 v[2:3], v[2:3], v[18:19]
	s_andn2_b64 exec, exec, s[6:7]
	s_cbranch_execnz .LBB93_109
; %bb.110:
	s_or_b64 exec, exec, s[6:7]
	v_mov_b32_e32 v8, 0
	ds_read_b128 v[8:11], v8 offset:384
	s_waitcnt lgkmcnt(0)
	v_mul_f64 v[16:17], v[2:3], v[10:11]
	v_mul_f64 v[12:13], v[4:5], v[10:11]
	v_fma_f64 v[10:11], v[4:5], v[8:9], -v[16:17]
	v_fmac_f64_e32 v[12:13], v[2:3], v[8:9]
	scratch_store_dwordx4 off, v[10:13], off offset:384
.LBB93_111:
	s_or_b64 exec, exec, s[2:3]
	; wave barrier
	scratch_load_dwordx4 v[2:5], off, s22
	v_cmp_gt_u32_e32 vcc, 25, v1
	s_waitcnt vmcnt(0)
	ds_write_b128 v6, v[2:5]
	s_waitcnt lgkmcnt(0)
	; wave barrier
	s_and_saveexec_b64 s[2:3], vcc
	s_cbranch_execz .LBB93_115
; %bb.112:
	v_add_u32_e32 v8, -1, v1
	v_add_u32_e32 v9, 0x1e0, v14
	v_mov_b32_e32 v10, v14
	v_mov_b64_e32 v[2:3], 0
	s_mov_b64 s[6:7], 0
	v_mov_b64_e32 v[4:5], 0
.LBB93_113:                             ; =>This Inner Loop Header: Depth=1
	scratch_load_dwordx4 v[16:19], v10, off
	ds_read_b128 v[20:23], v9
	v_add_u32_e32 v8, 1, v8
	v_cmp_lt_u32_e32 vcc, 23, v8
	v_add_u32_e32 v9, 16, v9
	v_add_u32_e32 v10, 16, v10
	s_or_b64 s[6:7], vcc, s[6:7]
	s_waitcnt vmcnt(0) lgkmcnt(0)
	v_mul_f64 v[12:13], v[22:23], v[18:19]
	v_mul_f64 v[18:19], v[20:21], v[18:19]
	v_fma_f64 v[12:13], v[20:21], v[16:17], -v[12:13]
	v_fmac_f64_e32 v[18:19], v[22:23], v[16:17]
	v_add_f64 v[4:5], v[4:5], v[12:13]
	v_add_f64 v[2:3], v[2:3], v[18:19]
	s_andn2_b64 exec, exec, s[6:7]
	s_cbranch_execnz .LBB93_113
; %bb.114:
	s_or_b64 exec, exec, s[6:7]
	v_mov_b32_e32 v8, 0
	ds_read_b128 v[8:11], v8 offset:400
	s_waitcnt lgkmcnt(0)
	v_mul_f64 v[16:17], v[2:3], v[10:11]
	v_mul_f64 v[12:13], v[4:5], v[10:11]
	v_fma_f64 v[10:11], v[4:5], v[8:9], -v[16:17]
	v_fmac_f64_e32 v[12:13], v[2:3], v[8:9]
	scratch_store_dwordx4 off, v[10:13], off offset:400
.LBB93_115:
	s_or_b64 exec, exec, s[2:3]
	; wave barrier
	scratch_load_dwordx4 v[2:5], off, s21
	v_cmp_gt_u32_e32 vcc, 26, v1
	s_waitcnt vmcnt(0)
	ds_write_b128 v6, v[2:5]
	s_waitcnt lgkmcnt(0)
	; wave barrier
	s_and_saveexec_b64 s[2:3], vcc
	s_cbranch_execz .LBB93_119
; %bb.116:
	v_add_u32_e32 v8, -1, v1
	v_add_u32_e32 v9, 0x1e0, v14
	v_mov_b32_e32 v10, v14
	v_mov_b64_e32 v[2:3], 0
	s_mov_b64 s[6:7], 0
	v_mov_b64_e32 v[4:5], 0
.LBB93_117:                             ; =>This Inner Loop Header: Depth=1
	scratch_load_dwordx4 v[16:19], v10, off
	ds_read_b128 v[20:23], v9
	v_add_u32_e32 v8, 1, v8
	v_cmp_lt_u32_e32 vcc, 24, v8
	v_add_u32_e32 v9, 16, v9
	v_add_u32_e32 v10, 16, v10
	s_or_b64 s[6:7], vcc, s[6:7]
	s_waitcnt vmcnt(0) lgkmcnt(0)
	v_mul_f64 v[12:13], v[22:23], v[18:19]
	v_mul_f64 v[18:19], v[20:21], v[18:19]
	v_fma_f64 v[12:13], v[20:21], v[16:17], -v[12:13]
	v_fmac_f64_e32 v[18:19], v[22:23], v[16:17]
	v_add_f64 v[4:5], v[4:5], v[12:13]
	v_add_f64 v[2:3], v[2:3], v[18:19]
	s_andn2_b64 exec, exec, s[6:7]
	s_cbranch_execnz .LBB93_117
; %bb.118:
	s_or_b64 exec, exec, s[6:7]
	v_mov_b32_e32 v8, 0
	ds_read_b128 v[8:11], v8 offset:416
	s_waitcnt lgkmcnt(0)
	v_mul_f64 v[16:17], v[2:3], v[10:11]
	v_mul_f64 v[12:13], v[4:5], v[10:11]
	v_fma_f64 v[10:11], v[4:5], v[8:9], -v[16:17]
	v_fmac_f64_e32 v[12:13], v[2:3], v[8:9]
	scratch_store_dwordx4 off, v[10:13], off offset:416
.LBB93_119:
	s_or_b64 exec, exec, s[2:3]
	; wave barrier
	scratch_load_dwordx4 v[2:5], off, s20
	v_cmp_gt_u32_e32 vcc, 27, v1
	s_waitcnt vmcnt(0)
	ds_write_b128 v6, v[2:5]
	s_waitcnt lgkmcnt(0)
	; wave barrier
	s_and_saveexec_b64 s[2:3], vcc
	s_cbranch_execz .LBB93_123
; %bb.120:
	v_add_u32_e32 v8, -1, v1
	v_add_u32_e32 v9, 0x1e0, v14
	v_mov_b32_e32 v10, v14
	v_mov_b64_e32 v[2:3], 0
	s_mov_b64 s[6:7], 0
	v_mov_b64_e32 v[4:5], 0
.LBB93_121:                             ; =>This Inner Loop Header: Depth=1
	scratch_load_dwordx4 v[16:19], v10, off
	ds_read_b128 v[20:23], v9
	v_add_u32_e32 v8, 1, v8
	v_cmp_lt_u32_e32 vcc, 25, v8
	v_add_u32_e32 v9, 16, v9
	v_add_u32_e32 v10, 16, v10
	s_or_b64 s[6:7], vcc, s[6:7]
	s_waitcnt vmcnt(0) lgkmcnt(0)
	v_mul_f64 v[12:13], v[22:23], v[18:19]
	v_mul_f64 v[18:19], v[20:21], v[18:19]
	v_fma_f64 v[12:13], v[20:21], v[16:17], -v[12:13]
	v_fmac_f64_e32 v[18:19], v[22:23], v[16:17]
	v_add_f64 v[4:5], v[4:5], v[12:13]
	v_add_f64 v[2:3], v[2:3], v[18:19]
	s_andn2_b64 exec, exec, s[6:7]
	s_cbranch_execnz .LBB93_121
; %bb.122:
	s_or_b64 exec, exec, s[6:7]
	v_mov_b32_e32 v8, 0
	ds_read_b128 v[8:11], v8 offset:432
	s_waitcnt lgkmcnt(0)
	v_mul_f64 v[16:17], v[2:3], v[10:11]
	v_mul_f64 v[12:13], v[4:5], v[10:11]
	v_fma_f64 v[10:11], v[4:5], v[8:9], -v[16:17]
	v_fmac_f64_e32 v[12:13], v[2:3], v[8:9]
	scratch_store_dwordx4 off, v[10:13], off offset:432
.LBB93_123:
	s_or_b64 exec, exec, s[2:3]
	; wave barrier
	scratch_load_dwordx4 v[2:5], off, s19
	v_cmp_gt_u32_e32 vcc, 28, v1
	s_waitcnt vmcnt(0)
	ds_write_b128 v6, v[2:5]
	s_waitcnt lgkmcnt(0)
	; wave barrier
	s_and_saveexec_b64 s[2:3], vcc
	s_cbranch_execz .LBB93_127
; %bb.124:
	v_add_u32_e32 v8, -1, v1
	v_add_u32_e32 v9, 0x1e0, v14
	v_mov_b32_e32 v10, v14
	v_mov_b64_e32 v[2:3], 0
	s_mov_b64 s[6:7], 0
	v_mov_b64_e32 v[4:5], 0
.LBB93_125:                             ; =>This Inner Loop Header: Depth=1
	scratch_load_dwordx4 v[16:19], v10, off
	ds_read_b128 v[20:23], v9
	v_add_u32_e32 v8, 1, v8
	v_cmp_lt_u32_e32 vcc, 26, v8
	v_add_u32_e32 v9, 16, v9
	v_add_u32_e32 v10, 16, v10
	s_or_b64 s[6:7], vcc, s[6:7]
	s_waitcnt vmcnt(0) lgkmcnt(0)
	v_mul_f64 v[12:13], v[22:23], v[18:19]
	v_mul_f64 v[18:19], v[20:21], v[18:19]
	v_fma_f64 v[12:13], v[20:21], v[16:17], -v[12:13]
	v_fmac_f64_e32 v[18:19], v[22:23], v[16:17]
	v_add_f64 v[4:5], v[4:5], v[12:13]
	v_add_f64 v[2:3], v[2:3], v[18:19]
	s_andn2_b64 exec, exec, s[6:7]
	s_cbranch_execnz .LBB93_125
; %bb.126:
	s_or_b64 exec, exec, s[6:7]
	v_mov_b32_e32 v8, 0
	ds_read_b128 v[8:11], v8 offset:448
	s_waitcnt lgkmcnt(0)
	v_mul_f64 v[16:17], v[2:3], v[10:11]
	v_mul_f64 v[12:13], v[4:5], v[10:11]
	v_fma_f64 v[10:11], v[4:5], v[8:9], -v[16:17]
	v_fmac_f64_e32 v[12:13], v[2:3], v[8:9]
	scratch_store_dwordx4 off, v[10:13], off offset:448
.LBB93_127:
	s_or_b64 exec, exec, s[2:3]
	; wave barrier
	scratch_load_dwordx4 v[2:5], off, s18
	v_cmp_ne_u32_e32 vcc, 29, v1
	s_waitcnt vmcnt(0)
	ds_write_b128 v6, v[2:5]
	s_waitcnt lgkmcnt(0)
	; wave barrier
	s_and_saveexec_b64 s[2:3], vcc
	s_cbranch_execz .LBB93_131
; %bb.128:
	v_add_u32_e32 v6, 0x1e0, v14
	v_mov_b32_e32 v8, v14
	v_mov_b64_e32 v[2:3], 0
	s_mov_b64 s[6:7], 0
	v_mov_b64_e32 v[4:5], 0
.LBB93_129:                             ; =>This Inner Loop Header: Depth=1
	scratch_load_dwordx4 v[10:13], v8, off
	ds_read_b128 v[14:17], v6
	v_add_u32_e32 v7, 1, v7
	v_cmp_lt_u32_e32 vcc, 27, v7
	v_add_u32_e32 v6, 16, v6
	v_add_u32_e32 v8, 16, v8
	s_or_b64 s[6:7], vcc, s[6:7]
	s_waitcnt vmcnt(0) lgkmcnt(0)
	v_mul_f64 v[18:19], v[16:17], v[12:13]
	v_mul_f64 v[12:13], v[14:15], v[12:13]
	v_fma_f64 v[14:15], v[14:15], v[10:11], -v[18:19]
	v_fmac_f64_e32 v[12:13], v[16:17], v[10:11]
	v_add_f64 v[4:5], v[4:5], v[14:15]
	v_add_f64 v[2:3], v[2:3], v[12:13]
	s_andn2_b64 exec, exec, s[6:7]
	s_cbranch_execnz .LBB93_129
; %bb.130:
	s_or_b64 exec, exec, s[6:7]
	v_mov_b32_e32 v6, 0
	ds_read_b128 v[6:9], v6 offset:464
	s_waitcnt lgkmcnt(0)
	v_mul_f64 v[12:13], v[2:3], v[8:9]
	v_mul_f64 v[10:11], v[4:5], v[8:9]
	v_fma_f64 v[8:9], v[4:5], v[6:7], -v[12:13]
	v_fmac_f64_e32 v[10:11], v[2:3], v[6:7]
	scratch_store_dwordx4 off, v[8:11], off offset:464
.LBB93_131:
	s_or_b64 exec, exec, s[2:3]
	s_mov_b64 s[6:7], -1
	; wave barrier
.LBB93_132:
	s_and_b64 vcc, exec, s[6:7]
	s_cbranch_vccz .LBB93_134
; %bb.133:
	s_lshl_b64 s[2:3], s[4:5], 2
	s_add_u32 s2, s10, s2
	s_addc_u32 s3, s11, s3
	v_mov_b32_e32 v2, 0
	global_load_dword v2, v2, s[2:3]
	s_waitcnt vmcnt(0)
	v_cmp_ne_u32_e32 vcc, 0, v2
	s_cbranch_vccz .LBB93_135
.LBB93_134:
	s_endpgm
.LBB93_135:
	v_mov_b32_e32 v2, 0x1e0
	v_lshl_add_u32 v238, v1, 4, v2
	v_cmp_eq_u32_e32 vcc, 29, v1
	s_and_saveexec_b64 s[2:3], vcc
	s_cbranch_execz .LBB93_137
; %bb.136:
	scratch_load_dwordx4 v[2:5], off, s19
	v_mov_b32_e32 v6, 0
	v_mov_b32_e32 v7, v6
	;; [unrolled: 1-line block ×4, first 2 shown]
	scratch_store_dwordx4 off, v[6:9], off offset:448
	s_waitcnt vmcnt(1)
	ds_write_b128 v238, v[2:5]
.LBB93_137:
	s_or_b64 exec, exec, s[2:3]
	s_waitcnt lgkmcnt(0)
	; wave barrier
	scratch_load_dwordx4 v[4:7], off, off offset:464
	scratch_load_dwordx4 v[8:11], off, off offset:448
	v_mov_b32_e32 v2, 0
	ds_read_b128 v[12:15], v2 offset:944
	v_cmp_lt_u32_e32 vcc, 27, v1
	s_waitcnt vmcnt(1) lgkmcnt(0)
	v_mul_f64 v[16:17], v[12:13], v[6:7]
	v_mul_f64 v[6:7], v[14:15], v[6:7]
	v_fmac_f64_e32 v[16:17], v[14:15], v[4:5]
	v_fma_f64 v[4:5], v[12:13], v[4:5], -v[6:7]
	v_add_f64 v[6:7], v[16:17], 0
	v_add_f64 v[4:5], v[4:5], 0
	s_waitcnt vmcnt(0)
	v_add_f64 v[4:5], v[8:9], -v[4:5]
	v_add_f64 v[6:7], v[10:11], -v[6:7]
	scratch_store_dwordx4 off, v[4:7], off offset:448
	s_and_saveexec_b64 s[2:3], vcc
	s_cbranch_execz .LBB93_139
; %bb.138:
	scratch_load_dwordx4 v[6:9], off, s20
	v_mov_b32_e32 v3, v2
	v_mov_b32_e32 v4, v2
	;; [unrolled: 1-line block ×3, first 2 shown]
	scratch_store_dwordx4 off, v[2:5], off offset:432
	s_waitcnt vmcnt(1)
	ds_write_b128 v238, v[6:9]
.LBB93_139:
	s_or_b64 exec, exec, s[2:3]
	s_waitcnt lgkmcnt(0)
	; wave barrier
	scratch_load_dwordx4 v[4:7], off, off offset:448
	scratch_load_dwordx4 v[8:11], off, off offset:464
	;; [unrolled: 1-line block ×3, first 2 shown]
	ds_read_b128 v[16:19], v2 offset:928
	ds_read_b128 v[20:23], v2 offset:944
	v_cmp_lt_u32_e32 vcc, 26, v1
	s_waitcnt vmcnt(2) lgkmcnt(1)
	v_mul_f64 v[2:3], v[16:17], v[6:7]
	v_mul_f64 v[6:7], v[18:19], v[6:7]
	s_waitcnt vmcnt(1) lgkmcnt(0)
	v_mul_f64 v[24:25], v[20:21], v[10:11]
	v_mul_f64 v[10:11], v[22:23], v[10:11]
	v_fmac_f64_e32 v[2:3], v[18:19], v[4:5]
	v_fma_f64 v[4:5], v[16:17], v[4:5], -v[6:7]
	v_fmac_f64_e32 v[24:25], v[22:23], v[8:9]
	v_fma_f64 v[6:7], v[20:21], v[8:9], -v[10:11]
	v_add_f64 v[2:3], v[2:3], 0
	v_add_f64 v[4:5], v[4:5], 0
	;; [unrolled: 1-line block ×4, first 2 shown]
	s_waitcnt vmcnt(0)
	v_add_f64 v[2:3], v[12:13], -v[2:3]
	v_add_f64 v[4:5], v[14:15], -v[8:9]
	scratch_store_dwordx4 off, v[2:5], off offset:432
	s_and_saveexec_b64 s[2:3], vcc
	s_cbranch_execz .LBB93_141
; %bb.140:
	scratch_load_dwordx4 v[2:5], off, s21
	v_mov_b32_e32 v6, 0
	v_mov_b32_e32 v7, v6
	;; [unrolled: 1-line block ×4, first 2 shown]
	scratch_store_dwordx4 off, v[6:9], off offset:416
	s_waitcnt vmcnt(1)
	ds_write_b128 v238, v[2:5]
.LBB93_141:
	s_or_b64 exec, exec, s[2:3]
	s_waitcnt lgkmcnt(0)
	; wave barrier
	scratch_load_dwordx4 v[4:7], off, off offset:432
	scratch_load_dwordx4 v[8:11], off, off offset:448
	;; [unrolled: 1-line block ×4, first 2 shown]
	v_mov_b32_e32 v2, 0
	ds_read_b128 v[20:23], v2 offset:912
	ds_read_b128 v[24:27], v2 offset:928
	;; [unrolled: 1-line block ×3, first 2 shown]
	v_cmp_lt_u32_e32 vcc, 25, v1
	s_waitcnt vmcnt(3) lgkmcnt(2)
	v_mul_f64 v[32:33], v[20:21], v[6:7]
	v_mul_f64 v[6:7], v[22:23], v[6:7]
	s_waitcnt vmcnt(2) lgkmcnt(1)
	v_mul_f64 v[34:35], v[24:25], v[10:11]
	v_mul_f64 v[10:11], v[26:27], v[10:11]
	v_fmac_f64_e32 v[32:33], v[22:23], v[4:5]
	v_fma_f64 v[4:5], v[20:21], v[4:5], -v[6:7]
	s_waitcnt vmcnt(1) lgkmcnt(0)
	v_mul_f64 v[36:37], v[28:29], v[14:15]
	v_mul_f64 v[14:15], v[30:31], v[14:15]
	v_fmac_f64_e32 v[34:35], v[26:27], v[8:9]
	v_fma_f64 v[6:7], v[24:25], v[8:9], -v[10:11]
	v_add_f64 v[10:11], v[32:33], 0
	v_add_f64 v[4:5], v[4:5], 0
	v_fmac_f64_e32 v[36:37], v[30:31], v[12:13]
	v_fma_f64 v[8:9], v[28:29], v[12:13], -v[14:15]
	v_add_f64 v[10:11], v[10:11], v[34:35]
	v_add_f64 v[4:5], v[4:5], v[6:7]
	;; [unrolled: 1-line block ×4, first 2 shown]
	s_waitcnt vmcnt(0)
	v_add_f64 v[4:5], v[16:17], -v[4:5]
	v_add_f64 v[6:7], v[18:19], -v[6:7]
	scratch_store_dwordx4 off, v[4:7], off offset:416
	s_and_saveexec_b64 s[2:3], vcc
	s_cbranch_execz .LBB93_143
; %bb.142:
	scratch_load_dwordx4 v[6:9], off, s22
	v_mov_b32_e32 v3, v2
	v_mov_b32_e32 v4, v2
	v_mov_b32_e32 v5, v2
	scratch_store_dwordx4 off, v[2:5], off offset:400
	s_waitcnt vmcnt(1)
	ds_write_b128 v238, v[6:9]
.LBB93_143:
	s_or_b64 exec, exec, s[2:3]
	s_waitcnt lgkmcnt(0)
	; wave barrier
	scratch_load_dwordx4 v[4:7], off, off offset:416
	scratch_load_dwordx4 v[8:11], off, off offset:432
	;; [unrolled: 1-line block ×5, first 2 shown]
	ds_read_b128 v[24:27], v2 offset:896
	ds_read_b128 v[28:31], v2 offset:912
	;; [unrolled: 1-line block ×4, first 2 shown]
	v_cmp_lt_u32_e32 vcc, 24, v1
	s_waitcnt vmcnt(4) lgkmcnt(3)
	v_mul_f64 v[2:3], v[24:25], v[6:7]
	v_mul_f64 v[6:7], v[26:27], v[6:7]
	s_waitcnt vmcnt(3) lgkmcnt(2)
	v_mul_f64 v[40:41], v[28:29], v[10:11]
	v_mul_f64 v[10:11], v[30:31], v[10:11]
	v_fmac_f64_e32 v[2:3], v[26:27], v[4:5]
	v_fma_f64 v[4:5], v[24:25], v[4:5], -v[6:7]
	s_waitcnt vmcnt(2) lgkmcnt(1)
	v_mul_f64 v[42:43], v[32:33], v[14:15]
	v_mul_f64 v[14:15], v[34:35], v[14:15]
	v_fmac_f64_e32 v[40:41], v[30:31], v[8:9]
	v_fma_f64 v[6:7], v[28:29], v[8:9], -v[10:11]
	v_add_f64 v[2:3], v[2:3], 0
	v_add_f64 v[4:5], v[4:5], 0
	s_waitcnt vmcnt(1) lgkmcnt(0)
	v_mul_f64 v[44:45], v[36:37], v[18:19]
	v_mul_f64 v[18:19], v[38:39], v[18:19]
	v_fmac_f64_e32 v[42:43], v[34:35], v[12:13]
	v_fma_f64 v[8:9], v[32:33], v[12:13], -v[14:15]
	v_add_f64 v[2:3], v[2:3], v[40:41]
	v_add_f64 v[4:5], v[4:5], v[6:7]
	v_fmac_f64_e32 v[44:45], v[38:39], v[16:17]
	v_fma_f64 v[10:11], v[36:37], v[16:17], -v[18:19]
	v_add_f64 v[2:3], v[2:3], v[42:43]
	v_add_f64 v[4:5], v[4:5], v[8:9]
	v_add_f64 v[6:7], v[2:3], v[44:45]
	v_add_f64 v[2:3], v[4:5], v[10:11]
	s_waitcnt vmcnt(0)
	v_add_f64 v[2:3], v[20:21], -v[2:3]
	v_add_f64 v[4:5], v[22:23], -v[6:7]
	scratch_store_dwordx4 off, v[2:5], off offset:400
	s_and_saveexec_b64 s[2:3], vcc
	s_cbranch_execz .LBB93_145
; %bb.144:
	scratch_load_dwordx4 v[2:5], off, s23
	v_mov_b32_e32 v6, 0
	v_mov_b32_e32 v7, v6
	v_mov_b32_e32 v8, v6
	v_mov_b32_e32 v9, v6
	scratch_store_dwordx4 off, v[6:9], off offset:384
	s_waitcnt vmcnt(1)
	ds_write_b128 v238, v[2:5]
.LBB93_145:
	s_or_b64 exec, exec, s[2:3]
	s_waitcnt lgkmcnt(0)
	; wave barrier
	scratch_load_dwordx4 v[4:7], off, off offset:400
	scratch_load_dwordx4 v[8:11], off, off offset:416
	;; [unrolled: 1-line block ×6, first 2 shown]
	v_mov_b32_e32 v2, 0
	ds_read_b128 v[28:31], v2 offset:880
	ds_read_b128 v[32:35], v2 offset:896
	;; [unrolled: 1-line block ×5, first 2 shown]
	v_cmp_lt_u32_e32 vcc, 23, v1
	s_waitcnt vmcnt(5) lgkmcnt(4)
	v_mul_f64 v[48:49], v[28:29], v[6:7]
	v_mul_f64 v[6:7], v[30:31], v[6:7]
	s_waitcnt vmcnt(4) lgkmcnt(3)
	v_mul_f64 v[50:51], v[32:33], v[10:11]
	s_waitcnt vmcnt(3) lgkmcnt(2)
	v_mul_f64 v[52:53], v[36:37], v[14:15]
	v_mul_f64 v[10:11], v[34:35], v[10:11]
	;; [unrolled: 1-line block ×3, first 2 shown]
	v_fmac_f64_e32 v[48:49], v[30:31], v[4:5]
	v_fma_f64 v[4:5], v[28:29], v[4:5], -v[6:7]
	v_fmac_f64_e32 v[50:51], v[34:35], v[8:9]
	v_fma_f64 v[6:7], v[32:33], v[8:9], -v[10:11]
	v_fma_f64 v[8:9], v[36:37], v[12:13], -v[14:15]
	v_add_f64 v[14:15], v[48:49], 0
	v_add_f64 v[4:5], v[4:5], 0
	s_waitcnt vmcnt(2) lgkmcnt(1)
	v_mul_f64 v[54:55], v[40:41], v[18:19]
	v_mul_f64 v[18:19], v[42:43], v[18:19]
	v_fmac_f64_e32 v[52:53], v[38:39], v[12:13]
	v_add_f64 v[14:15], v[14:15], v[50:51]
	v_add_f64 v[4:5], v[4:5], v[6:7]
	s_waitcnt vmcnt(1) lgkmcnt(0)
	v_mul_f64 v[56:57], v[44:45], v[22:23]
	v_mul_f64 v[22:23], v[46:47], v[22:23]
	v_fmac_f64_e32 v[54:55], v[42:43], v[16:17]
	v_fma_f64 v[10:11], v[40:41], v[16:17], -v[18:19]
	v_add_f64 v[6:7], v[14:15], v[52:53]
	v_add_f64 v[4:5], v[4:5], v[8:9]
	v_fmac_f64_e32 v[56:57], v[46:47], v[20:21]
	v_fma_f64 v[12:13], v[44:45], v[20:21], -v[22:23]
	v_add_f64 v[6:7], v[6:7], v[54:55]
	v_add_f64 v[4:5], v[4:5], v[10:11]
	;; [unrolled: 1-line block ×4, first 2 shown]
	s_waitcnt vmcnt(0)
	v_add_f64 v[4:5], v[24:25], -v[4:5]
	v_add_f64 v[6:7], v[26:27], -v[6:7]
	scratch_store_dwordx4 off, v[4:7], off offset:384
	s_and_saveexec_b64 s[2:3], vcc
	s_cbranch_execz .LBB93_147
; %bb.146:
	scratch_load_dwordx4 v[6:9], off, s24
	v_mov_b32_e32 v3, v2
	v_mov_b32_e32 v4, v2
	;; [unrolled: 1-line block ×3, first 2 shown]
	scratch_store_dwordx4 off, v[2:5], off offset:368
	s_waitcnt vmcnt(1)
	ds_write_b128 v238, v[6:9]
.LBB93_147:
	s_or_b64 exec, exec, s[2:3]
	s_waitcnt lgkmcnt(0)
	; wave barrier
	ds_read_b128 v[4:7], v2 offset:864
	ds_read_b128 v[8:11], v2 offset:880
	;; [unrolled: 1-line block ×4, first 2 shown]
	scratch_load_dwordx4 v[20:23], off, off offset:384
	scratch_load_dwordx4 v[40:43], off, off offset:448
	v_cmp_lt_u32_e32 vcc, 22, v1
	scratch_load_dwordx4 v[48:51], off, off offset:464
	s_waitcnt vmcnt(2) lgkmcnt(3)
	v_mul_f64 v[24:25], v[4:5], v[22:23]
	v_fmac_f64_e32 v[24:25], v[6:7], v[20:21]
	v_add_f64 v[28:29], v[24:25], 0
	scratch_load_dwordx4 v[24:27], off, off offset:400
	s_waitcnt vmcnt(0) lgkmcnt(2)
	v_mul_f64 v[30:31], v[8:9], v[26:27]
	v_fmac_f64_e32 v[30:31], v[10:11], v[24:25]
	v_add_f64 v[32:33], v[28:29], v[30:31]
	;; [unrolled: 5-line block ×4, first 2 shown]
	ds_read_b128 v[36:39], v2 offset:928
	s_waitcnt lgkmcnt(0)
	v_mul_f64 v[46:47], v[36:37], v[42:43]
	v_fmac_f64_e32 v[46:47], v[38:39], v[40:41]
	v_add_f64 v[52:53], v[44:45], v[46:47]
	ds_read_b128 v[44:47], v2 offset:944
	s_waitcnt lgkmcnt(0)
	v_mul_f64 v[2:3], v[44:45], v[50:51]
	v_fmac_f64_e32 v[2:3], v[46:47], v[48:49]
	v_add_f64 v[52:53], v[52:53], v[2:3]
	v_mul_f64 v[2:3], v[6:7], v[22:23]
	v_fma_f64 v[2:3], v[4:5], v[20:21], -v[2:3]
	v_mul_f64 v[4:5], v[10:11], v[26:27]
	v_add_f64 v[2:3], v[2:3], 0
	v_fma_f64 v[4:5], v[8:9], v[24:25], -v[4:5]
	v_add_f64 v[2:3], v[2:3], v[4:5]
	v_mul_f64 v[4:5], v[14:15], v[30:31]
	v_fma_f64 v[4:5], v[12:13], v[28:29], -v[4:5]
	v_add_f64 v[2:3], v[2:3], v[4:5]
	v_mul_f64 v[4:5], v[18:19], v[34:35]
	;; [unrolled: 3-line block ×4, first 2 shown]
	v_fma_f64 v[4:5], v[44:45], v[48:49], -v[4:5]
	v_add_f64 v[6:7], v[2:3], v[4:5]
	scratch_load_dwordx4 v[2:5], off, off offset:368
	s_waitcnt vmcnt(0)
	v_add_f64 v[2:3], v[2:3], -v[6:7]
	v_add_f64 v[4:5], v[4:5], -v[52:53]
	scratch_store_dwordx4 off, v[2:5], off offset:368
	s_and_saveexec_b64 s[2:3], vcc
	s_cbranch_execz .LBB93_149
; %bb.148:
	scratch_load_dwordx4 v[2:5], off, s25
	v_mov_b32_e32 v6, 0
	v_mov_b32_e32 v7, v6
	;; [unrolled: 1-line block ×4, first 2 shown]
	scratch_store_dwordx4 off, v[6:9], off offset:352
	s_waitcnt vmcnt(1)
	ds_write_b128 v238, v[2:5]
.LBB93_149:
	s_or_b64 exec, exec, s[2:3]
	v_mov_b32_e32 v2, 0
	s_waitcnt lgkmcnt(0)
	; wave barrier
	ds_read_b128 v[4:7], v2 offset:848
	ds_read_b128 v[8:11], v2 offset:864
	;; [unrolled: 1-line block ×4, first 2 shown]
	scratch_load_dwordx4 v[20:23], off, off offset:368
	scratch_load_dwordx4 v[40:43], off, off offset:432
	v_cmp_lt_u32_e32 vcc, 21, v1
	scratch_load_dwordx4 v[48:51], off, off offset:448
	scratch_load_dwordx4 v[56:59], off, off offset:464
	s_waitcnt vmcnt(3) lgkmcnt(3)
	v_mul_f64 v[24:25], v[4:5], v[22:23]
	v_fmac_f64_e32 v[24:25], v[6:7], v[20:21]
	v_add_f64 v[28:29], v[24:25], 0
	scratch_load_dwordx4 v[24:27], off, off offset:384
	v_mul_f64 v[6:7], v[6:7], v[22:23]
	v_fma_f64 v[4:5], v[4:5], v[20:21], -v[6:7]
	v_add_f64 v[4:5], v[4:5], 0
	s_waitcnt vmcnt(0) lgkmcnt(2)
	v_mul_f64 v[30:31], v[8:9], v[26:27]
	v_fmac_f64_e32 v[30:31], v[10:11], v[24:25]
	v_add_f64 v[32:33], v[28:29], v[30:31]
	scratch_load_dwordx4 v[28:31], off, off offset:400
	v_mul_f64 v[6:7], v[10:11], v[26:27]
	v_fma_f64 v[6:7], v[8:9], v[24:25], -v[6:7]
	v_add_f64 v[4:5], v[4:5], v[6:7]
	;; [unrolled: 8-line block ×3, first 2 shown]
	s_waitcnt vmcnt(0) lgkmcnt(0)
	v_mul_f64 v[38:39], v[16:17], v[34:35]
	v_fmac_f64_e32 v[38:39], v[18:19], v[32:33]
	v_add_f64 v[44:45], v[36:37], v[38:39]
	ds_read_b128 v[36:39], v2 offset:912
	v_mul_f64 v[6:7], v[18:19], v[34:35]
	v_fma_f64 v[6:7], v[16:17], v[32:33], -v[6:7]
	v_add_f64 v[4:5], v[4:5], v[6:7]
	s_waitcnt lgkmcnt(0)
	v_mul_f64 v[46:47], v[36:37], v[42:43]
	v_fmac_f64_e32 v[46:47], v[38:39], v[40:41]
	v_add_f64 v[52:53], v[44:45], v[46:47]
	ds_read_b128 v[44:47], v2 offset:928
	v_mul_f64 v[6:7], v[38:39], v[42:43]
	v_fma_f64 v[6:7], v[36:37], v[40:41], -v[6:7]
	v_add_f64 v[4:5], v[4:5], v[6:7]
	s_waitcnt lgkmcnt(0)
	v_mul_f64 v[54:55], v[44:45], v[50:51]
	v_fmac_f64_e32 v[54:55], v[46:47], v[48:49]
	v_add_f64 v[60:61], v[52:53], v[54:55]
	ds_read_b128 v[52:55], v2 offset:944
	v_mul_f64 v[6:7], v[46:47], v[50:51]
	v_fma_f64 v[6:7], v[44:45], v[48:49], -v[6:7]
	v_add_f64 v[4:5], v[4:5], v[6:7]
	s_waitcnt lgkmcnt(0)
	v_mul_f64 v[6:7], v[54:55], v[58:59]
	v_fma_f64 v[6:7], v[52:53], v[56:57], -v[6:7]
	v_add_f64 v[8:9], v[4:5], v[6:7]
	scratch_load_dwordx4 v[4:7], off, off offset:352
	v_mul_f64 v[62:63], v[52:53], v[58:59]
	v_fmac_f64_e32 v[62:63], v[54:55], v[56:57]
	v_add_f64 v[60:61], v[60:61], v[62:63]
	s_waitcnt vmcnt(0)
	v_add_f64 v[4:5], v[4:5], -v[8:9]
	v_add_f64 v[6:7], v[6:7], -v[60:61]
	scratch_store_dwordx4 off, v[4:7], off offset:352
	s_and_saveexec_b64 s[2:3], vcc
	s_cbranch_execz .LBB93_151
; %bb.150:
	scratch_load_dwordx4 v[6:9], off, s26
	v_mov_b32_e32 v3, v2
	v_mov_b32_e32 v4, v2
	;; [unrolled: 1-line block ×3, first 2 shown]
	scratch_store_dwordx4 off, v[2:5], off offset:336
	s_waitcnt vmcnt(1)
	ds_write_b128 v238, v[6:9]
.LBB93_151:
	s_or_b64 exec, exec, s[2:3]
	s_waitcnt lgkmcnt(0)
	; wave barrier
	scratch_load_dwordx4 v[4:7], off, off offset:352
	scratch_load_dwordx4 v[8:11], off, off offset:368
	;; [unrolled: 1-line block ×9, first 2 shown]
	ds_read_b128 v[40:43], v2 offset:832
	ds_read_b128 v[44:47], v2 offset:848
	;; [unrolled: 1-line block ×8, first 2 shown]
	v_cmp_lt_u32_e32 vcc, 20, v1
	s_waitcnt vmcnt(8) lgkmcnt(7)
	v_mul_f64 v[2:3], v[40:41], v[6:7]
	v_mul_f64 v[6:7], v[42:43], v[6:7]
	s_waitcnt vmcnt(7) lgkmcnt(6)
	v_mul_f64 v[72:73], v[44:45], v[10:11]
	v_mul_f64 v[10:11], v[46:47], v[10:11]
	v_fmac_f64_e32 v[2:3], v[42:43], v[4:5]
	v_fma_f64 v[4:5], v[40:41], v[4:5], -v[6:7]
	s_waitcnt vmcnt(6) lgkmcnt(5)
	v_mul_f64 v[74:75], v[48:49], v[14:15]
	v_mul_f64 v[14:15], v[50:51], v[14:15]
	v_fmac_f64_e32 v[72:73], v[46:47], v[8:9]
	v_fma_f64 v[6:7], v[44:45], v[8:9], -v[10:11]
	v_add_f64 v[2:3], v[2:3], 0
	v_add_f64 v[4:5], v[4:5], 0
	s_waitcnt vmcnt(5) lgkmcnt(4)
	v_mul_f64 v[76:77], v[52:53], v[18:19]
	v_mul_f64 v[18:19], v[54:55], v[18:19]
	v_fmac_f64_e32 v[74:75], v[50:51], v[12:13]
	v_fma_f64 v[8:9], v[48:49], v[12:13], -v[14:15]
	v_add_f64 v[2:3], v[2:3], v[72:73]
	v_add_f64 v[4:5], v[4:5], v[6:7]
	s_waitcnt vmcnt(4) lgkmcnt(3)
	v_mul_f64 v[78:79], v[56:57], v[22:23]
	v_mul_f64 v[22:23], v[58:59], v[22:23]
	v_fmac_f64_e32 v[76:77], v[54:55], v[16:17]
	v_fma_f64 v[10:11], v[52:53], v[16:17], -v[18:19]
	v_add_f64 v[2:3], v[2:3], v[74:75]
	v_add_f64 v[4:5], v[4:5], v[8:9]
	s_waitcnt vmcnt(3) lgkmcnt(2)
	v_mul_f64 v[80:81], v[60:61], v[26:27]
	v_mul_f64 v[26:27], v[62:63], v[26:27]
	v_fmac_f64_e32 v[78:79], v[58:59], v[20:21]
	v_fma_f64 v[12:13], v[56:57], v[20:21], -v[22:23]
	v_add_f64 v[2:3], v[2:3], v[76:77]
	v_add_f64 v[4:5], v[4:5], v[10:11]
	s_waitcnt vmcnt(2) lgkmcnt(1)
	v_mul_f64 v[82:83], v[64:65], v[30:31]
	v_mul_f64 v[30:31], v[66:67], v[30:31]
	v_fmac_f64_e32 v[80:81], v[62:63], v[24:25]
	v_fma_f64 v[14:15], v[60:61], v[24:25], -v[26:27]
	v_add_f64 v[2:3], v[2:3], v[78:79]
	v_add_f64 v[4:5], v[4:5], v[12:13]
	s_waitcnt vmcnt(1) lgkmcnt(0)
	v_mul_f64 v[84:85], v[68:69], v[34:35]
	v_mul_f64 v[34:35], v[70:71], v[34:35]
	v_fmac_f64_e32 v[82:83], v[66:67], v[28:29]
	v_fma_f64 v[16:17], v[64:65], v[28:29], -v[30:31]
	v_add_f64 v[2:3], v[2:3], v[80:81]
	v_add_f64 v[4:5], v[4:5], v[14:15]
	v_fmac_f64_e32 v[84:85], v[70:71], v[32:33]
	v_fma_f64 v[18:19], v[68:69], v[32:33], -v[34:35]
	v_add_f64 v[2:3], v[2:3], v[82:83]
	v_add_f64 v[4:5], v[4:5], v[16:17]
	;; [unrolled: 1-line block ×4, first 2 shown]
	s_waitcnt vmcnt(0)
	v_add_f64 v[2:3], v[36:37], -v[2:3]
	v_add_f64 v[4:5], v[38:39], -v[6:7]
	scratch_store_dwordx4 off, v[2:5], off offset:336
	s_and_saveexec_b64 s[2:3], vcc
	s_cbranch_execz .LBB93_153
; %bb.152:
	scratch_load_dwordx4 v[2:5], off, s27
	v_mov_b32_e32 v6, 0
	v_mov_b32_e32 v7, v6
	;; [unrolled: 1-line block ×4, first 2 shown]
	scratch_store_dwordx4 off, v[6:9], off offset:320
	s_waitcnt vmcnt(1)
	ds_write_b128 v238, v[2:5]
.LBB93_153:
	s_or_b64 exec, exec, s[2:3]
	s_waitcnt lgkmcnt(0)
	; wave barrier
	scratch_load_dwordx4 v[4:7], off, off offset:336
	scratch_load_dwordx4 v[8:11], off, off offset:352
	;; [unrolled: 1-line block ×10, first 2 shown]
	v_mov_b32_e32 v2, 0
	ds_read_b128 v[44:47], v2 offset:816
	ds_read_b128 v[48:51], v2 offset:832
	;; [unrolled: 1-line block ×9, first 2 shown]
	v_cmp_lt_u32_e32 vcc, 19, v1
	s_waitcnt vmcnt(9) lgkmcnt(8)
	v_mul_f64 v[80:81], v[44:45], v[6:7]
	v_mul_f64 v[6:7], v[46:47], v[6:7]
	s_waitcnt vmcnt(8) lgkmcnt(7)
	v_mul_f64 v[82:83], v[48:49], v[10:11]
	s_waitcnt vmcnt(7) lgkmcnt(6)
	;; [unrolled: 2-line block ×3, first 2 shown]
	v_mul_f64 v[88:89], v[60:61], v[22:23]
	v_mul_f64 v[10:11], v[50:51], v[10:11]
	;; [unrolled: 1-line block ×4, first 2 shown]
	v_fmac_f64_e32 v[80:81], v[46:47], v[4:5]
	v_fma_f64 v[4:5], v[44:45], v[4:5], -v[6:7]
	v_fmac_f64_e32 v[82:83], v[50:51], v[8:9]
	v_fmac_f64_e32 v[84:85], v[54:55], v[12:13]
	v_fma_f64 v[6:7], v[48:49], v[8:9], -v[10:11]
	v_fma_f64 v[8:9], v[52:53], v[12:13], -v[14:15]
	;; [unrolled: 1-line block ×3, first 2 shown]
	v_add_f64 v[22:23], v[80:81], 0
	v_add_f64 v[4:5], v[4:5], 0
	v_mul_f64 v[86:87], v[56:57], v[18:19]
	v_mul_f64 v[18:19], v[58:59], v[18:19]
	v_add_f64 v[22:23], v[22:23], v[82:83]
	v_add_f64 v[4:5], v[4:5], v[6:7]
	v_fmac_f64_e32 v[86:87], v[58:59], v[16:17]
	v_fma_f64 v[10:11], v[56:57], v[16:17], -v[18:19]
	v_add_f64 v[6:7], v[22:23], v[84:85]
	v_add_f64 v[4:5], v[4:5], v[8:9]
	s_waitcnt vmcnt(4) lgkmcnt(3)
	v_mul_f64 v[90:91], v[64:65], v[26:27]
	v_mul_f64 v[26:27], v[66:67], v[26:27]
	v_fmac_f64_e32 v[88:89], v[62:63], v[20:21]
	v_add_f64 v[6:7], v[6:7], v[86:87]
	v_add_f64 v[4:5], v[4:5], v[10:11]
	s_waitcnt vmcnt(3) lgkmcnt(2)
	v_mul_f64 v[92:93], v[68:69], v[30:31]
	v_mul_f64 v[30:31], v[70:71], v[30:31]
	v_fmac_f64_e32 v[90:91], v[66:67], v[24:25]
	v_fma_f64 v[14:15], v[64:65], v[24:25], -v[26:27]
	v_add_f64 v[6:7], v[6:7], v[88:89]
	v_add_f64 v[4:5], v[4:5], v[12:13]
	s_waitcnt vmcnt(2) lgkmcnt(1)
	v_mul_f64 v[94:95], v[72:73], v[34:35]
	v_mul_f64 v[34:35], v[74:75], v[34:35]
	v_fmac_f64_e32 v[92:93], v[70:71], v[28:29]
	v_fma_f64 v[16:17], v[68:69], v[28:29], -v[30:31]
	;; [unrolled: 7-line block ×3, first 2 shown]
	v_add_f64 v[6:7], v[6:7], v[92:93]
	v_add_f64 v[4:5], v[4:5], v[16:17]
	v_fmac_f64_e32 v[96:97], v[78:79], v[36:37]
	v_fma_f64 v[20:21], v[76:77], v[36:37], -v[38:39]
	v_add_f64 v[6:7], v[6:7], v[94:95]
	v_add_f64 v[4:5], v[4:5], v[18:19]
	;; [unrolled: 1-line block ×4, first 2 shown]
	s_waitcnt vmcnt(0)
	v_add_f64 v[4:5], v[40:41], -v[4:5]
	v_add_f64 v[6:7], v[42:43], -v[6:7]
	scratch_store_dwordx4 off, v[4:7], off offset:320
	s_and_saveexec_b64 s[2:3], vcc
	s_cbranch_execz .LBB93_155
; %bb.154:
	scratch_load_dwordx4 v[6:9], off, s28
	v_mov_b32_e32 v3, v2
	v_mov_b32_e32 v4, v2
	;; [unrolled: 1-line block ×3, first 2 shown]
	scratch_store_dwordx4 off, v[2:5], off offset:304
	s_waitcnt vmcnt(1)
	ds_write_b128 v238, v[6:9]
.LBB93_155:
	s_or_b64 exec, exec, s[2:3]
	s_waitcnt lgkmcnt(0)
	; wave barrier
	ds_read_b128 v[4:7], v2 offset:800
	ds_read_b128 v[8:11], v2 offset:816
	;; [unrolled: 1-line block ×4, first 2 shown]
	scratch_load_dwordx4 v[20:23], off, off offset:320
	scratch_load_dwordx4 v[40:43], off, off offset:384
	;; [unrolled: 1-line block ×4, first 2 shown]
	v_cmp_lt_u32_e32 vcc, 18, v1
	scratch_load_dwordx4 v[48:51], off, off offset:400
	scratch_load_dwordx4 v[56:59], off, off offset:416
	;; [unrolled: 1-line block ×3, first 2 shown]
	s_waitcnt vmcnt(6) lgkmcnt(3)
	v_mul_f64 v[24:25], v[4:5], v[22:23]
	v_fmac_f64_e32 v[24:25], v[6:7], v[20:21]
	v_add_f64 v[28:29], v[24:25], 0
	scratch_load_dwordx4 v[24:27], off, off offset:336
	s_waitcnt vmcnt(0) lgkmcnt(2)
	v_mul_f64 v[30:31], v[8:9], v[26:27]
	v_fmac_f64_e32 v[30:31], v[10:11], v[24:25]
	v_add_f64 v[32:33], v[28:29], v[30:31]
	scratch_load_dwordx4 v[28:31], off, off offset:352
	;; [unrolled: 5-line block ×3, first 2 shown]
	s_waitcnt vmcnt(0) lgkmcnt(0)
	v_mul_f64 v[38:39], v[16:17], v[34:35]
	v_fmac_f64_e32 v[38:39], v[18:19], v[32:33]
	v_add_f64 v[44:45], v[36:37], v[38:39]
	ds_read_b128 v[36:39], v2 offset:864
	s_waitcnt lgkmcnt(0)
	v_mul_f64 v[46:47], v[36:37], v[42:43]
	v_fmac_f64_e32 v[46:47], v[38:39], v[40:41]
	v_add_f64 v[52:53], v[44:45], v[46:47]
	ds_read_b128 v[44:47], v2 offset:880
	s_waitcnt lgkmcnt(0)
	;; [unrolled: 5-line block ×6, first 2 shown]
	v_mul_f64 v[2:3], v[76:77], v[82:83]
	v_fmac_f64_e32 v[2:3], v[78:79], v[80:81]
	v_add_f64 v[84:85], v[84:85], v[2:3]
	v_mul_f64 v[2:3], v[6:7], v[22:23]
	v_fma_f64 v[2:3], v[4:5], v[20:21], -v[2:3]
	v_mul_f64 v[4:5], v[10:11], v[26:27]
	v_add_f64 v[2:3], v[2:3], 0
	v_fma_f64 v[4:5], v[8:9], v[24:25], -v[4:5]
	v_add_f64 v[2:3], v[2:3], v[4:5]
	v_mul_f64 v[4:5], v[14:15], v[30:31]
	v_fma_f64 v[4:5], v[12:13], v[28:29], -v[4:5]
	v_add_f64 v[2:3], v[2:3], v[4:5]
	v_mul_f64 v[4:5], v[18:19], v[34:35]
	;; [unrolled: 3-line block ×8, first 2 shown]
	v_fma_f64 v[4:5], v[76:77], v[80:81], -v[4:5]
	v_add_f64 v[6:7], v[2:3], v[4:5]
	scratch_load_dwordx4 v[2:5], off, off offset:304
	s_waitcnt vmcnt(0)
	v_add_f64 v[2:3], v[2:3], -v[6:7]
	v_add_f64 v[4:5], v[4:5], -v[84:85]
	scratch_store_dwordx4 off, v[2:5], off offset:304
	s_and_saveexec_b64 s[2:3], vcc
	s_cbranch_execz .LBB93_157
; %bb.156:
	scratch_load_dwordx4 v[2:5], off, s29
	v_mov_b32_e32 v6, 0
	v_mov_b32_e32 v7, v6
	;; [unrolled: 1-line block ×4, first 2 shown]
	scratch_store_dwordx4 off, v[6:9], off offset:288
	s_waitcnt vmcnt(1)
	ds_write_b128 v238, v[2:5]
.LBB93_157:
	s_or_b64 exec, exec, s[2:3]
	v_mov_b32_e32 v2, 0
	s_waitcnt lgkmcnt(0)
	; wave barrier
	ds_read_b128 v[4:7], v2 offset:784
	ds_read_b128 v[8:11], v2 offset:800
	;; [unrolled: 1-line block ×4, first 2 shown]
	scratch_load_dwordx4 v[20:23], off, off offset:304
	scratch_load_dwordx4 v[40:43], off, off offset:368
	;; [unrolled: 1-line block ×5, first 2 shown]
	v_cmp_lt_u32_e32 vcc, 17, v1
	scratch_load_dwordx4 v[48:51], off, off offset:384
	scratch_load_dwordx4 v[56:59], off, off offset:400
	;; [unrolled: 1-line block ×3, first 2 shown]
	s_waitcnt vmcnt(7) lgkmcnt(3)
	v_mul_f64 v[24:25], v[4:5], v[22:23]
	v_fmac_f64_e32 v[24:25], v[6:7], v[20:21]
	v_add_f64 v[28:29], v[24:25], 0
	scratch_load_dwordx4 v[24:27], off, off offset:320
	v_mul_f64 v[6:7], v[6:7], v[22:23]
	v_fma_f64 v[4:5], v[4:5], v[20:21], -v[6:7]
	v_add_f64 v[4:5], v[4:5], 0
	s_waitcnt vmcnt(0) lgkmcnt(2)
	v_mul_f64 v[30:31], v[8:9], v[26:27]
	v_fmac_f64_e32 v[30:31], v[10:11], v[24:25]
	v_add_f64 v[32:33], v[28:29], v[30:31]
	scratch_load_dwordx4 v[28:31], off, off offset:336
	v_mul_f64 v[6:7], v[10:11], v[26:27]
	v_fma_f64 v[6:7], v[8:9], v[24:25], -v[6:7]
	v_add_f64 v[4:5], v[4:5], v[6:7]
	;; [unrolled: 8-line block ×3, first 2 shown]
	s_waitcnt vmcnt(0) lgkmcnt(0)
	v_mul_f64 v[38:39], v[16:17], v[34:35]
	v_fmac_f64_e32 v[38:39], v[18:19], v[32:33]
	v_add_f64 v[44:45], v[36:37], v[38:39]
	ds_read_b128 v[36:39], v2 offset:848
	v_mul_f64 v[6:7], v[18:19], v[34:35]
	v_fma_f64 v[6:7], v[16:17], v[32:33], -v[6:7]
	v_add_f64 v[4:5], v[4:5], v[6:7]
	s_waitcnt lgkmcnt(0)
	v_mul_f64 v[46:47], v[36:37], v[42:43]
	v_fmac_f64_e32 v[46:47], v[38:39], v[40:41]
	v_add_f64 v[52:53], v[44:45], v[46:47]
	ds_read_b128 v[44:47], v2 offset:864
	v_mul_f64 v[6:7], v[38:39], v[42:43]
	v_fma_f64 v[6:7], v[36:37], v[40:41], -v[6:7]
	v_add_f64 v[4:5], v[4:5], v[6:7]
	s_waitcnt lgkmcnt(0)
	;; [unrolled: 8-line block ×7, first 2 shown]
	v_mul_f64 v[6:7], v[86:87], v[90:91]
	v_fma_f64 v[6:7], v[84:85], v[88:89], -v[6:7]
	v_add_f64 v[8:9], v[4:5], v[6:7]
	scratch_load_dwordx4 v[4:7], off, off offset:288
	v_mul_f64 v[94:95], v[84:85], v[90:91]
	v_fmac_f64_e32 v[94:95], v[86:87], v[88:89]
	v_add_f64 v[92:93], v[92:93], v[94:95]
	s_waitcnt vmcnt(0)
	v_add_f64 v[4:5], v[4:5], -v[8:9]
	v_add_f64 v[6:7], v[6:7], -v[92:93]
	scratch_store_dwordx4 off, v[4:7], off offset:288
	s_and_saveexec_b64 s[2:3], vcc
	s_cbranch_execz .LBB93_159
; %bb.158:
	scratch_load_dwordx4 v[6:9], off, s30
	v_mov_b32_e32 v3, v2
	v_mov_b32_e32 v4, v2
	;; [unrolled: 1-line block ×3, first 2 shown]
	scratch_store_dwordx4 off, v[2:5], off offset:272
	s_waitcnt vmcnt(1)
	ds_write_b128 v238, v[6:9]
.LBB93_159:
	s_or_b64 exec, exec, s[2:3]
	s_waitcnt lgkmcnt(0)
	; wave barrier
	ds_read_b128 v[4:7], v2 offset:768
	ds_read_b128 v[8:11], v2 offset:784
	;; [unrolled: 1-line block ×4, first 2 shown]
	scratch_load_dwordx4 v[20:23], off, off offset:288
	scratch_load_dwordx4 v[40:43], off, off offset:352
	;; [unrolled: 1-line block ×6, first 2 shown]
	v_cmp_lt_u32_e32 vcc, 16, v1
	scratch_load_dwordx4 v[48:51], off, off offset:368
	scratch_load_dwordx4 v[56:59], off, off offset:384
	;; [unrolled: 1-line block ×3, first 2 shown]
	s_waitcnt vmcnt(8) lgkmcnt(3)
	v_mul_f64 v[24:25], v[4:5], v[22:23]
	v_fmac_f64_e32 v[24:25], v[6:7], v[20:21]
	v_add_f64 v[28:29], v[24:25], 0
	scratch_load_dwordx4 v[24:27], off, off offset:304
	s_waitcnt vmcnt(0) lgkmcnt(2)
	v_mul_f64 v[30:31], v[8:9], v[26:27]
	v_fmac_f64_e32 v[30:31], v[10:11], v[24:25]
	v_add_f64 v[32:33], v[28:29], v[30:31]
	scratch_load_dwordx4 v[28:31], off, off offset:320
	;; [unrolled: 5-line block ×3, first 2 shown]
	s_waitcnt vmcnt(0) lgkmcnt(0)
	v_mul_f64 v[38:39], v[16:17], v[34:35]
	v_fmac_f64_e32 v[38:39], v[18:19], v[32:33]
	v_add_f64 v[44:45], v[36:37], v[38:39]
	ds_read_b128 v[36:39], v2 offset:832
	s_waitcnt lgkmcnt(0)
	v_mul_f64 v[46:47], v[36:37], v[42:43]
	v_fmac_f64_e32 v[46:47], v[38:39], v[40:41]
	v_add_f64 v[52:53], v[44:45], v[46:47]
	ds_read_b128 v[44:47], v2 offset:848
	s_waitcnt lgkmcnt(0)
	;; [unrolled: 5-line block ×8, first 2 shown]
	v_mul_f64 v[2:3], v[92:93], v[98:99]
	v_fmac_f64_e32 v[2:3], v[94:95], v[96:97]
	v_add_f64 v[100:101], v[100:101], v[2:3]
	v_mul_f64 v[2:3], v[6:7], v[22:23]
	v_fma_f64 v[2:3], v[4:5], v[20:21], -v[2:3]
	v_mul_f64 v[4:5], v[10:11], v[26:27]
	v_add_f64 v[2:3], v[2:3], 0
	v_fma_f64 v[4:5], v[8:9], v[24:25], -v[4:5]
	v_add_f64 v[2:3], v[2:3], v[4:5]
	v_mul_f64 v[4:5], v[14:15], v[30:31]
	v_fma_f64 v[4:5], v[12:13], v[28:29], -v[4:5]
	v_add_f64 v[2:3], v[2:3], v[4:5]
	v_mul_f64 v[4:5], v[18:19], v[34:35]
	;; [unrolled: 3-line block ×10, first 2 shown]
	v_fma_f64 v[4:5], v[92:93], v[96:97], -v[4:5]
	v_add_f64 v[6:7], v[2:3], v[4:5]
	scratch_load_dwordx4 v[2:5], off, off offset:272
	s_waitcnt vmcnt(0)
	v_add_f64 v[2:3], v[2:3], -v[6:7]
	v_add_f64 v[4:5], v[4:5], -v[100:101]
	scratch_store_dwordx4 off, v[2:5], off offset:272
	s_and_saveexec_b64 s[2:3], vcc
	s_cbranch_execz .LBB93_161
; %bb.160:
	scratch_load_dwordx4 v[2:5], off, s31
	v_mov_b32_e32 v6, 0
	v_mov_b32_e32 v7, v6
	;; [unrolled: 1-line block ×4, first 2 shown]
	scratch_store_dwordx4 off, v[6:9], off offset:256
	s_waitcnt vmcnt(1)
	ds_write_b128 v238, v[2:5]
.LBB93_161:
	s_or_b64 exec, exec, s[2:3]
	s_waitcnt lgkmcnt(0)
	; wave barrier
	scratch_load_dwordx4 v[4:7], off, off offset:272
	scratch_load_dwordx4 v[8:11], off, off offset:288
	;; [unrolled: 1-line block ×14, first 2 shown]
	v_mov_b32_e32 v2, 0
	ds_read_b128 v[60:63], v2 offset:752
	ds_read_b128 v[64:67], v2 offset:768
	ds_read_b128 v[68:71], v2 offset:784
	ds_read_b128 v[72:75], v2 offset:800
	ds_read_b128 v[76:79], v2 offset:816
	ds_read_b128 v[80:83], v2 offset:832
	ds_read_b128 v[84:87], v2 offset:848
	ds_read_b128 v[88:91], v2 offset:864
	ds_read_b128 v[92:95], v2 offset:880
	ds_read_b128 v[96:99], v2 offset:896
	ds_read_b128 v[100:103], v2 offset:912
	ds_read_b128 v[104:107], v2 offset:928
	ds_read_b128 v[108:111], v2 offset:944
	v_cmp_lt_u32_e32 vcc, 15, v1
	s_waitcnt vmcnt(13) lgkmcnt(12)
	v_mul_f64 v[112:113], v[60:61], v[6:7]
	v_mul_f64 v[6:7], v[62:63], v[6:7]
	s_waitcnt vmcnt(12) lgkmcnt(11)
	v_mul_f64 v[114:115], v[64:65], v[10:11]
	v_mul_f64 v[10:11], v[66:67], v[10:11]
	v_fmac_f64_e32 v[112:113], v[62:63], v[4:5]
	v_fma_f64 v[4:5], v[60:61], v[4:5], -v[6:7]
	s_waitcnt vmcnt(11) lgkmcnt(10)
	v_mul_f64 v[116:117], v[68:69], v[14:15]
	v_mul_f64 v[14:15], v[70:71], v[14:15]
	v_fma_f64 v[6:7], v[64:65], v[8:9], -v[10:11]
	v_add_f64 v[4:5], v[4:5], 0
	s_waitcnt vmcnt(10) lgkmcnt(9)
	v_mul_f64 v[118:119], v[72:73], v[18:19]
	v_mul_f64 v[18:19], v[74:75], v[18:19]
	v_fmac_f64_e32 v[114:115], v[66:67], v[8:9]
	v_fma_f64 v[8:9], v[68:69], v[12:13], -v[14:15]
	v_add_f64 v[4:5], v[4:5], v[6:7]
	s_waitcnt vmcnt(9) lgkmcnt(8)
	v_mul_f64 v[120:121], v[76:77], v[22:23]
	v_mul_f64 v[22:23], v[78:79], v[22:23]
	v_fma_f64 v[10:11], v[72:73], v[16:17], -v[18:19]
	v_add_f64 v[4:5], v[4:5], v[8:9]
	s_waitcnt vmcnt(8) lgkmcnt(7)
	v_mul_f64 v[122:123], v[80:81], v[26:27]
	v_mul_f64 v[26:27], v[82:83], v[26:27]
	v_fmac_f64_e32 v[116:117], v[70:71], v[12:13]
	v_fma_f64 v[12:13], v[76:77], v[20:21], -v[22:23]
	v_add_f64 v[22:23], v[112:113], 0
	v_add_f64 v[4:5], v[4:5], v[10:11]
	s_waitcnt vmcnt(7) lgkmcnt(6)
	v_mul_f64 v[124:125], v[84:85], v[30:31]
	v_mul_f64 v[30:31], v[86:87], v[30:31]
	v_fma_f64 v[14:15], v[80:81], v[24:25], -v[26:27]
	v_add_f64 v[22:23], v[22:23], v[114:115]
	v_add_f64 v[4:5], v[4:5], v[12:13]
	s_waitcnt vmcnt(6) lgkmcnt(5)
	v_mul_f64 v[126:127], v[88:89], v[34:35]
	v_mul_f64 v[34:35], v[90:91], v[34:35]
	v_fmac_f64_e32 v[118:119], v[74:75], v[16:17]
	v_fma_f64 v[16:17], v[84:85], v[28:29], -v[30:31]
	v_add_f64 v[6:7], v[22:23], v[116:117]
	v_add_f64 v[4:5], v[4:5], v[14:15]
	s_waitcnt vmcnt(5) lgkmcnt(4)
	v_mul_f64 v[128:129], v[92:93], v[38:39]
	v_mul_f64 v[38:39], v[94:95], v[38:39]
	v_fmac_f64_e32 v[120:121], v[78:79], v[20:21]
	v_fma_f64 v[18:19], v[88:89], v[32:33], -v[34:35]
	v_add_f64 v[6:7], v[6:7], v[118:119]
	v_add_f64 v[4:5], v[4:5], v[16:17]
	v_fmac_f64_e32 v[122:123], v[82:83], v[24:25]
	v_fma_f64 v[20:21], v[92:93], v[36:37], -v[38:39]
	v_add_f64 v[6:7], v[6:7], v[120:121]
	v_add_f64 v[4:5], v[4:5], v[18:19]
	s_waitcnt vmcnt(4) lgkmcnt(3)
	v_mul_f64 v[8:9], v[98:99], v[42:43]
	v_fmac_f64_e32 v[124:125], v[86:87], v[28:29]
	v_add_f64 v[6:7], v[6:7], v[122:123]
	v_add_f64 v[4:5], v[4:5], v[20:21]
	v_fma_f64 v[8:9], v[96:97], v[40:41], -v[8:9]
	v_fmac_f64_e32 v[126:127], v[90:91], v[32:33]
	v_add_f64 v[6:7], v[6:7], v[124:125]
	v_add_f64 v[4:5], v[4:5], v[8:9]
	s_waitcnt vmcnt(3) lgkmcnt(2)
	v_mul_f64 v[8:9], v[102:103], v[46:47]
	v_mul_f64 v[130:131], v[96:97], v[42:43]
	v_fmac_f64_e32 v[128:129], v[94:95], v[36:37]
	v_add_f64 v[6:7], v[6:7], v[126:127]
	v_fma_f64 v[8:9], v[100:101], v[44:45], -v[8:9]
	v_mul_f64 v[132:133], v[100:101], v[46:47]
	v_fmac_f64_e32 v[130:131], v[98:99], v[40:41]
	v_add_f64 v[6:7], v[6:7], v[128:129]
	v_add_f64 v[4:5], v[4:5], v[8:9]
	s_waitcnt vmcnt(2) lgkmcnt(1)
	v_mul_f64 v[8:9], v[106:107], v[50:51]
	v_mul_f64 v[134:135], v[104:105], v[50:51]
	v_fmac_f64_e32 v[132:133], v[102:103], v[44:45]
	v_add_f64 v[6:7], v[6:7], v[130:131]
	v_fma_f64 v[8:9], v[104:105], v[48:49], -v[8:9]
	s_waitcnt vmcnt(1) lgkmcnt(0)
	v_mul_f64 v[136:137], v[108:109], v[54:55]
	v_fmac_f64_e32 v[134:135], v[106:107], v[48:49]
	v_add_f64 v[6:7], v[6:7], v[132:133]
	v_add_f64 v[4:5], v[4:5], v[8:9]
	v_mul_f64 v[8:9], v[110:111], v[54:55]
	v_fmac_f64_e32 v[136:137], v[110:111], v[52:53]
	v_add_f64 v[6:7], v[6:7], v[134:135]
	v_fma_f64 v[8:9], v[108:109], v[52:53], -v[8:9]
	v_add_f64 v[6:7], v[6:7], v[136:137]
	v_add_f64 v[4:5], v[4:5], v[8:9]
	s_waitcnt vmcnt(0)
	v_add_f64 v[4:5], v[56:57], -v[4:5]
	v_add_f64 v[6:7], v[58:59], -v[6:7]
	scratch_store_dwordx4 off, v[4:7], off offset:256
	s_and_saveexec_b64 s[2:3], vcc
	s_cbranch_execz .LBB93_163
; %bb.162:
	scratch_load_dwordx4 v[6:9], off, s33
	v_mov_b32_e32 v3, v2
	v_mov_b32_e32 v4, v2
	;; [unrolled: 1-line block ×3, first 2 shown]
	scratch_store_dwordx4 off, v[2:5], off offset:240
	s_waitcnt vmcnt(1)
	ds_write_b128 v238, v[6:9]
.LBB93_163:
	s_or_b64 exec, exec, s[2:3]
	s_waitcnt lgkmcnt(0)
	; wave barrier
	scratch_load_dwordx4 v[4:7], off, off offset:256
	scratch_load_dwordx4 v[8:11], off, off offset:272
	;; [unrolled: 1-line block ×14, first 2 shown]
	ds_read_b128 v[60:63], v2 offset:736
	ds_read_b128 v[64:67], v2 offset:752
	;; [unrolled: 1-line block ×14, first 2 shown]
	scratch_load_dwordx4 v[116:119], off, off offset:240
	v_cmp_lt_u32_e32 vcc, 14, v1
	s_waitcnt vmcnt(14) lgkmcnt(13)
	v_mul_f64 v[2:3], v[60:61], v[6:7]
	s_waitcnt vmcnt(13) lgkmcnt(12)
	v_mul_f64 v[120:121], v[64:65], v[10:11]
	v_fmac_f64_e32 v[2:3], v[62:63], v[4:5]
	s_waitcnt vmcnt(12) lgkmcnt(11)
	v_mul_f64 v[122:123], v[68:69], v[14:15]
	v_fmac_f64_e32 v[120:121], v[66:67], v[8:9]
	v_add_f64 v[2:3], v[2:3], 0
	s_waitcnt vmcnt(11) lgkmcnt(10)
	v_mul_f64 v[124:125], v[72:73], v[18:19]
	v_fmac_f64_e32 v[122:123], v[70:71], v[12:13]
	v_add_f64 v[2:3], v[2:3], v[120:121]
	;; [unrolled: 4-line block ×4, first 2 shown]
	s_waitcnt vmcnt(8) lgkmcnt(7)
	v_mul_f64 v[130:131], v[84:85], v[30:31]
	v_mul_f64 v[6:7], v[62:63], v[6:7]
	v_fmac_f64_e32 v[128:129], v[82:83], v[24:25]
	v_add_f64 v[2:3], v[2:3], v[126:127]
	s_waitcnt vmcnt(7) lgkmcnt(6)
	v_mul_f64 v[132:133], v[88:89], v[34:35]
	v_mul_f64 v[10:11], v[66:67], v[10:11]
	v_fmac_f64_e32 v[130:131], v[86:87], v[28:29]
	v_fma_f64 v[4:5], v[60:61], v[4:5], -v[6:7]
	v_add_f64 v[2:3], v[2:3], v[128:129]
	s_waitcnt vmcnt(6) lgkmcnt(5)
	v_mul_f64 v[134:135], v[92:93], v[38:39]
	v_mul_f64 v[14:15], v[70:71], v[14:15]
	v_fmac_f64_e32 v[132:133], v[90:91], v[32:33]
	v_fma_f64 v[6:7], v[64:65], v[8:9], -v[10:11]
	v_add_f64 v[4:5], v[4:5], 0
	v_add_f64 v[2:3], v[2:3], v[130:131]
	s_waitcnt vmcnt(5) lgkmcnt(4)
	v_mul_f64 v[136:137], v[96:97], v[42:43]
	v_mul_f64 v[18:19], v[74:75], v[18:19]
	v_fmac_f64_e32 v[134:135], v[94:95], v[36:37]
	v_fma_f64 v[8:9], v[68:69], v[12:13], -v[14:15]
	v_add_f64 v[4:5], v[4:5], v[6:7]
	;; [unrolled: 7-line block ×6, first 2 shown]
	v_add_f64 v[2:3], v[2:3], v[140:141]
	v_fmac_f64_e32 v[144:145], v[114:115], v[56:57]
	v_fma_f64 v[18:19], v[88:89], v[32:33], -v[34:35]
	v_add_f64 v[4:5], v[4:5], v[16:17]
	v_add_f64 v[2:3], v[2:3], v[142:143]
	;; [unrolled: 1-line block ×4, first 2 shown]
	v_mul_f64 v[4:5], v[94:95], v[38:39]
	v_fma_f64 v[4:5], v[92:93], v[36:37], -v[4:5]
	v_add_f64 v[2:3], v[2:3], v[4:5]
	v_mul_f64 v[4:5], v[98:99], v[42:43]
	v_fma_f64 v[4:5], v[96:97], v[40:41], -v[4:5]
	v_add_f64 v[2:3], v[2:3], v[4:5]
	;; [unrolled: 3-line block ×6, first 2 shown]
	s_waitcnt vmcnt(0)
	v_add_f64 v[2:3], v[116:117], -v[2:3]
	v_add_f64 v[4:5], v[118:119], -v[6:7]
	scratch_store_dwordx4 off, v[2:5], off offset:240
	s_and_saveexec_b64 s[2:3], vcc
	s_cbranch_execz .LBB93_165
; %bb.164:
	scratch_load_dwordx4 v[2:5], off, s34
	v_mov_b32_e32 v6, 0
	v_mov_b32_e32 v7, v6
	;; [unrolled: 1-line block ×4, first 2 shown]
	scratch_store_dwordx4 off, v[6:9], off offset:224
	s_waitcnt vmcnt(1)
	ds_write_b128 v238, v[2:5]
.LBB93_165:
	s_or_b64 exec, exec, s[2:3]
	s_waitcnt lgkmcnt(0)
	; wave barrier
	scratch_load_dwordx4 v[4:7], off, off offset:240
	scratch_load_dwordx4 v[8:11], off, off offset:256
	;; [unrolled: 1-line block ×16, first 2 shown]
	v_mov_b32_e32 v2, 0
	ds_read_b128 v[68:71], v2 offset:720
	ds_read_b128 v[72:75], v2 offset:736
	;; [unrolled: 1-line block ×15, first 2 shown]
	v_cmp_lt_u32_e32 vcc, 13, v1
	s_waitcnt vmcnt(15) lgkmcnt(14)
	v_mul_f64 v[128:129], v[68:69], v[6:7]
	v_mul_f64 v[6:7], v[70:71], v[6:7]
	s_waitcnt vmcnt(14) lgkmcnt(13)
	v_mul_f64 v[130:131], v[72:73], v[10:11]
	v_mul_f64 v[10:11], v[74:75], v[10:11]
	v_fmac_f64_e32 v[128:129], v[70:71], v[4:5]
	v_fma_f64 v[4:5], v[68:69], v[4:5], -v[6:7]
	s_waitcnt vmcnt(13) lgkmcnt(12)
	v_mul_f64 v[132:133], v[76:77], v[14:15]
	v_mul_f64 v[14:15], v[78:79], v[14:15]
	v_fma_f64 v[6:7], v[72:73], v[8:9], -v[10:11]
	v_add_f64 v[4:5], v[4:5], 0
	s_waitcnt vmcnt(12) lgkmcnt(11)
	v_mul_f64 v[134:135], v[80:81], v[18:19]
	v_mul_f64 v[18:19], v[82:83], v[18:19]
	v_fmac_f64_e32 v[130:131], v[74:75], v[8:9]
	v_fma_f64 v[8:9], v[76:77], v[12:13], -v[14:15]
	v_add_f64 v[4:5], v[4:5], v[6:7]
	s_waitcnt vmcnt(11) lgkmcnt(10)
	v_mul_f64 v[136:137], v[84:85], v[22:23]
	v_mul_f64 v[22:23], v[86:87], v[22:23]
	v_fma_f64 v[10:11], v[80:81], v[16:17], -v[18:19]
	v_add_f64 v[4:5], v[4:5], v[8:9]
	s_waitcnt vmcnt(10) lgkmcnt(9)
	v_mul_f64 v[138:139], v[88:89], v[26:27]
	v_mul_f64 v[26:27], v[90:91], v[26:27]
	v_fmac_f64_e32 v[132:133], v[78:79], v[12:13]
	v_fma_f64 v[12:13], v[84:85], v[20:21], -v[22:23]
	v_add_f64 v[4:5], v[4:5], v[10:11]
	v_fma_f64 v[14:15], v[88:89], v[24:25], -v[26:27]
	v_add_f64 v[4:5], v[4:5], v[12:13]
	s_waitcnt vmcnt(9) lgkmcnt(8)
	v_mul_f64 v[8:9], v[94:95], v[30:31]
	v_add_f64 v[4:5], v[4:5], v[14:15]
	v_fma_f64 v[8:9], v[92:93], v[28:29], -v[8:9]
	v_add_f64 v[4:5], v[4:5], v[8:9]
	s_waitcnt vmcnt(8) lgkmcnt(7)
	v_mul_f64 v[8:9], v[98:99], v[34:35]
	v_fma_f64 v[8:9], v[96:97], v[32:33], -v[8:9]
	v_fmac_f64_e32 v[134:135], v[82:83], v[16:17]
	v_add_f64 v[16:17], v[128:129], 0
	v_add_f64 v[4:5], v[4:5], v[8:9]
	s_waitcnt vmcnt(7) lgkmcnt(6)
	v_mul_f64 v[8:9], v[102:103], v[38:39]
	v_add_f64 v[16:17], v[16:17], v[130:131]
	v_fma_f64 v[8:9], v[100:101], v[36:37], -v[8:9]
	v_add_f64 v[6:7], v[16:17], v[132:133]
	v_add_f64 v[4:5], v[4:5], v[8:9]
	s_waitcnt vmcnt(6) lgkmcnt(5)
	v_mul_f64 v[8:9], v[106:107], v[42:43]
	v_fmac_f64_e32 v[136:137], v[86:87], v[20:21]
	v_add_f64 v[6:7], v[6:7], v[134:135]
	v_fma_f64 v[8:9], v[104:105], v[40:41], -v[8:9]
	v_mul_f64 v[140:141], v[92:93], v[30:31]
	v_fmac_f64_e32 v[138:139], v[90:91], v[24:25]
	v_add_f64 v[6:7], v[6:7], v[136:137]
	v_add_f64 v[4:5], v[4:5], v[8:9]
	s_waitcnt vmcnt(5) lgkmcnt(4)
	v_mul_f64 v[8:9], v[110:111], v[46:47]
	v_mul_f64 v[142:143], v[96:97], v[34:35]
	v_fmac_f64_e32 v[140:141], v[94:95], v[28:29]
	v_add_f64 v[6:7], v[6:7], v[138:139]
	v_fma_f64 v[8:9], v[108:109], v[44:45], -v[8:9]
	v_mul_f64 v[144:145], v[100:101], v[38:39]
	v_fmac_f64_e32 v[142:143], v[98:99], v[32:33]
	v_add_f64 v[6:7], v[6:7], v[140:141]
	v_add_f64 v[4:5], v[4:5], v[8:9]
	s_waitcnt vmcnt(4) lgkmcnt(3)
	v_mul_f64 v[8:9], v[114:115], v[50:51]
	;; [unrolled: 10-line block ×4, first 2 shown]
	v_mul_f64 v[154:155], v[120:121], v[58:59]
	v_fmac_f64_e32 v[152:153], v[118:119], v[52:53]
	v_add_f64 v[6:7], v[6:7], v[150:151]
	v_fma_f64 v[8:9], v[120:121], v[56:57], -v[8:9]
	s_waitcnt vmcnt(1) lgkmcnt(0)
	v_mul_f64 v[156:157], v[124:125], v[62:63]
	v_fmac_f64_e32 v[154:155], v[122:123], v[56:57]
	v_add_f64 v[6:7], v[6:7], v[152:153]
	v_add_f64 v[4:5], v[4:5], v[8:9]
	v_mul_f64 v[8:9], v[126:127], v[62:63]
	v_fmac_f64_e32 v[156:157], v[126:127], v[60:61]
	v_add_f64 v[6:7], v[6:7], v[154:155]
	v_fma_f64 v[8:9], v[124:125], v[60:61], -v[8:9]
	v_add_f64 v[6:7], v[6:7], v[156:157]
	v_add_f64 v[4:5], v[4:5], v[8:9]
	s_waitcnt vmcnt(0)
	v_add_f64 v[4:5], v[64:65], -v[4:5]
	v_add_f64 v[6:7], v[66:67], -v[6:7]
	scratch_store_dwordx4 off, v[4:7], off offset:224
	s_and_saveexec_b64 s[2:3], vcc
	s_cbranch_execz .LBB93_167
; %bb.166:
	scratch_load_dwordx4 v[6:9], off, s35
	v_mov_b32_e32 v3, v2
	v_mov_b32_e32 v4, v2
	;; [unrolled: 1-line block ×3, first 2 shown]
	scratch_store_dwordx4 off, v[2:5], off offset:208
	s_waitcnt vmcnt(1)
	ds_write_b128 v238, v[6:9]
.LBB93_167:
	s_or_b64 exec, exec, s[2:3]
	s_waitcnt lgkmcnt(0)
	; wave barrier
	scratch_load_dwordx4 v[4:7], off, off offset:224
	scratch_load_dwordx4 v[8:11], off, off offset:240
	scratch_load_dwordx4 v[12:15], off, off offset:256
	scratch_load_dwordx4 v[16:19], off, off offset:272
	scratch_load_dwordx4 v[24:27], off, off offset:288
	scratch_load_dwordx4 v[20:23], off, off offset:304
	scratch_load_dwordx4 v[28:31], off, off offset:320
	scratch_load_dwordx4 v[32:35], off, off offset:336
	scratch_load_dwordx4 v[36:39], off, off offset:352
	scratch_load_dwordx4 v[40:43], off, off offset:368
	scratch_load_dwordx4 v[44:47], off, off offset:384
	scratch_load_dwordx4 v[48:51], off, off offset:400
	scratch_load_dwordx4 v[52:55], off, off offset:416
	scratch_load_dwordx4 v[56:59], off, off offset:432
	scratch_load_dwordx4 v[60:63], off, off offset:448
	scratch_load_dwordx4 v[64:67], off, off offset:464
	ds_read_b128 v[68:71], v2 offset:704
	ds_read_b128 v[72:75], v2 offset:720
	;; [unrolled: 1-line block ×16, first 2 shown]
	scratch_load_dwordx4 v[132:135], off, off offset:208
	v_cmp_lt_u32_e32 vcc, 12, v1
	s_waitcnt vmcnt(16) lgkmcnt(14)
	v_mul_f64 v[2:3], v[68:69], v[6:7]
	s_waitcnt vmcnt(15)
	v_mul_f64 v[136:137], v[72:73], v[10:11]
	v_fmac_f64_e32 v[2:3], v[70:71], v[4:5]
	s_waitcnt vmcnt(14) lgkmcnt(13)
	v_mul_f64 v[138:139], v[76:77], v[14:15]
	v_fmac_f64_e32 v[136:137], v[74:75], v[8:9]
	v_add_f64 v[2:3], v[2:3], 0
	s_waitcnt vmcnt(13) lgkmcnt(12)
	v_mul_f64 v[140:141], v[80:81], v[18:19]
	v_fmac_f64_e32 v[138:139], v[78:79], v[12:13]
	v_add_f64 v[2:3], v[2:3], v[136:137]
	;; [unrolled: 4-line block ×10, first 2 shown]
	s_waitcnt vmcnt(4) lgkmcnt(3)
	v_mul_f64 v[158:159], v[116:117], v[54:55]
	v_mul_f64 v[6:7], v[70:71], v[6:7]
	v_fmac_f64_e32 v[156:157], v[114:115], v[48:49]
	v_add_f64 v[2:3], v[2:3], v[154:155]
	s_waitcnt vmcnt(3) lgkmcnt(2)
	v_mul_f64 v[160:161], v[120:121], v[58:59]
	v_mul_f64 v[10:11], v[74:75], v[10:11]
	v_fmac_f64_e32 v[158:159], v[118:119], v[52:53]
	v_fma_f64 v[4:5], v[68:69], v[4:5], -v[6:7]
	v_add_f64 v[2:3], v[2:3], v[156:157]
	s_waitcnt vmcnt(2) lgkmcnt(1)
	v_mul_f64 v[162:163], v[124:125], v[62:63]
	v_mul_f64 v[14:15], v[78:79], v[14:15]
	v_fmac_f64_e32 v[160:161], v[122:123], v[56:57]
	v_fma_f64 v[6:7], v[72:73], v[8:9], -v[10:11]
	v_add_f64 v[4:5], v[4:5], 0
	v_add_f64 v[2:3], v[2:3], v[158:159]
	s_waitcnt vmcnt(1) lgkmcnt(0)
	v_mul_f64 v[164:165], v[128:129], v[66:67]
	v_mul_f64 v[18:19], v[82:83], v[18:19]
	v_fmac_f64_e32 v[162:163], v[126:127], v[60:61]
	v_fma_f64 v[8:9], v[76:77], v[12:13], -v[14:15]
	v_add_f64 v[4:5], v[4:5], v[6:7]
	v_add_f64 v[2:3], v[2:3], v[160:161]
	v_mul_f64 v[26:27], v[86:87], v[26:27]
	v_fmac_f64_e32 v[164:165], v[130:131], v[64:65]
	v_fma_f64 v[10:11], v[80:81], v[16:17], -v[18:19]
	v_add_f64 v[4:5], v[4:5], v[8:9]
	v_add_f64 v[2:3], v[2:3], v[162:163]
	v_fma_f64 v[12:13], v[84:85], v[24:25], -v[26:27]
	v_add_f64 v[4:5], v[4:5], v[10:11]
	v_add_f64 v[6:7], v[2:3], v[164:165]
	v_mul_f64 v[2:3], v[90:91], v[22:23]
	v_add_f64 v[4:5], v[4:5], v[12:13]
	v_fma_f64 v[2:3], v[88:89], v[20:21], -v[2:3]
	v_add_f64 v[2:3], v[4:5], v[2:3]
	v_mul_f64 v[4:5], v[94:95], v[30:31]
	v_fma_f64 v[4:5], v[92:93], v[28:29], -v[4:5]
	v_add_f64 v[2:3], v[2:3], v[4:5]
	v_mul_f64 v[4:5], v[98:99], v[34:35]
	;; [unrolled: 3-line block ×10, first 2 shown]
	v_fma_f64 v[4:5], v[128:129], v[64:65], -v[4:5]
	v_add_f64 v[2:3], v[2:3], v[4:5]
	s_waitcnt vmcnt(0)
	v_add_f64 v[2:3], v[132:133], -v[2:3]
	v_add_f64 v[4:5], v[134:135], -v[6:7]
	scratch_store_dwordx4 off, v[2:5], off offset:208
	s_and_saveexec_b64 s[2:3], vcc
	s_cbranch_execz .LBB93_169
; %bb.168:
	scratch_load_dwordx4 v[2:5], off, s36
	v_mov_b32_e32 v6, 0
	v_mov_b32_e32 v7, v6
	;; [unrolled: 1-line block ×4, first 2 shown]
	scratch_store_dwordx4 off, v[6:9], off offset:192
	s_waitcnt vmcnt(1)
	ds_write_b128 v238, v[2:5]
.LBB93_169:
	s_or_b64 exec, exec, s[2:3]
	s_waitcnt lgkmcnt(0)
	; wave barrier
	scratch_load_dwordx4 v[4:7], off, off offset:208
	scratch_load_dwordx4 v[8:11], off, off offset:224
	scratch_load_dwordx4 v[16:19], off, off offset:240
	scratch_load_dwordx4 v[12:15], off, off offset:256
	scratch_load_dwordx4 v[20:23], off, off offset:272
	scratch_load_dwordx4 v[24:27], off, off offset:288
	scratch_load_dwordx4 v[28:31], off, off offset:304
	scratch_load_dwordx4 v[32:35], off, off offset:320
	scratch_load_dwordx4 v[36:39], off, off offset:336
	scratch_load_dwordx4 v[40:43], off, off offset:352
	scratch_load_dwordx4 v[44:47], off, off offset:368
	scratch_load_dwordx4 v[48:51], off, off offset:384
	scratch_load_dwordx4 v[52:55], off, off offset:400
	scratch_load_dwordx4 v[56:59], off, off offset:416
	scratch_load_dwordx4 v[60:63], off, off offset:432
	scratch_load_dwordx4 v[64:67], off, off offset:448
	scratch_load_dwordx4 v[68:71], off, off offset:464
	scratch_load_dwordx4 v[72:75], off, off offset:192
	v_mov_b32_e32 v2, 0
	ds_read_b128 v[76:79], v2 offset:688
	ds_read_b128 v[80:83], v2 offset:704
	;; [unrolled: 1-line block ×17, first 2 shown]
	v_cmp_lt_u32_e32 vcc, 11, v1
	s_waitcnt vmcnt(17) lgkmcnt(14)
	v_mul_f64 v[144:145], v[76:77], v[6:7]
	v_mul_f64 v[6:7], v[78:79], v[6:7]
	s_waitcnt vmcnt(16)
	v_mul_f64 v[146:147], v[80:81], v[10:11]
	v_mul_f64 v[10:11], v[82:83], v[10:11]
	v_fmac_f64_e32 v[144:145], v[78:79], v[4:5]
	v_fma_f64 v[4:5], v[76:77], v[4:5], -v[6:7]
	s_waitcnt vmcnt(15)
	v_mul_f64 v[148:149], v[84:85], v[18:19]
	v_mul_f64 v[18:19], v[86:87], v[18:19]
	v_fma_f64 v[6:7], v[80:81], v[8:9], -v[10:11]
	v_add_f64 v[4:5], v[4:5], 0
	s_waitcnt vmcnt(14) lgkmcnt(13)
	v_mul_f64 v[150:151], v[88:89], v[14:15]
	v_mul_f64 v[14:15], v[90:91], v[14:15]
	v_fmac_f64_e32 v[146:147], v[82:83], v[8:9]
	v_fma_f64 v[8:9], v[84:85], v[16:17], -v[18:19]
	v_add_f64 v[4:5], v[4:5], v[6:7]
	v_add_f64 v[4:5], v[4:5], v[8:9]
	v_fma_f64 v[8:9], v[88:89], v[12:13], -v[14:15]
	v_add_f64 v[4:5], v[4:5], v[8:9]
	s_waitcnt vmcnt(13) lgkmcnt(12)
	v_mul_f64 v[8:9], v[94:95], v[22:23]
	v_fma_f64 v[8:9], v[92:93], v[20:21], -v[8:9]
	v_add_f64 v[4:5], v[4:5], v[8:9]
	s_waitcnt vmcnt(12) lgkmcnt(11)
	v_mul_f64 v[8:9], v[98:99], v[26:27]
	;; [unrolled: 4-line block ×5, first 2 shown]
	v_fma_f64 v[8:9], v[108:109], v[36:37], -v[8:9]
	v_add_f64 v[10:11], v[144:145], 0
	v_add_f64 v[4:5], v[4:5], v[8:9]
	s_waitcnt vmcnt(8) lgkmcnt(7)
	v_mul_f64 v[8:9], v[114:115], v[42:43]
	v_fmac_f64_e32 v[148:149], v[86:87], v[16:17]
	v_add_f64 v[10:11], v[10:11], v[146:147]
	v_fma_f64 v[8:9], v[112:113], v[40:41], -v[8:9]
	v_mul_f64 v[152:153], v[92:93], v[22:23]
	v_fmac_f64_e32 v[150:151], v[90:91], v[12:13]
	v_add_f64 v[6:7], v[10:11], v[148:149]
	v_add_f64 v[4:5], v[4:5], v[8:9]
	s_waitcnt vmcnt(7) lgkmcnt(6)
	v_mul_f64 v[8:9], v[118:119], v[46:47]
	v_mul_f64 v[154:155], v[96:97], v[26:27]
	v_fmac_f64_e32 v[152:153], v[94:95], v[20:21]
	v_add_f64 v[6:7], v[6:7], v[150:151]
	v_fma_f64 v[8:9], v[116:117], v[44:45], -v[8:9]
	v_mul_f64 v[156:157], v[100:101], v[30:31]
	v_fmac_f64_e32 v[154:155], v[98:99], v[24:25]
	v_add_f64 v[6:7], v[6:7], v[152:153]
	v_add_f64 v[4:5], v[4:5], v[8:9]
	s_waitcnt vmcnt(6) lgkmcnt(5)
	v_mul_f64 v[8:9], v[122:123], v[50:51]
	;; [unrolled: 10-line block ×6, first 2 shown]
	v_mul_f64 v[174:175], v[136:137], v[66:67]
	v_fmac_f64_e32 v[172:173], v[134:135], v[60:61]
	v_add_f64 v[6:7], v[6:7], v[170:171]
	v_fma_f64 v[8:9], v[136:137], v[64:65], -v[8:9]
	s_waitcnt vmcnt(1) lgkmcnt(0)
	v_mul_f64 v[178:179], v[140:141], v[70:71]
	v_fmac_f64_e32 v[174:175], v[138:139], v[64:65]
	v_add_f64 v[6:7], v[6:7], v[172:173]
	v_add_f64 v[4:5], v[4:5], v[8:9]
	v_mul_f64 v[8:9], v[142:143], v[70:71]
	v_fmac_f64_e32 v[178:179], v[142:143], v[68:69]
	v_add_f64 v[6:7], v[6:7], v[174:175]
	v_fma_f64 v[8:9], v[140:141], v[68:69], -v[8:9]
	v_add_f64 v[6:7], v[6:7], v[178:179]
	v_add_f64 v[4:5], v[4:5], v[8:9]
	s_waitcnt vmcnt(0)
	v_add_f64 v[4:5], v[72:73], -v[4:5]
	v_add_f64 v[6:7], v[74:75], -v[6:7]
	scratch_store_dwordx4 off, v[4:7], off offset:192
	s_and_saveexec_b64 s[2:3], vcc
	s_cbranch_execz .LBB93_171
; %bb.170:
	scratch_load_dwordx4 v[6:9], off, s37
	v_mov_b32_e32 v3, v2
	v_mov_b32_e32 v4, v2
	;; [unrolled: 1-line block ×3, first 2 shown]
	scratch_store_dwordx4 off, v[2:5], off offset:176
	s_waitcnt vmcnt(1)
	ds_write_b128 v238, v[6:9]
.LBB93_171:
	s_or_b64 exec, exec, s[2:3]
	s_waitcnt lgkmcnt(0)
	; wave barrier
	scratch_load_dwordx4 v[4:7], off, off offset:192
	scratch_load_dwordx4 v[12:15], off, off offset:208
	;; [unrolled: 1-line block ×18, first 2 shown]
	ds_read_b128 v[76:79], v2 offset:672
	ds_read_b128 v[80:83], v2 offset:688
	;; [unrolled: 1-line block ×18, first 2 shown]
	scratch_load_dwordx4 v[148:151], off, off offset:176
	v_cmp_lt_u32_e32 vcc, 10, v1
	s_waitcnt vmcnt(18) lgkmcnt(14)
	v_mul_f64 v[2:3], v[76:77], v[6:7]
	s_waitcnt vmcnt(17)
	v_mul_f64 v[152:153], v[80:81], v[14:15]
	v_fmac_f64_e32 v[2:3], v[78:79], v[4:5]
	s_waitcnt vmcnt(16)
	v_mul_f64 v[154:155], v[84:85], v[10:11]
	v_fmac_f64_e32 v[152:153], v[82:83], v[12:13]
	v_add_f64 v[2:3], v[2:3], 0
	s_waitcnt vmcnt(15)
	v_mul_f64 v[156:157], v[88:89], v[18:19]
	v_fmac_f64_e32 v[154:155], v[86:87], v[8:9]
	v_add_f64 v[2:3], v[2:3], v[152:153]
	s_waitcnt vmcnt(14) lgkmcnt(13)
	v_mul_f64 v[158:159], v[92:93], v[22:23]
	v_fmac_f64_e32 v[156:157], v[90:91], v[16:17]
	v_add_f64 v[2:3], v[2:3], v[154:155]
	s_waitcnt vmcnt(13) lgkmcnt(12)
	;; [unrolled: 4-line block ×13, first 2 shown]
	v_mul_f64 v[184:185], v[140:141], v[70:71]
	v_mul_f64 v[6:7], v[78:79], v[6:7]
	v_fmac_f64_e32 v[182:183], v[138:139], v[64:65]
	v_add_f64 v[2:3], v[2:3], v[180:181]
	s_waitcnt vmcnt(1) lgkmcnt(0)
	v_mul_f64 v[186:187], v[144:145], v[74:75]
	v_mul_f64 v[14:15], v[82:83], v[14:15]
	v_fmac_f64_e32 v[184:185], v[142:143], v[68:69]
	v_fma_f64 v[4:5], v[76:77], v[4:5], -v[6:7]
	v_add_f64 v[2:3], v[2:3], v[182:183]
	v_mul_f64 v[10:11], v[86:87], v[10:11]
	v_fmac_f64_e32 v[186:187], v[146:147], v[72:73]
	v_fma_f64 v[6:7], v[80:81], v[12:13], -v[14:15]
	v_add_f64 v[4:5], v[4:5], 0
	v_add_f64 v[2:3], v[2:3], v[184:185]
	;; [unrolled: 1-line block ×4, first 2 shown]
	v_fma_f64 v[2:3], v[84:85], v[8:9], -v[10:11]
	v_add_f64 v[2:3], v[4:5], v[2:3]
	v_mul_f64 v[4:5], v[90:91], v[18:19]
	v_fma_f64 v[4:5], v[88:89], v[16:17], -v[4:5]
	v_add_f64 v[2:3], v[2:3], v[4:5]
	v_mul_f64 v[4:5], v[94:95], v[22:23]
	;; [unrolled: 3-line block ×15, first 2 shown]
	v_fma_f64 v[4:5], v[144:145], v[72:73], -v[4:5]
	v_add_f64 v[2:3], v[2:3], v[4:5]
	s_waitcnt vmcnt(0)
	v_add_f64 v[2:3], v[148:149], -v[2:3]
	v_add_f64 v[4:5], v[150:151], -v[6:7]
	scratch_store_dwordx4 off, v[2:5], off offset:176
	s_and_saveexec_b64 s[2:3], vcc
	s_cbranch_execz .LBB93_173
; %bb.172:
	scratch_load_dwordx4 v[2:5], off, s38
	v_mov_b32_e32 v6, 0
	v_mov_b32_e32 v7, v6
	;; [unrolled: 1-line block ×4, first 2 shown]
	scratch_store_dwordx4 off, v[6:9], off offset:160
	s_waitcnt vmcnt(1)
	ds_write_b128 v238, v[2:5]
.LBB93_173:
	s_or_b64 exec, exec, s[2:3]
	v_mov_b32_e32 v2, 0
	s_waitcnt lgkmcnt(0)
	; wave barrier
	ds_read_b128 v[16:19], v2 offset:656
	ds_read_b128 v[12:15], v2 offset:672
	;; [unrolled: 1-line block ×4, first 2 shown]
	scratch_load_dwordx4 v[20:23], off, off offset:176
	scratch_load_dwordx4 v[40:43], off, off offset:240
	;; [unrolled: 1-line block ×13, first 2 shown]
	v_cmp_lt_u32_e32 vcc, 9, v1
	scratch_load_dwordx4 v[48:51], off, off offset:256
	scratch_load_dwordx4 v[56:59], off, off offset:272
	;; [unrolled: 1-line block ×3, first 2 shown]
	s_waitcnt vmcnt(15) lgkmcnt(3)
	v_mul_f64 v[24:25], v[16:17], v[22:23]
	v_fmac_f64_e32 v[24:25], v[18:19], v[20:21]
	v_add_f64 v[28:29], v[24:25], 0
	scratch_load_dwordx4 v[24:27], off, off offset:192
	v_mul_f64 v[18:19], v[18:19], v[22:23]
	v_fma_f64 v[16:17], v[16:17], v[20:21], -v[18:19]
	v_add_f64 v[16:17], v[16:17], 0
	s_waitcnt vmcnt(0) lgkmcnt(2)
	v_mul_f64 v[30:31], v[12:13], v[26:27]
	v_fmac_f64_e32 v[30:31], v[14:15], v[24:25]
	v_add_f64 v[32:33], v[28:29], v[30:31]
	scratch_load_dwordx4 v[28:31], off, off offset:208
	v_mul_f64 v[14:15], v[14:15], v[26:27]
	v_fma_f64 v[12:13], v[12:13], v[24:25], -v[14:15]
	v_add_f64 v[12:13], v[16:17], v[12:13]
	;; [unrolled: 8-line block ×3, first 2 shown]
	s_waitcnt vmcnt(0) lgkmcnt(0)
	v_mul_f64 v[38:39], v[4:5], v[34:35]
	v_fmac_f64_e32 v[38:39], v[6:7], v[32:33]
	v_add_f64 v[44:45], v[36:37], v[38:39]
	ds_read_b128 v[36:39], v2 offset:720
	v_mul_f64 v[6:7], v[6:7], v[34:35]
	v_fma_f64 v[4:5], v[4:5], v[32:33], -v[6:7]
	v_add_f64 v[4:5], v[8:9], v[4:5]
	s_waitcnt lgkmcnt(0)
	v_mul_f64 v[46:47], v[36:37], v[42:43]
	v_fmac_f64_e32 v[46:47], v[38:39], v[40:41]
	v_add_f64 v[52:53], v[44:45], v[46:47]
	ds_read_b128 v[44:47], v2 offset:736
	v_mul_f64 v[6:7], v[38:39], v[42:43]
	v_fma_f64 v[6:7], v[36:37], v[40:41], -v[6:7]
	v_add_f64 v[4:5], v[4:5], v[6:7]
	s_waitcnt lgkmcnt(0)
	;; [unrolled: 8-line block ×15, first 2 shown]
	v_mul_f64 v[6:7], v[152:153], v[156:157]
	v_fma_f64 v[6:7], v[150:151], v[154:155], -v[6:7]
	v_add_f64 v[8:9], v[4:5], v[6:7]
	scratch_load_dwordx4 v[4:7], off, off offset:160
	v_mul_f64 v[158:159], v[150:151], v[156:157]
	v_fmac_f64_e32 v[158:159], v[152:153], v[154:155]
	v_add_f64 v[88:89], v[88:89], v[158:159]
	s_waitcnt vmcnt(0)
	v_add_f64 v[4:5], v[4:5], -v[8:9]
	v_add_f64 v[6:7], v[6:7], -v[88:89]
	scratch_store_dwordx4 off, v[4:7], off offset:160
	s_and_saveexec_b64 s[2:3], vcc
	s_cbranch_execz .LBB93_175
; %bb.174:
	scratch_load_dwordx4 v[6:9], off, s39
	v_mov_b32_e32 v3, v2
	v_mov_b32_e32 v4, v2
	;; [unrolled: 1-line block ×3, first 2 shown]
	scratch_store_dwordx4 off, v[2:5], off offset:144
	s_waitcnt vmcnt(1)
	ds_write_b128 v238, v[6:9]
.LBB93_175:
	s_or_b64 exec, exec, s[2:3]
	s_waitcnt lgkmcnt(0)
	; wave barrier
	ds_read_b128 v[16:19], v2 offset:640
	ds_read_b128 v[12:15], v2 offset:656
	;; [unrolled: 1-line block ×4, first 2 shown]
	scratch_load_dwordx4 v[20:23], off, off offset:160
	scratch_load_dwordx4 v[40:43], off, off offset:224
	;; [unrolled: 1-line block ×14, first 2 shown]
	v_cmp_lt_u32_e32 vcc, 8, v1
	scratch_load_dwordx4 v[48:51], off, off offset:240
	scratch_load_dwordx4 v[56:59], off, off offset:256
	;; [unrolled: 1-line block ×3, first 2 shown]
	s_waitcnt vmcnt(16) lgkmcnt(3)
	v_mul_f64 v[24:25], v[16:17], v[22:23]
	v_fmac_f64_e32 v[24:25], v[18:19], v[20:21]
	v_add_f64 v[28:29], v[24:25], 0
	scratch_load_dwordx4 v[24:27], off, off offset:176
	s_waitcnt vmcnt(0) lgkmcnt(2)
	v_mul_f64 v[30:31], v[12:13], v[26:27]
	v_fmac_f64_e32 v[30:31], v[14:15], v[24:25]
	v_add_f64 v[32:33], v[28:29], v[30:31]
	scratch_load_dwordx4 v[28:31], off, off offset:192
	v_mul_f64 v[14:15], v[14:15], v[26:27]
	v_fma_f64 v[12:13], v[12:13], v[24:25], -v[14:15]
	s_waitcnt vmcnt(0) lgkmcnt(1)
	v_mul_f64 v[34:35], v[8:9], v[30:31]
	v_fmac_f64_e32 v[34:35], v[10:11], v[28:29]
	v_add_f64 v[36:37], v[32:33], v[34:35]
	scratch_load_dwordx4 v[32:35], off, off offset:208
	v_mul_f64 v[10:11], v[10:11], v[30:31]
	v_fma_f64 v[8:9], v[8:9], v[28:29], -v[10:11]
	s_waitcnt vmcnt(0) lgkmcnt(0)
	v_mul_f64 v[38:39], v[4:5], v[34:35]
	v_fmac_f64_e32 v[38:39], v[6:7], v[32:33]
	v_add_f64 v[44:45], v[36:37], v[38:39]
	ds_read_b128 v[36:39], v2 offset:704
	v_mul_f64 v[6:7], v[6:7], v[34:35]
	v_fma_f64 v[4:5], v[4:5], v[32:33], -v[6:7]
	s_waitcnt lgkmcnt(0)
	v_mul_f64 v[46:47], v[36:37], v[42:43]
	v_fmac_f64_e32 v[46:47], v[38:39], v[40:41]
	v_add_f64 v[52:53], v[44:45], v[46:47]
	ds_read_b128 v[44:47], v2 offset:720
	s_waitcnt lgkmcnt(0)
	v_mul_f64 v[54:55], v[44:45], v[50:51]
	v_fmac_f64_e32 v[54:55], v[46:47], v[48:49]
	v_add_f64 v[60:61], v[52:53], v[54:55]
	ds_read_b128 v[52:55], v2 offset:736
	;; [unrolled: 5-line block ×15, first 2 shown]
	s_waitcnt lgkmcnt(0)
	v_mul_f64 v[2:3], v[158:159], v[164:165]
	v_fmac_f64_e32 v[2:3], v[160:161], v[162:163]
	v_add_f64 v[96:97], v[96:97], v[2:3]
	v_mul_f64 v[2:3], v[18:19], v[22:23]
	v_fma_f64 v[2:3], v[16:17], v[20:21], -v[2:3]
	v_add_f64 v[2:3], v[2:3], 0
	v_add_f64 v[2:3], v[2:3], v[12:13]
	;; [unrolled: 1-line block ×4, first 2 shown]
	v_mul_f64 v[4:5], v[38:39], v[42:43]
	v_fma_f64 v[4:5], v[36:37], v[40:41], -v[4:5]
	v_add_f64 v[2:3], v[2:3], v[4:5]
	v_mul_f64 v[4:5], v[46:47], v[50:51]
	v_fma_f64 v[4:5], v[44:45], v[48:49], -v[4:5]
	v_add_f64 v[2:3], v[2:3], v[4:5]
	v_mul_f64 v[4:5], v[54:55], v[58:59]
	v_fma_f64 v[4:5], v[52:53], v[56:57], -v[4:5]
	v_add_f64 v[2:3], v[2:3], v[4:5]
	v_mul_f64 v[4:5], v[62:63], v[66:67]
	v_fma_f64 v[4:5], v[60:61], v[64:65], -v[4:5]
	v_add_f64 v[2:3], v[2:3], v[4:5]
	v_mul_f64 v[4:5], v[70:71], v[74:75]
	v_fma_f64 v[4:5], v[68:69], v[72:73], -v[4:5]
	v_add_f64 v[2:3], v[2:3], v[4:5]
	v_mul_f64 v[4:5], v[78:79], v[82:83]
	v_fma_f64 v[4:5], v[76:77], v[80:81], -v[4:5]
	v_add_f64 v[2:3], v[2:3], v[4:5]
	v_mul_f64 v[4:5], v[86:87], v[90:91]
	v_fma_f64 v[4:5], v[84:85], v[88:89], -v[4:5]
	v_add_f64 v[2:3], v[2:3], v[4:5]
	v_mul_f64 v[4:5], v[94:95], v[100:101]
	v_fma_f64 v[4:5], v[92:93], v[98:99], -v[4:5]
	v_add_f64 v[2:3], v[2:3], v[4:5]
	v_mul_f64 v[4:5], v[104:105], v[108:109]
	v_fma_f64 v[4:5], v[102:103], v[106:107], -v[4:5]
	v_add_f64 v[2:3], v[2:3], v[4:5]
	v_mul_f64 v[4:5], v[112:113], v[116:117]
	v_fma_f64 v[4:5], v[110:111], v[114:115], -v[4:5]
	v_add_f64 v[2:3], v[2:3], v[4:5]
	v_mul_f64 v[4:5], v[120:121], v[124:125]
	v_fma_f64 v[4:5], v[118:119], v[122:123], -v[4:5]
	v_add_f64 v[2:3], v[2:3], v[4:5]
	v_mul_f64 v[4:5], v[128:129], v[132:133]
	v_fma_f64 v[4:5], v[126:127], v[130:131], -v[4:5]
	v_add_f64 v[2:3], v[2:3], v[4:5]
	v_mul_f64 v[4:5], v[136:137], v[140:141]
	v_fma_f64 v[4:5], v[134:135], v[138:139], -v[4:5]
	v_add_f64 v[2:3], v[2:3], v[4:5]
	v_mul_f64 v[4:5], v[144:145], v[148:149]
	v_fma_f64 v[4:5], v[142:143], v[146:147], -v[4:5]
	v_add_f64 v[2:3], v[2:3], v[4:5]
	v_mul_f64 v[4:5], v[152:153], v[156:157]
	v_fma_f64 v[4:5], v[150:151], v[154:155], -v[4:5]
	v_add_f64 v[2:3], v[2:3], v[4:5]
	v_mul_f64 v[4:5], v[160:161], v[164:165]
	v_fma_f64 v[4:5], v[158:159], v[162:163], -v[4:5]
	v_add_f64 v[6:7], v[2:3], v[4:5]
	scratch_load_dwordx4 v[2:5], off, off offset:144
	s_waitcnt vmcnt(0)
	v_add_f64 v[2:3], v[2:3], -v[6:7]
	v_add_f64 v[4:5], v[4:5], -v[96:97]
	scratch_store_dwordx4 off, v[2:5], off offset:144
	s_and_saveexec_b64 s[2:3], vcc
	s_cbranch_execz .LBB93_177
; %bb.176:
	scratch_load_dwordx4 v[2:5], off, s40
	v_mov_b32_e32 v6, 0
	v_mov_b32_e32 v7, v6
	;; [unrolled: 1-line block ×4, first 2 shown]
	scratch_store_dwordx4 off, v[6:9], off offset:128
	s_waitcnt vmcnt(1)
	ds_write_b128 v238, v[2:5]
.LBB93_177:
	s_or_b64 exec, exec, s[2:3]
	v_mov_b32_e32 v2, 0
	s_waitcnt lgkmcnt(0)
	; wave barrier
	ds_read_b128 v[16:19], v2 offset:624
	ds_read_b128 v[12:15], v2 offset:640
	;; [unrolled: 1-line block ×4, first 2 shown]
	scratch_load_dwordx4 v[20:23], off, off offset:144
	scratch_load_dwordx4 v[40:43], off, off offset:208
	;; [unrolled: 1-line block ×15, first 2 shown]
	v_cmp_lt_u32_e32 vcc, 7, v1
	scratch_load_dwordx4 v[48:51], off, off offset:224
	scratch_load_dwordx4 v[56:59], off, off offset:240
	scratch_load_dwordx4 v[64:67], off, off offset:256
	s_waitcnt vmcnt(17) lgkmcnt(3)
	v_mul_f64 v[24:25], v[16:17], v[22:23]
	v_fmac_f64_e32 v[24:25], v[18:19], v[20:21]
	v_add_f64 v[28:29], v[24:25], 0
	scratch_load_dwordx4 v[24:27], off, off offset:160
	v_mul_f64 v[18:19], v[18:19], v[22:23]
	v_fma_f64 v[16:17], v[16:17], v[20:21], -v[18:19]
	v_add_f64 v[16:17], v[16:17], 0
	s_waitcnt vmcnt(0) lgkmcnt(2)
	v_mul_f64 v[30:31], v[12:13], v[26:27]
	v_fmac_f64_e32 v[30:31], v[14:15], v[24:25]
	v_add_f64 v[32:33], v[28:29], v[30:31]
	scratch_load_dwordx4 v[28:31], off, off offset:176
	v_mul_f64 v[14:15], v[14:15], v[26:27]
	v_fma_f64 v[12:13], v[12:13], v[24:25], -v[14:15]
	v_add_f64 v[12:13], v[16:17], v[12:13]
	;; [unrolled: 8-line block ×3, first 2 shown]
	s_waitcnt vmcnt(0) lgkmcnt(0)
	v_mul_f64 v[38:39], v[4:5], v[34:35]
	v_fmac_f64_e32 v[38:39], v[6:7], v[32:33]
	v_add_f64 v[44:45], v[36:37], v[38:39]
	ds_read_b128 v[36:39], v2 offset:688
	v_mul_f64 v[6:7], v[6:7], v[34:35]
	v_fma_f64 v[4:5], v[4:5], v[32:33], -v[6:7]
	v_add_f64 v[4:5], v[8:9], v[4:5]
	s_waitcnt lgkmcnt(0)
	v_mul_f64 v[46:47], v[36:37], v[42:43]
	v_fmac_f64_e32 v[46:47], v[38:39], v[40:41]
	v_add_f64 v[52:53], v[44:45], v[46:47]
	ds_read_b128 v[44:47], v2 offset:704
	v_mul_f64 v[6:7], v[38:39], v[42:43]
	v_fma_f64 v[6:7], v[36:37], v[40:41], -v[6:7]
	v_add_f64 v[4:5], v[4:5], v[6:7]
	s_waitcnt lgkmcnt(0)
	;; [unrolled: 8-line block ×17, first 2 shown]
	v_mul_f64 v[6:7], v[168:169], v[172:173]
	v_fma_f64 v[6:7], v[166:167], v[170:171], -v[6:7]
	v_add_f64 v[8:9], v[4:5], v[6:7]
	scratch_load_dwordx4 v[4:7], off, off offset:128
	v_mul_f64 v[174:175], v[166:167], v[172:173]
	v_fmac_f64_e32 v[174:175], v[168:169], v[170:171]
	v_add_f64 v[104:105], v[104:105], v[174:175]
	s_waitcnt vmcnt(0)
	v_add_f64 v[4:5], v[4:5], -v[8:9]
	v_add_f64 v[6:7], v[6:7], -v[104:105]
	scratch_store_dwordx4 off, v[4:7], off offset:128
	s_and_saveexec_b64 s[2:3], vcc
	s_cbranch_execz .LBB93_179
; %bb.178:
	scratch_load_dwordx4 v[6:9], off, s41
	v_mov_b32_e32 v3, v2
	v_mov_b32_e32 v4, v2
	;; [unrolled: 1-line block ×3, first 2 shown]
	scratch_store_dwordx4 off, v[2:5], off offset:112
	s_waitcnt vmcnt(1)
	ds_write_b128 v238, v[6:9]
.LBB93_179:
	s_or_b64 exec, exec, s[2:3]
	s_waitcnt lgkmcnt(0)
	; wave barrier
	ds_read_b128 v[16:19], v2 offset:608
	ds_read_b128 v[12:15], v2 offset:624
	;; [unrolled: 1-line block ×4, first 2 shown]
	scratch_load_dwordx4 v[20:23], off, off offset:128
	scratch_load_dwordx4 v[40:43], off, off offset:192
	;; [unrolled: 1-line block ×16, first 2 shown]
	v_cmp_lt_u32_e32 vcc, 6, v1
	scratch_load_dwordx4 v[48:51], off, off offset:208
	scratch_load_dwordx4 v[56:59], off, off offset:224
	;; [unrolled: 1-line block ×3, first 2 shown]
	ds_read_b128 v[240:243], v2 offset:944
	s_waitcnt vmcnt(18) lgkmcnt(4)
	v_mul_f64 v[24:25], v[16:17], v[22:23]
	v_fmac_f64_e32 v[24:25], v[18:19], v[20:21]
	v_add_f64 v[28:29], v[24:25], 0
	scratch_load_dwordx4 v[24:27], off, off offset:144
	s_waitcnt vmcnt(0) lgkmcnt(3)
	v_mul_f64 v[30:31], v[12:13], v[26:27]
	v_fmac_f64_e32 v[30:31], v[14:15], v[24:25]
	v_add_f64 v[32:33], v[28:29], v[30:31]
	scratch_load_dwordx4 v[28:31], off, off offset:160
	v_mul_f64 v[14:15], v[14:15], v[26:27]
	v_fma_f64 v[12:13], v[12:13], v[24:25], -v[14:15]
	s_waitcnt vmcnt(0) lgkmcnt(2)
	v_mul_f64 v[34:35], v[8:9], v[30:31]
	v_fmac_f64_e32 v[34:35], v[10:11], v[28:29]
	v_add_f64 v[36:37], v[32:33], v[34:35]
	scratch_load_dwordx4 v[32:35], off, off offset:176
	v_mul_f64 v[10:11], v[10:11], v[30:31]
	v_fma_f64 v[8:9], v[8:9], v[28:29], -v[10:11]
	s_waitcnt vmcnt(0) lgkmcnt(1)
	v_mul_f64 v[38:39], v[4:5], v[34:35]
	v_fmac_f64_e32 v[38:39], v[6:7], v[32:33]
	v_add_f64 v[44:45], v[36:37], v[38:39]
	ds_read_b128 v[36:39], v2 offset:672
	v_mul_f64 v[6:7], v[6:7], v[34:35]
	v_fma_f64 v[4:5], v[4:5], v[32:33], -v[6:7]
	s_waitcnt lgkmcnt(0)
	v_mul_f64 v[46:47], v[36:37], v[42:43]
	v_fmac_f64_e32 v[46:47], v[38:39], v[40:41]
	v_add_f64 v[52:53], v[44:45], v[46:47]
	ds_read_b128 v[44:47], v2 offset:688
	s_waitcnt lgkmcnt(0)
	v_mul_f64 v[54:55], v[44:45], v[50:51]
	v_fmac_f64_e32 v[54:55], v[46:47], v[48:49]
	v_add_f64 v[60:61], v[52:53], v[54:55]
	ds_read_b128 v[52:55], v2 offset:704
	;; [unrolled: 5-line block ×16, first 2 shown]
	v_mul_f64 v[2:3], v[240:241], v[246:247]
	v_fmac_f64_e32 v[2:3], v[242:243], v[244:245]
	s_waitcnt lgkmcnt(0)
	v_mul_f64 v[174:175], v[166:167], v[172:173]
	v_fmac_f64_e32 v[174:175], v[168:169], v[170:171]
	v_add_f64 v[120:121], v[120:121], v[174:175]
	v_add_f64 v[120:121], v[120:121], v[2:3]
	v_mul_f64 v[2:3], v[18:19], v[22:23]
	v_fma_f64 v[2:3], v[16:17], v[20:21], -v[2:3]
	v_add_f64 v[2:3], v[2:3], 0
	v_add_f64 v[2:3], v[2:3], v[12:13]
	;; [unrolled: 1-line block ×4, first 2 shown]
	v_mul_f64 v[4:5], v[38:39], v[42:43]
	v_fma_f64 v[4:5], v[36:37], v[40:41], -v[4:5]
	v_add_f64 v[2:3], v[2:3], v[4:5]
	v_mul_f64 v[4:5], v[46:47], v[50:51]
	v_fma_f64 v[4:5], v[44:45], v[48:49], -v[4:5]
	v_add_f64 v[2:3], v[2:3], v[4:5]
	;; [unrolled: 3-line block ×18, first 2 shown]
	scratch_load_dwordx4 v[2:5], off, off offset:112
	s_waitcnt vmcnt(0)
	v_add_f64 v[2:3], v[2:3], -v[6:7]
	v_add_f64 v[4:5], v[4:5], -v[120:121]
	scratch_store_dwordx4 off, v[2:5], off offset:112
	s_and_saveexec_b64 s[2:3], vcc
	s_cbranch_execz .LBB93_181
; %bb.180:
	scratch_load_dwordx4 v[2:5], off, s42
	v_mov_b32_e32 v6, 0
	v_mov_b32_e32 v7, v6
	;; [unrolled: 1-line block ×4, first 2 shown]
	scratch_store_dwordx4 off, v[6:9], off offset:96
	s_waitcnt vmcnt(1)
	ds_write_b128 v238, v[2:5]
.LBB93_181:
	s_or_b64 exec, exec, s[2:3]
	v_mov_b32_e32 v2, 0
	s_waitcnt lgkmcnt(0)
	; wave barrier
	ds_read_b128 v[16:19], v2 offset:592
	ds_read_b128 v[12:15], v2 offset:608
	;; [unrolled: 1-line block ×4, first 2 shown]
	scratch_load_dwordx4 v[20:23], off, off offset:112
	scratch_load_dwordx4 v[40:43], off, off offset:176
	;; [unrolled: 1-line block ×17, first 2 shown]
	v_cmp_lt_u32_e32 vcc, 5, v1
	scratch_load_dwordx4 v[48:51], off, off offset:192
	scratch_load_dwordx4 v[56:59], off, off offset:208
	;; [unrolled: 1-line block ×3, first 2 shown]
	ds_read_b128 v[240:243], v2 offset:928
	ds_read_b128 v[248:251], v2 offset:944
	s_waitcnt vmcnt(19) lgkmcnt(5)
	v_mul_f64 v[24:25], v[16:17], v[22:23]
	v_fmac_f64_e32 v[24:25], v[18:19], v[20:21]
	v_add_f64 v[28:29], v[24:25], 0
	scratch_load_dwordx4 v[24:27], off, off offset:128
	v_mul_f64 v[18:19], v[18:19], v[22:23]
	v_fma_f64 v[16:17], v[16:17], v[20:21], -v[18:19]
	v_add_f64 v[16:17], v[16:17], 0
	s_waitcnt vmcnt(0) lgkmcnt(4)
	v_mul_f64 v[30:31], v[12:13], v[26:27]
	v_fmac_f64_e32 v[30:31], v[14:15], v[24:25]
	v_add_f64 v[32:33], v[28:29], v[30:31]
	scratch_load_dwordx4 v[28:31], off, off offset:144
	v_mul_f64 v[14:15], v[14:15], v[26:27]
	v_fma_f64 v[12:13], v[12:13], v[24:25], -v[14:15]
	v_add_f64 v[12:13], v[16:17], v[12:13]
	;; [unrolled: 8-line block ×3, first 2 shown]
	s_waitcnt vmcnt(0) lgkmcnt(2)
	v_mul_f64 v[38:39], v[4:5], v[34:35]
	v_fmac_f64_e32 v[38:39], v[6:7], v[32:33]
	v_add_f64 v[44:45], v[36:37], v[38:39]
	ds_read_b128 v[36:39], v2 offset:656
	v_mul_f64 v[6:7], v[6:7], v[34:35]
	v_fma_f64 v[4:5], v[4:5], v[32:33], -v[6:7]
	v_add_f64 v[4:5], v[8:9], v[4:5]
	s_waitcnt lgkmcnt(0)
	v_mul_f64 v[46:47], v[36:37], v[42:43]
	v_fmac_f64_e32 v[46:47], v[38:39], v[40:41]
	v_add_f64 v[52:53], v[44:45], v[46:47]
	ds_read_b128 v[44:47], v2 offset:672
	v_mul_f64 v[6:7], v[38:39], v[42:43]
	v_fma_f64 v[6:7], v[36:37], v[40:41], -v[6:7]
	v_add_f64 v[4:5], v[4:5], v[6:7]
	s_waitcnt lgkmcnt(0)
	;; [unrolled: 8-line block ×17, first 2 shown]
	v_mul_f64 v[6:7], v[168:169], v[172:173]
	v_fma_f64 v[6:7], v[166:167], v[170:171], -v[6:7]
	v_add_f64 v[4:5], v[4:5], v[6:7]
	v_mul_f64 v[6:7], v[242:243], v[246:247]
	v_fma_f64 v[6:7], v[240:241], v[244:245], -v[6:7]
	v_add_f64 v[4:5], v[4:5], v[6:7]
	;; [unrolled: 3-line block ×3, first 2 shown]
	scratch_load_dwordx4 v[4:7], off, off offset:96
	v_mul_f64 v[174:175], v[166:167], v[172:173]
	v_fmac_f64_e32 v[174:175], v[168:169], v[170:171]
	v_add_f64 v[128:129], v[128:129], v[174:175]
	v_mul_f64 v[174:175], v[240:241], v[246:247]
	v_fmac_f64_e32 v[174:175], v[242:243], v[244:245]
	v_add_f64 v[128:129], v[128:129], v[174:175]
	;; [unrolled: 3-line block ×3, first 2 shown]
	s_waitcnt vmcnt(0)
	v_add_f64 v[4:5], v[4:5], -v[8:9]
	v_add_f64 v[6:7], v[6:7], -v[128:129]
	scratch_store_dwordx4 off, v[4:7], off offset:96
	s_and_saveexec_b64 s[2:3], vcc
	s_cbranch_execz .LBB93_183
; %bb.182:
	scratch_load_dwordx4 v[6:9], off, s43
	v_mov_b32_e32 v3, v2
	v_mov_b32_e32 v4, v2
	;; [unrolled: 1-line block ×3, first 2 shown]
	scratch_store_dwordx4 off, v[2:5], off offset:80
	s_waitcnt vmcnt(1)
	ds_write_b128 v238, v[6:9]
.LBB93_183:
	s_or_b64 exec, exec, s[2:3]
	s_waitcnt lgkmcnt(0)
	; wave barrier
	ds_read_b128 v[16:19], v2 offset:576
	ds_read_b128 v[12:15], v2 offset:592
	;; [unrolled: 1-line block ×4, first 2 shown]
	scratch_load_dwordx4 v[20:23], off, off offset:96
	scratch_load_dwordx4 v[40:43], off, off offset:160
	scratch_load_dwordx4 v[72:75], off, off offset:224
	scratch_load_dwordx4 v[80:83], off, off offset:240
	scratch_load_dwordx4 v[88:91], off, off offset:256
	scratch_load_dwordx4 v[96:99], off, off offset:272
	scratch_load_dwordx4 v[104:107], off, off offset:288
	scratch_load_dwordx4 v[112:115], off, off offset:304
	scratch_load_dwordx4 v[120:123], off, off offset:320
	scratch_load_dwordx4 v[128:131], off, off offset:336
	scratch_load_dwordx4 v[136:139], off, off offset:352
	scratch_load_dwordx4 v[144:147], off, off offset:368
	scratch_load_dwordx4 v[154:157], off, off offset:384
	scratch_load_dwordx4 v[162:165], off, off offset:400
	scratch_load_dwordx4 v[170:173], off, off offset:416
	scratch_load_dwordx4 v[244:247], off, off offset:432
	scratch_load_dwordx4 v[252:255], off, off offset:448
	scratch_load_dwordx4 v[182:185], off, off offset:464
	v_cmp_lt_u32_e32 vcc, 4, v1
	scratch_load_dwordx4 v[48:51], off, off offset:176
	scratch_load_dwordx4 v[56:59], off, off offset:192
	;; [unrolled: 1-line block ×3, first 2 shown]
	ds_read_b128 v[240:243], v2 offset:912
	ds_read_b128 v[248:251], v2 offset:928
	;; [unrolled: 1-line block ×3, first 2 shown]
	s_waitcnt vmcnt(20) lgkmcnt(6)
	v_mul_f64 v[24:25], v[16:17], v[22:23]
	v_fmac_f64_e32 v[24:25], v[18:19], v[20:21]
	v_add_f64 v[28:29], v[24:25], 0
	scratch_load_dwordx4 v[24:27], off, off offset:112
	s_waitcnt vmcnt(0) lgkmcnt(5)
	v_mul_f64 v[30:31], v[12:13], v[26:27]
	v_fmac_f64_e32 v[30:31], v[14:15], v[24:25]
	v_add_f64 v[32:33], v[28:29], v[30:31]
	scratch_load_dwordx4 v[28:31], off, off offset:128
	v_mul_f64 v[14:15], v[14:15], v[26:27]
	v_fma_f64 v[12:13], v[12:13], v[24:25], -v[14:15]
	s_waitcnt vmcnt(0) lgkmcnt(4)
	v_mul_f64 v[34:35], v[8:9], v[30:31]
	v_fmac_f64_e32 v[34:35], v[10:11], v[28:29]
	v_add_f64 v[36:37], v[32:33], v[34:35]
	scratch_load_dwordx4 v[32:35], off, off offset:144
	v_mul_f64 v[10:11], v[10:11], v[30:31]
	v_fma_f64 v[8:9], v[8:9], v[28:29], -v[10:11]
	s_waitcnt vmcnt(0) lgkmcnt(3)
	v_mul_f64 v[38:39], v[4:5], v[34:35]
	v_fmac_f64_e32 v[38:39], v[6:7], v[32:33]
	v_add_f64 v[44:45], v[36:37], v[38:39]
	ds_read_b128 v[36:39], v2 offset:640
	v_mul_f64 v[6:7], v[6:7], v[34:35]
	v_fma_f64 v[4:5], v[4:5], v[32:33], -v[6:7]
	s_waitcnt lgkmcnt(0)
	v_mul_f64 v[46:47], v[36:37], v[42:43]
	v_fmac_f64_e32 v[46:47], v[38:39], v[40:41]
	v_add_f64 v[52:53], v[44:45], v[46:47]
	ds_read_b128 v[44:47], v2 offset:656
	s_waitcnt lgkmcnt(0)
	v_mul_f64 v[54:55], v[44:45], v[50:51]
	v_fmac_f64_e32 v[54:55], v[46:47], v[48:49]
	v_add_f64 v[60:61], v[52:53], v[54:55]
	ds_read_b128 v[52:55], v2 offset:672
	;; [unrolled: 5-line block ×16, first 2 shown]
	v_mul_f64 v[2:3], v[178:179], v[184:185]
	v_fmac_f64_e32 v[2:3], v[180:181], v[182:183]
	s_waitcnt lgkmcnt(0)
	v_mul_f64 v[174:175], v[166:167], v[172:173]
	v_fmac_f64_e32 v[174:175], v[168:169], v[170:171]
	v_add_f64 v[148:149], v[148:149], v[174:175]
	v_mul_f64 v[174:175], v[240:241], v[246:247]
	v_fmac_f64_e32 v[174:175], v[242:243], v[244:245]
	v_add_f64 v[148:149], v[148:149], v[174:175]
	;; [unrolled: 3-line block ×3, first 2 shown]
	v_add_f64 v[148:149], v[148:149], v[2:3]
	v_mul_f64 v[2:3], v[18:19], v[22:23]
	v_fma_f64 v[2:3], v[16:17], v[20:21], -v[2:3]
	v_add_f64 v[2:3], v[2:3], 0
	v_add_f64 v[2:3], v[2:3], v[12:13]
	v_add_f64 v[2:3], v[2:3], v[8:9]
	v_add_f64 v[2:3], v[2:3], v[4:5]
	v_mul_f64 v[4:5], v[38:39], v[42:43]
	v_fma_f64 v[4:5], v[36:37], v[40:41], -v[4:5]
	v_add_f64 v[2:3], v[2:3], v[4:5]
	v_mul_f64 v[4:5], v[46:47], v[50:51]
	v_fma_f64 v[4:5], v[44:45], v[48:49], -v[4:5]
	v_add_f64 v[2:3], v[2:3], v[4:5]
	;; [unrolled: 3-line block ×20, first 2 shown]
	scratch_load_dwordx4 v[2:5], off, off offset:80
	s_waitcnt vmcnt(0)
	v_add_f64 v[2:3], v[2:3], -v[6:7]
	v_add_f64 v[4:5], v[4:5], -v[148:149]
	scratch_store_dwordx4 off, v[2:5], off offset:80
	s_and_saveexec_b64 s[2:3], vcc
	s_cbranch_execz .LBB93_185
; %bb.184:
	scratch_load_dwordx4 v[2:5], off, s44
	v_mov_b32_e32 v6, 0
	v_mov_b32_e32 v7, v6
	;; [unrolled: 1-line block ×4, first 2 shown]
	scratch_store_dwordx4 off, v[6:9], off offset:64
	s_waitcnt vmcnt(1)
	ds_write_b128 v238, v[2:5]
.LBB93_185:
	s_or_b64 exec, exec, s[2:3]
	v_mov_b32_e32 v2, 0
	s_waitcnt lgkmcnt(0)
	; wave barrier
	ds_read_b128 v[16:19], v2 offset:560
	ds_read_b128 v[12:15], v2 offset:576
	;; [unrolled: 1-line block ×4, first 2 shown]
	scratch_load_dwordx4 v[20:23], off, off offset:80
	scratch_load_dwordx4 v[40:43], off, off offset:144
	;; [unrolled: 1-line block ×19, first 2 shown]
	v_cmp_lt_u32_e32 vcc, 3, v1
	scratch_load_dwordx4 v[48:51], off, off offset:160
	scratch_load_dwordx4 v[56:59], off, off offset:176
	;; [unrolled: 1-line block ×3, first 2 shown]
	ds_read_b128 v[178:181], v2 offset:896
	ds_read_b128 v[240:243], v2 offset:912
	ds_read_b128 v[248:251], v2 offset:928
	ds_read_b128 v[186:189], v2 offset:944
	s_waitcnt vmcnt(21) lgkmcnt(7)
	v_mul_f64 v[24:25], v[16:17], v[22:23]
	v_fmac_f64_e32 v[24:25], v[18:19], v[20:21]
	v_add_f64 v[28:29], v[24:25], 0
	scratch_load_dwordx4 v[24:27], off, off offset:96
	v_mul_f64 v[18:19], v[18:19], v[22:23]
	v_fma_f64 v[16:17], v[16:17], v[20:21], -v[18:19]
	v_add_f64 v[16:17], v[16:17], 0
	s_waitcnt vmcnt(0) lgkmcnt(6)
	v_mul_f64 v[30:31], v[12:13], v[26:27]
	v_fmac_f64_e32 v[30:31], v[14:15], v[24:25]
	v_add_f64 v[32:33], v[28:29], v[30:31]
	scratch_load_dwordx4 v[28:31], off, off offset:112
	v_mul_f64 v[14:15], v[14:15], v[26:27]
	v_fma_f64 v[12:13], v[12:13], v[24:25], -v[14:15]
	v_add_f64 v[12:13], v[16:17], v[12:13]
	;; [unrolled: 8-line block ×3, first 2 shown]
	s_waitcnt vmcnt(0) lgkmcnt(4)
	v_mul_f64 v[38:39], v[4:5], v[34:35]
	v_fmac_f64_e32 v[38:39], v[6:7], v[32:33]
	v_add_f64 v[44:45], v[36:37], v[38:39]
	ds_read_b128 v[36:39], v2 offset:624
	v_mul_f64 v[6:7], v[6:7], v[34:35]
	v_fma_f64 v[4:5], v[4:5], v[32:33], -v[6:7]
	v_add_f64 v[4:5], v[8:9], v[4:5]
	s_waitcnt lgkmcnt(0)
	v_mul_f64 v[46:47], v[36:37], v[42:43]
	v_fmac_f64_e32 v[46:47], v[38:39], v[40:41]
	v_add_f64 v[52:53], v[44:45], v[46:47]
	ds_read_b128 v[44:47], v2 offset:640
	v_mul_f64 v[6:7], v[38:39], v[42:43]
	v_fma_f64 v[6:7], v[36:37], v[40:41], -v[6:7]
	v_add_f64 v[4:5], v[4:5], v[6:7]
	s_waitcnt lgkmcnt(0)
	;; [unrolled: 8-line block ×17, first 2 shown]
	v_mul_f64 v[6:7], v[168:169], v[172:173]
	v_fma_f64 v[6:7], v[166:167], v[170:171], -v[6:7]
	v_add_f64 v[4:5], v[4:5], v[6:7]
	v_mul_f64 v[6:7], v[180:181], v[184:185]
	v_fma_f64 v[6:7], v[178:179], v[182:183], -v[6:7]
	v_add_f64 v[4:5], v[4:5], v[6:7]
	;; [unrolled: 3-line block ×5, first 2 shown]
	scratch_load_dwordx4 v[4:7], off, off offset:64
	v_mul_f64 v[174:175], v[166:167], v[172:173]
	v_fmac_f64_e32 v[174:175], v[168:169], v[170:171]
	v_add_f64 v[144:145], v[144:145], v[174:175]
	v_mul_f64 v[174:175], v[178:179], v[184:185]
	v_fmac_f64_e32 v[174:175], v[180:181], v[182:183]
	v_add_f64 v[144:145], v[144:145], v[174:175]
	;; [unrolled: 3-line block ×5, first 2 shown]
	s_waitcnt vmcnt(0)
	v_add_f64 v[4:5], v[4:5], -v[8:9]
	v_add_f64 v[6:7], v[6:7], -v[144:145]
	scratch_store_dwordx4 off, v[4:7], off offset:64
	s_and_saveexec_b64 s[2:3], vcc
	s_cbranch_execz .LBB93_187
; %bb.186:
	scratch_load_dwordx4 v[6:9], off, s45
	v_mov_b32_e32 v3, v2
	v_mov_b32_e32 v4, v2
	;; [unrolled: 1-line block ×3, first 2 shown]
	scratch_store_dwordx4 off, v[2:5], off offset:48
	s_waitcnt vmcnt(1)
	ds_write_b128 v238, v[6:9]
.LBB93_187:
	s_or_b64 exec, exec, s[2:3]
	s_waitcnt lgkmcnt(0)
	; wave barrier
	ds_read_b128 v[16:19], v2 offset:544
	ds_read_b128 v[12:15], v2 offset:560
	;; [unrolled: 1-line block ×4, first 2 shown]
	scratch_load_dwordx4 v[20:23], off, off offset:64
	scratch_load_dwordx4 v[40:43], off, off offset:128
	;; [unrolled: 1-line block ×20, first 2 shown]
	v_cmp_lt_u32_e32 vcc, 2, v1
	scratch_load_dwordx4 v[48:51], off, off offset:144
	scratch_load_dwordx4 v[56:59], off, off offset:160
	;; [unrolled: 1-line block ×3, first 2 shown]
	ds_read_b128 v[178:181], v2 offset:880
	ds_read_b128 v[186:189], v2 offset:896
	;; [unrolled: 1-line block ×5, first 2 shown]
	s_waitcnt vmcnt(22) lgkmcnt(8)
	v_mul_f64 v[24:25], v[16:17], v[22:23]
	v_fmac_f64_e32 v[24:25], v[18:19], v[20:21]
	v_add_f64 v[28:29], v[24:25], 0
	scratch_load_dwordx4 v[24:27], off, off offset:80
	s_waitcnt vmcnt(0) lgkmcnt(7)
	v_mul_f64 v[30:31], v[12:13], v[26:27]
	v_fmac_f64_e32 v[30:31], v[14:15], v[24:25]
	v_add_f64 v[32:33], v[28:29], v[30:31]
	scratch_load_dwordx4 v[28:31], off, off offset:96
	v_mul_f64 v[14:15], v[14:15], v[26:27]
	v_fma_f64 v[12:13], v[12:13], v[24:25], -v[14:15]
	s_waitcnt vmcnt(0) lgkmcnt(6)
	v_mul_f64 v[34:35], v[8:9], v[30:31]
	v_fmac_f64_e32 v[34:35], v[10:11], v[28:29]
	v_add_f64 v[36:37], v[32:33], v[34:35]
	scratch_load_dwordx4 v[32:35], off, off offset:112
	v_mul_f64 v[10:11], v[10:11], v[30:31]
	v_fma_f64 v[8:9], v[8:9], v[28:29], -v[10:11]
	s_waitcnt vmcnt(0) lgkmcnt(5)
	v_mul_f64 v[38:39], v[4:5], v[34:35]
	v_fmac_f64_e32 v[38:39], v[6:7], v[32:33]
	v_add_f64 v[44:45], v[36:37], v[38:39]
	ds_read_b128 v[36:39], v2 offset:608
	v_mul_f64 v[6:7], v[6:7], v[34:35]
	v_fma_f64 v[4:5], v[4:5], v[32:33], -v[6:7]
	s_waitcnt lgkmcnt(0)
	v_mul_f64 v[46:47], v[36:37], v[42:43]
	v_fmac_f64_e32 v[46:47], v[38:39], v[40:41]
	v_add_f64 v[52:53], v[44:45], v[46:47]
	ds_read_b128 v[44:47], v2 offset:624
	s_waitcnt lgkmcnt(0)
	v_mul_f64 v[54:55], v[44:45], v[50:51]
	v_fmac_f64_e32 v[54:55], v[46:47], v[48:49]
	v_add_f64 v[60:61], v[52:53], v[54:55]
	ds_read_b128 v[52:55], v2 offset:640
	;; [unrolled: 5-line block ×16, first 2 shown]
	v_mul_f64 v[2:3], v[194:195], v[200:201]
	v_fmac_f64_e32 v[2:3], v[196:197], v[198:199]
	s_waitcnt lgkmcnt(0)
	v_mul_f64 v[174:175], v[164:165], v[172:173]
	v_fmac_f64_e32 v[174:175], v[166:167], v[170:171]
	v_add_f64 v[168:169], v[168:169], v[174:175]
	v_mul_f64 v[174:175], v[178:179], v[184:185]
	v_fmac_f64_e32 v[174:175], v[180:181], v[182:183]
	v_add_f64 v[168:169], v[168:169], v[174:175]
	;; [unrolled: 3-line block ×5, first 2 shown]
	v_add_f64 v[168:169], v[168:169], v[2:3]
	v_mul_f64 v[2:3], v[18:19], v[22:23]
	v_fma_f64 v[2:3], v[16:17], v[20:21], -v[2:3]
	v_add_f64 v[2:3], v[2:3], 0
	v_add_f64 v[2:3], v[2:3], v[12:13]
	;; [unrolled: 1-line block ×4, first 2 shown]
	v_mul_f64 v[4:5], v[38:39], v[42:43]
	v_fma_f64 v[4:5], v[36:37], v[40:41], -v[4:5]
	v_add_f64 v[2:3], v[2:3], v[4:5]
	v_mul_f64 v[4:5], v[46:47], v[50:51]
	v_fma_f64 v[4:5], v[44:45], v[48:49], -v[4:5]
	v_add_f64 v[2:3], v[2:3], v[4:5]
	;; [unrolled: 3-line block ×22, first 2 shown]
	scratch_load_dwordx4 v[2:5], off, off offset:48
	s_waitcnt vmcnt(0)
	v_add_f64 v[2:3], v[2:3], -v[6:7]
	v_add_f64 v[4:5], v[4:5], -v[168:169]
	scratch_store_dwordx4 off, v[2:5], off offset:48
	s_and_saveexec_b64 s[2:3], vcc
	s_cbranch_execz .LBB93_189
; %bb.188:
	scratch_load_dwordx4 v[2:5], off, s46
	v_mov_b32_e32 v6, 0
	v_mov_b32_e32 v7, v6
	;; [unrolled: 1-line block ×4, first 2 shown]
	scratch_store_dwordx4 off, v[6:9], off offset:32
	s_waitcnt vmcnt(1)
	ds_write_b128 v238, v[2:5]
.LBB93_189:
	s_or_b64 exec, exec, s[2:3]
	v_mov_b32_e32 v2, 0
	s_waitcnt lgkmcnt(0)
	; wave barrier
	ds_read_b128 v[16:19], v2 offset:528
	ds_read_b128 v[12:15], v2 offset:544
	;; [unrolled: 1-line block ×4, first 2 shown]
	scratch_load_dwordx4 v[20:23], off, off offset:48
	scratch_load_dwordx4 v[40:43], off, off offset:112
	scratch_load_dwordx4 v[72:75], off, off offset:176
	scratch_load_dwordx4 v[80:83], off, off offset:192
	scratch_load_dwordx4 v[88:91], off, off offset:208
	scratch_load_dwordx4 v[96:99], off, off offset:224
	scratch_load_dwordx4 v[104:107], off, off offset:240
	scratch_load_dwordx4 v[112:115], off, off offset:256
	scratch_load_dwordx4 v[120:123], off, off offset:272
	scratch_load_dwordx4 v[128:131], off, off offset:288
	scratch_load_dwordx4 v[136:139], off, off offset:304
	scratch_load_dwordx4 v[144:147], off, off offset:320
	scratch_load_dwordx4 v[152:155], off, off offset:336
	scratch_load_dwordx4 v[162:165], off, off offset:352
	scratch_load_dwordx4 v[170:173], off, off offset:368
	scratch_load_dwordx4 v[182:185], off, off offset:384
	scratch_load_dwordx4 v[190:193], off, off offset:400
	scratch_load_dwordx4 v[198:201], off, off offset:416
	scratch_load_dwordx4 v[244:247], off, off offset:432
	scratch_load_dwordx4 v[252:255], off, off offset:448
	scratch_load_dwordx4 v[206:209], off, off offset:464
	v_cmp_lt_u32_e32 vcc, 1, v1
	scratch_load_dwordx4 v[48:51], off, off offset:128
	scratch_load_dwordx4 v[56:59], off, off offset:144
	;; [unrolled: 1-line block ×3, first 2 shown]
	ds_read_b128 v[178:181], v2 offset:864
	ds_read_b128 v[186:189], v2 offset:880
	;; [unrolled: 1-line block ×6, first 2 shown]
	s_waitcnt vmcnt(23) lgkmcnt(9)
	v_mul_f64 v[24:25], v[16:17], v[22:23]
	v_fmac_f64_e32 v[24:25], v[18:19], v[20:21]
	v_add_f64 v[28:29], v[24:25], 0
	scratch_load_dwordx4 v[24:27], off, off offset:64
	v_mul_f64 v[18:19], v[18:19], v[22:23]
	v_fma_f64 v[16:17], v[16:17], v[20:21], -v[18:19]
	v_add_f64 v[16:17], v[16:17], 0
	s_waitcnt vmcnt(0) lgkmcnt(8)
	v_mul_f64 v[30:31], v[12:13], v[26:27]
	v_fmac_f64_e32 v[30:31], v[14:15], v[24:25]
	v_add_f64 v[32:33], v[28:29], v[30:31]
	scratch_load_dwordx4 v[28:31], off, off offset:80
	v_mul_f64 v[14:15], v[14:15], v[26:27]
	v_fma_f64 v[12:13], v[12:13], v[24:25], -v[14:15]
	v_add_f64 v[12:13], v[16:17], v[12:13]
	;; [unrolled: 8-line block ×3, first 2 shown]
	s_waitcnt vmcnt(0) lgkmcnt(6)
	v_mul_f64 v[38:39], v[4:5], v[34:35]
	v_fmac_f64_e32 v[38:39], v[6:7], v[32:33]
	v_add_f64 v[44:45], v[36:37], v[38:39]
	ds_read_b128 v[36:39], v2 offset:592
	v_mul_f64 v[6:7], v[6:7], v[34:35]
	v_fma_f64 v[4:5], v[4:5], v[32:33], -v[6:7]
	v_add_f64 v[4:5], v[8:9], v[4:5]
	s_waitcnt lgkmcnt(0)
	v_mul_f64 v[46:47], v[36:37], v[42:43]
	v_fmac_f64_e32 v[46:47], v[38:39], v[40:41]
	v_add_f64 v[52:53], v[44:45], v[46:47]
	ds_read_b128 v[44:47], v2 offset:608
	v_mul_f64 v[6:7], v[38:39], v[42:43]
	v_fma_f64 v[6:7], v[36:37], v[40:41], -v[6:7]
	v_add_f64 v[4:5], v[4:5], v[6:7]
	s_waitcnt lgkmcnt(0)
	;; [unrolled: 8-line block ×17, first 2 shown]
	v_mul_f64 v[6:7], v[168:169], v[172:173]
	v_fma_f64 v[6:7], v[166:167], v[170:171], -v[6:7]
	v_add_f64 v[4:5], v[4:5], v[6:7]
	v_mul_f64 v[6:7], v[180:181], v[184:185]
	v_fma_f64 v[6:7], v[178:179], v[182:183], -v[6:7]
	v_add_f64 v[4:5], v[4:5], v[6:7]
	v_mul_f64 v[6:7], v[188:189], v[192:193]
	v_fma_f64 v[6:7], v[186:187], v[190:191], -v[6:7]
	v_add_f64 v[4:5], v[4:5], v[6:7]
	v_mul_f64 v[6:7], v[196:197], v[200:201]
	v_fma_f64 v[6:7], v[194:195], v[198:199], -v[6:7]
	v_add_f64 v[4:5], v[4:5], v[6:7]
	v_mul_f64 v[6:7], v[242:243], v[246:247]
	v_fma_f64 v[6:7], v[240:241], v[244:245], -v[6:7]
	v_add_f64 v[4:5], v[4:5], v[6:7]
	v_mul_f64 v[6:7], v[250:251], v[254:255]
	v_fma_f64 v[6:7], v[248:249], v[252:253], -v[6:7]
	v_add_f64 v[4:5], v[4:5], v[6:7]
	v_mul_f64 v[6:7], v[204:205], v[208:209]
	v_fma_f64 v[6:7], v[202:203], v[206:207], -v[6:7]
	v_add_f64 v[8:9], v[4:5], v[6:7]
	scratch_load_dwordx4 v[4:7], off, off offset:32
	v_mul_f64 v[174:175], v[166:167], v[172:173]
	v_fmac_f64_e32 v[174:175], v[168:169], v[170:171]
	v_add_f64 v[160:161], v[160:161], v[174:175]
	v_mul_f64 v[174:175], v[178:179], v[184:185]
	v_fmac_f64_e32 v[174:175], v[180:181], v[182:183]
	v_add_f64 v[160:161], v[160:161], v[174:175]
	;; [unrolled: 3-line block ×7, first 2 shown]
	s_waitcnt vmcnt(0)
	v_add_f64 v[4:5], v[4:5], -v[8:9]
	v_add_f64 v[6:7], v[6:7], -v[160:161]
	scratch_store_dwordx4 off, v[4:7], off offset:32
	s_and_saveexec_b64 s[2:3], vcc
	s_cbranch_execz .LBB93_191
; %bb.190:
	scratch_load_dwordx4 v[6:9], off, s47
	v_mov_b32_e32 v3, v2
	v_mov_b32_e32 v4, v2
	;; [unrolled: 1-line block ×3, first 2 shown]
	scratch_store_dwordx4 off, v[2:5], off offset:16
	s_waitcnt vmcnt(1)
	ds_write_b128 v238, v[6:9]
.LBB93_191:
	s_or_b64 exec, exec, s[2:3]
	s_waitcnt lgkmcnt(0)
	; wave barrier
	ds_read_b128 v[16:19], v2 offset:512
	ds_read_b128 v[12:15], v2 offset:528
	;; [unrolled: 1-line block ×4, first 2 shown]
	scratch_load_dwordx4 v[20:23], off, off offset:32
	scratch_load_dwordx4 v[40:43], off, off offset:96
	scratch_load_dwordx4 v[72:75], off, off offset:160
	scratch_load_dwordx4 v[80:83], off, off offset:176
	scratch_load_dwordx4 v[88:91], off, off offset:192
	scratch_load_dwordx4 v[96:99], off, off offset:208
	scratch_load_dwordx4 v[104:107], off, off offset:224
	scratch_load_dwordx4 v[112:115], off, off offset:240
	scratch_load_dwordx4 v[120:123], off, off offset:256
	scratch_load_dwordx4 v[128:131], off, off offset:272
	scratch_load_dwordx4 v[136:139], off, off offset:288
	scratch_load_dwordx4 v[144:147], off, off offset:304
	scratch_load_dwordx4 v[152:155], off, off offset:320
	scratch_load_dwordx4 v[160:163], off, off offset:336
	scratch_load_dwordx4 v[168:171], off, off offset:352
	scratch_load_dwordx4 v[178:181], off, off offset:368
	scratch_load_dwordx4 v[186:189], off, off offset:384
	scratch_load_dwordx4 v[194:197], off, off offset:400
	scratch_load_dwordx4 v[202:205], off, off offset:416
	scratch_load_dwordx4 v[240:243], off, off offset:432
	scratch_load_dwordx4 v[248:251], off, off offset:448
	v_cmp_ne_u32_e32 vcc, 0, v1
	scratch_load_dwordx4 v[48:51], off, off offset:112
	scratch_load_dwordx4 v[56:59], off, off offset:128
	;; [unrolled: 1-line block ×3, first 2 shown]
	ds_read_b128 v[244:247], v2 offset:928
	ds_read_b128 v[252:255], v2 offset:944
	s_waitcnt vmcnt(23) lgkmcnt(5)
	v_mul_f64 v[24:25], v[16:17], v[22:23]
	v_fmac_f64_e32 v[24:25], v[18:19], v[20:21]
	v_add_f64 v[28:29], v[24:25], 0
	scratch_load_dwordx4 v[24:27], off, off offset:48
	s_waitcnt vmcnt(0) lgkmcnt(4)
	v_mul_f64 v[30:31], v[12:13], v[26:27]
	v_fmac_f64_e32 v[30:31], v[14:15], v[24:25]
	v_add_f64 v[32:33], v[28:29], v[30:31]
	scratch_load_dwordx4 v[28:31], off, off offset:64
	v_mul_f64 v[14:15], v[14:15], v[26:27]
	v_fma_f64 v[12:13], v[12:13], v[24:25], -v[14:15]
	s_waitcnt vmcnt(0) lgkmcnt(3)
	v_mul_f64 v[34:35], v[8:9], v[30:31]
	v_fmac_f64_e32 v[34:35], v[10:11], v[28:29]
	v_add_f64 v[36:37], v[32:33], v[34:35]
	scratch_load_dwordx4 v[32:35], off, off offset:80
	v_mul_f64 v[10:11], v[10:11], v[30:31]
	v_fma_f64 v[8:9], v[8:9], v[28:29], -v[10:11]
	s_waitcnt vmcnt(0) lgkmcnt(2)
	v_mul_f64 v[38:39], v[4:5], v[34:35]
	v_fmac_f64_e32 v[38:39], v[6:7], v[32:33]
	v_add_f64 v[44:45], v[36:37], v[38:39]
	ds_read_b128 v[36:39], v2 offset:576
	v_mul_f64 v[6:7], v[6:7], v[34:35]
	v_fma_f64 v[4:5], v[4:5], v[32:33], -v[6:7]
	s_waitcnt lgkmcnt(0)
	v_mul_f64 v[46:47], v[36:37], v[42:43]
	v_fmac_f64_e32 v[46:47], v[38:39], v[40:41]
	v_add_f64 v[52:53], v[44:45], v[46:47]
	ds_read_b128 v[44:47], v2 offset:592
	s_waitcnt lgkmcnt(0)
	v_mul_f64 v[54:55], v[44:45], v[50:51]
	v_fmac_f64_e32 v[54:55], v[46:47], v[48:49]
	v_add_f64 v[60:61], v[52:53], v[54:55]
	ds_read_b128 v[52:55], v2 offset:608
	s_waitcnt lgkmcnt(0)
	v_mul_f64 v[62:63], v[52:53], v[58:59]
	v_fmac_f64_e32 v[62:63], v[54:55], v[56:57]
	v_add_f64 v[68:69], v[60:61], v[62:63]
	ds_read_b128 v[60:63], v2 offset:624
	s_waitcnt lgkmcnt(0)
	v_mul_f64 v[70:71], v[60:61], v[66:67]
	v_fmac_f64_e32 v[70:71], v[62:63], v[64:65]
	v_add_f64 v[76:77], v[68:69], v[70:71]
	ds_read_b128 v[68:71], v2 offset:640
	s_waitcnt lgkmcnt(0)
	v_mul_f64 v[78:79], v[68:69], v[74:75]
	v_fmac_f64_e32 v[78:79], v[70:71], v[72:73]
	v_add_f64 v[84:85], v[76:77], v[78:79]
	ds_read_b128 v[76:79], v2 offset:656
	s_waitcnt lgkmcnt(0)
	v_mul_f64 v[86:87], v[76:77], v[82:83]
	v_fmac_f64_e32 v[86:87], v[78:79], v[80:81]
	v_add_f64 v[92:93], v[84:85], v[86:87]
	ds_read_b128 v[84:87], v2 offset:672
	s_waitcnt lgkmcnt(0)
	v_mul_f64 v[94:95], v[84:85], v[90:91]
	v_fmac_f64_e32 v[94:95], v[86:87], v[88:89]
	v_add_f64 v[100:101], v[92:93], v[94:95]
	ds_read_b128 v[92:95], v2 offset:688
	s_waitcnt lgkmcnt(0)
	v_mul_f64 v[102:103], v[92:93], v[98:99]
	v_fmac_f64_e32 v[102:103], v[94:95], v[96:97]
	v_add_f64 v[108:109], v[100:101], v[102:103]
	ds_read_b128 v[100:103], v2 offset:704
	s_waitcnt lgkmcnt(0)
	v_mul_f64 v[110:111], v[100:101], v[106:107]
	v_fmac_f64_e32 v[110:111], v[102:103], v[104:105]
	v_add_f64 v[116:117], v[108:109], v[110:111]
	ds_read_b128 v[108:111], v2 offset:720
	s_waitcnt lgkmcnt(0)
	v_mul_f64 v[118:119], v[108:109], v[114:115]
	v_fmac_f64_e32 v[118:119], v[110:111], v[112:113]
	v_add_f64 v[124:125], v[116:117], v[118:119]
	ds_read_b128 v[116:119], v2 offset:736
	s_waitcnt lgkmcnt(0)
	v_mul_f64 v[126:127], v[116:117], v[122:123]
	v_fmac_f64_e32 v[126:127], v[118:119], v[120:121]
	v_add_f64 v[132:133], v[124:125], v[126:127]
	ds_read_b128 v[124:127], v2 offset:752
	s_waitcnt lgkmcnt(0)
	v_mul_f64 v[134:135], v[124:125], v[130:131]
	v_fmac_f64_e32 v[134:135], v[126:127], v[128:129]
	v_add_f64 v[140:141], v[132:133], v[134:135]
	ds_read_b128 v[132:135], v2 offset:768
	s_waitcnt lgkmcnt(0)
	v_mul_f64 v[142:143], v[132:133], v[138:139]
	v_fmac_f64_e32 v[142:143], v[134:135], v[136:137]
	v_add_f64 v[148:149], v[140:141], v[142:143]
	ds_read_b128 v[140:143], v2 offset:784
	s_waitcnt lgkmcnt(0)
	v_mul_f64 v[150:151], v[140:141], v[146:147]
	v_fmac_f64_e32 v[150:151], v[142:143], v[144:145]
	v_add_f64 v[156:157], v[148:149], v[150:151]
	ds_read_b128 v[148:151], v2 offset:800
	s_waitcnt lgkmcnt(0)
	v_mul_f64 v[158:159], v[148:149], v[154:155]
	v_fmac_f64_e32 v[158:159], v[150:151], v[152:153]
	v_add_f64 v[164:165], v[156:157], v[158:159]
	ds_read_b128 v[156:159], v2 offset:816
	s_waitcnt lgkmcnt(0)
	v_mul_f64 v[166:167], v[156:157], v[162:163]
	v_fmac_f64_e32 v[166:167], v[158:159], v[160:161]
	v_add_f64 v[172:173], v[164:165], v[166:167]
	ds_read_b128 v[164:167], v2 offset:832
	s_waitcnt lgkmcnt(0)
	v_mul_f64 v[174:175], v[164:165], v[170:171]
	v_fmac_f64_e32 v[174:175], v[166:167], v[168:169]
	v_add_f64 v[182:183], v[172:173], v[174:175]
	ds_read_b128 v[172:175], v2 offset:848
	s_waitcnt lgkmcnt(0)
	v_mul_f64 v[184:185], v[172:173], v[180:181]
	v_fmac_f64_e32 v[184:185], v[174:175], v[178:179]
	v_add_f64 v[190:191], v[182:183], v[184:185]
	ds_read_b128 v[182:185], v2 offset:864
	s_waitcnt lgkmcnt(0)
	v_mul_f64 v[192:193], v[182:183], v[188:189]
	v_fmac_f64_e32 v[192:193], v[184:185], v[186:187]
	v_add_f64 v[198:199], v[190:191], v[192:193]
	ds_read_b128 v[190:193], v2 offset:880
	s_waitcnt lgkmcnt(0)
	v_mul_f64 v[200:201], v[190:191], v[196:197]
	v_fmac_f64_e32 v[200:201], v[192:193], v[194:195]
	v_add_f64 v[206:207], v[198:199], v[200:201]
	ds_read_b128 v[198:201], v2 offset:896
	s_waitcnt lgkmcnt(0)
	v_mul_f64 v[208:209], v[198:199], v[204:205]
	v_fmac_f64_e32 v[208:209], v[200:201], v[202:203]
	v_add_f64 v[210:211], v[206:207], v[208:209]
	ds_read_b128 v[206:209], v2 offset:912
	s_waitcnt lgkmcnt(0)
	v_mul_f64 v[212:213], v[206:207], v[242:243]
	v_fmac_f64_e32 v[212:213], v[208:209], v[240:241]
	v_add_f64 v[210:211], v[210:211], v[212:213]
	v_mul_f64 v[212:213], v[244:245], v[250:251]
	v_fmac_f64_e32 v[212:213], v[246:247], v[248:249]
	v_add_f64 v[214:215], v[210:211], v[212:213]
	scratch_load_dwordx4 v[210:213], off, off offset:464
	s_waitcnt vmcnt(0)
	v_mul_f64 v[2:3], v[252:253], v[212:213]
	v_fmac_f64_e32 v[2:3], v[254:255], v[210:211]
	v_add_f64 v[236:237], v[214:215], v[2:3]
	v_mul_f64 v[2:3], v[18:19], v[22:23]
	v_fma_f64 v[2:3], v[16:17], v[20:21], -v[2:3]
	v_add_f64 v[2:3], v[2:3], 0
	v_add_f64 v[2:3], v[2:3], v[12:13]
	;; [unrolled: 1-line block ×4, first 2 shown]
	v_mul_f64 v[4:5], v[38:39], v[42:43]
	v_fma_f64 v[4:5], v[36:37], v[40:41], -v[4:5]
	v_add_f64 v[2:3], v[2:3], v[4:5]
	v_mul_f64 v[4:5], v[46:47], v[50:51]
	v_fma_f64 v[4:5], v[44:45], v[48:49], -v[4:5]
	v_add_f64 v[2:3], v[2:3], v[4:5]
	;; [unrolled: 3-line block ×24, first 2 shown]
	scratch_load_dwordx4 v[2:5], off, off offset:16
	s_waitcnt vmcnt(0)
	v_add_f64 v[2:3], v[2:3], -v[6:7]
	v_add_f64 v[4:5], v[4:5], -v[236:237]
	scratch_store_dwordx4 off, v[2:5], off offset:16
	s_and_saveexec_b64 s[2:3], vcc
	s_cbranch_execz .LBB93_193
; %bb.192:
	scratch_load_dwordx4 v[2:5], off, off
	v_mov_b32_e32 v6, 0
	v_mov_b32_e32 v7, v6
	;; [unrolled: 1-line block ×4, first 2 shown]
	scratch_store_dwordx4 off, v[6:9], off
	s_waitcnt vmcnt(1)
	ds_write_b128 v238, v[2:5]
.LBB93_193:
	s_or_b64 exec, exec, s[2:3]
	v_mov_b32_e32 v236, 0
	s_waitcnt lgkmcnt(0)
	; wave barrier
	ds_read_b128 v[14:17], v236 offset:496
	ds_read_b128 v[10:13], v236 offset:512
	;; [unrolled: 1-line block ×4, first 2 shown]
	scratch_load_dwordx4 v[18:21], off, off offset:16
	scratch_load_dwordx4 v[38:41], off, off offset:80
	;; [unrolled: 1-line block ×23, first 2 shown]
	s_and_b64 vcc, exec, s[14:15]
	scratch_load_dwordx4 v[46:49], off, off offset:96
	scratch_load_dwordx4 v[54:57], off, off offset:112
	;; [unrolled: 1-line block ×3, first 2 shown]
	ds_read_b128 v[238:241], v236 offset:912
	ds_read_b128 v[246:249], v236 offset:928
	s_waitcnt vmcnt(25) lgkmcnt(5)
	v_mul_f64 v[22:23], v[14:15], v[20:21]
	v_fmac_f64_e32 v[22:23], v[16:17], v[18:19]
	v_add_f64 v[26:27], v[22:23], 0
	scratch_load_dwordx4 v[22:25], off, off offset:32
	v_mul_f64 v[16:17], v[16:17], v[20:21]
	v_fma_f64 v[14:15], v[14:15], v[18:19], -v[16:17]
	v_add_f64 v[14:15], v[14:15], 0
	s_waitcnt vmcnt(0) lgkmcnt(4)
	v_mul_f64 v[28:29], v[10:11], v[24:25]
	v_fmac_f64_e32 v[28:29], v[12:13], v[22:23]
	v_add_f64 v[30:31], v[26:27], v[28:29]
	scratch_load_dwordx4 v[26:29], off, off offset:48
	v_mul_f64 v[12:13], v[12:13], v[24:25]
	v_fma_f64 v[10:11], v[10:11], v[22:23], -v[12:13]
	v_add_f64 v[10:11], v[14:15], v[10:11]
	;; [unrolled: 8-line block ×3, first 2 shown]
	s_waitcnt vmcnt(0) lgkmcnt(2)
	v_mul_f64 v[36:37], v[2:3], v[32:33]
	v_fmac_f64_e32 v[36:37], v[4:5], v[30:31]
	v_add_f64 v[42:43], v[34:35], v[36:37]
	ds_read_b128 v[34:37], v236 offset:560
	v_mul_f64 v[4:5], v[4:5], v[32:33]
	v_fma_f64 v[2:3], v[2:3], v[30:31], -v[4:5]
	v_add_f64 v[2:3], v[6:7], v[2:3]
	s_waitcnt lgkmcnt(0)
	v_mul_f64 v[44:45], v[34:35], v[40:41]
	v_fmac_f64_e32 v[44:45], v[36:37], v[38:39]
	v_add_f64 v[50:51], v[42:43], v[44:45]
	ds_read_b128 v[42:45], v236 offset:576
	v_mul_f64 v[4:5], v[36:37], v[40:41]
	v_fma_f64 v[4:5], v[34:35], v[38:39], -v[4:5]
	v_add_f64 v[2:3], v[2:3], v[4:5]
	s_waitcnt lgkmcnt(0)
	;; [unrolled: 8-line block ×22, first 2 shown]
	v_mul_f64 v[214:215], v[206:207], v[212:213]
	v_fmac_f64_e32 v[214:215], v[208:209], v[210:211]
	v_add_f64 v[174:175], v[174:175], v[214:215]
	v_mul_f64 v[214:215], v[238:239], v[244:245]
	v_fmac_f64_e32 v[214:215], v[240:241], v[242:243]
	v_add_f64 v[174:175], v[174:175], v[214:215]
	v_mul_f64 v[214:215], v[246:247], v[252:253]
	v_fmac_f64_e32 v[214:215], v[248:249], v[250:251]
	v_mul_f64 v[4:5], v[208:209], v[212:213]
	v_add_f64 v[174:175], v[174:175], v[214:215]
	ds_read_b128 v[214:217], v236 offset:944
	v_fma_f64 v[4:5], v[206:207], v[210:211], -v[4:5]
	v_add_f64 v[2:3], v[2:3], v[4:5]
	v_mul_f64 v[4:5], v[240:241], v[244:245]
	v_fma_f64 v[4:5], v[238:239], v[242:243], -v[4:5]
	v_add_f64 v[2:3], v[2:3], v[4:5]
	v_mul_f64 v[4:5], v[248:249], v[252:253]
	v_fma_f64 v[4:5], v[246:247], v[250:251], -v[4:5]
	v_add_f64 v[2:3], v[2:3], v[4:5]
	s_waitcnt lgkmcnt(0)
	v_mul_f64 v[4:5], v[216:217], v[220:221]
	v_fma_f64 v[4:5], v[214:215], v[218:219], -v[4:5]
	v_add_f64 v[6:7], v[2:3], v[4:5]
	scratch_load_dwordx4 v[2:5], off, off
	v_mul_f64 v[254:255], v[214:215], v[220:221]
	v_fmac_f64_e32 v[254:255], v[216:217], v[218:219]
	v_add_f64 v[174:175], v[174:175], v[254:255]
	s_waitcnt vmcnt(0)
	v_add_f64 v[2:3], v[2:3], -v[6:7]
	v_add_f64 v[4:5], v[4:5], -v[174:175]
	scratch_store_dwordx4 off, v[2:5], off
	s_cbranch_vccz .LBB93_252
; %bb.194:
	global_load_dword v2, v236, s[12:13] offset:112
	s_load_dwordx2 s[2:3], s[0:1], 0x4
	v_bfe_u32 v3, v0, 10, 10
	v_bfe_u32 v0, v0, 20, 10
	s_waitcnt lgkmcnt(0)
	s_lshr_b32 s0, s2, 16
	s_mul_i32 s0, s0, s3
	v_mul_u32_u24_e32 v1, s0, v1
	v_mul_u32_u24_e32 v3, s3, v3
	v_add3_u32 v0, v1, v3, v0
	v_mov_b32_e32 v1, 0x3c8
	v_lshl_add_u32 v0, v0, 4, v1
	s_waitcnt vmcnt(0)
	v_readfirstlane_b32 s0, v2
	s_add_i32 s0, s0, -1
	s_cmp_lg_u32 s0, 28
	s_cbranch_scc0 .LBB93_196
; %bb.195:
	s_lshl_b32 s0, s0, 4
	scratch_load_dwordx4 v[2:5], off, s19
	scratch_load_dwordx4 v[6:9], off, s0
	s_waitcnt vmcnt(1)
	ds_write2_b64 v0, v[2:3], v[4:5] offset1:1
	s_waitcnt vmcnt(0)
	scratch_store_dwordx4 off, v[6:9], s19
	scratch_store_dwordx4 off, v[2:5], s0
.LBB93_196:
	v_mov_b32_e32 v1, 0
	global_load_dword v2, v1, s[12:13] offset:108
	s_waitcnt vmcnt(0)
	v_readfirstlane_b32 s0, v2
	s_add_i32 s0, s0, -1
	s_cmp_eq_u32 s0, 27
	s_cbranch_scc1 .LBB93_198
; %bb.197:
	s_lshl_b32 s0, s0, 4
	scratch_load_dwordx4 v[2:5], off, s20
	scratch_load_dwordx4 v[6:9], off, s0
	s_waitcnt vmcnt(1)
	ds_write2_b64 v0, v[2:3], v[4:5] offset1:1
	s_waitcnt vmcnt(0)
	scratch_store_dwordx4 off, v[6:9], s20
	scratch_store_dwordx4 off, v[2:5], s0
.LBB93_198:
	global_load_dword v1, v1, s[12:13] offset:104
	s_waitcnt vmcnt(0)
	v_readfirstlane_b32 s0, v1
	s_add_i32 s0, s0, -1
	s_cmp_eq_u32 s0, 26
	s_cbranch_scc1 .LBB93_200
; %bb.199:
	s_lshl_b32 s0, s0, 4
	scratch_load_dwordx4 v[2:5], off, s21
	scratch_load_dwordx4 v[6:9], off, s0
	s_waitcnt vmcnt(1)
	ds_write2_b64 v0, v[2:3], v[4:5] offset1:1
	s_waitcnt vmcnt(0)
	scratch_store_dwordx4 off, v[6:9], s21
	scratch_store_dwordx4 off, v[2:5], s0
.LBB93_200:
	v_mov_b32_e32 v1, 0
	global_load_dword v2, v1, s[12:13] offset:100
	s_waitcnt vmcnt(0)
	v_readfirstlane_b32 s0, v2
	s_add_i32 s0, s0, -1
	s_cmp_eq_u32 s0, 25
	s_cbranch_scc1 .LBB93_202
; %bb.201:
	s_lshl_b32 s0, s0, 4
	scratch_load_dwordx4 v[2:5], off, s22
	scratch_load_dwordx4 v[6:9], off, s0
	s_waitcnt vmcnt(1)
	ds_write2_b64 v0, v[2:3], v[4:5] offset1:1
	s_waitcnt vmcnt(0)
	scratch_store_dwordx4 off, v[6:9], s22
	scratch_store_dwordx4 off, v[2:5], s0
.LBB93_202:
	global_load_dword v1, v1, s[12:13] offset:96
	s_waitcnt vmcnt(0)
	v_readfirstlane_b32 s0, v1
	s_add_i32 s0, s0, -1
	s_cmp_eq_u32 s0, 24
	s_cbranch_scc1 .LBB93_204
; %bb.203:
	s_lshl_b32 s0, s0, 4
	scratch_load_dwordx4 v[2:5], off, s23
	scratch_load_dwordx4 v[6:9], off, s0
	s_waitcnt vmcnt(1)
	ds_write2_b64 v0, v[2:3], v[4:5] offset1:1
	s_waitcnt vmcnt(0)
	scratch_store_dwordx4 off, v[6:9], s23
	scratch_store_dwordx4 off, v[2:5], s0
.LBB93_204:
	;; [unrolled: 33-line block ×13, first 2 shown]
	v_mov_b32_e32 v1, 0
	global_load_dword v2, v1, s[12:13] offset:4
	s_waitcnt vmcnt(0)
	v_readfirstlane_b32 s0, v2
	s_add_i32 s0, s0, -1
	s_cmp_eq_u32 s0, 1
	s_cbranch_scc1 .LBB93_250
; %bb.249:
	s_lshl_b32 s0, s0, 4
	scratch_load_dwordx4 v[2:5], off, s47
	scratch_load_dwordx4 v[6:9], off, s0
	s_waitcnt vmcnt(1)
	ds_write2_b64 v0, v[2:3], v[4:5] offset1:1
	s_waitcnt vmcnt(0)
	scratch_store_dwordx4 off, v[6:9], s47
	scratch_store_dwordx4 off, v[2:5], s0
.LBB93_250:
	global_load_dword v1, v1, s[12:13]
	s_waitcnt vmcnt(0)
	v_readfirstlane_b32 s0, v1
	s_add_i32 s0, s0, -1
	s_cmp_eq_u32 s0, 0
	s_cbranch_scc1 .LBB93_252
; %bb.251:
	s_lshl_b32 s0, s0, 4
	scratch_load_dwordx4 v[2:5], off, off
	scratch_load_dwordx4 v[6:9], off, s0
	s_waitcnt vmcnt(1)
	ds_write2_b64 v0, v[2:3], v[4:5] offset1:1
	s_waitcnt vmcnt(0)
	scratch_store_dwordx4 off, v[6:9], off
	scratch_store_dwordx4 off, v[2:5], s0
.LBB93_252:
	scratch_load_dwordx4 v[0:3], off, off
	s_nop 0
	v_accvgpr_read_b32 v5, a1
	v_accvgpr_read_b32 v4, a0
	s_waitcnt vmcnt(0)
	flat_store_dwordx4 v[176:177], v[0:3]
	scratch_load_dwordx4 v[0:3], off, s47
	s_waitcnt vmcnt(0)
	flat_store_dwordx4 v[4:5], v[0:3]
	scratch_load_dwordx4 v[0:3], off, s46
	v_accvgpr_read_b32 v5, a3
	v_accvgpr_read_b32 v4, a2
	s_waitcnt vmcnt(0)
	flat_store_dwordx4 v[4:5], v[0:3]
	scratch_load_dwordx4 v[0:3], off, s45
	v_accvgpr_read_b32 v4, a4
	v_accvgpr_read_b32 v5, a5
	;; [unrolled: 5-line block ×21, first 2 shown]
	s_waitcnt vmcnt(0)
	flat_store_dwordx4 v[4:5], v[0:3]
	scratch_load_dwordx4 v[0:3], off, s24
	s_waitcnt vmcnt(0)
	flat_store_dwordx4 v[222:223], v[0:3]
	scratch_load_dwordx4 v[0:3], off, s23
	;; [unrolled: 3-line block ×7, first 2 shown]
	s_waitcnt vmcnt(0)
	flat_store_dwordx4 v[234:235], v[0:3]
	s_endpgm
	.section	.rodata,"a",@progbits
	.p2align	6, 0x0
	.amdhsa_kernel _ZN9rocsolver6v33100L18getri_kernel_smallILi30E19rocblas_complex_numIdEPKPS3_EEvT1_iilPiilS8_bb
		.amdhsa_group_segment_fixed_size 1992
		.amdhsa_private_segment_fixed_size 496
		.amdhsa_kernarg_size 60
		.amdhsa_user_sgpr_count 4
		.amdhsa_user_sgpr_dispatch_ptr 1
		.amdhsa_user_sgpr_queue_ptr 0
		.amdhsa_user_sgpr_kernarg_segment_ptr 1
		.amdhsa_user_sgpr_dispatch_id 0
		.amdhsa_user_sgpr_kernarg_preload_length 0
		.amdhsa_user_sgpr_kernarg_preload_offset 0
		.amdhsa_user_sgpr_private_segment_size 0
		.amdhsa_uses_dynamic_stack 0
		.amdhsa_enable_private_segment 1
		.amdhsa_system_sgpr_workgroup_id_x 1
		.amdhsa_system_sgpr_workgroup_id_y 0
		.amdhsa_system_sgpr_workgroup_id_z 0
		.amdhsa_system_sgpr_workgroup_info 0
		.amdhsa_system_vgpr_workitem_id 2
		.amdhsa_next_free_vgpr 300
		.amdhsa_next_free_sgpr 57
		.amdhsa_accum_offset 256
		.amdhsa_reserve_vcc 1
		.amdhsa_float_round_mode_32 0
		.amdhsa_float_round_mode_16_64 0
		.amdhsa_float_denorm_mode_32 3
		.amdhsa_float_denorm_mode_16_64 3
		.amdhsa_dx10_clamp 1
		.amdhsa_ieee_mode 1
		.amdhsa_fp16_overflow 0
		.amdhsa_tg_split 0
		.amdhsa_exception_fp_ieee_invalid_op 0
		.amdhsa_exception_fp_denorm_src 0
		.amdhsa_exception_fp_ieee_div_zero 0
		.amdhsa_exception_fp_ieee_overflow 0
		.amdhsa_exception_fp_ieee_underflow 0
		.amdhsa_exception_fp_ieee_inexact 0
		.amdhsa_exception_int_div_zero 0
	.end_amdhsa_kernel
	.section	.text._ZN9rocsolver6v33100L18getri_kernel_smallILi30E19rocblas_complex_numIdEPKPS3_EEvT1_iilPiilS8_bb,"axG",@progbits,_ZN9rocsolver6v33100L18getri_kernel_smallILi30E19rocblas_complex_numIdEPKPS3_EEvT1_iilPiilS8_bb,comdat
.Lfunc_end93:
	.size	_ZN9rocsolver6v33100L18getri_kernel_smallILi30E19rocblas_complex_numIdEPKPS3_EEvT1_iilPiilS8_bb, .Lfunc_end93-_ZN9rocsolver6v33100L18getri_kernel_smallILi30E19rocblas_complex_numIdEPKPS3_EEvT1_iilPiilS8_bb
                                        ; -- End function
	.set _ZN9rocsolver6v33100L18getri_kernel_smallILi30E19rocblas_complex_numIdEPKPS3_EEvT1_iilPiilS8_bb.num_vgpr, 256
	.set _ZN9rocsolver6v33100L18getri_kernel_smallILi30E19rocblas_complex_numIdEPKPS3_EEvT1_iilPiilS8_bb.num_agpr, 44
	.set _ZN9rocsolver6v33100L18getri_kernel_smallILi30E19rocblas_complex_numIdEPKPS3_EEvT1_iilPiilS8_bb.numbered_sgpr, 57
	.set _ZN9rocsolver6v33100L18getri_kernel_smallILi30E19rocblas_complex_numIdEPKPS3_EEvT1_iilPiilS8_bb.num_named_barrier, 0
	.set _ZN9rocsolver6v33100L18getri_kernel_smallILi30E19rocblas_complex_numIdEPKPS3_EEvT1_iilPiilS8_bb.private_seg_size, 496
	.set _ZN9rocsolver6v33100L18getri_kernel_smallILi30E19rocblas_complex_numIdEPKPS3_EEvT1_iilPiilS8_bb.uses_vcc, 1
	.set _ZN9rocsolver6v33100L18getri_kernel_smallILi30E19rocblas_complex_numIdEPKPS3_EEvT1_iilPiilS8_bb.uses_flat_scratch, 0
	.set _ZN9rocsolver6v33100L18getri_kernel_smallILi30E19rocblas_complex_numIdEPKPS3_EEvT1_iilPiilS8_bb.has_dyn_sized_stack, 0
	.set _ZN9rocsolver6v33100L18getri_kernel_smallILi30E19rocblas_complex_numIdEPKPS3_EEvT1_iilPiilS8_bb.has_recursion, 0
	.set _ZN9rocsolver6v33100L18getri_kernel_smallILi30E19rocblas_complex_numIdEPKPS3_EEvT1_iilPiilS8_bb.has_indirect_call, 0
	.section	.AMDGPU.csdata,"",@progbits
; Kernel info:
; codeLenInByte = 42848
; TotalNumSgprs: 63
; NumVgprs: 256
; NumAgprs: 44
; TotalNumVgprs: 300
; ScratchSize: 496
; MemoryBound: 0
; FloatMode: 240
; IeeeMode: 1
; LDSByteSize: 1992 bytes/workgroup (compile time only)
; SGPRBlocks: 7
; VGPRBlocks: 37
; NumSGPRsForWavesPerEU: 63
; NumVGPRsForWavesPerEU: 300
; AccumOffset: 256
; Occupancy: 1
; WaveLimiterHint : 1
; COMPUTE_PGM_RSRC2:SCRATCH_EN: 1
; COMPUTE_PGM_RSRC2:USER_SGPR: 4
; COMPUTE_PGM_RSRC2:TRAP_HANDLER: 0
; COMPUTE_PGM_RSRC2:TGID_X_EN: 1
; COMPUTE_PGM_RSRC2:TGID_Y_EN: 0
; COMPUTE_PGM_RSRC2:TGID_Z_EN: 0
; COMPUTE_PGM_RSRC2:TIDIG_COMP_CNT: 2
; COMPUTE_PGM_RSRC3_GFX90A:ACCUM_OFFSET: 63
; COMPUTE_PGM_RSRC3_GFX90A:TG_SPLIT: 0
	.section	.text._ZN9rocsolver6v33100L18getri_kernel_smallILi31E19rocblas_complex_numIdEPKPS3_EEvT1_iilPiilS8_bb,"axG",@progbits,_ZN9rocsolver6v33100L18getri_kernel_smallILi31E19rocblas_complex_numIdEPKPS3_EEvT1_iilPiilS8_bb,comdat
	.globl	_ZN9rocsolver6v33100L18getri_kernel_smallILi31E19rocblas_complex_numIdEPKPS3_EEvT1_iilPiilS8_bb ; -- Begin function _ZN9rocsolver6v33100L18getri_kernel_smallILi31E19rocblas_complex_numIdEPKPS3_EEvT1_iilPiilS8_bb
	.p2align	8
	.type	_ZN9rocsolver6v33100L18getri_kernel_smallILi31E19rocblas_complex_numIdEPKPS3_EEvT1_iilPiilS8_bb,@function
_ZN9rocsolver6v33100L18getri_kernel_smallILi31E19rocblas_complex_numIdEPKPS3_EEvT1_iilPiilS8_bb: ; @_ZN9rocsolver6v33100L18getri_kernel_smallILi31E19rocblas_complex_numIdEPKPS3_EEvT1_iilPiilS8_bb
; %bb.0:
	v_and_b32_e32 v1, 0x3ff, v0
	v_cmp_gt_u32_e32 vcc, 31, v1
	s_and_saveexec_b64 s[6:7], vcc
	s_cbranch_execz .LBB94_138
; %bb.1:
	s_load_dword s18, s[2:3], 0x38
	s_load_dwordx2 s[6:7], s[2:3], 0x0
	s_load_dwordx4 s[8:11], s[2:3], 0x28
	s_waitcnt lgkmcnt(0)
	s_bitcmp1_b32 s18, 8
	s_cselect_b64 s[14:15], -1, 0
	s_ashr_i32 s5, s4, 31
	s_lshl_b64 s[12:13], s[4:5], 3
	s_add_u32 s6, s6, s12
	s_addc_u32 s7, s7, s13
	s_load_dwordx2 s[16:17], s[6:7], 0x0
	s_bfe_u32 s6, s18, 0x10008
	s_cmp_eq_u32 s6, 0
                                        ; implicit-def: $sgpr12_sgpr13
	s_cbranch_scc1 .LBB94_3
; %bb.2:
	s_load_dword s6, s[2:3], 0x20
	s_load_dwordx2 s[12:13], s[2:3], 0x18
	s_mul_i32 s7, s8, s5
	s_mul_hi_u32 s18, s8, s4
	s_add_i32 s18, s18, s7
	s_mul_i32 s9, s9, s4
	s_add_i32 s9, s18, s9
	s_mul_i32 s8, s8, s4
	s_waitcnt lgkmcnt(0)
	s_ashr_i32 s7, s6, 31
	s_lshl_b64 s[8:9], s[8:9], 2
	s_add_u32 s8, s12, s8
	s_addc_u32 s9, s13, s9
	s_lshl_b64 s[6:7], s[6:7], 2
	s_add_u32 s12, s8, s6
	s_addc_u32 s13, s9, s7
.LBB94_3:
	s_load_dwordx2 s[6:7], s[2:3], 0x8
	s_load_dword s8, s[2:3], 0x38
	v_lshlrev_b32_e32 v14, 4, v1
	v_mov_b32_e32 v15, 0
	s_movk_i32 s49, 0x160
	s_waitcnt lgkmcnt(0)
	s_ashr_i32 s3, s6, 31
	s_mov_b32 s2, s6
	s_lshl_b64 s[2:3], s[2:3], 4
	s_add_u32 s2, s16, s2
	s_addc_u32 s3, s17, s3
	v_lshl_add_u64 v[184:185], s[2:3], 0, v[14:15]
	flat_load_dwordx4 v[2:5], v[184:185]
	s_mov_b32 s16, s7
	s_ashr_i32 s17, s7, 31
	v_lshl_add_u64 v[6:7], s[16:17], 4, v[184:185]
	v_accvgpr_write_b32 a0, v6
	s_add_i32 s6, s7, s7
	v_accvgpr_write_b32 a1, v7
	s_movk_i32 s50, 0x170
	s_movk_i32 s51, 0x180
	;; [unrolled: 1-line block ×25, first 2 shown]
	s_mov_b32 s48, 16
	s_mov_b32 s47, 32
	;; [unrolled: 1-line block ×13, first 2 shown]
	s_bitcmp0_b32 s8, 0
	s_waitcnt vmcnt(0) lgkmcnt(0)
	scratch_store_dwordx4 off, v[2:5], off
	flat_load_dwordx4 v[2:5], v[6:7]
	v_add_u32_e32 v6, s6, v1
	v_ashrrev_i32_e32 v7, 31, v6
	v_lshl_add_u64 v[8:9], v[6:7], 4, s[2:3]
	v_add_u32_e32 v6, s7, v6
	v_accvgpr_write_b32 a2, v8
	v_ashrrev_i32_e32 v7, 31, v6
	v_accvgpr_write_b32 a3, v9
	s_waitcnt vmcnt(0) lgkmcnt(0)
	scratch_store_dwordx4 off, v[2:5], off offset:16
	flat_load_dwordx4 v[2:5], v[8:9]
	v_lshl_add_u64 v[8:9], v[6:7], 4, s[2:3]
	v_add_u32_e32 v6, s7, v6
	v_accvgpr_write_b32 a4, v8
	v_ashrrev_i32_e32 v7, 31, v6
	v_accvgpr_write_b32 a5, v9
	s_waitcnt vmcnt(0) lgkmcnt(0)
	scratch_store_dwordx4 off, v[2:5], off offset:32
	flat_load_dwordx4 v[2:5], v[8:9]
	;; [unrolled: 8-line block ×24, first 2 shown]
	v_lshl_add_u64 v[8:9], v[6:7], 4, s[2:3]
	v_add_u32_e32 v6, s7, v6
	v_ashrrev_i32_e32 v7, 31, v6
	v_lshl_add_u64 v[238:239], v[6:7], 4, s[2:3]
	v_add_u32_e32 v6, s7, v6
	v_ashrrev_i32_e32 v7, 31, v6
	;; [unrolled: 3-line block ×4, first 2 shown]
	v_lshl_add_u64 v[244:245], v[6:7], 4, s[2:3]
	v_accvgpr_write_b32 a51, v9
	v_accvgpr_write_b32 a50, v8
	s_mov_b64 s[6:7], -1
	s_waitcnt vmcnt(0) lgkmcnt(0)
	scratch_store_dwordx4 off, v[2:5], off offset:400
	flat_load_dwordx4 v[2:5], v[8:9]
	s_waitcnt vmcnt(0) lgkmcnt(0)
	scratch_store_dwordx4 off, v[2:5], off offset:416
	flat_load_dwordx4 v[2:5], v[238:239]
	;; [unrolled: 3-line block ×5, first 2 shown]
	s_waitcnt vmcnt(0) lgkmcnt(0)
	scratch_store_dwordx4 off, v[2:5], off offset:480
	s_cbranch_scc1 .LBB94_136
; %bb.4:
	v_cmp_eq_u32_e64 s[2:3], 0, v1
	s_and_saveexec_b64 s[6:7], s[2:3]
; %bb.5:
	v_mov_b32_e32 v2, 0
	ds_write_b32 v2, v2 offset:992
; %bb.6:
	s_or_b64 exec, exec, s[6:7]
	s_waitcnt lgkmcnt(0)
	; wave barrier
	scratch_load_dwordx4 v[2:5], v14, off
	s_waitcnt vmcnt(0)
	v_cmp_eq_f64_e32 vcc, 0, v[2:3]
	v_cmp_eq_f64_e64 s[6:7], 0, v[4:5]
	s_and_b64 s[6:7], vcc, s[6:7]
	s_and_saveexec_b64 s[8:9], s[6:7]
	s_cbranch_execz .LBB94_10
; %bb.7:
	v_mov_b32_e32 v2, 0
	ds_read_b32 v4, v2 offset:992
	v_add_u32_e32 v3, 1, v1
	s_waitcnt lgkmcnt(0)
	v_readfirstlane_b32 s6, v4
	s_cmp_eq_u32 s6, 0
	s_cselect_b64 s[16:17], -1, 0
	v_cmp_gt_i32_e32 vcc, s6, v3
	s_or_b64 s[16:17], s[16:17], vcc
	s_and_b64 exec, exec, s[16:17]
	s_cbranch_execz .LBB94_10
; %bb.8:
	s_mov_b64 s[16:17], 0
	v_mov_b32_e32 v4, s6
.LBB94_9:                               ; =>This Inner Loop Header: Depth=1
	ds_cmpst_rtn_b32 v4, v2, v4, v3 offset:992
	s_waitcnt lgkmcnt(0)
	v_cmp_ne_u32_e32 vcc, 0, v4
	v_cmp_le_i32_e64 s[6:7], v4, v3
	s_and_b64 s[6:7], vcc, s[6:7]
	s_and_b64 s[6:7], exec, s[6:7]
	s_or_b64 s[16:17], s[6:7], s[16:17]
	s_andn2_b64 exec, exec, s[16:17]
	s_cbranch_execnz .LBB94_9
.LBB94_10:
	s_or_b64 exec, exec, s[8:9]
	v_mov_b32_e32 v3, 0
	; wave barrier
	ds_read_b32 v2, v3 offset:992
	s_and_saveexec_b64 s[6:7], s[2:3]
	s_cbranch_execz .LBB94_12
; %bb.11:
	s_lshl_b64 s[8:9], s[4:5], 2
	s_add_u32 s8, s10, s8
	s_addc_u32 s9, s11, s9
	s_waitcnt lgkmcnt(0)
	global_store_dword v3, v2, s[8:9]
.LBB94_12:
	s_or_b64 exec, exec, s[6:7]
	s_waitcnt lgkmcnt(0)
	v_cmp_ne_u32_e32 vcc, 0, v2
	s_mov_b64 s[6:7], 0
	s_cbranch_vccnz .LBB94_136
; %bb.13:
	v_mov_b32_e32 v15, v14
	scratch_load_dwordx4 v[2:5], v15, off
                                        ; implicit-def: $vgpr6_vgpr7
                                        ; implicit-def: $vgpr10_vgpr11
	s_waitcnt vmcnt(0)
	v_cmp_ngt_f64_e64 s[6:7], |v[2:3]|, |v[4:5]|
	s_and_saveexec_b64 s[8:9], s[6:7]
	s_xor_b64 s[6:7], exec, s[8:9]
	s_cbranch_execz .LBB94_15
; %bb.14:
	v_div_scale_f64 v[6:7], s[8:9], v[4:5], v[4:5], v[2:3]
	v_rcp_f64_e32 v[8:9], v[6:7]
	v_div_scale_f64 v[10:11], vcc, v[2:3], v[4:5], v[2:3]
	v_fma_f64 v[12:13], -v[6:7], v[8:9], 1.0
	v_fmac_f64_e32 v[8:9], v[8:9], v[12:13]
	v_fma_f64 v[12:13], -v[6:7], v[8:9], 1.0
	v_fmac_f64_e32 v[8:9], v[8:9], v[12:13]
	v_mul_f64 v[12:13], v[10:11], v[8:9]
	v_fma_f64 v[6:7], -v[6:7], v[12:13], v[10:11]
	v_div_fmas_f64 v[6:7], v[6:7], v[8:9], v[12:13]
	v_div_fixup_f64 v[6:7], v[6:7], v[4:5], v[2:3]
	v_fmac_f64_e32 v[4:5], v[2:3], v[6:7]
	v_div_scale_f64 v[2:3], s[8:9], v[4:5], v[4:5], 1.0
	v_rcp_f64_e32 v[8:9], v[2:3]
	s_nop 0
	v_fma_f64 v[10:11], -v[2:3], v[8:9], 1.0
	v_fmac_f64_e32 v[8:9], v[8:9], v[10:11]
	v_fma_f64 v[10:11], -v[2:3], v[8:9], 1.0
	v_fmac_f64_e32 v[8:9], v[8:9], v[10:11]
	v_div_scale_f64 v[10:11], vcc, 1.0, v[4:5], 1.0
	v_mul_f64 v[12:13], v[10:11], v[8:9]
	v_fma_f64 v[2:3], -v[2:3], v[12:13], v[10:11]
	s_nop 1
	v_div_fmas_f64 v[2:3], v[2:3], v[8:9], v[12:13]
	v_div_fixup_f64 v[8:9], v[2:3], v[4:5], 1.0
	v_mul_f64 v[6:7], v[6:7], v[8:9]
	v_xor_b32_e32 v9, 0x80000000, v9
	v_xor_b32_e32 v11, 0x80000000, v7
	v_mov_b32_e32 v10, v6
                                        ; implicit-def: $vgpr2_vgpr3
.LBB94_15:
	s_andn2_saveexec_b64 s[6:7], s[6:7]
	s_cbranch_execz .LBB94_17
; %bb.16:
	v_div_scale_f64 v[6:7], s[8:9], v[2:3], v[2:3], v[4:5]
	v_rcp_f64_e32 v[8:9], v[6:7]
	v_div_scale_f64 v[10:11], vcc, v[4:5], v[2:3], v[4:5]
	v_fma_f64 v[12:13], -v[6:7], v[8:9], 1.0
	v_fmac_f64_e32 v[8:9], v[8:9], v[12:13]
	v_fma_f64 v[12:13], -v[6:7], v[8:9], 1.0
	v_fmac_f64_e32 v[8:9], v[8:9], v[12:13]
	v_mul_f64 v[12:13], v[10:11], v[8:9]
	v_fma_f64 v[6:7], -v[6:7], v[12:13], v[10:11]
	v_div_fmas_f64 v[6:7], v[6:7], v[8:9], v[12:13]
	v_div_fixup_f64 v[8:9], v[6:7], v[2:3], v[4:5]
	v_fmac_f64_e32 v[2:3], v[4:5], v[8:9]
	v_div_scale_f64 v[4:5], s[8:9], v[2:3], v[2:3], 1.0
	v_rcp_f64_e32 v[6:7], v[4:5]
	s_nop 0
	v_fma_f64 v[10:11], -v[4:5], v[6:7], 1.0
	v_fmac_f64_e32 v[6:7], v[6:7], v[10:11]
	v_fma_f64 v[10:11], -v[4:5], v[6:7], 1.0
	v_fmac_f64_e32 v[6:7], v[6:7], v[10:11]
	v_div_scale_f64 v[10:11], vcc, 1.0, v[2:3], 1.0
	v_mul_f64 v[12:13], v[10:11], v[6:7]
	v_fma_f64 v[4:5], -v[4:5], v[12:13], v[10:11]
	s_nop 1
	v_div_fmas_f64 v[4:5], v[4:5], v[6:7], v[12:13]
	v_div_fixup_f64 v[6:7], v[4:5], v[2:3], 1.0
	v_xor_b32_e32 v11, 0x80000000, v7
	v_mov_b32_e32 v10, v6
	v_mul_f64 v[8:9], v[8:9], -v[6:7]
.LBB94_17:
	s_or_b64 exec, exec, s[6:7]
	scratch_store_dwordx4 v15, v[6:9], off
	scratch_load_dwordx4 v[2:5], off, s48
	v_xor_b32_e32 v13, 0x80000000, v9
	v_mov_b32_e32 v12, v8
	v_add_u32_e32 v6, 0x1f0, v14
	ds_write_b128 v14, v[10:13]
	s_waitcnt vmcnt(0)
	ds_write_b128 v14, v[2:5] offset:496
	s_waitcnt lgkmcnt(0)
	; wave barrier
	s_and_saveexec_b64 s[6:7], s[2:3]
	s_cbranch_execz .LBB94_19
; %bb.18:
	scratch_load_dwordx4 v[2:5], v15, off
	ds_read_b128 v[8:11], v6
	v_mov_b32_e32 v7, 0
	ds_read_b128 v[16:19], v7 offset:16
	s_waitcnt vmcnt(0) lgkmcnt(1)
	v_mul_f64 v[12:13], v[10:11], v[4:5]
	v_mul_f64 v[4:5], v[8:9], v[4:5]
	v_fma_f64 v[8:9], v[8:9], v[2:3], -v[12:13]
	v_fmac_f64_e32 v[4:5], v[10:11], v[2:3]
	v_add_f64 v[2:3], v[8:9], 0
	v_add_f64 v[8:9], v[4:5], 0
	s_waitcnt lgkmcnt(0)
	v_mul_f64 v[10:11], v[8:9], v[18:19]
	v_mul_f64 v[4:5], v[2:3], v[18:19]
	v_fma_f64 v[2:3], v[2:3], v[16:17], -v[10:11]
	v_fmac_f64_e32 v[4:5], v[8:9], v[16:17]
	scratch_store_dwordx4 off, v[2:5], off offset:16
.LBB94_19:
	s_or_b64 exec, exec, s[6:7]
	; wave barrier
	scratch_load_dwordx4 v[2:5], off, s47
	v_cmp_gt_u32_e32 vcc, 2, v1
	s_waitcnt vmcnt(0)
	ds_write_b128 v6, v[2:5]
	s_waitcnt lgkmcnt(0)
	; wave barrier
	s_and_saveexec_b64 s[6:7], vcc
	s_cbranch_execz .LBB94_23
; %bb.20:
	scratch_load_dwordx4 v[2:5], v15, off
	ds_read_b128 v[8:11], v6
	s_waitcnt vmcnt(0) lgkmcnt(0)
	v_mul_f64 v[12:13], v[10:11], v[4:5]
	v_mul_f64 v[16:17], v[8:9], v[4:5]
	v_fma_f64 v[4:5], v[8:9], v[2:3], -v[12:13]
	v_fmac_f64_e32 v[16:17], v[10:11], v[2:3]
	v_add_f64 v[4:5], v[4:5], 0
	v_add_f64 v[2:3], v[16:17], 0
	s_and_saveexec_b64 s[8:9], s[2:3]
	s_cbranch_execz .LBB94_22
; %bb.21:
	scratch_load_dwordx4 v[8:11], off, off offset:16
	v_mov_b32_e32 v7, 0
	ds_read_b128 v[16:19], v7 offset:512
	s_waitcnt vmcnt(0) lgkmcnt(0)
	v_mul_f64 v[12:13], v[16:17], v[10:11]
	v_mul_f64 v[10:11], v[18:19], v[10:11]
	v_fmac_f64_e32 v[12:13], v[18:19], v[8:9]
	v_fma_f64 v[8:9], v[16:17], v[8:9], -v[10:11]
	v_add_f64 v[2:3], v[2:3], v[12:13]
	v_add_f64 v[4:5], v[4:5], v[8:9]
.LBB94_22:
	s_or_b64 exec, exec, s[8:9]
	v_mov_b32_e32 v7, 0
	ds_read_b128 v[8:11], v7 offset:32
	s_waitcnt lgkmcnt(0)
	v_mul_f64 v[16:17], v[2:3], v[10:11]
	v_mul_f64 v[12:13], v[4:5], v[10:11]
	v_fma_f64 v[10:11], v[4:5], v[8:9], -v[16:17]
	v_fmac_f64_e32 v[12:13], v[2:3], v[8:9]
	scratch_store_dwordx4 off, v[10:13], off offset:32
.LBB94_23:
	s_or_b64 exec, exec, s[6:7]
	; wave barrier
	scratch_load_dwordx4 v[2:5], off, s46
	v_cmp_gt_u32_e32 vcc, 3, v1
	v_add_u32_e32 v7, -1, v1
	s_waitcnt vmcnt(0)
	ds_write_b128 v6, v[2:5]
	s_waitcnt lgkmcnt(0)
	; wave barrier
	s_and_saveexec_b64 s[2:3], vcc
	s_cbranch_execz .LBB94_27
; %bb.24:
	v_add_u32_e32 v8, -1, v1
	v_add_u32_e32 v9, 0x1f0, v14
	v_mov_b32_e32 v10, v14
	v_mov_b64_e32 v[2:3], 0
	s_mov_b64 s[6:7], 0
	v_mov_b64_e32 v[4:5], 0
.LBB94_25:                              ; =>This Inner Loop Header: Depth=1
	scratch_load_dwordx4 v[16:19], v10, off
	ds_read_b128 v[20:23], v9
	v_add_u32_e32 v8, 1, v8
	v_cmp_lt_u32_e32 vcc, 1, v8
	v_add_u32_e32 v9, 16, v9
	v_add_u32_e32 v10, 16, v10
	s_or_b64 s[6:7], vcc, s[6:7]
	s_waitcnt vmcnt(0) lgkmcnt(0)
	v_mul_f64 v[12:13], v[22:23], v[18:19]
	v_mul_f64 v[18:19], v[20:21], v[18:19]
	v_fma_f64 v[12:13], v[20:21], v[16:17], -v[12:13]
	v_fmac_f64_e32 v[18:19], v[22:23], v[16:17]
	v_add_f64 v[4:5], v[4:5], v[12:13]
	v_add_f64 v[2:3], v[2:3], v[18:19]
	s_andn2_b64 exec, exec, s[6:7]
	s_cbranch_execnz .LBB94_25
; %bb.26:
	s_or_b64 exec, exec, s[6:7]
	v_mov_b32_e32 v8, 0
	ds_read_b128 v[8:11], v8 offset:48
	s_waitcnt lgkmcnt(0)
	v_mul_f64 v[16:17], v[2:3], v[10:11]
	v_mul_f64 v[12:13], v[4:5], v[10:11]
	v_fma_f64 v[10:11], v[4:5], v[8:9], -v[16:17]
	v_fmac_f64_e32 v[12:13], v[2:3], v[8:9]
	scratch_store_dwordx4 off, v[10:13], off offset:48
.LBB94_27:
	s_or_b64 exec, exec, s[2:3]
	; wave barrier
	scratch_load_dwordx4 v[2:5], off, s45
	v_cmp_gt_u32_e32 vcc, 4, v1
	s_waitcnt vmcnt(0)
	ds_write_b128 v6, v[2:5]
	s_waitcnt lgkmcnt(0)
	; wave barrier
	s_and_saveexec_b64 s[2:3], vcc
	s_cbranch_execz .LBB94_31
; %bb.28:
	v_add_u32_e32 v8, -1, v1
	v_add_u32_e32 v9, 0x1f0, v14
	v_mov_b32_e32 v10, v14
	v_mov_b64_e32 v[2:3], 0
	s_mov_b64 s[6:7], 0
	v_mov_b64_e32 v[4:5], 0
.LBB94_29:                              ; =>This Inner Loop Header: Depth=1
	scratch_load_dwordx4 v[16:19], v10, off
	ds_read_b128 v[20:23], v9
	v_add_u32_e32 v8, 1, v8
	v_cmp_lt_u32_e32 vcc, 2, v8
	v_add_u32_e32 v9, 16, v9
	v_add_u32_e32 v10, 16, v10
	s_or_b64 s[6:7], vcc, s[6:7]
	s_waitcnt vmcnt(0) lgkmcnt(0)
	v_mul_f64 v[12:13], v[22:23], v[18:19]
	v_mul_f64 v[18:19], v[20:21], v[18:19]
	v_fma_f64 v[12:13], v[20:21], v[16:17], -v[12:13]
	v_fmac_f64_e32 v[18:19], v[22:23], v[16:17]
	v_add_f64 v[4:5], v[4:5], v[12:13]
	v_add_f64 v[2:3], v[2:3], v[18:19]
	s_andn2_b64 exec, exec, s[6:7]
	s_cbranch_execnz .LBB94_29
; %bb.30:
	s_or_b64 exec, exec, s[6:7]
	v_mov_b32_e32 v8, 0
	ds_read_b128 v[8:11], v8 offset:64
	s_waitcnt lgkmcnt(0)
	v_mul_f64 v[16:17], v[2:3], v[10:11]
	v_mul_f64 v[12:13], v[4:5], v[10:11]
	v_fma_f64 v[10:11], v[4:5], v[8:9], -v[16:17]
	v_fmac_f64_e32 v[12:13], v[2:3], v[8:9]
	scratch_store_dwordx4 off, v[10:13], off offset:64
.LBB94_31:
	s_or_b64 exec, exec, s[2:3]
	; wave barrier
	scratch_load_dwordx4 v[2:5], off, s44
	v_cmp_gt_u32_e32 vcc, 5, v1
	;; [unrolled: 45-line block ×19, first 2 shown]
	s_waitcnt vmcnt(0)
	ds_write_b128 v6, v[2:5]
	s_waitcnt lgkmcnt(0)
	; wave barrier
	s_and_saveexec_b64 s[2:3], vcc
	s_cbranch_execz .LBB94_103
; %bb.100:
	v_add_u32_e32 v8, -1, v1
	v_add_u32_e32 v9, 0x1f0, v14
	v_mov_b32_e32 v10, v14
	v_mov_b64_e32 v[2:3], 0
	s_mov_b64 s[6:7], 0
	v_mov_b64_e32 v[4:5], 0
.LBB94_101:                             ; =>This Inner Loop Header: Depth=1
	scratch_load_dwordx4 v[16:19], v10, off
	ds_read_b128 v[20:23], v9
	v_add_u32_e32 v8, 1, v8
	v_cmp_lt_u32_e32 vcc, 20, v8
	v_add_u32_e32 v9, 16, v9
	v_add_u32_e32 v10, 16, v10
	s_or_b64 s[6:7], vcc, s[6:7]
	s_waitcnt vmcnt(0) lgkmcnt(0)
	v_mul_f64 v[12:13], v[22:23], v[18:19]
	v_mul_f64 v[18:19], v[20:21], v[18:19]
	v_fma_f64 v[12:13], v[20:21], v[16:17], -v[12:13]
	v_fmac_f64_e32 v[18:19], v[22:23], v[16:17]
	v_add_f64 v[4:5], v[4:5], v[12:13]
	v_add_f64 v[2:3], v[2:3], v[18:19]
	s_andn2_b64 exec, exec, s[6:7]
	s_cbranch_execnz .LBB94_101
; %bb.102:
	s_or_b64 exec, exec, s[6:7]
	v_mov_b32_e32 v8, 0
	ds_read_b128 v[8:11], v8 offset:352
	s_waitcnt lgkmcnt(0)
	v_mul_f64 v[16:17], v[2:3], v[10:11]
	v_mul_f64 v[12:13], v[4:5], v[10:11]
	v_fma_f64 v[10:11], v[4:5], v[8:9], -v[16:17]
	v_fmac_f64_e32 v[12:13], v[2:3], v[8:9]
	scratch_store_dwordx4 off, v[10:13], off offset:352
.LBB94_103:
	s_or_b64 exec, exec, s[2:3]
	; wave barrier
	scratch_load_dwordx4 v[2:5], off, s25
	v_cmp_gt_u32_e32 vcc, 23, v1
	s_waitcnt vmcnt(0)
	ds_write_b128 v6, v[2:5]
	s_waitcnt lgkmcnt(0)
	; wave barrier
	s_and_saveexec_b64 s[2:3], vcc
	s_cbranch_execz .LBB94_107
; %bb.104:
	v_add_u32_e32 v8, -1, v1
	v_add_u32_e32 v9, 0x1f0, v14
	v_mov_b32_e32 v10, v14
	v_mov_b64_e32 v[2:3], 0
	s_mov_b64 s[6:7], 0
	v_mov_b64_e32 v[4:5], 0
.LBB94_105:                             ; =>This Inner Loop Header: Depth=1
	scratch_load_dwordx4 v[16:19], v10, off
	ds_read_b128 v[20:23], v9
	v_add_u32_e32 v8, 1, v8
	v_cmp_lt_u32_e32 vcc, 21, v8
	v_add_u32_e32 v9, 16, v9
	v_add_u32_e32 v10, 16, v10
	s_or_b64 s[6:7], vcc, s[6:7]
	s_waitcnt vmcnt(0) lgkmcnt(0)
	v_mul_f64 v[12:13], v[22:23], v[18:19]
	v_mul_f64 v[18:19], v[20:21], v[18:19]
	v_fma_f64 v[12:13], v[20:21], v[16:17], -v[12:13]
	v_fmac_f64_e32 v[18:19], v[22:23], v[16:17]
	v_add_f64 v[4:5], v[4:5], v[12:13]
	v_add_f64 v[2:3], v[2:3], v[18:19]
	s_andn2_b64 exec, exec, s[6:7]
	s_cbranch_execnz .LBB94_105
; %bb.106:
	s_or_b64 exec, exec, s[6:7]
	v_mov_b32_e32 v8, 0
	ds_read_b128 v[8:11], v8 offset:368
	s_waitcnt lgkmcnt(0)
	v_mul_f64 v[16:17], v[2:3], v[10:11]
	v_mul_f64 v[12:13], v[4:5], v[10:11]
	v_fma_f64 v[10:11], v[4:5], v[8:9], -v[16:17]
	v_fmac_f64_e32 v[12:13], v[2:3], v[8:9]
	scratch_store_dwordx4 off, v[10:13], off offset:368
.LBB94_107:
	s_or_b64 exec, exec, s[2:3]
	; wave barrier
	scratch_load_dwordx4 v[2:5], off, s24
	v_cmp_gt_u32_e32 vcc, 24, v1
	s_waitcnt vmcnt(0)
	ds_write_b128 v6, v[2:5]
	s_waitcnt lgkmcnt(0)
	; wave barrier
	s_and_saveexec_b64 s[2:3], vcc
	s_cbranch_execz .LBB94_111
; %bb.108:
	v_add_u32_e32 v8, -1, v1
	v_add_u32_e32 v9, 0x1f0, v14
	v_mov_b32_e32 v10, v14
	v_mov_b64_e32 v[2:3], 0
	s_mov_b64 s[6:7], 0
	v_mov_b64_e32 v[4:5], 0
.LBB94_109:                             ; =>This Inner Loop Header: Depth=1
	scratch_load_dwordx4 v[16:19], v10, off
	ds_read_b128 v[20:23], v9
	v_add_u32_e32 v8, 1, v8
	v_cmp_lt_u32_e32 vcc, 22, v8
	v_add_u32_e32 v9, 16, v9
	v_add_u32_e32 v10, 16, v10
	s_or_b64 s[6:7], vcc, s[6:7]
	s_waitcnt vmcnt(0) lgkmcnt(0)
	v_mul_f64 v[12:13], v[22:23], v[18:19]
	v_mul_f64 v[18:19], v[20:21], v[18:19]
	v_fma_f64 v[12:13], v[20:21], v[16:17], -v[12:13]
	v_fmac_f64_e32 v[18:19], v[22:23], v[16:17]
	v_add_f64 v[4:5], v[4:5], v[12:13]
	v_add_f64 v[2:3], v[2:3], v[18:19]
	s_andn2_b64 exec, exec, s[6:7]
	s_cbranch_execnz .LBB94_109
; %bb.110:
	s_or_b64 exec, exec, s[6:7]
	v_mov_b32_e32 v8, 0
	ds_read_b128 v[8:11], v8 offset:384
	s_waitcnt lgkmcnt(0)
	v_mul_f64 v[16:17], v[2:3], v[10:11]
	v_mul_f64 v[12:13], v[4:5], v[10:11]
	v_fma_f64 v[10:11], v[4:5], v[8:9], -v[16:17]
	v_fmac_f64_e32 v[12:13], v[2:3], v[8:9]
	scratch_store_dwordx4 off, v[10:13], off offset:384
.LBB94_111:
	s_or_b64 exec, exec, s[2:3]
	; wave barrier
	scratch_load_dwordx4 v[2:5], off, s23
	v_cmp_gt_u32_e32 vcc, 25, v1
	s_waitcnt vmcnt(0)
	ds_write_b128 v6, v[2:5]
	s_waitcnt lgkmcnt(0)
	; wave barrier
	s_and_saveexec_b64 s[2:3], vcc
	s_cbranch_execz .LBB94_115
; %bb.112:
	v_add_u32_e32 v8, -1, v1
	v_add_u32_e32 v9, 0x1f0, v14
	v_mov_b32_e32 v10, v14
	v_mov_b64_e32 v[2:3], 0
	s_mov_b64 s[6:7], 0
	v_mov_b64_e32 v[4:5], 0
.LBB94_113:                             ; =>This Inner Loop Header: Depth=1
	scratch_load_dwordx4 v[16:19], v10, off
	ds_read_b128 v[20:23], v9
	v_add_u32_e32 v8, 1, v8
	v_cmp_lt_u32_e32 vcc, 23, v8
	v_add_u32_e32 v9, 16, v9
	v_add_u32_e32 v10, 16, v10
	s_or_b64 s[6:7], vcc, s[6:7]
	s_waitcnt vmcnt(0) lgkmcnt(0)
	v_mul_f64 v[12:13], v[22:23], v[18:19]
	v_mul_f64 v[18:19], v[20:21], v[18:19]
	v_fma_f64 v[12:13], v[20:21], v[16:17], -v[12:13]
	v_fmac_f64_e32 v[18:19], v[22:23], v[16:17]
	v_add_f64 v[4:5], v[4:5], v[12:13]
	v_add_f64 v[2:3], v[2:3], v[18:19]
	s_andn2_b64 exec, exec, s[6:7]
	s_cbranch_execnz .LBB94_113
; %bb.114:
	s_or_b64 exec, exec, s[6:7]
	v_mov_b32_e32 v8, 0
	ds_read_b128 v[8:11], v8 offset:400
	s_waitcnt lgkmcnt(0)
	v_mul_f64 v[16:17], v[2:3], v[10:11]
	v_mul_f64 v[12:13], v[4:5], v[10:11]
	v_fma_f64 v[10:11], v[4:5], v[8:9], -v[16:17]
	v_fmac_f64_e32 v[12:13], v[2:3], v[8:9]
	scratch_store_dwordx4 off, v[10:13], off offset:400
.LBB94_115:
	s_or_b64 exec, exec, s[2:3]
	; wave barrier
	scratch_load_dwordx4 v[2:5], off, s22
	v_cmp_gt_u32_e32 vcc, 26, v1
	s_waitcnt vmcnt(0)
	ds_write_b128 v6, v[2:5]
	s_waitcnt lgkmcnt(0)
	; wave barrier
	s_and_saveexec_b64 s[2:3], vcc
	s_cbranch_execz .LBB94_119
; %bb.116:
	v_add_u32_e32 v8, -1, v1
	v_add_u32_e32 v9, 0x1f0, v14
	v_mov_b32_e32 v10, v14
	v_mov_b64_e32 v[2:3], 0
	s_mov_b64 s[6:7], 0
	v_mov_b64_e32 v[4:5], 0
.LBB94_117:                             ; =>This Inner Loop Header: Depth=1
	scratch_load_dwordx4 v[16:19], v10, off
	ds_read_b128 v[20:23], v9
	v_add_u32_e32 v8, 1, v8
	v_cmp_lt_u32_e32 vcc, 24, v8
	v_add_u32_e32 v9, 16, v9
	v_add_u32_e32 v10, 16, v10
	s_or_b64 s[6:7], vcc, s[6:7]
	s_waitcnt vmcnt(0) lgkmcnt(0)
	v_mul_f64 v[12:13], v[22:23], v[18:19]
	v_mul_f64 v[18:19], v[20:21], v[18:19]
	v_fma_f64 v[12:13], v[20:21], v[16:17], -v[12:13]
	v_fmac_f64_e32 v[18:19], v[22:23], v[16:17]
	v_add_f64 v[4:5], v[4:5], v[12:13]
	v_add_f64 v[2:3], v[2:3], v[18:19]
	s_andn2_b64 exec, exec, s[6:7]
	s_cbranch_execnz .LBB94_117
; %bb.118:
	s_or_b64 exec, exec, s[6:7]
	v_mov_b32_e32 v8, 0
	ds_read_b128 v[8:11], v8 offset:416
	s_waitcnt lgkmcnt(0)
	v_mul_f64 v[16:17], v[2:3], v[10:11]
	v_mul_f64 v[12:13], v[4:5], v[10:11]
	v_fma_f64 v[10:11], v[4:5], v[8:9], -v[16:17]
	v_fmac_f64_e32 v[12:13], v[2:3], v[8:9]
	scratch_store_dwordx4 off, v[10:13], off offset:416
.LBB94_119:
	s_or_b64 exec, exec, s[2:3]
	; wave barrier
	scratch_load_dwordx4 v[2:5], off, s21
	v_cmp_gt_u32_e32 vcc, 27, v1
	s_waitcnt vmcnt(0)
	ds_write_b128 v6, v[2:5]
	s_waitcnt lgkmcnt(0)
	; wave barrier
	s_and_saveexec_b64 s[2:3], vcc
	s_cbranch_execz .LBB94_123
; %bb.120:
	v_add_u32_e32 v8, -1, v1
	v_add_u32_e32 v9, 0x1f0, v14
	v_mov_b32_e32 v10, v14
	v_mov_b64_e32 v[2:3], 0
	s_mov_b64 s[6:7], 0
	v_mov_b64_e32 v[4:5], 0
.LBB94_121:                             ; =>This Inner Loop Header: Depth=1
	scratch_load_dwordx4 v[16:19], v10, off
	ds_read_b128 v[20:23], v9
	v_add_u32_e32 v8, 1, v8
	v_cmp_lt_u32_e32 vcc, 25, v8
	v_add_u32_e32 v9, 16, v9
	v_add_u32_e32 v10, 16, v10
	s_or_b64 s[6:7], vcc, s[6:7]
	s_waitcnt vmcnt(0) lgkmcnt(0)
	v_mul_f64 v[12:13], v[22:23], v[18:19]
	v_mul_f64 v[18:19], v[20:21], v[18:19]
	v_fma_f64 v[12:13], v[20:21], v[16:17], -v[12:13]
	v_fmac_f64_e32 v[18:19], v[22:23], v[16:17]
	v_add_f64 v[4:5], v[4:5], v[12:13]
	v_add_f64 v[2:3], v[2:3], v[18:19]
	s_andn2_b64 exec, exec, s[6:7]
	s_cbranch_execnz .LBB94_121
; %bb.122:
	s_or_b64 exec, exec, s[6:7]
	v_mov_b32_e32 v8, 0
	ds_read_b128 v[8:11], v8 offset:432
	s_waitcnt lgkmcnt(0)
	v_mul_f64 v[16:17], v[2:3], v[10:11]
	v_mul_f64 v[12:13], v[4:5], v[10:11]
	v_fma_f64 v[10:11], v[4:5], v[8:9], -v[16:17]
	v_fmac_f64_e32 v[12:13], v[2:3], v[8:9]
	scratch_store_dwordx4 off, v[10:13], off offset:432
.LBB94_123:
	s_or_b64 exec, exec, s[2:3]
	; wave barrier
	scratch_load_dwordx4 v[2:5], off, s20
	v_cmp_gt_u32_e32 vcc, 28, v1
	s_waitcnt vmcnt(0)
	ds_write_b128 v6, v[2:5]
	s_waitcnt lgkmcnt(0)
	; wave barrier
	s_and_saveexec_b64 s[2:3], vcc
	s_cbranch_execz .LBB94_127
; %bb.124:
	v_add_u32_e32 v8, -1, v1
	v_add_u32_e32 v9, 0x1f0, v14
	v_mov_b32_e32 v10, v14
	v_mov_b64_e32 v[2:3], 0
	s_mov_b64 s[6:7], 0
	v_mov_b64_e32 v[4:5], 0
.LBB94_125:                             ; =>This Inner Loop Header: Depth=1
	scratch_load_dwordx4 v[16:19], v10, off
	ds_read_b128 v[20:23], v9
	v_add_u32_e32 v8, 1, v8
	v_cmp_lt_u32_e32 vcc, 26, v8
	v_add_u32_e32 v9, 16, v9
	v_add_u32_e32 v10, 16, v10
	s_or_b64 s[6:7], vcc, s[6:7]
	s_waitcnt vmcnt(0) lgkmcnt(0)
	v_mul_f64 v[12:13], v[22:23], v[18:19]
	v_mul_f64 v[18:19], v[20:21], v[18:19]
	v_fma_f64 v[12:13], v[20:21], v[16:17], -v[12:13]
	v_fmac_f64_e32 v[18:19], v[22:23], v[16:17]
	v_add_f64 v[4:5], v[4:5], v[12:13]
	v_add_f64 v[2:3], v[2:3], v[18:19]
	s_andn2_b64 exec, exec, s[6:7]
	s_cbranch_execnz .LBB94_125
; %bb.126:
	s_or_b64 exec, exec, s[6:7]
	v_mov_b32_e32 v8, 0
	ds_read_b128 v[8:11], v8 offset:448
	s_waitcnt lgkmcnt(0)
	v_mul_f64 v[16:17], v[2:3], v[10:11]
	v_mul_f64 v[12:13], v[4:5], v[10:11]
	v_fma_f64 v[10:11], v[4:5], v[8:9], -v[16:17]
	v_fmac_f64_e32 v[12:13], v[2:3], v[8:9]
	scratch_store_dwordx4 off, v[10:13], off offset:448
.LBB94_127:
	s_or_b64 exec, exec, s[2:3]
	; wave barrier
	scratch_load_dwordx4 v[2:5], off, s19
	v_cmp_gt_u32_e32 vcc, 29, v1
	s_waitcnt vmcnt(0)
	ds_write_b128 v6, v[2:5]
	s_waitcnt lgkmcnt(0)
	; wave barrier
	s_and_saveexec_b64 s[2:3], vcc
	s_cbranch_execz .LBB94_131
; %bb.128:
	v_add_u32_e32 v8, -1, v1
	v_add_u32_e32 v9, 0x1f0, v14
	v_mov_b32_e32 v10, v14
	v_mov_b64_e32 v[2:3], 0
	s_mov_b64 s[6:7], 0
	v_mov_b64_e32 v[4:5], 0
.LBB94_129:                             ; =>This Inner Loop Header: Depth=1
	scratch_load_dwordx4 v[16:19], v10, off
	ds_read_b128 v[20:23], v9
	v_add_u32_e32 v8, 1, v8
	v_cmp_lt_u32_e32 vcc, 27, v8
	v_add_u32_e32 v9, 16, v9
	v_add_u32_e32 v10, 16, v10
	s_or_b64 s[6:7], vcc, s[6:7]
	s_waitcnt vmcnt(0) lgkmcnt(0)
	v_mul_f64 v[12:13], v[22:23], v[18:19]
	v_mul_f64 v[18:19], v[20:21], v[18:19]
	v_fma_f64 v[12:13], v[20:21], v[16:17], -v[12:13]
	v_fmac_f64_e32 v[18:19], v[22:23], v[16:17]
	v_add_f64 v[4:5], v[4:5], v[12:13]
	v_add_f64 v[2:3], v[2:3], v[18:19]
	s_andn2_b64 exec, exec, s[6:7]
	s_cbranch_execnz .LBB94_129
; %bb.130:
	s_or_b64 exec, exec, s[6:7]
	v_mov_b32_e32 v8, 0
	ds_read_b128 v[8:11], v8 offset:464
	s_waitcnt lgkmcnt(0)
	v_mul_f64 v[16:17], v[2:3], v[10:11]
	v_mul_f64 v[12:13], v[4:5], v[10:11]
	v_fma_f64 v[10:11], v[4:5], v[8:9], -v[16:17]
	v_fmac_f64_e32 v[12:13], v[2:3], v[8:9]
	scratch_store_dwordx4 off, v[10:13], off offset:464
.LBB94_131:
	s_or_b64 exec, exec, s[2:3]
	; wave barrier
	scratch_load_dwordx4 v[2:5], off, s18
	v_cmp_ne_u32_e32 vcc, 30, v1
	s_waitcnt vmcnt(0)
	ds_write_b128 v6, v[2:5]
	s_waitcnt lgkmcnt(0)
	; wave barrier
	s_and_saveexec_b64 s[2:3], vcc
	s_cbranch_execz .LBB94_135
; %bb.132:
	v_add_u32_e32 v6, 0x1f0, v14
	v_mov_b32_e32 v8, v14
	v_mov_b64_e32 v[2:3], 0
	s_mov_b64 s[6:7], 0
	v_mov_b64_e32 v[4:5], 0
.LBB94_133:                             ; =>This Inner Loop Header: Depth=1
	scratch_load_dwordx4 v[10:13], v8, off
	ds_read_b128 v[14:17], v6
	v_add_u32_e32 v7, 1, v7
	v_cmp_lt_u32_e32 vcc, 28, v7
	v_add_u32_e32 v6, 16, v6
	v_add_u32_e32 v8, 16, v8
	s_or_b64 s[6:7], vcc, s[6:7]
	s_waitcnt vmcnt(0) lgkmcnt(0)
	v_mul_f64 v[18:19], v[16:17], v[12:13]
	v_mul_f64 v[12:13], v[14:15], v[12:13]
	v_fma_f64 v[14:15], v[14:15], v[10:11], -v[18:19]
	v_fmac_f64_e32 v[12:13], v[16:17], v[10:11]
	v_add_f64 v[4:5], v[4:5], v[14:15]
	v_add_f64 v[2:3], v[2:3], v[12:13]
	s_andn2_b64 exec, exec, s[6:7]
	s_cbranch_execnz .LBB94_133
; %bb.134:
	s_or_b64 exec, exec, s[6:7]
	v_mov_b32_e32 v6, 0
	ds_read_b128 v[6:9], v6 offset:480
	s_waitcnt lgkmcnt(0)
	v_mul_f64 v[12:13], v[2:3], v[8:9]
	v_mul_f64 v[10:11], v[4:5], v[8:9]
	v_fma_f64 v[8:9], v[4:5], v[6:7], -v[12:13]
	v_fmac_f64_e32 v[10:11], v[2:3], v[6:7]
	scratch_store_dwordx4 off, v[8:11], off offset:480
.LBB94_135:
	s_or_b64 exec, exec, s[2:3]
	s_mov_b64 s[6:7], -1
	; wave barrier
.LBB94_136:
	s_and_b64 vcc, exec, s[6:7]
	s_cbranch_vccz .LBB94_138
; %bb.137:
	s_lshl_b64 s[2:3], s[4:5], 2
	s_add_u32 s2, s10, s2
	s_addc_u32 s3, s11, s3
	v_mov_b32_e32 v2, 0
	global_load_dword v2, v2, s[2:3]
	s_waitcnt vmcnt(0)
	v_cmp_ne_u32_e32 vcc, 0, v2
	s_cbranch_vccz .LBB94_139
.LBB94_138:
	s_endpgm
.LBB94_139:
	v_mov_b32_e32 v2, 0x1f0
	v_lshl_add_u32 v178, v1, 4, v2
	v_cmp_eq_u32_e32 vcc, 30, v1
	s_and_saveexec_b64 s[2:3], vcc
	s_cbranch_execz .LBB94_141
; %bb.140:
	scratch_load_dwordx4 v[2:5], off, s19
	v_mov_b32_e32 v6, 0
	v_mov_b32_e32 v7, v6
	;; [unrolled: 1-line block ×4, first 2 shown]
	scratch_store_dwordx4 off, v[6:9], off offset:464
	s_waitcnt vmcnt(1)
	ds_write_b128 v178, v[2:5]
.LBB94_141:
	s_or_b64 exec, exec, s[2:3]
	s_waitcnt lgkmcnt(0)
	; wave barrier
	scratch_load_dwordx4 v[4:7], off, off offset:480
	scratch_load_dwordx4 v[8:11], off, off offset:464
	v_mov_b32_e32 v2, 0
	ds_read_b128 v[12:15], v2 offset:976
	v_cmp_lt_u32_e32 vcc, 28, v1
	s_waitcnt vmcnt(1) lgkmcnt(0)
	v_mul_f64 v[16:17], v[12:13], v[6:7]
	v_mul_f64 v[6:7], v[14:15], v[6:7]
	v_fmac_f64_e32 v[16:17], v[14:15], v[4:5]
	v_fma_f64 v[4:5], v[12:13], v[4:5], -v[6:7]
	v_add_f64 v[6:7], v[16:17], 0
	v_add_f64 v[4:5], v[4:5], 0
	s_waitcnt vmcnt(0)
	v_add_f64 v[4:5], v[8:9], -v[4:5]
	v_add_f64 v[6:7], v[10:11], -v[6:7]
	scratch_store_dwordx4 off, v[4:7], off offset:464
	s_and_saveexec_b64 s[2:3], vcc
	s_cbranch_execz .LBB94_143
; %bb.142:
	scratch_load_dwordx4 v[6:9], off, s20
	v_mov_b32_e32 v3, v2
	v_mov_b32_e32 v4, v2
	;; [unrolled: 1-line block ×3, first 2 shown]
	scratch_store_dwordx4 off, v[2:5], off offset:448
	s_waitcnt vmcnt(1)
	ds_write_b128 v178, v[6:9]
.LBB94_143:
	s_or_b64 exec, exec, s[2:3]
	s_waitcnt lgkmcnt(0)
	; wave barrier
	scratch_load_dwordx4 v[4:7], off, off offset:464
	scratch_load_dwordx4 v[8:11], off, off offset:480
	;; [unrolled: 1-line block ×3, first 2 shown]
	ds_read_b128 v[16:19], v2 offset:960
	ds_read_b128 v[20:23], v2 offset:976
	v_cmp_lt_u32_e32 vcc, 27, v1
	s_waitcnt vmcnt(2) lgkmcnt(1)
	v_mul_f64 v[2:3], v[16:17], v[6:7]
	v_mul_f64 v[6:7], v[18:19], v[6:7]
	s_waitcnt vmcnt(1) lgkmcnt(0)
	v_mul_f64 v[24:25], v[20:21], v[10:11]
	v_mul_f64 v[10:11], v[22:23], v[10:11]
	v_fmac_f64_e32 v[2:3], v[18:19], v[4:5]
	v_fma_f64 v[4:5], v[16:17], v[4:5], -v[6:7]
	v_fmac_f64_e32 v[24:25], v[22:23], v[8:9]
	v_fma_f64 v[6:7], v[20:21], v[8:9], -v[10:11]
	v_add_f64 v[2:3], v[2:3], 0
	v_add_f64 v[4:5], v[4:5], 0
	;; [unrolled: 1-line block ×4, first 2 shown]
	s_waitcnt vmcnt(0)
	v_add_f64 v[2:3], v[12:13], -v[2:3]
	v_add_f64 v[4:5], v[14:15], -v[8:9]
	scratch_store_dwordx4 off, v[2:5], off offset:448
	s_and_saveexec_b64 s[2:3], vcc
	s_cbranch_execz .LBB94_145
; %bb.144:
	scratch_load_dwordx4 v[2:5], off, s21
	v_mov_b32_e32 v6, 0
	v_mov_b32_e32 v7, v6
	;; [unrolled: 1-line block ×4, first 2 shown]
	scratch_store_dwordx4 off, v[6:9], off offset:432
	s_waitcnt vmcnt(1)
	ds_write_b128 v178, v[2:5]
.LBB94_145:
	s_or_b64 exec, exec, s[2:3]
	s_waitcnt lgkmcnt(0)
	; wave barrier
	scratch_load_dwordx4 v[4:7], off, off offset:448
	scratch_load_dwordx4 v[8:11], off, off offset:464
	;; [unrolled: 1-line block ×4, first 2 shown]
	v_mov_b32_e32 v2, 0
	ds_read_b128 v[20:23], v2 offset:944
	ds_read_b128 v[24:27], v2 offset:960
	;; [unrolled: 1-line block ×3, first 2 shown]
	v_cmp_lt_u32_e32 vcc, 26, v1
	s_waitcnt vmcnt(3) lgkmcnt(2)
	v_mul_f64 v[32:33], v[20:21], v[6:7]
	v_mul_f64 v[6:7], v[22:23], v[6:7]
	s_waitcnt vmcnt(2) lgkmcnt(1)
	v_mul_f64 v[34:35], v[24:25], v[10:11]
	v_mul_f64 v[10:11], v[26:27], v[10:11]
	v_fmac_f64_e32 v[32:33], v[22:23], v[4:5]
	v_fma_f64 v[4:5], v[20:21], v[4:5], -v[6:7]
	s_waitcnt vmcnt(1) lgkmcnt(0)
	v_mul_f64 v[36:37], v[28:29], v[14:15]
	v_mul_f64 v[14:15], v[30:31], v[14:15]
	v_fmac_f64_e32 v[34:35], v[26:27], v[8:9]
	v_fma_f64 v[6:7], v[24:25], v[8:9], -v[10:11]
	v_add_f64 v[10:11], v[32:33], 0
	v_add_f64 v[4:5], v[4:5], 0
	v_fmac_f64_e32 v[36:37], v[30:31], v[12:13]
	v_fma_f64 v[8:9], v[28:29], v[12:13], -v[14:15]
	v_add_f64 v[10:11], v[10:11], v[34:35]
	v_add_f64 v[4:5], v[4:5], v[6:7]
	;; [unrolled: 1-line block ×4, first 2 shown]
	s_waitcnt vmcnt(0)
	v_add_f64 v[4:5], v[16:17], -v[4:5]
	v_add_f64 v[6:7], v[18:19], -v[6:7]
	scratch_store_dwordx4 off, v[4:7], off offset:432
	s_and_saveexec_b64 s[2:3], vcc
	s_cbranch_execz .LBB94_147
; %bb.146:
	scratch_load_dwordx4 v[6:9], off, s22
	v_mov_b32_e32 v3, v2
	v_mov_b32_e32 v4, v2
	;; [unrolled: 1-line block ×3, first 2 shown]
	scratch_store_dwordx4 off, v[2:5], off offset:416
	s_waitcnt vmcnt(1)
	ds_write_b128 v178, v[6:9]
.LBB94_147:
	s_or_b64 exec, exec, s[2:3]
	s_waitcnt lgkmcnt(0)
	; wave barrier
	scratch_load_dwordx4 v[4:7], off, off offset:432
	scratch_load_dwordx4 v[8:11], off, off offset:448
	;; [unrolled: 1-line block ×5, first 2 shown]
	ds_read_b128 v[24:27], v2 offset:928
	ds_read_b128 v[28:31], v2 offset:944
	;; [unrolled: 1-line block ×4, first 2 shown]
	v_cmp_lt_u32_e32 vcc, 25, v1
	s_waitcnt vmcnt(4) lgkmcnt(3)
	v_mul_f64 v[2:3], v[24:25], v[6:7]
	v_mul_f64 v[6:7], v[26:27], v[6:7]
	s_waitcnt vmcnt(3) lgkmcnt(2)
	v_mul_f64 v[40:41], v[28:29], v[10:11]
	v_mul_f64 v[10:11], v[30:31], v[10:11]
	v_fmac_f64_e32 v[2:3], v[26:27], v[4:5]
	v_fma_f64 v[4:5], v[24:25], v[4:5], -v[6:7]
	s_waitcnt vmcnt(2) lgkmcnt(1)
	v_mul_f64 v[42:43], v[32:33], v[14:15]
	v_mul_f64 v[14:15], v[34:35], v[14:15]
	v_fmac_f64_e32 v[40:41], v[30:31], v[8:9]
	v_fma_f64 v[6:7], v[28:29], v[8:9], -v[10:11]
	v_add_f64 v[2:3], v[2:3], 0
	v_add_f64 v[4:5], v[4:5], 0
	s_waitcnt vmcnt(1) lgkmcnt(0)
	v_mul_f64 v[44:45], v[36:37], v[18:19]
	v_mul_f64 v[18:19], v[38:39], v[18:19]
	v_fmac_f64_e32 v[42:43], v[34:35], v[12:13]
	v_fma_f64 v[8:9], v[32:33], v[12:13], -v[14:15]
	v_add_f64 v[2:3], v[2:3], v[40:41]
	v_add_f64 v[4:5], v[4:5], v[6:7]
	v_fmac_f64_e32 v[44:45], v[38:39], v[16:17]
	v_fma_f64 v[10:11], v[36:37], v[16:17], -v[18:19]
	v_add_f64 v[2:3], v[2:3], v[42:43]
	v_add_f64 v[4:5], v[4:5], v[8:9]
	;; [unrolled: 1-line block ×4, first 2 shown]
	s_waitcnt vmcnt(0)
	v_add_f64 v[2:3], v[20:21], -v[2:3]
	v_add_f64 v[4:5], v[22:23], -v[6:7]
	scratch_store_dwordx4 off, v[2:5], off offset:416
	s_and_saveexec_b64 s[2:3], vcc
	s_cbranch_execz .LBB94_149
; %bb.148:
	scratch_load_dwordx4 v[2:5], off, s23
	v_mov_b32_e32 v6, 0
	v_mov_b32_e32 v7, v6
	;; [unrolled: 1-line block ×4, first 2 shown]
	scratch_store_dwordx4 off, v[6:9], off offset:400
	s_waitcnt vmcnt(1)
	ds_write_b128 v178, v[2:5]
.LBB94_149:
	s_or_b64 exec, exec, s[2:3]
	s_waitcnt lgkmcnt(0)
	; wave barrier
	scratch_load_dwordx4 v[4:7], off, off offset:416
	scratch_load_dwordx4 v[8:11], off, off offset:432
	;; [unrolled: 1-line block ×6, first 2 shown]
	v_mov_b32_e32 v2, 0
	ds_read_b128 v[28:31], v2 offset:912
	ds_read_b128 v[32:35], v2 offset:928
	;; [unrolled: 1-line block ×5, first 2 shown]
	v_cmp_lt_u32_e32 vcc, 24, v1
	s_waitcnt vmcnt(5) lgkmcnt(4)
	v_mul_f64 v[48:49], v[28:29], v[6:7]
	v_mul_f64 v[6:7], v[30:31], v[6:7]
	s_waitcnt vmcnt(4) lgkmcnt(3)
	v_mul_f64 v[50:51], v[32:33], v[10:11]
	s_waitcnt vmcnt(3) lgkmcnt(2)
	v_mul_f64 v[52:53], v[36:37], v[14:15]
	v_mul_f64 v[10:11], v[34:35], v[10:11]
	v_mul_f64 v[14:15], v[38:39], v[14:15]
	v_fmac_f64_e32 v[48:49], v[30:31], v[4:5]
	v_fma_f64 v[4:5], v[28:29], v[4:5], -v[6:7]
	v_fmac_f64_e32 v[50:51], v[34:35], v[8:9]
	v_fma_f64 v[6:7], v[32:33], v[8:9], -v[10:11]
	v_fma_f64 v[8:9], v[36:37], v[12:13], -v[14:15]
	v_add_f64 v[14:15], v[48:49], 0
	v_add_f64 v[4:5], v[4:5], 0
	s_waitcnt vmcnt(2) lgkmcnt(1)
	v_mul_f64 v[54:55], v[40:41], v[18:19]
	v_mul_f64 v[18:19], v[42:43], v[18:19]
	v_fmac_f64_e32 v[52:53], v[38:39], v[12:13]
	v_add_f64 v[14:15], v[14:15], v[50:51]
	v_add_f64 v[4:5], v[4:5], v[6:7]
	s_waitcnt vmcnt(1) lgkmcnt(0)
	v_mul_f64 v[56:57], v[44:45], v[22:23]
	v_mul_f64 v[22:23], v[46:47], v[22:23]
	v_fmac_f64_e32 v[54:55], v[42:43], v[16:17]
	v_fma_f64 v[10:11], v[40:41], v[16:17], -v[18:19]
	v_add_f64 v[6:7], v[14:15], v[52:53]
	v_add_f64 v[4:5], v[4:5], v[8:9]
	v_fmac_f64_e32 v[56:57], v[46:47], v[20:21]
	v_fma_f64 v[12:13], v[44:45], v[20:21], -v[22:23]
	v_add_f64 v[6:7], v[6:7], v[54:55]
	v_add_f64 v[4:5], v[4:5], v[10:11]
	;; [unrolled: 1-line block ×4, first 2 shown]
	s_waitcnt vmcnt(0)
	v_add_f64 v[4:5], v[24:25], -v[4:5]
	v_add_f64 v[6:7], v[26:27], -v[6:7]
	scratch_store_dwordx4 off, v[4:7], off offset:400
	s_and_saveexec_b64 s[2:3], vcc
	s_cbranch_execz .LBB94_151
; %bb.150:
	scratch_load_dwordx4 v[6:9], off, s24
	v_mov_b32_e32 v3, v2
	v_mov_b32_e32 v4, v2
	v_mov_b32_e32 v5, v2
	scratch_store_dwordx4 off, v[2:5], off offset:384
	s_waitcnt vmcnt(1)
	ds_write_b128 v178, v[6:9]
.LBB94_151:
	s_or_b64 exec, exec, s[2:3]
	s_waitcnt lgkmcnt(0)
	; wave barrier
	ds_read_b128 v[4:7], v2 offset:896
	ds_read_b128 v[8:11], v2 offset:912
	;; [unrolled: 1-line block ×4, first 2 shown]
	scratch_load_dwordx4 v[20:23], off, off offset:400
	scratch_load_dwordx4 v[40:43], off, off offset:464
	v_cmp_lt_u32_e32 vcc, 23, v1
	scratch_load_dwordx4 v[48:51], off, off offset:480
	s_waitcnt vmcnt(2) lgkmcnt(3)
	v_mul_f64 v[24:25], v[4:5], v[22:23]
	v_fmac_f64_e32 v[24:25], v[6:7], v[20:21]
	v_add_f64 v[28:29], v[24:25], 0
	scratch_load_dwordx4 v[24:27], off, off offset:416
	s_waitcnt vmcnt(0) lgkmcnt(2)
	v_mul_f64 v[30:31], v[8:9], v[26:27]
	v_fmac_f64_e32 v[30:31], v[10:11], v[24:25]
	v_add_f64 v[32:33], v[28:29], v[30:31]
	;; [unrolled: 5-line block ×4, first 2 shown]
	ds_read_b128 v[36:39], v2 offset:960
	s_waitcnt lgkmcnt(0)
	v_mul_f64 v[46:47], v[36:37], v[42:43]
	v_fmac_f64_e32 v[46:47], v[38:39], v[40:41]
	v_add_f64 v[52:53], v[44:45], v[46:47]
	ds_read_b128 v[44:47], v2 offset:976
	s_waitcnt lgkmcnt(0)
	v_mul_f64 v[2:3], v[44:45], v[50:51]
	v_fmac_f64_e32 v[2:3], v[46:47], v[48:49]
	v_add_f64 v[52:53], v[52:53], v[2:3]
	v_mul_f64 v[2:3], v[6:7], v[22:23]
	v_fma_f64 v[2:3], v[4:5], v[20:21], -v[2:3]
	v_mul_f64 v[4:5], v[10:11], v[26:27]
	v_add_f64 v[2:3], v[2:3], 0
	v_fma_f64 v[4:5], v[8:9], v[24:25], -v[4:5]
	v_add_f64 v[2:3], v[2:3], v[4:5]
	v_mul_f64 v[4:5], v[14:15], v[30:31]
	v_fma_f64 v[4:5], v[12:13], v[28:29], -v[4:5]
	v_add_f64 v[2:3], v[2:3], v[4:5]
	v_mul_f64 v[4:5], v[18:19], v[34:35]
	;; [unrolled: 3-line block ×4, first 2 shown]
	v_fma_f64 v[4:5], v[44:45], v[48:49], -v[4:5]
	v_add_f64 v[6:7], v[2:3], v[4:5]
	scratch_load_dwordx4 v[2:5], off, off offset:384
	s_waitcnt vmcnt(0)
	v_add_f64 v[2:3], v[2:3], -v[6:7]
	v_add_f64 v[4:5], v[4:5], -v[52:53]
	scratch_store_dwordx4 off, v[2:5], off offset:384
	s_and_saveexec_b64 s[2:3], vcc
	s_cbranch_execz .LBB94_153
; %bb.152:
	scratch_load_dwordx4 v[2:5], off, s25
	v_mov_b32_e32 v6, 0
	v_mov_b32_e32 v7, v6
	;; [unrolled: 1-line block ×4, first 2 shown]
	scratch_store_dwordx4 off, v[6:9], off offset:368
	s_waitcnt vmcnt(1)
	ds_write_b128 v178, v[2:5]
.LBB94_153:
	s_or_b64 exec, exec, s[2:3]
	v_mov_b32_e32 v2, 0
	s_waitcnt lgkmcnt(0)
	; wave barrier
	ds_read_b128 v[4:7], v2 offset:880
	ds_read_b128 v[8:11], v2 offset:896
	;; [unrolled: 1-line block ×4, first 2 shown]
	scratch_load_dwordx4 v[20:23], off, off offset:384
	scratch_load_dwordx4 v[40:43], off, off offset:448
	v_cmp_lt_u32_e32 vcc, 22, v1
	scratch_load_dwordx4 v[48:51], off, off offset:464
	scratch_load_dwordx4 v[56:59], off, off offset:480
	s_waitcnt vmcnt(3) lgkmcnt(3)
	v_mul_f64 v[24:25], v[4:5], v[22:23]
	v_fmac_f64_e32 v[24:25], v[6:7], v[20:21]
	v_add_f64 v[28:29], v[24:25], 0
	scratch_load_dwordx4 v[24:27], off, off offset:400
	v_mul_f64 v[6:7], v[6:7], v[22:23]
	v_fma_f64 v[4:5], v[4:5], v[20:21], -v[6:7]
	v_add_f64 v[4:5], v[4:5], 0
	s_waitcnt vmcnt(0) lgkmcnt(2)
	v_mul_f64 v[30:31], v[8:9], v[26:27]
	v_fmac_f64_e32 v[30:31], v[10:11], v[24:25]
	v_add_f64 v[32:33], v[28:29], v[30:31]
	scratch_load_dwordx4 v[28:31], off, off offset:416
	v_mul_f64 v[6:7], v[10:11], v[26:27]
	v_fma_f64 v[6:7], v[8:9], v[24:25], -v[6:7]
	v_add_f64 v[4:5], v[4:5], v[6:7]
	;; [unrolled: 8-line block ×3, first 2 shown]
	s_waitcnt vmcnt(0) lgkmcnt(0)
	v_mul_f64 v[38:39], v[16:17], v[34:35]
	v_fmac_f64_e32 v[38:39], v[18:19], v[32:33]
	v_add_f64 v[44:45], v[36:37], v[38:39]
	ds_read_b128 v[36:39], v2 offset:944
	v_mul_f64 v[6:7], v[18:19], v[34:35]
	v_fma_f64 v[6:7], v[16:17], v[32:33], -v[6:7]
	v_add_f64 v[4:5], v[4:5], v[6:7]
	s_waitcnt lgkmcnt(0)
	v_mul_f64 v[46:47], v[36:37], v[42:43]
	v_fmac_f64_e32 v[46:47], v[38:39], v[40:41]
	v_add_f64 v[52:53], v[44:45], v[46:47]
	ds_read_b128 v[44:47], v2 offset:960
	v_mul_f64 v[6:7], v[38:39], v[42:43]
	v_fma_f64 v[6:7], v[36:37], v[40:41], -v[6:7]
	v_add_f64 v[4:5], v[4:5], v[6:7]
	s_waitcnt lgkmcnt(0)
	;; [unrolled: 8-line block ×3, first 2 shown]
	v_mul_f64 v[6:7], v[54:55], v[58:59]
	v_fma_f64 v[6:7], v[52:53], v[56:57], -v[6:7]
	v_add_f64 v[8:9], v[4:5], v[6:7]
	scratch_load_dwordx4 v[4:7], off, off offset:368
	v_mul_f64 v[62:63], v[52:53], v[58:59]
	v_fmac_f64_e32 v[62:63], v[54:55], v[56:57]
	v_add_f64 v[60:61], v[60:61], v[62:63]
	s_waitcnt vmcnt(0)
	v_add_f64 v[4:5], v[4:5], -v[8:9]
	v_add_f64 v[6:7], v[6:7], -v[60:61]
	scratch_store_dwordx4 off, v[4:7], off offset:368
	s_and_saveexec_b64 s[2:3], vcc
	s_cbranch_execz .LBB94_155
; %bb.154:
	scratch_load_dwordx4 v[6:9], off, s26
	v_mov_b32_e32 v3, v2
	v_mov_b32_e32 v4, v2
	;; [unrolled: 1-line block ×3, first 2 shown]
	scratch_store_dwordx4 off, v[2:5], off offset:352
	s_waitcnt vmcnt(1)
	ds_write_b128 v178, v[6:9]
.LBB94_155:
	s_or_b64 exec, exec, s[2:3]
	s_waitcnt lgkmcnt(0)
	; wave barrier
	scratch_load_dwordx4 v[4:7], off, off offset:368
	scratch_load_dwordx4 v[8:11], off, off offset:384
	;; [unrolled: 1-line block ×9, first 2 shown]
	ds_read_b128 v[40:43], v2 offset:864
	ds_read_b128 v[44:47], v2 offset:880
	ds_read_b128 v[48:51], v2 offset:896
	ds_read_b128 v[52:55], v2 offset:912
	ds_read_b128 v[56:59], v2 offset:928
	ds_read_b128 v[60:63], v2 offset:944
	ds_read_b128 v[64:67], v2 offset:960
	ds_read_b128 v[68:71], v2 offset:976
	v_cmp_lt_u32_e32 vcc, 21, v1
	s_waitcnt vmcnt(8) lgkmcnt(7)
	v_mul_f64 v[2:3], v[40:41], v[6:7]
	v_mul_f64 v[6:7], v[42:43], v[6:7]
	s_waitcnt vmcnt(7) lgkmcnt(6)
	v_mul_f64 v[72:73], v[44:45], v[10:11]
	v_mul_f64 v[10:11], v[46:47], v[10:11]
	v_fmac_f64_e32 v[2:3], v[42:43], v[4:5]
	v_fma_f64 v[4:5], v[40:41], v[4:5], -v[6:7]
	s_waitcnt vmcnt(6) lgkmcnt(5)
	v_mul_f64 v[74:75], v[48:49], v[14:15]
	v_mul_f64 v[14:15], v[50:51], v[14:15]
	v_fmac_f64_e32 v[72:73], v[46:47], v[8:9]
	v_fma_f64 v[6:7], v[44:45], v[8:9], -v[10:11]
	v_add_f64 v[2:3], v[2:3], 0
	v_add_f64 v[4:5], v[4:5], 0
	s_waitcnt vmcnt(5) lgkmcnt(4)
	v_mul_f64 v[76:77], v[52:53], v[18:19]
	v_mul_f64 v[18:19], v[54:55], v[18:19]
	v_fmac_f64_e32 v[74:75], v[50:51], v[12:13]
	v_fma_f64 v[8:9], v[48:49], v[12:13], -v[14:15]
	v_add_f64 v[2:3], v[2:3], v[72:73]
	v_add_f64 v[4:5], v[4:5], v[6:7]
	;; [unrolled: 7-line block ×6, first 2 shown]
	v_fmac_f64_e32 v[84:85], v[70:71], v[32:33]
	v_fma_f64 v[18:19], v[68:69], v[32:33], -v[34:35]
	v_add_f64 v[2:3], v[2:3], v[82:83]
	v_add_f64 v[4:5], v[4:5], v[16:17]
	v_add_f64 v[6:7], v[2:3], v[84:85]
	v_add_f64 v[2:3], v[4:5], v[18:19]
	s_waitcnt vmcnt(0)
	v_add_f64 v[2:3], v[36:37], -v[2:3]
	v_add_f64 v[4:5], v[38:39], -v[6:7]
	scratch_store_dwordx4 off, v[2:5], off offset:352
	s_and_saveexec_b64 s[2:3], vcc
	s_cbranch_execz .LBB94_157
; %bb.156:
	scratch_load_dwordx4 v[2:5], off, s27
	v_mov_b32_e32 v6, 0
	v_mov_b32_e32 v7, v6
	;; [unrolled: 1-line block ×4, first 2 shown]
	scratch_store_dwordx4 off, v[6:9], off offset:336
	s_waitcnt vmcnt(1)
	ds_write_b128 v178, v[2:5]
.LBB94_157:
	s_or_b64 exec, exec, s[2:3]
	s_waitcnt lgkmcnt(0)
	; wave barrier
	scratch_load_dwordx4 v[4:7], off, off offset:352
	scratch_load_dwordx4 v[8:11], off, off offset:368
	;; [unrolled: 1-line block ×10, first 2 shown]
	v_mov_b32_e32 v2, 0
	ds_read_b128 v[44:47], v2 offset:848
	ds_read_b128 v[48:51], v2 offset:864
	;; [unrolled: 1-line block ×9, first 2 shown]
	v_cmp_lt_u32_e32 vcc, 20, v1
	s_waitcnt vmcnt(9) lgkmcnt(8)
	v_mul_f64 v[80:81], v[44:45], v[6:7]
	v_mul_f64 v[6:7], v[46:47], v[6:7]
	s_waitcnt vmcnt(8) lgkmcnt(7)
	v_mul_f64 v[82:83], v[48:49], v[10:11]
	s_waitcnt vmcnt(7) lgkmcnt(6)
	;; [unrolled: 2-line block ×3, first 2 shown]
	v_mul_f64 v[88:89], v[60:61], v[22:23]
	v_mul_f64 v[10:11], v[50:51], v[10:11]
	;; [unrolled: 1-line block ×4, first 2 shown]
	v_fmac_f64_e32 v[80:81], v[46:47], v[4:5]
	v_fma_f64 v[4:5], v[44:45], v[4:5], -v[6:7]
	v_fmac_f64_e32 v[82:83], v[50:51], v[8:9]
	v_fmac_f64_e32 v[84:85], v[54:55], v[12:13]
	v_fma_f64 v[6:7], v[48:49], v[8:9], -v[10:11]
	v_fma_f64 v[8:9], v[52:53], v[12:13], -v[14:15]
	;; [unrolled: 1-line block ×3, first 2 shown]
	v_add_f64 v[22:23], v[80:81], 0
	v_add_f64 v[4:5], v[4:5], 0
	v_mul_f64 v[86:87], v[56:57], v[18:19]
	v_mul_f64 v[18:19], v[58:59], v[18:19]
	v_add_f64 v[22:23], v[22:23], v[82:83]
	v_add_f64 v[4:5], v[4:5], v[6:7]
	v_fmac_f64_e32 v[86:87], v[58:59], v[16:17]
	v_fma_f64 v[10:11], v[56:57], v[16:17], -v[18:19]
	v_add_f64 v[6:7], v[22:23], v[84:85]
	v_add_f64 v[4:5], v[4:5], v[8:9]
	s_waitcnt vmcnt(4) lgkmcnt(3)
	v_mul_f64 v[90:91], v[64:65], v[26:27]
	v_mul_f64 v[26:27], v[66:67], v[26:27]
	v_fmac_f64_e32 v[88:89], v[62:63], v[20:21]
	v_add_f64 v[6:7], v[6:7], v[86:87]
	v_add_f64 v[4:5], v[4:5], v[10:11]
	s_waitcnt vmcnt(3) lgkmcnt(2)
	v_mul_f64 v[92:93], v[68:69], v[30:31]
	v_mul_f64 v[30:31], v[70:71], v[30:31]
	v_fmac_f64_e32 v[90:91], v[66:67], v[24:25]
	v_fma_f64 v[14:15], v[64:65], v[24:25], -v[26:27]
	v_add_f64 v[6:7], v[6:7], v[88:89]
	v_add_f64 v[4:5], v[4:5], v[12:13]
	s_waitcnt vmcnt(2) lgkmcnt(1)
	v_mul_f64 v[94:95], v[72:73], v[34:35]
	v_mul_f64 v[34:35], v[74:75], v[34:35]
	v_fmac_f64_e32 v[92:93], v[70:71], v[28:29]
	v_fma_f64 v[16:17], v[68:69], v[28:29], -v[30:31]
	;; [unrolled: 7-line block ×3, first 2 shown]
	v_add_f64 v[6:7], v[6:7], v[92:93]
	v_add_f64 v[4:5], v[4:5], v[16:17]
	v_fmac_f64_e32 v[96:97], v[78:79], v[36:37]
	v_fma_f64 v[20:21], v[76:77], v[36:37], -v[38:39]
	v_add_f64 v[6:7], v[6:7], v[94:95]
	v_add_f64 v[4:5], v[4:5], v[18:19]
	;; [unrolled: 1-line block ×4, first 2 shown]
	s_waitcnt vmcnt(0)
	v_add_f64 v[4:5], v[40:41], -v[4:5]
	v_add_f64 v[6:7], v[42:43], -v[6:7]
	scratch_store_dwordx4 off, v[4:7], off offset:336
	s_and_saveexec_b64 s[2:3], vcc
	s_cbranch_execz .LBB94_159
; %bb.158:
	scratch_load_dwordx4 v[6:9], off, s28
	v_mov_b32_e32 v3, v2
	v_mov_b32_e32 v4, v2
	;; [unrolled: 1-line block ×3, first 2 shown]
	scratch_store_dwordx4 off, v[2:5], off offset:320
	s_waitcnt vmcnt(1)
	ds_write_b128 v178, v[6:9]
.LBB94_159:
	s_or_b64 exec, exec, s[2:3]
	s_waitcnt lgkmcnt(0)
	; wave barrier
	ds_read_b128 v[4:7], v2 offset:832
	ds_read_b128 v[8:11], v2 offset:848
	;; [unrolled: 1-line block ×4, first 2 shown]
	scratch_load_dwordx4 v[20:23], off, off offset:336
	scratch_load_dwordx4 v[40:43], off, off offset:400
	;; [unrolled: 1-line block ×4, first 2 shown]
	v_cmp_lt_u32_e32 vcc, 19, v1
	scratch_load_dwordx4 v[48:51], off, off offset:416
	scratch_load_dwordx4 v[56:59], off, off offset:432
	;; [unrolled: 1-line block ×3, first 2 shown]
	s_waitcnt vmcnt(6) lgkmcnt(3)
	v_mul_f64 v[24:25], v[4:5], v[22:23]
	v_fmac_f64_e32 v[24:25], v[6:7], v[20:21]
	v_add_f64 v[28:29], v[24:25], 0
	scratch_load_dwordx4 v[24:27], off, off offset:352
	s_waitcnt vmcnt(0) lgkmcnt(2)
	v_mul_f64 v[30:31], v[8:9], v[26:27]
	v_fmac_f64_e32 v[30:31], v[10:11], v[24:25]
	v_add_f64 v[32:33], v[28:29], v[30:31]
	scratch_load_dwordx4 v[28:31], off, off offset:368
	;; [unrolled: 5-line block ×3, first 2 shown]
	s_waitcnt vmcnt(0) lgkmcnt(0)
	v_mul_f64 v[38:39], v[16:17], v[34:35]
	v_fmac_f64_e32 v[38:39], v[18:19], v[32:33]
	v_add_f64 v[44:45], v[36:37], v[38:39]
	ds_read_b128 v[36:39], v2 offset:896
	s_waitcnt lgkmcnt(0)
	v_mul_f64 v[46:47], v[36:37], v[42:43]
	v_fmac_f64_e32 v[46:47], v[38:39], v[40:41]
	v_add_f64 v[52:53], v[44:45], v[46:47]
	ds_read_b128 v[44:47], v2 offset:912
	s_waitcnt lgkmcnt(0)
	;; [unrolled: 5-line block ×6, first 2 shown]
	v_mul_f64 v[2:3], v[76:77], v[82:83]
	v_fmac_f64_e32 v[2:3], v[78:79], v[80:81]
	v_add_f64 v[84:85], v[84:85], v[2:3]
	v_mul_f64 v[2:3], v[6:7], v[22:23]
	v_fma_f64 v[2:3], v[4:5], v[20:21], -v[2:3]
	v_mul_f64 v[4:5], v[10:11], v[26:27]
	v_add_f64 v[2:3], v[2:3], 0
	v_fma_f64 v[4:5], v[8:9], v[24:25], -v[4:5]
	v_add_f64 v[2:3], v[2:3], v[4:5]
	v_mul_f64 v[4:5], v[14:15], v[30:31]
	v_fma_f64 v[4:5], v[12:13], v[28:29], -v[4:5]
	v_add_f64 v[2:3], v[2:3], v[4:5]
	v_mul_f64 v[4:5], v[18:19], v[34:35]
	;; [unrolled: 3-line block ×8, first 2 shown]
	v_fma_f64 v[4:5], v[76:77], v[80:81], -v[4:5]
	v_add_f64 v[6:7], v[2:3], v[4:5]
	scratch_load_dwordx4 v[2:5], off, off offset:320
	s_waitcnt vmcnt(0)
	v_add_f64 v[2:3], v[2:3], -v[6:7]
	v_add_f64 v[4:5], v[4:5], -v[84:85]
	scratch_store_dwordx4 off, v[2:5], off offset:320
	s_and_saveexec_b64 s[2:3], vcc
	s_cbranch_execz .LBB94_161
; %bb.160:
	scratch_load_dwordx4 v[2:5], off, s29
	v_mov_b32_e32 v6, 0
	v_mov_b32_e32 v7, v6
	;; [unrolled: 1-line block ×4, first 2 shown]
	scratch_store_dwordx4 off, v[6:9], off offset:304
	s_waitcnt vmcnt(1)
	ds_write_b128 v178, v[2:5]
.LBB94_161:
	s_or_b64 exec, exec, s[2:3]
	v_mov_b32_e32 v2, 0
	s_waitcnt lgkmcnt(0)
	; wave barrier
	ds_read_b128 v[4:7], v2 offset:816
	ds_read_b128 v[8:11], v2 offset:832
	;; [unrolled: 1-line block ×4, first 2 shown]
	scratch_load_dwordx4 v[20:23], off, off offset:320
	scratch_load_dwordx4 v[40:43], off, off offset:384
	;; [unrolled: 1-line block ×5, first 2 shown]
	v_cmp_lt_u32_e32 vcc, 18, v1
	scratch_load_dwordx4 v[48:51], off, off offset:400
	scratch_load_dwordx4 v[56:59], off, off offset:416
	;; [unrolled: 1-line block ×3, first 2 shown]
	s_waitcnt vmcnt(7) lgkmcnt(3)
	v_mul_f64 v[24:25], v[4:5], v[22:23]
	v_fmac_f64_e32 v[24:25], v[6:7], v[20:21]
	v_add_f64 v[28:29], v[24:25], 0
	scratch_load_dwordx4 v[24:27], off, off offset:336
	v_mul_f64 v[6:7], v[6:7], v[22:23]
	v_fma_f64 v[4:5], v[4:5], v[20:21], -v[6:7]
	v_add_f64 v[4:5], v[4:5], 0
	s_waitcnt vmcnt(0) lgkmcnt(2)
	v_mul_f64 v[30:31], v[8:9], v[26:27]
	v_fmac_f64_e32 v[30:31], v[10:11], v[24:25]
	v_add_f64 v[32:33], v[28:29], v[30:31]
	scratch_load_dwordx4 v[28:31], off, off offset:352
	v_mul_f64 v[6:7], v[10:11], v[26:27]
	v_fma_f64 v[6:7], v[8:9], v[24:25], -v[6:7]
	v_add_f64 v[4:5], v[4:5], v[6:7]
	;; [unrolled: 8-line block ×3, first 2 shown]
	s_waitcnt vmcnt(0) lgkmcnt(0)
	v_mul_f64 v[38:39], v[16:17], v[34:35]
	v_fmac_f64_e32 v[38:39], v[18:19], v[32:33]
	v_add_f64 v[44:45], v[36:37], v[38:39]
	ds_read_b128 v[36:39], v2 offset:880
	v_mul_f64 v[6:7], v[18:19], v[34:35]
	v_fma_f64 v[6:7], v[16:17], v[32:33], -v[6:7]
	v_add_f64 v[4:5], v[4:5], v[6:7]
	s_waitcnt lgkmcnt(0)
	v_mul_f64 v[46:47], v[36:37], v[42:43]
	v_fmac_f64_e32 v[46:47], v[38:39], v[40:41]
	v_add_f64 v[52:53], v[44:45], v[46:47]
	ds_read_b128 v[44:47], v2 offset:896
	v_mul_f64 v[6:7], v[38:39], v[42:43]
	v_fma_f64 v[6:7], v[36:37], v[40:41], -v[6:7]
	v_add_f64 v[4:5], v[4:5], v[6:7]
	s_waitcnt lgkmcnt(0)
	v_mul_f64 v[54:55], v[44:45], v[50:51]
	v_fmac_f64_e32 v[54:55], v[46:47], v[48:49]
	v_add_f64 v[60:61], v[52:53], v[54:55]
	ds_read_b128 v[52:55], v2 offset:912
	v_mul_f64 v[6:7], v[46:47], v[50:51]
	v_fma_f64 v[6:7], v[44:45], v[48:49], -v[6:7]
	v_add_f64 v[4:5], v[4:5], v[6:7]
	s_waitcnt lgkmcnt(0)
	v_mul_f64 v[62:63], v[52:53], v[58:59]
	v_fmac_f64_e32 v[62:63], v[54:55], v[56:57]
	v_add_f64 v[68:69], v[60:61], v[62:63]
	ds_read_b128 v[60:63], v2 offset:928
	v_mul_f64 v[6:7], v[54:55], v[58:59]
	v_fma_f64 v[6:7], v[52:53], v[56:57], -v[6:7]
	v_add_f64 v[4:5], v[4:5], v[6:7]
	s_waitcnt lgkmcnt(0)
	v_mul_f64 v[70:71], v[60:61], v[66:67]
	v_fmac_f64_e32 v[70:71], v[62:63], v[64:65]
	v_add_f64 v[76:77], v[68:69], v[70:71]
	ds_read_b128 v[68:71], v2 offset:944
	v_mul_f64 v[6:7], v[62:63], v[66:67]
	v_fma_f64 v[6:7], v[60:61], v[64:65], -v[6:7]
	v_add_f64 v[4:5], v[4:5], v[6:7]
	s_waitcnt lgkmcnt(0)
	v_mul_f64 v[78:79], v[68:69], v[74:75]
	v_fmac_f64_e32 v[78:79], v[70:71], v[72:73]
	v_add_f64 v[84:85], v[76:77], v[78:79]
	ds_read_b128 v[76:79], v2 offset:960
	v_mul_f64 v[6:7], v[70:71], v[74:75]
	v_fma_f64 v[6:7], v[68:69], v[72:73], -v[6:7]
	v_add_f64 v[4:5], v[4:5], v[6:7]
	s_waitcnt lgkmcnt(0)
	v_mul_f64 v[86:87], v[76:77], v[82:83]
	v_fmac_f64_e32 v[86:87], v[78:79], v[80:81]
	v_add_f64 v[92:93], v[84:85], v[86:87]
	ds_read_b128 v[84:87], v2 offset:976
	v_mul_f64 v[6:7], v[78:79], v[82:83]
	v_fma_f64 v[6:7], v[76:77], v[80:81], -v[6:7]
	v_add_f64 v[4:5], v[4:5], v[6:7]
	s_waitcnt lgkmcnt(0)
	v_mul_f64 v[6:7], v[86:87], v[90:91]
	v_fma_f64 v[6:7], v[84:85], v[88:89], -v[6:7]
	v_add_f64 v[8:9], v[4:5], v[6:7]
	scratch_load_dwordx4 v[4:7], off, off offset:304
	v_mul_f64 v[94:95], v[84:85], v[90:91]
	v_fmac_f64_e32 v[94:95], v[86:87], v[88:89]
	v_add_f64 v[92:93], v[92:93], v[94:95]
	s_waitcnt vmcnt(0)
	v_add_f64 v[4:5], v[4:5], -v[8:9]
	v_add_f64 v[6:7], v[6:7], -v[92:93]
	scratch_store_dwordx4 off, v[4:7], off offset:304
	s_and_saveexec_b64 s[2:3], vcc
	s_cbranch_execz .LBB94_163
; %bb.162:
	scratch_load_dwordx4 v[6:9], off, s30
	v_mov_b32_e32 v3, v2
	v_mov_b32_e32 v4, v2
	;; [unrolled: 1-line block ×3, first 2 shown]
	scratch_store_dwordx4 off, v[2:5], off offset:288
	s_waitcnt vmcnt(1)
	ds_write_b128 v178, v[6:9]
.LBB94_163:
	s_or_b64 exec, exec, s[2:3]
	s_waitcnt lgkmcnt(0)
	; wave barrier
	ds_read_b128 v[4:7], v2 offset:800
	ds_read_b128 v[8:11], v2 offset:816
	;; [unrolled: 1-line block ×4, first 2 shown]
	scratch_load_dwordx4 v[20:23], off, off offset:304
	scratch_load_dwordx4 v[40:43], off, off offset:368
	;; [unrolled: 1-line block ×6, first 2 shown]
	v_cmp_lt_u32_e32 vcc, 17, v1
	scratch_load_dwordx4 v[48:51], off, off offset:384
	scratch_load_dwordx4 v[56:59], off, off offset:400
	;; [unrolled: 1-line block ×3, first 2 shown]
	s_waitcnt vmcnt(8) lgkmcnt(3)
	v_mul_f64 v[24:25], v[4:5], v[22:23]
	v_fmac_f64_e32 v[24:25], v[6:7], v[20:21]
	v_add_f64 v[28:29], v[24:25], 0
	scratch_load_dwordx4 v[24:27], off, off offset:320
	s_waitcnt vmcnt(0) lgkmcnt(2)
	v_mul_f64 v[30:31], v[8:9], v[26:27]
	v_fmac_f64_e32 v[30:31], v[10:11], v[24:25]
	v_add_f64 v[32:33], v[28:29], v[30:31]
	scratch_load_dwordx4 v[28:31], off, off offset:336
	;; [unrolled: 5-line block ×3, first 2 shown]
	s_waitcnt vmcnt(0) lgkmcnt(0)
	v_mul_f64 v[38:39], v[16:17], v[34:35]
	v_fmac_f64_e32 v[38:39], v[18:19], v[32:33]
	v_add_f64 v[44:45], v[36:37], v[38:39]
	ds_read_b128 v[36:39], v2 offset:864
	s_waitcnt lgkmcnt(0)
	v_mul_f64 v[46:47], v[36:37], v[42:43]
	v_fmac_f64_e32 v[46:47], v[38:39], v[40:41]
	v_add_f64 v[52:53], v[44:45], v[46:47]
	ds_read_b128 v[44:47], v2 offset:880
	s_waitcnt lgkmcnt(0)
	;; [unrolled: 5-line block ×8, first 2 shown]
	v_mul_f64 v[2:3], v[92:93], v[98:99]
	v_fmac_f64_e32 v[2:3], v[94:95], v[96:97]
	v_add_f64 v[100:101], v[100:101], v[2:3]
	v_mul_f64 v[2:3], v[6:7], v[22:23]
	v_fma_f64 v[2:3], v[4:5], v[20:21], -v[2:3]
	v_mul_f64 v[4:5], v[10:11], v[26:27]
	v_add_f64 v[2:3], v[2:3], 0
	v_fma_f64 v[4:5], v[8:9], v[24:25], -v[4:5]
	v_add_f64 v[2:3], v[2:3], v[4:5]
	v_mul_f64 v[4:5], v[14:15], v[30:31]
	v_fma_f64 v[4:5], v[12:13], v[28:29], -v[4:5]
	v_add_f64 v[2:3], v[2:3], v[4:5]
	v_mul_f64 v[4:5], v[18:19], v[34:35]
	;; [unrolled: 3-line block ×10, first 2 shown]
	v_fma_f64 v[4:5], v[92:93], v[96:97], -v[4:5]
	v_add_f64 v[6:7], v[2:3], v[4:5]
	scratch_load_dwordx4 v[2:5], off, off offset:288
	s_waitcnt vmcnt(0)
	v_add_f64 v[2:3], v[2:3], -v[6:7]
	v_add_f64 v[4:5], v[4:5], -v[100:101]
	scratch_store_dwordx4 off, v[2:5], off offset:288
	s_and_saveexec_b64 s[2:3], vcc
	s_cbranch_execz .LBB94_165
; %bb.164:
	scratch_load_dwordx4 v[2:5], off, s31
	v_mov_b32_e32 v6, 0
	v_mov_b32_e32 v7, v6
	;; [unrolled: 1-line block ×4, first 2 shown]
	scratch_store_dwordx4 off, v[6:9], off offset:272
	s_waitcnt vmcnt(1)
	ds_write_b128 v178, v[2:5]
.LBB94_165:
	s_or_b64 exec, exec, s[2:3]
	s_waitcnt lgkmcnt(0)
	; wave barrier
	scratch_load_dwordx4 v[4:7], off, off offset:288
	scratch_load_dwordx4 v[8:11], off, off offset:304
	scratch_load_dwordx4 v[12:15], off, off offset:320
	scratch_load_dwordx4 v[16:19], off, off offset:336
	scratch_load_dwordx4 v[20:23], off, off offset:352
	scratch_load_dwordx4 v[24:27], off, off offset:368
	scratch_load_dwordx4 v[28:31], off, off offset:384
	scratch_load_dwordx4 v[32:35], off, off offset:400
	scratch_load_dwordx4 v[36:39], off, off offset:416
	scratch_load_dwordx4 v[40:43], off, off offset:432
	scratch_load_dwordx4 v[44:47], off, off offset:448
	scratch_load_dwordx4 v[48:51], off, off offset:464
	scratch_load_dwordx4 v[52:55], off, off offset:480
	scratch_load_dwordx4 v[56:59], off, off offset:272
	v_mov_b32_e32 v2, 0
	ds_read_b128 v[60:63], v2 offset:784
	ds_read_b128 v[64:67], v2 offset:800
	;; [unrolled: 1-line block ×13, first 2 shown]
	v_cmp_lt_u32_e32 vcc, 16, v1
	s_waitcnt vmcnt(13) lgkmcnt(12)
	v_mul_f64 v[112:113], v[60:61], v[6:7]
	v_mul_f64 v[6:7], v[62:63], v[6:7]
	s_waitcnt vmcnt(12) lgkmcnt(11)
	v_mul_f64 v[114:115], v[64:65], v[10:11]
	v_mul_f64 v[10:11], v[66:67], v[10:11]
	v_fmac_f64_e32 v[112:113], v[62:63], v[4:5]
	v_fma_f64 v[4:5], v[60:61], v[4:5], -v[6:7]
	s_waitcnt vmcnt(11) lgkmcnt(10)
	v_mul_f64 v[116:117], v[68:69], v[14:15]
	v_mul_f64 v[14:15], v[70:71], v[14:15]
	v_fma_f64 v[6:7], v[64:65], v[8:9], -v[10:11]
	v_add_f64 v[4:5], v[4:5], 0
	s_waitcnt vmcnt(10) lgkmcnt(9)
	v_mul_f64 v[118:119], v[72:73], v[18:19]
	v_mul_f64 v[18:19], v[74:75], v[18:19]
	v_fmac_f64_e32 v[114:115], v[66:67], v[8:9]
	v_fma_f64 v[8:9], v[68:69], v[12:13], -v[14:15]
	v_add_f64 v[4:5], v[4:5], v[6:7]
	s_waitcnt vmcnt(9) lgkmcnt(8)
	v_mul_f64 v[120:121], v[76:77], v[22:23]
	v_mul_f64 v[22:23], v[78:79], v[22:23]
	v_fma_f64 v[10:11], v[72:73], v[16:17], -v[18:19]
	v_add_f64 v[4:5], v[4:5], v[8:9]
	s_waitcnt vmcnt(8) lgkmcnt(7)
	v_mul_f64 v[122:123], v[80:81], v[26:27]
	v_mul_f64 v[26:27], v[82:83], v[26:27]
	v_fmac_f64_e32 v[116:117], v[70:71], v[12:13]
	v_fma_f64 v[12:13], v[76:77], v[20:21], -v[22:23]
	v_add_f64 v[22:23], v[112:113], 0
	v_add_f64 v[4:5], v[4:5], v[10:11]
	s_waitcnt vmcnt(7) lgkmcnt(6)
	v_mul_f64 v[124:125], v[84:85], v[30:31]
	v_mul_f64 v[30:31], v[86:87], v[30:31]
	v_fma_f64 v[14:15], v[80:81], v[24:25], -v[26:27]
	v_add_f64 v[22:23], v[22:23], v[114:115]
	v_add_f64 v[4:5], v[4:5], v[12:13]
	s_waitcnt vmcnt(6) lgkmcnt(5)
	v_mul_f64 v[126:127], v[88:89], v[34:35]
	v_mul_f64 v[34:35], v[90:91], v[34:35]
	v_fmac_f64_e32 v[118:119], v[74:75], v[16:17]
	v_fma_f64 v[16:17], v[84:85], v[28:29], -v[30:31]
	v_add_f64 v[6:7], v[22:23], v[116:117]
	v_add_f64 v[4:5], v[4:5], v[14:15]
	s_waitcnt vmcnt(5) lgkmcnt(4)
	v_mul_f64 v[128:129], v[92:93], v[38:39]
	v_mul_f64 v[38:39], v[94:95], v[38:39]
	v_fmac_f64_e32 v[120:121], v[78:79], v[20:21]
	v_fma_f64 v[18:19], v[88:89], v[32:33], -v[34:35]
	v_add_f64 v[6:7], v[6:7], v[118:119]
	v_add_f64 v[4:5], v[4:5], v[16:17]
	v_fmac_f64_e32 v[122:123], v[82:83], v[24:25]
	v_fma_f64 v[20:21], v[92:93], v[36:37], -v[38:39]
	v_add_f64 v[6:7], v[6:7], v[120:121]
	v_add_f64 v[4:5], v[4:5], v[18:19]
	s_waitcnt vmcnt(4) lgkmcnt(3)
	v_mul_f64 v[8:9], v[98:99], v[42:43]
	v_fmac_f64_e32 v[124:125], v[86:87], v[28:29]
	v_add_f64 v[6:7], v[6:7], v[122:123]
	v_add_f64 v[4:5], v[4:5], v[20:21]
	v_fma_f64 v[8:9], v[96:97], v[40:41], -v[8:9]
	v_fmac_f64_e32 v[126:127], v[90:91], v[32:33]
	v_add_f64 v[6:7], v[6:7], v[124:125]
	v_add_f64 v[4:5], v[4:5], v[8:9]
	s_waitcnt vmcnt(3) lgkmcnt(2)
	v_mul_f64 v[8:9], v[102:103], v[46:47]
	v_mul_f64 v[130:131], v[96:97], v[42:43]
	v_fmac_f64_e32 v[128:129], v[94:95], v[36:37]
	v_add_f64 v[6:7], v[6:7], v[126:127]
	v_fma_f64 v[8:9], v[100:101], v[44:45], -v[8:9]
	v_mul_f64 v[132:133], v[100:101], v[46:47]
	v_fmac_f64_e32 v[130:131], v[98:99], v[40:41]
	v_add_f64 v[6:7], v[6:7], v[128:129]
	v_add_f64 v[4:5], v[4:5], v[8:9]
	s_waitcnt vmcnt(2) lgkmcnt(1)
	v_mul_f64 v[8:9], v[106:107], v[50:51]
	v_mul_f64 v[134:135], v[104:105], v[50:51]
	v_fmac_f64_e32 v[132:133], v[102:103], v[44:45]
	v_add_f64 v[6:7], v[6:7], v[130:131]
	v_fma_f64 v[8:9], v[104:105], v[48:49], -v[8:9]
	s_waitcnt vmcnt(1) lgkmcnt(0)
	v_mul_f64 v[136:137], v[108:109], v[54:55]
	v_fmac_f64_e32 v[134:135], v[106:107], v[48:49]
	v_add_f64 v[6:7], v[6:7], v[132:133]
	v_add_f64 v[4:5], v[4:5], v[8:9]
	v_mul_f64 v[8:9], v[110:111], v[54:55]
	v_fmac_f64_e32 v[136:137], v[110:111], v[52:53]
	v_add_f64 v[6:7], v[6:7], v[134:135]
	v_fma_f64 v[8:9], v[108:109], v[52:53], -v[8:9]
	v_add_f64 v[6:7], v[6:7], v[136:137]
	v_add_f64 v[4:5], v[4:5], v[8:9]
	s_waitcnt vmcnt(0)
	v_add_f64 v[4:5], v[56:57], -v[4:5]
	v_add_f64 v[6:7], v[58:59], -v[6:7]
	scratch_store_dwordx4 off, v[4:7], off offset:272
	s_and_saveexec_b64 s[2:3], vcc
	s_cbranch_execz .LBB94_167
; %bb.166:
	scratch_load_dwordx4 v[6:9], off, s33
	v_mov_b32_e32 v3, v2
	v_mov_b32_e32 v4, v2
	v_mov_b32_e32 v5, v2
	scratch_store_dwordx4 off, v[2:5], off offset:256
	s_waitcnt vmcnt(1)
	ds_write_b128 v178, v[6:9]
.LBB94_167:
	s_or_b64 exec, exec, s[2:3]
	s_waitcnt lgkmcnt(0)
	; wave barrier
	scratch_load_dwordx4 v[4:7], off, off offset:272
	scratch_load_dwordx4 v[8:11], off, off offset:288
	;; [unrolled: 1-line block ×14, first 2 shown]
	ds_read_b128 v[60:63], v2 offset:768
	ds_read_b128 v[64:67], v2 offset:784
	;; [unrolled: 1-line block ×14, first 2 shown]
	scratch_load_dwordx4 v[116:119], off, off offset:256
	v_cmp_lt_u32_e32 vcc, 15, v1
	s_waitcnt vmcnt(14) lgkmcnt(13)
	v_mul_f64 v[2:3], v[60:61], v[6:7]
	s_waitcnt vmcnt(13) lgkmcnt(12)
	v_mul_f64 v[120:121], v[64:65], v[10:11]
	v_fmac_f64_e32 v[2:3], v[62:63], v[4:5]
	s_waitcnt vmcnt(12) lgkmcnt(11)
	v_mul_f64 v[122:123], v[68:69], v[14:15]
	v_fmac_f64_e32 v[120:121], v[66:67], v[8:9]
	v_add_f64 v[2:3], v[2:3], 0
	s_waitcnt vmcnt(11) lgkmcnt(10)
	v_mul_f64 v[124:125], v[72:73], v[18:19]
	v_fmac_f64_e32 v[122:123], v[70:71], v[12:13]
	v_add_f64 v[2:3], v[2:3], v[120:121]
	;; [unrolled: 4-line block ×4, first 2 shown]
	s_waitcnt vmcnt(8) lgkmcnt(7)
	v_mul_f64 v[130:131], v[84:85], v[30:31]
	v_mul_f64 v[6:7], v[62:63], v[6:7]
	v_fmac_f64_e32 v[128:129], v[82:83], v[24:25]
	v_add_f64 v[2:3], v[2:3], v[126:127]
	s_waitcnt vmcnt(7) lgkmcnt(6)
	v_mul_f64 v[132:133], v[88:89], v[34:35]
	v_mul_f64 v[10:11], v[66:67], v[10:11]
	v_fmac_f64_e32 v[130:131], v[86:87], v[28:29]
	v_fma_f64 v[4:5], v[60:61], v[4:5], -v[6:7]
	v_add_f64 v[2:3], v[2:3], v[128:129]
	s_waitcnt vmcnt(6) lgkmcnt(5)
	v_mul_f64 v[134:135], v[92:93], v[38:39]
	v_mul_f64 v[14:15], v[70:71], v[14:15]
	v_fmac_f64_e32 v[132:133], v[90:91], v[32:33]
	v_fma_f64 v[6:7], v[64:65], v[8:9], -v[10:11]
	v_add_f64 v[4:5], v[4:5], 0
	v_add_f64 v[2:3], v[2:3], v[130:131]
	s_waitcnt vmcnt(5) lgkmcnt(4)
	v_mul_f64 v[136:137], v[96:97], v[42:43]
	v_mul_f64 v[18:19], v[74:75], v[18:19]
	v_fmac_f64_e32 v[134:135], v[94:95], v[36:37]
	v_fma_f64 v[8:9], v[68:69], v[12:13], -v[14:15]
	v_add_f64 v[4:5], v[4:5], v[6:7]
	;; [unrolled: 7-line block ×6, first 2 shown]
	v_add_f64 v[2:3], v[2:3], v[140:141]
	v_fmac_f64_e32 v[144:145], v[114:115], v[56:57]
	v_fma_f64 v[18:19], v[88:89], v[32:33], -v[34:35]
	v_add_f64 v[4:5], v[4:5], v[16:17]
	v_add_f64 v[2:3], v[2:3], v[142:143]
	;; [unrolled: 1-line block ×4, first 2 shown]
	v_mul_f64 v[4:5], v[94:95], v[38:39]
	v_fma_f64 v[4:5], v[92:93], v[36:37], -v[4:5]
	v_add_f64 v[2:3], v[2:3], v[4:5]
	v_mul_f64 v[4:5], v[98:99], v[42:43]
	v_fma_f64 v[4:5], v[96:97], v[40:41], -v[4:5]
	v_add_f64 v[2:3], v[2:3], v[4:5]
	;; [unrolled: 3-line block ×6, first 2 shown]
	s_waitcnt vmcnt(0)
	v_add_f64 v[2:3], v[116:117], -v[2:3]
	v_add_f64 v[4:5], v[118:119], -v[6:7]
	scratch_store_dwordx4 off, v[2:5], off offset:256
	s_and_saveexec_b64 s[2:3], vcc
	s_cbranch_execz .LBB94_169
; %bb.168:
	scratch_load_dwordx4 v[2:5], off, s34
	v_mov_b32_e32 v6, 0
	v_mov_b32_e32 v7, v6
	;; [unrolled: 1-line block ×4, first 2 shown]
	scratch_store_dwordx4 off, v[6:9], off offset:240
	s_waitcnt vmcnt(1)
	ds_write_b128 v178, v[2:5]
.LBB94_169:
	s_or_b64 exec, exec, s[2:3]
	s_waitcnt lgkmcnt(0)
	; wave barrier
	scratch_load_dwordx4 v[4:7], off, off offset:256
	scratch_load_dwordx4 v[8:11], off, off offset:272
	;; [unrolled: 1-line block ×16, first 2 shown]
	v_mov_b32_e32 v2, 0
	ds_read_b128 v[68:71], v2 offset:752
	ds_read_b128 v[72:75], v2 offset:768
	;; [unrolled: 1-line block ×15, first 2 shown]
	v_cmp_lt_u32_e32 vcc, 14, v1
	s_waitcnt vmcnt(15) lgkmcnt(14)
	v_mul_f64 v[128:129], v[68:69], v[6:7]
	v_mul_f64 v[6:7], v[70:71], v[6:7]
	s_waitcnt vmcnt(14) lgkmcnt(13)
	v_mul_f64 v[130:131], v[72:73], v[10:11]
	v_mul_f64 v[10:11], v[74:75], v[10:11]
	v_fmac_f64_e32 v[128:129], v[70:71], v[4:5]
	v_fma_f64 v[4:5], v[68:69], v[4:5], -v[6:7]
	s_waitcnt vmcnt(13) lgkmcnt(12)
	v_mul_f64 v[132:133], v[76:77], v[14:15]
	v_mul_f64 v[14:15], v[78:79], v[14:15]
	v_fma_f64 v[6:7], v[72:73], v[8:9], -v[10:11]
	v_add_f64 v[4:5], v[4:5], 0
	s_waitcnt vmcnt(12) lgkmcnt(11)
	v_mul_f64 v[134:135], v[80:81], v[18:19]
	v_mul_f64 v[18:19], v[82:83], v[18:19]
	v_fmac_f64_e32 v[130:131], v[74:75], v[8:9]
	v_fma_f64 v[8:9], v[76:77], v[12:13], -v[14:15]
	v_add_f64 v[4:5], v[4:5], v[6:7]
	s_waitcnt vmcnt(11) lgkmcnt(10)
	v_mul_f64 v[136:137], v[84:85], v[22:23]
	v_mul_f64 v[22:23], v[86:87], v[22:23]
	v_fma_f64 v[10:11], v[80:81], v[16:17], -v[18:19]
	v_add_f64 v[4:5], v[4:5], v[8:9]
	s_waitcnt vmcnt(10) lgkmcnt(9)
	v_mul_f64 v[138:139], v[88:89], v[26:27]
	v_mul_f64 v[26:27], v[90:91], v[26:27]
	v_fmac_f64_e32 v[132:133], v[78:79], v[12:13]
	v_fma_f64 v[12:13], v[84:85], v[20:21], -v[22:23]
	v_add_f64 v[4:5], v[4:5], v[10:11]
	v_fma_f64 v[14:15], v[88:89], v[24:25], -v[26:27]
	v_add_f64 v[4:5], v[4:5], v[12:13]
	s_waitcnt vmcnt(9) lgkmcnt(8)
	v_mul_f64 v[8:9], v[94:95], v[30:31]
	v_add_f64 v[4:5], v[4:5], v[14:15]
	v_fma_f64 v[8:9], v[92:93], v[28:29], -v[8:9]
	v_add_f64 v[4:5], v[4:5], v[8:9]
	s_waitcnt vmcnt(8) lgkmcnt(7)
	v_mul_f64 v[8:9], v[98:99], v[34:35]
	v_fma_f64 v[8:9], v[96:97], v[32:33], -v[8:9]
	v_fmac_f64_e32 v[134:135], v[82:83], v[16:17]
	v_add_f64 v[16:17], v[128:129], 0
	v_add_f64 v[4:5], v[4:5], v[8:9]
	s_waitcnt vmcnt(7) lgkmcnt(6)
	v_mul_f64 v[8:9], v[102:103], v[38:39]
	v_add_f64 v[16:17], v[16:17], v[130:131]
	v_fma_f64 v[8:9], v[100:101], v[36:37], -v[8:9]
	v_add_f64 v[6:7], v[16:17], v[132:133]
	v_add_f64 v[4:5], v[4:5], v[8:9]
	s_waitcnt vmcnt(6) lgkmcnt(5)
	v_mul_f64 v[8:9], v[106:107], v[42:43]
	v_fmac_f64_e32 v[136:137], v[86:87], v[20:21]
	v_add_f64 v[6:7], v[6:7], v[134:135]
	v_fma_f64 v[8:9], v[104:105], v[40:41], -v[8:9]
	v_mul_f64 v[140:141], v[92:93], v[30:31]
	v_fmac_f64_e32 v[138:139], v[90:91], v[24:25]
	v_add_f64 v[6:7], v[6:7], v[136:137]
	v_add_f64 v[4:5], v[4:5], v[8:9]
	s_waitcnt vmcnt(5) lgkmcnt(4)
	v_mul_f64 v[8:9], v[110:111], v[46:47]
	v_mul_f64 v[142:143], v[96:97], v[34:35]
	v_fmac_f64_e32 v[140:141], v[94:95], v[28:29]
	v_add_f64 v[6:7], v[6:7], v[138:139]
	v_fma_f64 v[8:9], v[108:109], v[44:45], -v[8:9]
	v_mul_f64 v[144:145], v[100:101], v[38:39]
	v_fmac_f64_e32 v[142:143], v[98:99], v[32:33]
	v_add_f64 v[6:7], v[6:7], v[140:141]
	v_add_f64 v[4:5], v[4:5], v[8:9]
	s_waitcnt vmcnt(4) lgkmcnt(3)
	v_mul_f64 v[8:9], v[114:115], v[50:51]
	;; [unrolled: 10-line block ×4, first 2 shown]
	v_mul_f64 v[154:155], v[120:121], v[58:59]
	v_fmac_f64_e32 v[152:153], v[118:119], v[52:53]
	v_add_f64 v[6:7], v[6:7], v[150:151]
	v_fma_f64 v[8:9], v[120:121], v[56:57], -v[8:9]
	s_waitcnt vmcnt(1) lgkmcnt(0)
	v_mul_f64 v[156:157], v[124:125], v[62:63]
	v_fmac_f64_e32 v[154:155], v[122:123], v[56:57]
	v_add_f64 v[6:7], v[6:7], v[152:153]
	v_add_f64 v[4:5], v[4:5], v[8:9]
	v_mul_f64 v[8:9], v[126:127], v[62:63]
	v_fmac_f64_e32 v[156:157], v[126:127], v[60:61]
	v_add_f64 v[6:7], v[6:7], v[154:155]
	v_fma_f64 v[8:9], v[124:125], v[60:61], -v[8:9]
	v_add_f64 v[6:7], v[6:7], v[156:157]
	v_add_f64 v[4:5], v[4:5], v[8:9]
	s_waitcnt vmcnt(0)
	v_add_f64 v[4:5], v[64:65], -v[4:5]
	v_add_f64 v[6:7], v[66:67], -v[6:7]
	scratch_store_dwordx4 off, v[4:7], off offset:240
	s_and_saveexec_b64 s[2:3], vcc
	s_cbranch_execz .LBB94_171
; %bb.170:
	scratch_load_dwordx4 v[6:9], off, s35
	v_mov_b32_e32 v3, v2
	v_mov_b32_e32 v4, v2
	;; [unrolled: 1-line block ×3, first 2 shown]
	scratch_store_dwordx4 off, v[2:5], off offset:224
	s_waitcnt vmcnt(1)
	ds_write_b128 v178, v[6:9]
.LBB94_171:
	s_or_b64 exec, exec, s[2:3]
	s_waitcnt lgkmcnt(0)
	; wave barrier
	scratch_load_dwordx4 v[4:7], off, off offset:240
	scratch_load_dwordx4 v[8:11], off, off offset:256
	;; [unrolled: 1-line block ×16, first 2 shown]
	ds_read_b128 v[68:71], v2 offset:736
	ds_read_b128 v[72:75], v2 offset:752
	ds_read_b128 v[76:79], v2 offset:768
	ds_read_b128 v[80:83], v2 offset:784
	ds_read_b128 v[84:87], v2 offset:800
	ds_read_b128 v[88:91], v2 offset:816
	ds_read_b128 v[92:95], v2 offset:832
	ds_read_b128 v[96:99], v2 offset:848
	ds_read_b128 v[100:103], v2 offset:864
	ds_read_b128 v[104:107], v2 offset:880
	ds_read_b128 v[108:111], v2 offset:896
	ds_read_b128 v[112:115], v2 offset:912
	ds_read_b128 v[116:119], v2 offset:928
	ds_read_b128 v[120:123], v2 offset:944
	ds_read_b128 v[124:127], v2 offset:960
	ds_read_b128 v[128:131], v2 offset:976
	scratch_load_dwordx4 v[132:135], off, off offset:224
	v_cmp_lt_u32_e32 vcc, 13, v1
	s_waitcnt vmcnt(16) lgkmcnt(14)
	v_mul_f64 v[2:3], v[68:69], v[6:7]
	s_waitcnt vmcnt(15)
	v_mul_f64 v[136:137], v[72:73], v[10:11]
	v_fmac_f64_e32 v[2:3], v[70:71], v[4:5]
	s_waitcnt vmcnt(14) lgkmcnt(13)
	v_mul_f64 v[138:139], v[76:77], v[14:15]
	v_fmac_f64_e32 v[136:137], v[74:75], v[8:9]
	v_add_f64 v[2:3], v[2:3], 0
	s_waitcnt vmcnt(13) lgkmcnt(12)
	v_mul_f64 v[140:141], v[80:81], v[18:19]
	v_fmac_f64_e32 v[138:139], v[78:79], v[12:13]
	v_add_f64 v[2:3], v[2:3], v[136:137]
	;; [unrolled: 4-line block ×10, first 2 shown]
	s_waitcnt vmcnt(4) lgkmcnt(3)
	v_mul_f64 v[158:159], v[116:117], v[54:55]
	v_mul_f64 v[6:7], v[70:71], v[6:7]
	v_fmac_f64_e32 v[156:157], v[114:115], v[48:49]
	v_add_f64 v[2:3], v[2:3], v[154:155]
	s_waitcnt vmcnt(3) lgkmcnt(2)
	v_mul_f64 v[160:161], v[120:121], v[58:59]
	v_mul_f64 v[10:11], v[74:75], v[10:11]
	v_fmac_f64_e32 v[158:159], v[118:119], v[52:53]
	v_fma_f64 v[4:5], v[68:69], v[4:5], -v[6:7]
	v_add_f64 v[2:3], v[2:3], v[156:157]
	s_waitcnt vmcnt(2) lgkmcnt(1)
	v_mul_f64 v[162:163], v[124:125], v[62:63]
	v_mul_f64 v[14:15], v[78:79], v[14:15]
	v_fmac_f64_e32 v[160:161], v[122:123], v[56:57]
	v_fma_f64 v[6:7], v[72:73], v[8:9], -v[10:11]
	v_add_f64 v[4:5], v[4:5], 0
	v_add_f64 v[2:3], v[2:3], v[158:159]
	s_waitcnt vmcnt(1) lgkmcnt(0)
	v_mul_f64 v[164:165], v[128:129], v[66:67]
	v_mul_f64 v[18:19], v[82:83], v[18:19]
	v_fmac_f64_e32 v[162:163], v[126:127], v[60:61]
	v_fma_f64 v[8:9], v[76:77], v[12:13], -v[14:15]
	v_add_f64 v[4:5], v[4:5], v[6:7]
	v_add_f64 v[2:3], v[2:3], v[160:161]
	v_mul_f64 v[26:27], v[86:87], v[26:27]
	v_fmac_f64_e32 v[164:165], v[130:131], v[64:65]
	v_fma_f64 v[10:11], v[80:81], v[16:17], -v[18:19]
	v_add_f64 v[4:5], v[4:5], v[8:9]
	v_add_f64 v[2:3], v[2:3], v[162:163]
	v_fma_f64 v[12:13], v[84:85], v[24:25], -v[26:27]
	v_add_f64 v[4:5], v[4:5], v[10:11]
	v_add_f64 v[6:7], v[2:3], v[164:165]
	v_mul_f64 v[2:3], v[90:91], v[22:23]
	v_add_f64 v[4:5], v[4:5], v[12:13]
	v_fma_f64 v[2:3], v[88:89], v[20:21], -v[2:3]
	v_add_f64 v[2:3], v[4:5], v[2:3]
	v_mul_f64 v[4:5], v[94:95], v[30:31]
	v_fma_f64 v[4:5], v[92:93], v[28:29], -v[4:5]
	v_add_f64 v[2:3], v[2:3], v[4:5]
	v_mul_f64 v[4:5], v[98:99], v[34:35]
	;; [unrolled: 3-line block ×10, first 2 shown]
	v_fma_f64 v[4:5], v[128:129], v[64:65], -v[4:5]
	v_add_f64 v[2:3], v[2:3], v[4:5]
	s_waitcnt vmcnt(0)
	v_add_f64 v[2:3], v[132:133], -v[2:3]
	v_add_f64 v[4:5], v[134:135], -v[6:7]
	scratch_store_dwordx4 off, v[2:5], off offset:224
	s_and_saveexec_b64 s[2:3], vcc
	s_cbranch_execz .LBB94_173
; %bb.172:
	scratch_load_dwordx4 v[2:5], off, s36
	v_mov_b32_e32 v6, 0
	v_mov_b32_e32 v7, v6
	;; [unrolled: 1-line block ×4, first 2 shown]
	scratch_store_dwordx4 off, v[6:9], off offset:208
	s_waitcnt vmcnt(1)
	ds_write_b128 v178, v[2:5]
.LBB94_173:
	s_or_b64 exec, exec, s[2:3]
	s_waitcnt lgkmcnt(0)
	; wave barrier
	scratch_load_dwordx4 v[4:7], off, off offset:224
	scratch_load_dwordx4 v[8:11], off, off offset:240
	;; [unrolled: 1-line block ×18, first 2 shown]
	v_mov_b32_e32 v2, 0
	ds_read_b128 v[76:79], v2 offset:720
	ds_read_b128 v[80:83], v2 offset:736
	;; [unrolled: 1-line block ×17, first 2 shown]
	v_cmp_lt_u32_e32 vcc, 12, v1
	s_waitcnt vmcnt(17) lgkmcnt(14)
	v_mul_f64 v[144:145], v[76:77], v[6:7]
	v_mul_f64 v[6:7], v[78:79], v[6:7]
	s_waitcnt vmcnt(16)
	v_mul_f64 v[146:147], v[80:81], v[10:11]
	v_mul_f64 v[10:11], v[82:83], v[10:11]
	v_fmac_f64_e32 v[144:145], v[78:79], v[4:5]
	v_fma_f64 v[4:5], v[76:77], v[4:5], -v[6:7]
	s_waitcnt vmcnt(15)
	v_mul_f64 v[148:149], v[84:85], v[18:19]
	v_mul_f64 v[18:19], v[86:87], v[18:19]
	v_fma_f64 v[6:7], v[80:81], v[8:9], -v[10:11]
	v_add_f64 v[4:5], v[4:5], 0
	s_waitcnt vmcnt(14) lgkmcnt(13)
	v_mul_f64 v[150:151], v[88:89], v[14:15]
	v_mul_f64 v[14:15], v[90:91], v[14:15]
	v_fmac_f64_e32 v[146:147], v[82:83], v[8:9]
	v_fma_f64 v[8:9], v[84:85], v[16:17], -v[18:19]
	v_add_f64 v[4:5], v[4:5], v[6:7]
	v_add_f64 v[4:5], v[4:5], v[8:9]
	v_fma_f64 v[8:9], v[88:89], v[12:13], -v[14:15]
	v_add_f64 v[4:5], v[4:5], v[8:9]
	s_waitcnt vmcnt(13) lgkmcnt(12)
	v_mul_f64 v[8:9], v[94:95], v[22:23]
	v_fma_f64 v[8:9], v[92:93], v[20:21], -v[8:9]
	v_add_f64 v[4:5], v[4:5], v[8:9]
	s_waitcnt vmcnt(12) lgkmcnt(11)
	v_mul_f64 v[8:9], v[98:99], v[26:27]
	;; [unrolled: 4-line block ×5, first 2 shown]
	v_fma_f64 v[8:9], v[108:109], v[36:37], -v[8:9]
	v_add_f64 v[10:11], v[144:145], 0
	v_add_f64 v[4:5], v[4:5], v[8:9]
	s_waitcnt vmcnt(8) lgkmcnt(7)
	v_mul_f64 v[8:9], v[114:115], v[42:43]
	v_fmac_f64_e32 v[148:149], v[86:87], v[16:17]
	v_add_f64 v[10:11], v[10:11], v[146:147]
	v_fma_f64 v[8:9], v[112:113], v[40:41], -v[8:9]
	v_mul_f64 v[152:153], v[92:93], v[22:23]
	v_fmac_f64_e32 v[150:151], v[90:91], v[12:13]
	v_add_f64 v[6:7], v[10:11], v[148:149]
	v_add_f64 v[4:5], v[4:5], v[8:9]
	s_waitcnt vmcnt(7) lgkmcnt(6)
	v_mul_f64 v[8:9], v[118:119], v[46:47]
	v_mul_f64 v[154:155], v[96:97], v[26:27]
	v_fmac_f64_e32 v[152:153], v[94:95], v[20:21]
	v_add_f64 v[6:7], v[6:7], v[150:151]
	v_fma_f64 v[8:9], v[116:117], v[44:45], -v[8:9]
	v_mul_f64 v[156:157], v[100:101], v[30:31]
	v_fmac_f64_e32 v[154:155], v[98:99], v[24:25]
	v_add_f64 v[6:7], v[6:7], v[152:153]
	v_add_f64 v[4:5], v[4:5], v[8:9]
	s_waitcnt vmcnt(6) lgkmcnt(5)
	v_mul_f64 v[8:9], v[122:123], v[50:51]
	;; [unrolled: 10-line block ×6, first 2 shown]
	v_mul_f64 v[174:175], v[136:137], v[66:67]
	v_fmac_f64_e32 v[172:173], v[134:135], v[60:61]
	v_add_f64 v[6:7], v[6:7], v[170:171]
	v_fma_f64 v[8:9], v[136:137], v[64:65], -v[8:9]
	s_waitcnt vmcnt(1) lgkmcnt(0)
	v_mul_f64 v[176:177], v[140:141], v[70:71]
	v_fmac_f64_e32 v[174:175], v[138:139], v[64:65]
	v_add_f64 v[6:7], v[6:7], v[172:173]
	v_add_f64 v[4:5], v[4:5], v[8:9]
	v_mul_f64 v[8:9], v[142:143], v[70:71]
	v_fmac_f64_e32 v[176:177], v[142:143], v[68:69]
	v_add_f64 v[6:7], v[6:7], v[174:175]
	v_fma_f64 v[8:9], v[140:141], v[68:69], -v[8:9]
	v_add_f64 v[6:7], v[6:7], v[176:177]
	v_add_f64 v[4:5], v[4:5], v[8:9]
	s_waitcnt vmcnt(0)
	v_add_f64 v[4:5], v[72:73], -v[4:5]
	v_add_f64 v[6:7], v[74:75], -v[6:7]
	scratch_store_dwordx4 off, v[4:7], off offset:208
	s_and_saveexec_b64 s[2:3], vcc
	s_cbranch_execz .LBB94_175
; %bb.174:
	scratch_load_dwordx4 v[6:9], off, s37
	v_mov_b32_e32 v3, v2
	v_mov_b32_e32 v4, v2
	;; [unrolled: 1-line block ×3, first 2 shown]
	scratch_store_dwordx4 off, v[2:5], off offset:192
	s_waitcnt vmcnt(1)
	ds_write_b128 v178, v[6:9]
.LBB94_175:
	s_or_b64 exec, exec, s[2:3]
	s_waitcnt lgkmcnt(0)
	; wave barrier
	scratch_load_dwordx4 v[4:7], off, off offset:208
	scratch_load_dwordx4 v[12:15], off, off offset:224
	;; [unrolled: 1-line block ×18, first 2 shown]
	ds_read_b128 v[76:79], v2 offset:704
	ds_read_b128 v[80:83], v2 offset:720
	;; [unrolled: 1-line block ×18, first 2 shown]
	scratch_load_dwordx4 v[148:151], off, off offset:192
	v_cmp_lt_u32_e32 vcc, 11, v1
	s_waitcnt vmcnt(18) lgkmcnt(14)
	v_mul_f64 v[2:3], v[76:77], v[6:7]
	s_waitcnt vmcnt(17)
	v_mul_f64 v[152:153], v[80:81], v[14:15]
	v_fmac_f64_e32 v[2:3], v[78:79], v[4:5]
	s_waitcnt vmcnt(16)
	v_mul_f64 v[154:155], v[84:85], v[10:11]
	v_fmac_f64_e32 v[152:153], v[82:83], v[12:13]
	v_add_f64 v[2:3], v[2:3], 0
	s_waitcnt vmcnt(15)
	v_mul_f64 v[156:157], v[88:89], v[18:19]
	v_fmac_f64_e32 v[154:155], v[86:87], v[8:9]
	v_add_f64 v[2:3], v[2:3], v[152:153]
	s_waitcnt vmcnt(14) lgkmcnt(13)
	v_mul_f64 v[158:159], v[92:93], v[22:23]
	v_fmac_f64_e32 v[156:157], v[90:91], v[16:17]
	v_add_f64 v[2:3], v[2:3], v[154:155]
	s_waitcnt vmcnt(13) lgkmcnt(12)
	v_mul_f64 v[160:161], v[96:97], v[26:27]
	v_fmac_f64_e32 v[158:159], v[94:95], v[20:21]
	v_add_f64 v[2:3], v[2:3], v[156:157]
	s_waitcnt vmcnt(12) lgkmcnt(11)
	v_mul_f64 v[162:163], v[100:101], v[30:31]
	v_fmac_f64_e32 v[160:161], v[98:99], v[24:25]
	v_add_f64 v[2:3], v[2:3], v[158:159]
	s_waitcnt vmcnt(11) lgkmcnt(10)
	v_mul_f64 v[164:165], v[104:105], v[34:35]
	v_fmac_f64_e32 v[162:163], v[102:103], v[28:29]
	v_add_f64 v[2:3], v[2:3], v[160:161]
	s_waitcnt vmcnt(10) lgkmcnt(9)
	v_mul_f64 v[166:167], v[108:109], v[38:39]
	v_fmac_f64_e32 v[164:165], v[106:107], v[32:33]
	v_add_f64 v[2:3], v[2:3], v[162:163]
	s_waitcnt vmcnt(9) lgkmcnt(8)
	v_mul_f64 v[168:169], v[112:113], v[42:43]
	v_fmac_f64_e32 v[166:167], v[110:111], v[36:37]
	v_add_f64 v[2:3], v[2:3], v[164:165]
	s_waitcnt vmcnt(8) lgkmcnt(7)
	v_mul_f64 v[170:171], v[116:117], v[46:47]
	v_fmac_f64_e32 v[168:169], v[114:115], v[40:41]
	v_add_f64 v[2:3], v[2:3], v[166:167]
	s_waitcnt vmcnt(7) lgkmcnt(6)
	v_mul_f64 v[172:173], v[120:121], v[50:51]
	v_fmac_f64_e32 v[170:171], v[118:119], v[44:45]
	v_add_f64 v[2:3], v[2:3], v[168:169]
	s_waitcnt vmcnt(6) lgkmcnt(5)
	v_mul_f64 v[174:175], v[124:125], v[54:55]
	v_fmac_f64_e32 v[172:173], v[122:123], v[48:49]
	v_add_f64 v[2:3], v[2:3], v[170:171]
	s_waitcnt vmcnt(5) lgkmcnt(4)
	v_mul_f64 v[176:177], v[128:129], v[58:59]
	v_fmac_f64_e32 v[174:175], v[126:127], v[52:53]
	v_add_f64 v[2:3], v[2:3], v[172:173]
	s_waitcnt vmcnt(4) lgkmcnt(3)
	v_mul_f64 v[180:181], v[132:133], v[62:63]
	v_fmac_f64_e32 v[176:177], v[130:131], v[56:57]
	v_add_f64 v[2:3], v[2:3], v[174:175]
	s_waitcnt vmcnt(3) lgkmcnt(2)
	v_mul_f64 v[182:183], v[136:137], v[66:67]
	v_fmac_f64_e32 v[180:181], v[134:135], v[60:61]
	v_add_f64 v[2:3], v[2:3], v[176:177]
	s_waitcnt vmcnt(2) lgkmcnt(1)
	v_mul_f64 v[186:187], v[140:141], v[70:71]
	v_mul_f64 v[6:7], v[78:79], v[6:7]
	v_fmac_f64_e32 v[182:183], v[138:139], v[64:65]
	v_add_f64 v[2:3], v[2:3], v[180:181]
	s_waitcnt vmcnt(1) lgkmcnt(0)
	v_mul_f64 v[188:189], v[144:145], v[74:75]
	v_mul_f64 v[14:15], v[82:83], v[14:15]
	v_fmac_f64_e32 v[186:187], v[142:143], v[68:69]
	v_fma_f64 v[4:5], v[76:77], v[4:5], -v[6:7]
	v_add_f64 v[2:3], v[2:3], v[182:183]
	v_mul_f64 v[10:11], v[86:87], v[10:11]
	v_fmac_f64_e32 v[188:189], v[146:147], v[72:73]
	v_fma_f64 v[6:7], v[80:81], v[12:13], -v[14:15]
	v_add_f64 v[4:5], v[4:5], 0
	v_add_f64 v[2:3], v[2:3], v[186:187]
	;; [unrolled: 1-line block ×4, first 2 shown]
	v_fma_f64 v[2:3], v[84:85], v[8:9], -v[10:11]
	v_add_f64 v[2:3], v[4:5], v[2:3]
	v_mul_f64 v[4:5], v[90:91], v[18:19]
	v_fma_f64 v[4:5], v[88:89], v[16:17], -v[4:5]
	v_add_f64 v[2:3], v[2:3], v[4:5]
	v_mul_f64 v[4:5], v[94:95], v[22:23]
	;; [unrolled: 3-line block ×15, first 2 shown]
	v_fma_f64 v[4:5], v[144:145], v[72:73], -v[4:5]
	v_add_f64 v[2:3], v[2:3], v[4:5]
	s_waitcnt vmcnt(0)
	v_add_f64 v[2:3], v[148:149], -v[2:3]
	v_add_f64 v[4:5], v[150:151], -v[6:7]
	scratch_store_dwordx4 off, v[2:5], off offset:192
	s_and_saveexec_b64 s[2:3], vcc
	s_cbranch_execz .LBB94_177
; %bb.176:
	scratch_load_dwordx4 v[2:5], off, s38
	v_mov_b32_e32 v6, 0
	v_mov_b32_e32 v7, v6
	;; [unrolled: 1-line block ×4, first 2 shown]
	scratch_store_dwordx4 off, v[6:9], off offset:176
	s_waitcnt vmcnt(1)
	ds_write_b128 v178, v[2:5]
.LBB94_177:
	s_or_b64 exec, exec, s[2:3]
	v_mov_b32_e32 v2, 0
	s_waitcnt lgkmcnt(0)
	; wave barrier
	ds_read_b128 v[16:19], v2 offset:688
	ds_read_b128 v[12:15], v2 offset:704
	;; [unrolled: 1-line block ×4, first 2 shown]
	scratch_load_dwordx4 v[20:23], off, off offset:192
	scratch_load_dwordx4 v[40:43], off, off offset:256
	;; [unrolled: 1-line block ×13, first 2 shown]
	v_cmp_lt_u32_e32 vcc, 10, v1
	scratch_load_dwordx4 v[48:51], off, off offset:272
	scratch_load_dwordx4 v[56:59], off, off offset:288
	;; [unrolled: 1-line block ×3, first 2 shown]
	s_waitcnt vmcnt(15) lgkmcnt(3)
	v_mul_f64 v[24:25], v[16:17], v[22:23]
	v_fmac_f64_e32 v[24:25], v[18:19], v[20:21]
	v_add_f64 v[28:29], v[24:25], 0
	scratch_load_dwordx4 v[24:27], off, off offset:208
	v_mul_f64 v[18:19], v[18:19], v[22:23]
	v_fma_f64 v[16:17], v[16:17], v[20:21], -v[18:19]
	v_add_f64 v[16:17], v[16:17], 0
	s_waitcnt vmcnt(0) lgkmcnt(2)
	v_mul_f64 v[30:31], v[12:13], v[26:27]
	v_fmac_f64_e32 v[30:31], v[14:15], v[24:25]
	v_add_f64 v[32:33], v[28:29], v[30:31]
	scratch_load_dwordx4 v[28:31], off, off offset:224
	v_mul_f64 v[14:15], v[14:15], v[26:27]
	v_fma_f64 v[12:13], v[12:13], v[24:25], -v[14:15]
	v_add_f64 v[12:13], v[16:17], v[12:13]
	;; [unrolled: 8-line block ×3, first 2 shown]
	s_waitcnt vmcnt(0) lgkmcnt(0)
	v_mul_f64 v[38:39], v[4:5], v[34:35]
	v_fmac_f64_e32 v[38:39], v[6:7], v[32:33]
	v_add_f64 v[44:45], v[36:37], v[38:39]
	ds_read_b128 v[36:39], v2 offset:752
	v_mul_f64 v[6:7], v[6:7], v[34:35]
	v_fma_f64 v[4:5], v[4:5], v[32:33], -v[6:7]
	v_add_f64 v[4:5], v[8:9], v[4:5]
	s_waitcnt lgkmcnt(0)
	v_mul_f64 v[46:47], v[36:37], v[42:43]
	v_fmac_f64_e32 v[46:47], v[38:39], v[40:41]
	v_add_f64 v[52:53], v[44:45], v[46:47]
	ds_read_b128 v[44:47], v2 offset:768
	v_mul_f64 v[6:7], v[38:39], v[42:43]
	v_fma_f64 v[6:7], v[36:37], v[40:41], -v[6:7]
	v_add_f64 v[4:5], v[4:5], v[6:7]
	s_waitcnt lgkmcnt(0)
	;; [unrolled: 8-line block ×15, first 2 shown]
	v_mul_f64 v[6:7], v[152:153], v[156:157]
	v_fma_f64 v[6:7], v[150:151], v[154:155], -v[6:7]
	v_add_f64 v[8:9], v[4:5], v[6:7]
	scratch_load_dwordx4 v[4:7], off, off offset:176
	v_mul_f64 v[158:159], v[150:151], v[156:157]
	v_fmac_f64_e32 v[158:159], v[152:153], v[154:155]
	v_add_f64 v[88:89], v[88:89], v[158:159]
	s_waitcnt vmcnt(0)
	v_add_f64 v[4:5], v[4:5], -v[8:9]
	v_add_f64 v[6:7], v[6:7], -v[88:89]
	scratch_store_dwordx4 off, v[4:7], off offset:176
	s_and_saveexec_b64 s[2:3], vcc
	s_cbranch_execz .LBB94_179
; %bb.178:
	scratch_load_dwordx4 v[6:9], off, s39
	v_mov_b32_e32 v3, v2
	v_mov_b32_e32 v4, v2
	;; [unrolled: 1-line block ×3, first 2 shown]
	scratch_store_dwordx4 off, v[2:5], off offset:160
	s_waitcnt vmcnt(1)
	ds_write_b128 v178, v[6:9]
.LBB94_179:
	s_or_b64 exec, exec, s[2:3]
	s_waitcnt lgkmcnt(0)
	; wave barrier
	ds_read_b128 v[16:19], v2 offset:672
	ds_read_b128 v[12:15], v2 offset:688
	;; [unrolled: 1-line block ×4, first 2 shown]
	scratch_load_dwordx4 v[20:23], off, off offset:176
	scratch_load_dwordx4 v[40:43], off, off offset:240
	;; [unrolled: 1-line block ×14, first 2 shown]
	v_cmp_lt_u32_e32 vcc, 9, v1
	scratch_load_dwordx4 v[48:51], off, off offset:256
	scratch_load_dwordx4 v[56:59], off, off offset:272
	;; [unrolled: 1-line block ×3, first 2 shown]
	s_waitcnt vmcnt(16) lgkmcnt(3)
	v_mul_f64 v[24:25], v[16:17], v[22:23]
	v_fmac_f64_e32 v[24:25], v[18:19], v[20:21]
	v_add_f64 v[28:29], v[24:25], 0
	scratch_load_dwordx4 v[24:27], off, off offset:192
	s_waitcnt vmcnt(0) lgkmcnt(2)
	v_mul_f64 v[30:31], v[12:13], v[26:27]
	v_fmac_f64_e32 v[30:31], v[14:15], v[24:25]
	v_add_f64 v[32:33], v[28:29], v[30:31]
	scratch_load_dwordx4 v[28:31], off, off offset:208
	v_mul_f64 v[14:15], v[14:15], v[26:27]
	v_fma_f64 v[12:13], v[12:13], v[24:25], -v[14:15]
	s_waitcnt vmcnt(0) lgkmcnt(1)
	v_mul_f64 v[34:35], v[8:9], v[30:31]
	v_fmac_f64_e32 v[34:35], v[10:11], v[28:29]
	v_add_f64 v[36:37], v[32:33], v[34:35]
	scratch_load_dwordx4 v[32:35], off, off offset:224
	v_mul_f64 v[10:11], v[10:11], v[30:31]
	v_fma_f64 v[8:9], v[8:9], v[28:29], -v[10:11]
	s_waitcnt vmcnt(0) lgkmcnt(0)
	v_mul_f64 v[38:39], v[4:5], v[34:35]
	v_fmac_f64_e32 v[38:39], v[6:7], v[32:33]
	v_add_f64 v[44:45], v[36:37], v[38:39]
	ds_read_b128 v[36:39], v2 offset:736
	v_mul_f64 v[6:7], v[6:7], v[34:35]
	v_fma_f64 v[4:5], v[4:5], v[32:33], -v[6:7]
	s_waitcnt lgkmcnt(0)
	v_mul_f64 v[46:47], v[36:37], v[42:43]
	v_fmac_f64_e32 v[46:47], v[38:39], v[40:41]
	v_add_f64 v[52:53], v[44:45], v[46:47]
	ds_read_b128 v[44:47], v2 offset:752
	s_waitcnt lgkmcnt(0)
	v_mul_f64 v[54:55], v[44:45], v[50:51]
	v_fmac_f64_e32 v[54:55], v[46:47], v[48:49]
	v_add_f64 v[60:61], v[52:53], v[54:55]
	ds_read_b128 v[52:55], v2 offset:768
	;; [unrolled: 5-line block ×15, first 2 shown]
	s_waitcnt lgkmcnt(0)
	v_mul_f64 v[2:3], v[158:159], v[164:165]
	v_fmac_f64_e32 v[2:3], v[160:161], v[162:163]
	v_add_f64 v[96:97], v[96:97], v[2:3]
	v_mul_f64 v[2:3], v[18:19], v[22:23]
	v_fma_f64 v[2:3], v[16:17], v[20:21], -v[2:3]
	v_add_f64 v[2:3], v[2:3], 0
	v_add_f64 v[2:3], v[2:3], v[12:13]
	;; [unrolled: 1-line block ×4, first 2 shown]
	v_mul_f64 v[4:5], v[38:39], v[42:43]
	v_fma_f64 v[4:5], v[36:37], v[40:41], -v[4:5]
	v_add_f64 v[2:3], v[2:3], v[4:5]
	v_mul_f64 v[4:5], v[46:47], v[50:51]
	v_fma_f64 v[4:5], v[44:45], v[48:49], -v[4:5]
	v_add_f64 v[2:3], v[2:3], v[4:5]
	;; [unrolled: 3-line block ×16, first 2 shown]
	scratch_load_dwordx4 v[2:5], off, off offset:160
	s_waitcnt vmcnt(0)
	v_add_f64 v[2:3], v[2:3], -v[6:7]
	v_add_f64 v[4:5], v[4:5], -v[96:97]
	scratch_store_dwordx4 off, v[2:5], off offset:160
	s_and_saveexec_b64 s[2:3], vcc
	s_cbranch_execz .LBB94_181
; %bb.180:
	scratch_load_dwordx4 v[2:5], off, s40
	v_mov_b32_e32 v6, 0
	v_mov_b32_e32 v7, v6
	;; [unrolled: 1-line block ×4, first 2 shown]
	scratch_store_dwordx4 off, v[6:9], off offset:144
	s_waitcnt vmcnt(1)
	ds_write_b128 v178, v[2:5]
.LBB94_181:
	s_or_b64 exec, exec, s[2:3]
	v_mov_b32_e32 v2, 0
	s_waitcnt lgkmcnt(0)
	; wave barrier
	ds_read_b128 v[16:19], v2 offset:656
	ds_read_b128 v[12:15], v2 offset:672
	;; [unrolled: 1-line block ×4, first 2 shown]
	scratch_load_dwordx4 v[20:23], off, off offset:160
	scratch_load_dwordx4 v[40:43], off, off offset:224
	;; [unrolled: 1-line block ×15, first 2 shown]
	v_cmp_lt_u32_e32 vcc, 8, v1
	scratch_load_dwordx4 v[48:51], off, off offset:240
	scratch_load_dwordx4 v[56:59], off, off offset:256
	;; [unrolled: 1-line block ×3, first 2 shown]
	s_waitcnt vmcnt(17) lgkmcnt(3)
	v_mul_f64 v[24:25], v[16:17], v[22:23]
	v_fmac_f64_e32 v[24:25], v[18:19], v[20:21]
	v_add_f64 v[28:29], v[24:25], 0
	scratch_load_dwordx4 v[24:27], off, off offset:176
	v_mul_f64 v[18:19], v[18:19], v[22:23]
	v_fma_f64 v[16:17], v[16:17], v[20:21], -v[18:19]
	v_add_f64 v[16:17], v[16:17], 0
	s_waitcnt vmcnt(0) lgkmcnt(2)
	v_mul_f64 v[30:31], v[12:13], v[26:27]
	v_fmac_f64_e32 v[30:31], v[14:15], v[24:25]
	v_add_f64 v[32:33], v[28:29], v[30:31]
	scratch_load_dwordx4 v[28:31], off, off offset:192
	v_mul_f64 v[14:15], v[14:15], v[26:27]
	v_fma_f64 v[12:13], v[12:13], v[24:25], -v[14:15]
	v_add_f64 v[12:13], v[16:17], v[12:13]
	;; [unrolled: 8-line block ×3, first 2 shown]
	s_waitcnt vmcnt(0) lgkmcnt(0)
	v_mul_f64 v[38:39], v[4:5], v[34:35]
	v_fmac_f64_e32 v[38:39], v[6:7], v[32:33]
	v_add_f64 v[44:45], v[36:37], v[38:39]
	ds_read_b128 v[36:39], v2 offset:720
	v_mul_f64 v[6:7], v[6:7], v[34:35]
	v_fma_f64 v[4:5], v[4:5], v[32:33], -v[6:7]
	v_add_f64 v[4:5], v[8:9], v[4:5]
	s_waitcnt lgkmcnt(0)
	v_mul_f64 v[46:47], v[36:37], v[42:43]
	v_fmac_f64_e32 v[46:47], v[38:39], v[40:41]
	v_add_f64 v[52:53], v[44:45], v[46:47]
	ds_read_b128 v[44:47], v2 offset:736
	v_mul_f64 v[6:7], v[38:39], v[42:43]
	v_fma_f64 v[6:7], v[36:37], v[40:41], -v[6:7]
	v_add_f64 v[4:5], v[4:5], v[6:7]
	s_waitcnt lgkmcnt(0)
	;; [unrolled: 8-line block ×17, first 2 shown]
	v_mul_f64 v[6:7], v[168:169], v[172:173]
	v_fma_f64 v[6:7], v[166:167], v[170:171], -v[6:7]
	v_add_f64 v[8:9], v[4:5], v[6:7]
	scratch_load_dwordx4 v[4:7], off, off offset:144
	v_mul_f64 v[174:175], v[166:167], v[172:173]
	v_fmac_f64_e32 v[174:175], v[168:169], v[170:171]
	v_add_f64 v[104:105], v[104:105], v[174:175]
	s_waitcnt vmcnt(0)
	v_add_f64 v[4:5], v[4:5], -v[8:9]
	v_add_f64 v[6:7], v[6:7], -v[104:105]
	scratch_store_dwordx4 off, v[4:7], off offset:144
	s_and_saveexec_b64 s[2:3], vcc
	s_cbranch_execz .LBB94_183
; %bb.182:
	scratch_load_dwordx4 v[6:9], off, s41
	v_mov_b32_e32 v3, v2
	v_mov_b32_e32 v4, v2
	;; [unrolled: 1-line block ×3, first 2 shown]
	scratch_store_dwordx4 off, v[2:5], off offset:128
	s_waitcnt vmcnt(1)
	ds_write_b128 v178, v[6:9]
.LBB94_183:
	s_or_b64 exec, exec, s[2:3]
	s_waitcnt lgkmcnt(0)
	; wave barrier
	ds_read_b128 v[16:19], v2 offset:640
	ds_read_b128 v[12:15], v2 offset:656
	;; [unrolled: 1-line block ×4, first 2 shown]
	scratch_load_dwordx4 v[20:23], off, off offset:144
	scratch_load_dwordx4 v[40:43], off, off offset:208
	;; [unrolled: 1-line block ×16, first 2 shown]
	v_cmp_lt_u32_e32 vcc, 7, v1
	scratch_load_dwordx4 v[48:51], off, off offset:224
	scratch_load_dwordx4 v[56:59], off, off offset:240
	;; [unrolled: 1-line block ×3, first 2 shown]
	s_waitcnt vmcnt(18) lgkmcnt(3)
	v_mul_f64 v[24:25], v[16:17], v[22:23]
	v_fmac_f64_e32 v[24:25], v[18:19], v[20:21]
	v_add_f64 v[28:29], v[24:25], 0
	scratch_load_dwordx4 v[24:27], off, off offset:160
	s_waitcnt vmcnt(0) lgkmcnt(2)
	v_mul_f64 v[30:31], v[12:13], v[26:27]
	v_fmac_f64_e32 v[30:31], v[14:15], v[24:25]
	v_add_f64 v[32:33], v[28:29], v[30:31]
	scratch_load_dwordx4 v[28:31], off, off offset:176
	v_mul_f64 v[14:15], v[14:15], v[26:27]
	v_fma_f64 v[12:13], v[12:13], v[24:25], -v[14:15]
	s_waitcnt vmcnt(0) lgkmcnt(1)
	v_mul_f64 v[34:35], v[8:9], v[30:31]
	v_fmac_f64_e32 v[34:35], v[10:11], v[28:29]
	v_add_f64 v[36:37], v[32:33], v[34:35]
	scratch_load_dwordx4 v[32:35], off, off offset:192
	v_mul_f64 v[10:11], v[10:11], v[30:31]
	v_fma_f64 v[8:9], v[8:9], v[28:29], -v[10:11]
	s_waitcnt vmcnt(0) lgkmcnt(0)
	v_mul_f64 v[38:39], v[4:5], v[34:35]
	v_fmac_f64_e32 v[38:39], v[6:7], v[32:33]
	v_add_f64 v[44:45], v[36:37], v[38:39]
	ds_read_b128 v[36:39], v2 offset:704
	v_mul_f64 v[6:7], v[6:7], v[34:35]
	v_fma_f64 v[4:5], v[4:5], v[32:33], -v[6:7]
	s_waitcnt lgkmcnt(0)
	v_mul_f64 v[46:47], v[36:37], v[42:43]
	v_fmac_f64_e32 v[46:47], v[38:39], v[40:41]
	v_add_f64 v[52:53], v[44:45], v[46:47]
	ds_read_b128 v[44:47], v2 offset:720
	s_waitcnt lgkmcnt(0)
	v_mul_f64 v[54:55], v[44:45], v[50:51]
	v_fmac_f64_e32 v[54:55], v[46:47], v[48:49]
	v_add_f64 v[60:61], v[52:53], v[54:55]
	ds_read_b128 v[52:55], v2 offset:736
	;; [unrolled: 5-line block ×17, first 2 shown]
	s_waitcnt lgkmcnt(0)
	v_mul_f64 v[2:3], v[174:175], v[182:183]
	v_fmac_f64_e32 v[2:3], v[176:177], v[180:181]
	v_add_f64 v[120:121], v[120:121], v[2:3]
	v_mul_f64 v[2:3], v[18:19], v[22:23]
	v_fma_f64 v[2:3], v[16:17], v[20:21], -v[2:3]
	v_add_f64 v[2:3], v[2:3], 0
	v_add_f64 v[2:3], v[2:3], v[12:13]
	;; [unrolled: 1-line block ×4, first 2 shown]
	v_mul_f64 v[4:5], v[38:39], v[42:43]
	v_fma_f64 v[4:5], v[36:37], v[40:41], -v[4:5]
	v_add_f64 v[2:3], v[2:3], v[4:5]
	v_mul_f64 v[4:5], v[46:47], v[50:51]
	v_fma_f64 v[4:5], v[44:45], v[48:49], -v[4:5]
	v_add_f64 v[2:3], v[2:3], v[4:5]
	;; [unrolled: 3-line block ×18, first 2 shown]
	scratch_load_dwordx4 v[2:5], off, off offset:128
	s_waitcnt vmcnt(0)
	v_add_f64 v[2:3], v[2:3], -v[6:7]
	v_add_f64 v[4:5], v[4:5], -v[120:121]
	scratch_store_dwordx4 off, v[2:5], off offset:128
	s_and_saveexec_b64 s[2:3], vcc
	s_cbranch_execz .LBB94_185
; %bb.184:
	scratch_load_dwordx4 v[2:5], off, s42
	v_mov_b32_e32 v6, 0
	v_mov_b32_e32 v7, v6
	;; [unrolled: 1-line block ×4, first 2 shown]
	scratch_store_dwordx4 off, v[6:9], off offset:112
	s_waitcnt vmcnt(1)
	ds_write_b128 v178, v[2:5]
.LBB94_185:
	s_or_b64 exec, exec, s[2:3]
	v_mov_b32_e32 v2, 0
	s_waitcnt lgkmcnt(0)
	; wave barrier
	ds_read_b128 v[16:19], v2 offset:624
	ds_read_b128 v[12:15], v2 offset:640
	;; [unrolled: 1-line block ×4, first 2 shown]
	scratch_load_dwordx4 v[20:23], off, off offset:128
	scratch_load_dwordx4 v[40:43], off, off offset:192
	;; [unrolled: 1-line block ×17, first 2 shown]
	v_cmp_lt_u32_e32 vcc, 6, v1
	scratch_load_dwordx4 v[48:51], off, off offset:208
	scratch_load_dwordx4 v[56:59], off, off offset:224
	;; [unrolled: 1-line block ×3, first 2 shown]
	ds_read_b128 v[246:249], v2 offset:976
	s_waitcnt vmcnt(19) lgkmcnt(4)
	v_mul_f64 v[24:25], v[16:17], v[22:23]
	v_fmac_f64_e32 v[24:25], v[18:19], v[20:21]
	v_add_f64 v[28:29], v[24:25], 0
	scratch_load_dwordx4 v[24:27], off, off offset:144
	v_mul_f64 v[18:19], v[18:19], v[22:23]
	v_fma_f64 v[16:17], v[16:17], v[20:21], -v[18:19]
	v_add_f64 v[16:17], v[16:17], 0
	s_waitcnt vmcnt(0) lgkmcnt(3)
	v_mul_f64 v[30:31], v[12:13], v[26:27]
	v_fmac_f64_e32 v[30:31], v[14:15], v[24:25]
	v_add_f64 v[32:33], v[28:29], v[30:31]
	scratch_load_dwordx4 v[28:31], off, off offset:160
	v_mul_f64 v[14:15], v[14:15], v[26:27]
	v_fma_f64 v[12:13], v[12:13], v[24:25], -v[14:15]
	v_add_f64 v[12:13], v[16:17], v[12:13]
	;; [unrolled: 8-line block ×3, first 2 shown]
	s_waitcnt vmcnt(0) lgkmcnt(1)
	v_mul_f64 v[38:39], v[4:5], v[34:35]
	v_fmac_f64_e32 v[38:39], v[6:7], v[32:33]
	v_add_f64 v[44:45], v[36:37], v[38:39]
	ds_read_b128 v[36:39], v2 offset:688
	v_mul_f64 v[6:7], v[6:7], v[34:35]
	v_fma_f64 v[4:5], v[4:5], v[32:33], -v[6:7]
	v_add_f64 v[4:5], v[8:9], v[4:5]
	s_waitcnt lgkmcnt(0)
	v_mul_f64 v[46:47], v[36:37], v[42:43]
	v_fmac_f64_e32 v[46:47], v[38:39], v[40:41]
	v_add_f64 v[52:53], v[44:45], v[46:47]
	ds_read_b128 v[44:47], v2 offset:704
	v_mul_f64 v[6:7], v[38:39], v[42:43]
	v_fma_f64 v[6:7], v[36:37], v[40:41], -v[6:7]
	v_add_f64 v[4:5], v[4:5], v[6:7]
	s_waitcnt lgkmcnt(0)
	;; [unrolled: 8-line block ×18, first 2 shown]
	v_mul_f64 v[6:7], v[176:177], v[182:183]
	v_fma_f64 v[6:7], v[174:175], v[180:181], -v[6:7]
	v_add_f64 v[4:5], v[4:5], v[6:7]
	v_mul_f64 v[6:7], v[248:249], v[252:253]
	v_fma_f64 v[6:7], v[246:247], v[250:251], -v[6:7]
	v_add_f64 v[8:9], v[4:5], v[6:7]
	scratch_load_dwordx4 v[4:7], off, off offset:112
	v_mul_f64 v[186:187], v[174:175], v[182:183]
	v_fmac_f64_e32 v[186:187], v[176:177], v[180:181]
	v_add_f64 v[128:129], v[128:129], v[186:187]
	v_mul_f64 v[186:187], v[246:247], v[252:253]
	v_fmac_f64_e32 v[186:187], v[248:249], v[250:251]
	v_add_f64 v[128:129], v[128:129], v[186:187]
	s_waitcnt vmcnt(0)
	v_add_f64 v[4:5], v[4:5], -v[8:9]
	v_add_f64 v[6:7], v[6:7], -v[128:129]
	scratch_store_dwordx4 off, v[4:7], off offset:112
	s_and_saveexec_b64 s[2:3], vcc
	s_cbranch_execz .LBB94_187
; %bb.186:
	scratch_load_dwordx4 v[6:9], off, s43
	v_mov_b32_e32 v3, v2
	v_mov_b32_e32 v4, v2
	;; [unrolled: 1-line block ×3, first 2 shown]
	scratch_store_dwordx4 off, v[2:5], off offset:96
	s_waitcnt vmcnt(1)
	ds_write_b128 v178, v[6:9]
.LBB94_187:
	s_or_b64 exec, exec, s[2:3]
	s_waitcnt lgkmcnt(0)
	; wave barrier
	ds_read_b128 v[16:19], v2 offset:608
	ds_read_b128 v[12:15], v2 offset:624
	;; [unrolled: 1-line block ×4, first 2 shown]
	scratch_load_dwordx4 v[20:23], off, off offset:112
	scratch_load_dwordx4 v[40:43], off, off offset:176
	;; [unrolled: 1-line block ×18, first 2 shown]
	v_cmp_lt_u32_e32 vcc, 5, v1
	scratch_load_dwordx4 v[48:51], off, off offset:192
	scratch_load_dwordx4 v[56:59], off, off offset:208
	;; [unrolled: 1-line block ×3, first 2 shown]
	ds_read_b128 v[246:249], v2 offset:960
	s_waitcnt vmcnt(20) lgkmcnt(4)
	v_mul_f64 v[24:25], v[16:17], v[22:23]
	v_fmac_f64_e32 v[24:25], v[18:19], v[20:21]
	v_add_f64 v[28:29], v[24:25], 0
	scratch_load_dwordx4 v[24:27], off, off offset:128
	s_waitcnt vmcnt(0) lgkmcnt(3)
	v_mul_f64 v[30:31], v[12:13], v[26:27]
	v_fmac_f64_e32 v[30:31], v[14:15], v[24:25]
	v_add_f64 v[32:33], v[28:29], v[30:31]
	scratch_load_dwordx4 v[28:31], off, off offset:144
	v_mul_f64 v[14:15], v[14:15], v[26:27]
	v_fma_f64 v[12:13], v[12:13], v[24:25], -v[14:15]
	s_waitcnt vmcnt(0) lgkmcnt(2)
	v_mul_f64 v[34:35], v[8:9], v[30:31]
	v_fmac_f64_e32 v[34:35], v[10:11], v[28:29]
	v_add_f64 v[36:37], v[32:33], v[34:35]
	scratch_load_dwordx4 v[32:35], off, off offset:160
	v_mul_f64 v[10:11], v[10:11], v[30:31]
	v_fma_f64 v[8:9], v[8:9], v[28:29], -v[10:11]
	s_waitcnt vmcnt(0) lgkmcnt(1)
	v_mul_f64 v[38:39], v[4:5], v[34:35]
	v_fmac_f64_e32 v[38:39], v[6:7], v[32:33]
	v_add_f64 v[44:45], v[36:37], v[38:39]
	ds_read_b128 v[36:39], v2 offset:672
	v_mul_f64 v[6:7], v[6:7], v[34:35]
	v_fma_f64 v[4:5], v[4:5], v[32:33], -v[6:7]
	s_waitcnt lgkmcnt(0)
	v_mul_f64 v[46:47], v[36:37], v[42:43]
	v_fmac_f64_e32 v[46:47], v[38:39], v[40:41]
	v_add_f64 v[52:53], v[44:45], v[46:47]
	ds_read_b128 v[44:47], v2 offset:688
	s_waitcnt lgkmcnt(0)
	v_mul_f64 v[54:55], v[44:45], v[50:51]
	v_fmac_f64_e32 v[54:55], v[46:47], v[48:49]
	v_add_f64 v[60:61], v[52:53], v[54:55]
	ds_read_b128 v[52:55], v2 offset:704
	;; [unrolled: 5-line block ×17, first 2 shown]
	s_waitcnt lgkmcnt(0)
	v_mul_f64 v[186:187], v[174:175], v[182:183]
	v_fmac_f64_e32 v[186:187], v[176:177], v[180:181]
	v_add_f64 v[148:149], v[148:149], v[186:187]
	v_mul_f64 v[186:187], v[246:247], v[252:253]
	v_fmac_f64_e32 v[186:187], v[248:249], v[250:251]
	v_add_f64 v[148:149], v[148:149], v[186:187]
	ds_read_b128 v[186:189], v2 offset:976
	s_waitcnt lgkmcnt(0)
	v_mul_f64 v[2:3], v[186:187], v[192:193]
	v_fmac_f64_e32 v[2:3], v[188:189], v[190:191]
	v_add_f64 v[148:149], v[148:149], v[2:3]
	v_mul_f64 v[2:3], v[18:19], v[22:23]
	v_fma_f64 v[2:3], v[16:17], v[20:21], -v[2:3]
	v_add_f64 v[2:3], v[2:3], 0
	v_add_f64 v[2:3], v[2:3], v[12:13]
	;; [unrolled: 1-line block ×4, first 2 shown]
	v_mul_f64 v[4:5], v[38:39], v[42:43]
	v_fma_f64 v[4:5], v[36:37], v[40:41], -v[4:5]
	v_add_f64 v[2:3], v[2:3], v[4:5]
	v_mul_f64 v[4:5], v[46:47], v[50:51]
	v_fma_f64 v[4:5], v[44:45], v[48:49], -v[4:5]
	v_add_f64 v[2:3], v[2:3], v[4:5]
	;; [unrolled: 3-line block ×20, first 2 shown]
	scratch_load_dwordx4 v[2:5], off, off offset:96
	s_waitcnt vmcnt(0)
	v_add_f64 v[2:3], v[2:3], -v[6:7]
	v_add_f64 v[4:5], v[4:5], -v[148:149]
	scratch_store_dwordx4 off, v[2:5], off offset:96
	s_and_saveexec_b64 s[2:3], vcc
	s_cbranch_execz .LBB94_189
; %bb.188:
	scratch_load_dwordx4 v[2:5], off, s44
	v_mov_b32_e32 v6, 0
	v_mov_b32_e32 v7, v6
	;; [unrolled: 1-line block ×4, first 2 shown]
	scratch_store_dwordx4 off, v[6:9], off offset:80
	s_waitcnt vmcnt(1)
	ds_write_b128 v178, v[2:5]
.LBB94_189:
	s_or_b64 exec, exec, s[2:3]
	v_mov_b32_e32 v2, 0
	s_waitcnt lgkmcnt(0)
	; wave barrier
	ds_read_b128 v[16:19], v2 offset:592
	ds_read_b128 v[12:15], v2 offset:608
	;; [unrolled: 1-line block ×4, first 2 shown]
	scratch_load_dwordx4 v[20:23], off, off offset:96
	scratch_load_dwordx4 v[40:43], off, off offset:160
	;; [unrolled: 1-line block ×19, first 2 shown]
	v_cmp_lt_u32_e32 vcc, 4, v1
	scratch_load_dwordx4 v[48:51], off, off offset:176
	scratch_load_dwordx4 v[56:59], off, off offset:192
	;; [unrolled: 1-line block ×3, first 2 shown]
	ds_read_b128 v[246:249], v2 offset:960
	s_waitcnt vmcnt(21) lgkmcnt(4)
	v_mul_f64 v[24:25], v[16:17], v[22:23]
	v_fmac_f64_e32 v[24:25], v[18:19], v[20:21]
	v_add_f64 v[28:29], v[24:25], 0
	scratch_load_dwordx4 v[24:27], off, off offset:112
	v_mul_f64 v[18:19], v[18:19], v[22:23]
	v_fma_f64 v[16:17], v[16:17], v[20:21], -v[18:19]
	v_add_f64 v[16:17], v[16:17], 0
	s_waitcnt vmcnt(0) lgkmcnt(3)
	v_mul_f64 v[30:31], v[12:13], v[26:27]
	v_fmac_f64_e32 v[30:31], v[14:15], v[24:25]
	v_add_f64 v[32:33], v[28:29], v[30:31]
	scratch_load_dwordx4 v[28:31], off, off offset:128
	v_mul_f64 v[14:15], v[14:15], v[26:27]
	v_fma_f64 v[12:13], v[12:13], v[24:25], -v[14:15]
	v_add_f64 v[12:13], v[16:17], v[12:13]
	;; [unrolled: 8-line block ×3, first 2 shown]
	s_waitcnt vmcnt(0) lgkmcnt(1)
	v_mul_f64 v[38:39], v[4:5], v[34:35]
	v_fmac_f64_e32 v[38:39], v[6:7], v[32:33]
	v_add_f64 v[44:45], v[36:37], v[38:39]
	ds_read_b128 v[36:39], v2 offset:656
	v_mul_f64 v[6:7], v[6:7], v[34:35]
	v_fma_f64 v[4:5], v[4:5], v[32:33], -v[6:7]
	v_add_f64 v[4:5], v[8:9], v[4:5]
	s_waitcnt lgkmcnt(0)
	v_mul_f64 v[46:47], v[36:37], v[42:43]
	v_fmac_f64_e32 v[46:47], v[38:39], v[40:41]
	v_add_f64 v[52:53], v[44:45], v[46:47]
	ds_read_b128 v[44:47], v2 offset:672
	v_mul_f64 v[6:7], v[38:39], v[42:43]
	v_fma_f64 v[6:7], v[36:37], v[40:41], -v[6:7]
	v_add_f64 v[4:5], v[4:5], v[6:7]
	s_waitcnt lgkmcnt(0)
	;; [unrolled: 8-line block ×19, first 2 shown]
	v_mul_f64 v[194:195], v[186:187], v[192:193]
	v_fmac_f64_e32 v[194:195], v[188:189], v[190:191]
	v_add_f64 v[144:145], v[144:145], v[194:195]
	v_mul_f64 v[194:195], v[246:247], v[252:253]
	v_fmac_f64_e32 v[194:195], v[248:249], v[250:251]
	v_add_f64 v[144:145], v[144:145], v[194:195]
	ds_read_b128 v[194:197], v2 offset:976
	v_mul_f64 v[6:7], v[188:189], v[192:193]
	v_fma_f64 v[6:7], v[186:187], v[190:191], -v[6:7]
	v_add_f64 v[4:5], v[4:5], v[6:7]
	v_mul_f64 v[6:7], v[248:249], v[252:253]
	v_fma_f64 v[6:7], v[246:247], v[250:251], -v[6:7]
	v_add_f64 v[4:5], v[4:5], v[6:7]
	s_waitcnt lgkmcnt(0)
	v_mul_f64 v[6:7], v[196:197], v[200:201]
	v_fma_f64 v[6:7], v[194:195], v[198:199], -v[6:7]
	v_add_f64 v[8:9], v[4:5], v[6:7]
	scratch_load_dwordx4 v[4:7], off, off offset:80
	v_mul_f64 v[202:203], v[194:195], v[200:201]
	v_fmac_f64_e32 v[202:203], v[196:197], v[198:199]
	v_add_f64 v[144:145], v[144:145], v[202:203]
	s_waitcnt vmcnt(0)
	v_add_f64 v[4:5], v[4:5], -v[8:9]
	v_add_f64 v[6:7], v[6:7], -v[144:145]
	scratch_store_dwordx4 off, v[4:7], off offset:80
	s_and_saveexec_b64 s[2:3], vcc
	s_cbranch_execz .LBB94_191
; %bb.190:
	scratch_load_dwordx4 v[6:9], off, s45
	v_mov_b32_e32 v3, v2
	v_mov_b32_e32 v4, v2
	;; [unrolled: 1-line block ×3, first 2 shown]
	scratch_store_dwordx4 off, v[2:5], off offset:64
	s_waitcnt vmcnt(1)
	ds_write_b128 v178, v[6:9]
.LBB94_191:
	s_or_b64 exec, exec, s[2:3]
	s_waitcnt lgkmcnt(0)
	; wave barrier
	ds_read_b128 v[16:19], v2 offset:576
	ds_read_b128 v[12:15], v2 offset:592
	;; [unrolled: 1-line block ×4, first 2 shown]
	scratch_load_dwordx4 v[20:23], off, off offset:80
	scratch_load_dwordx4 v[40:43], off, off offset:144
	;; [unrolled: 1-line block ×20, first 2 shown]
	v_cmp_lt_u32_e32 vcc, 3, v1
	scratch_load_dwordx4 v[48:51], off, off offset:160
	scratch_load_dwordx4 v[56:59], off, off offset:176
	;; [unrolled: 1-line block ×3, first 2 shown]
	ds_read_b128 v[246:249], v2 offset:960
	s_waitcnt vmcnt(22) lgkmcnt(4)
	v_mul_f64 v[24:25], v[16:17], v[22:23]
	v_fmac_f64_e32 v[24:25], v[18:19], v[20:21]
	v_add_f64 v[28:29], v[24:25], 0
	scratch_load_dwordx4 v[24:27], off, off offset:96
	s_waitcnt vmcnt(0) lgkmcnt(3)
	v_mul_f64 v[30:31], v[12:13], v[26:27]
	v_fmac_f64_e32 v[30:31], v[14:15], v[24:25]
	v_add_f64 v[32:33], v[28:29], v[30:31]
	scratch_load_dwordx4 v[28:31], off, off offset:112
	v_mul_f64 v[14:15], v[14:15], v[26:27]
	v_fma_f64 v[12:13], v[12:13], v[24:25], -v[14:15]
	s_waitcnt vmcnt(0) lgkmcnt(2)
	v_mul_f64 v[34:35], v[8:9], v[30:31]
	v_fmac_f64_e32 v[34:35], v[10:11], v[28:29]
	v_add_f64 v[36:37], v[32:33], v[34:35]
	scratch_load_dwordx4 v[32:35], off, off offset:128
	v_mul_f64 v[10:11], v[10:11], v[30:31]
	v_fma_f64 v[8:9], v[8:9], v[28:29], -v[10:11]
	s_waitcnt vmcnt(0) lgkmcnt(1)
	v_mul_f64 v[38:39], v[4:5], v[34:35]
	v_fmac_f64_e32 v[38:39], v[6:7], v[32:33]
	v_add_f64 v[44:45], v[36:37], v[38:39]
	ds_read_b128 v[36:39], v2 offset:640
	v_mul_f64 v[6:7], v[6:7], v[34:35]
	v_fma_f64 v[4:5], v[4:5], v[32:33], -v[6:7]
	s_waitcnt lgkmcnt(0)
	v_mul_f64 v[46:47], v[36:37], v[42:43]
	v_fmac_f64_e32 v[46:47], v[38:39], v[40:41]
	v_add_f64 v[52:53], v[44:45], v[46:47]
	ds_read_b128 v[44:47], v2 offset:656
	s_waitcnt lgkmcnt(0)
	v_mul_f64 v[54:55], v[44:45], v[50:51]
	v_fmac_f64_e32 v[54:55], v[46:47], v[48:49]
	v_add_f64 v[60:61], v[52:53], v[54:55]
	ds_read_b128 v[52:55], v2 offset:672
	;; [unrolled: 5-line block ×19, first 2 shown]
	s_waitcnt lgkmcnt(0)
	v_mul_f64 v[202:203], v[194:195], v[200:201]
	v_fmac_f64_e32 v[202:203], v[196:197], v[198:199]
	v_add_f64 v[168:169], v[168:169], v[202:203]
	v_mul_f64 v[202:203], v[246:247], v[252:253]
	v_fmac_f64_e32 v[202:203], v[248:249], v[250:251]
	v_add_f64 v[168:169], v[168:169], v[202:203]
	ds_read_b128 v[202:205], v2 offset:976
	s_waitcnt lgkmcnt(0)
	v_mul_f64 v[2:3], v[202:203], v[208:209]
	v_fmac_f64_e32 v[2:3], v[204:205], v[206:207]
	v_add_f64 v[168:169], v[168:169], v[2:3]
	v_mul_f64 v[2:3], v[18:19], v[22:23]
	v_fma_f64 v[2:3], v[16:17], v[20:21], -v[2:3]
	v_add_f64 v[2:3], v[2:3], 0
	v_add_f64 v[2:3], v[2:3], v[12:13]
	;; [unrolled: 1-line block ×4, first 2 shown]
	v_mul_f64 v[4:5], v[38:39], v[42:43]
	v_fma_f64 v[4:5], v[36:37], v[40:41], -v[4:5]
	v_add_f64 v[2:3], v[2:3], v[4:5]
	v_mul_f64 v[4:5], v[46:47], v[50:51]
	v_fma_f64 v[4:5], v[44:45], v[48:49], -v[4:5]
	v_add_f64 v[2:3], v[2:3], v[4:5]
	;; [unrolled: 3-line block ×22, first 2 shown]
	scratch_load_dwordx4 v[2:5], off, off offset:64
	s_waitcnt vmcnt(0)
	v_add_f64 v[2:3], v[2:3], -v[6:7]
	v_add_f64 v[4:5], v[4:5], -v[168:169]
	scratch_store_dwordx4 off, v[2:5], off offset:64
	s_and_saveexec_b64 s[2:3], vcc
	s_cbranch_execz .LBB94_193
; %bb.192:
	scratch_load_dwordx4 v[2:5], off, s46
	v_mov_b32_e32 v6, 0
	v_mov_b32_e32 v7, v6
	;; [unrolled: 1-line block ×4, first 2 shown]
	scratch_store_dwordx4 off, v[6:9], off offset:48
	s_waitcnt vmcnt(1)
	ds_write_b128 v178, v[2:5]
.LBB94_193:
	s_or_b64 exec, exec, s[2:3]
	v_mov_b32_e32 v2, 0
	s_waitcnt lgkmcnt(0)
	; wave barrier
	ds_read_b128 v[16:19], v2 offset:560
	ds_read_b128 v[12:15], v2 offset:576
	;; [unrolled: 1-line block ×4, first 2 shown]
	scratch_load_dwordx4 v[20:23], off, off offset:64
	scratch_load_dwordx4 v[40:43], off, off offset:128
	;; [unrolled: 1-line block ×21, first 2 shown]
	v_cmp_lt_u32_e32 vcc, 2, v1
	scratch_load_dwordx4 v[48:51], off, off offset:144
	scratch_load_dwordx4 v[56:59], off, off offset:160
	;; [unrolled: 1-line block ×3, first 2 shown]
	ds_read_b128 v[246:249], v2 offset:960
	s_waitcnt vmcnt(23) lgkmcnt(4)
	v_mul_f64 v[24:25], v[16:17], v[22:23]
	v_fmac_f64_e32 v[24:25], v[18:19], v[20:21]
	v_add_f64 v[28:29], v[24:25], 0
	scratch_load_dwordx4 v[24:27], off, off offset:80
	v_mul_f64 v[18:19], v[18:19], v[22:23]
	v_fma_f64 v[16:17], v[16:17], v[20:21], -v[18:19]
	v_add_f64 v[16:17], v[16:17], 0
	s_waitcnt vmcnt(0) lgkmcnt(3)
	v_mul_f64 v[30:31], v[12:13], v[26:27]
	v_fmac_f64_e32 v[30:31], v[14:15], v[24:25]
	v_add_f64 v[32:33], v[28:29], v[30:31]
	scratch_load_dwordx4 v[28:31], off, off offset:96
	v_mul_f64 v[14:15], v[14:15], v[26:27]
	v_fma_f64 v[12:13], v[12:13], v[24:25], -v[14:15]
	v_add_f64 v[12:13], v[16:17], v[12:13]
	;; [unrolled: 8-line block ×3, first 2 shown]
	s_waitcnt vmcnt(0) lgkmcnt(1)
	v_mul_f64 v[38:39], v[4:5], v[34:35]
	v_fmac_f64_e32 v[38:39], v[6:7], v[32:33]
	v_add_f64 v[44:45], v[36:37], v[38:39]
	ds_read_b128 v[36:39], v2 offset:624
	v_mul_f64 v[6:7], v[6:7], v[34:35]
	v_fma_f64 v[4:5], v[4:5], v[32:33], -v[6:7]
	v_add_f64 v[4:5], v[8:9], v[4:5]
	s_waitcnt lgkmcnt(0)
	v_mul_f64 v[46:47], v[36:37], v[42:43]
	v_fmac_f64_e32 v[46:47], v[38:39], v[40:41]
	v_add_f64 v[52:53], v[44:45], v[46:47]
	ds_read_b128 v[44:47], v2 offset:640
	v_mul_f64 v[6:7], v[38:39], v[42:43]
	v_fma_f64 v[6:7], v[36:37], v[40:41], -v[6:7]
	v_add_f64 v[4:5], v[4:5], v[6:7]
	s_waitcnt lgkmcnt(0)
	;; [unrolled: 8-line block ×21, first 2 shown]
	v_mul_f64 v[210:211], v[202:203], v[208:209]
	v_fmac_f64_e32 v[210:211], v[204:205], v[206:207]
	v_add_f64 v[160:161], v[160:161], v[210:211]
	v_mul_f64 v[210:211], v[246:247], v[252:253]
	v_fmac_f64_e32 v[210:211], v[248:249], v[250:251]
	v_add_f64 v[160:161], v[160:161], v[210:211]
	ds_read_b128 v[210:213], v2 offset:976
	v_mul_f64 v[6:7], v[204:205], v[208:209]
	v_fma_f64 v[6:7], v[202:203], v[206:207], -v[6:7]
	v_add_f64 v[4:5], v[4:5], v[6:7]
	v_mul_f64 v[6:7], v[248:249], v[252:253]
	v_fma_f64 v[6:7], v[246:247], v[250:251], -v[6:7]
	v_add_f64 v[4:5], v[4:5], v[6:7]
	s_waitcnt lgkmcnt(0)
	v_mul_f64 v[6:7], v[212:213], v[216:217]
	v_fma_f64 v[6:7], v[210:211], v[214:215], -v[6:7]
	v_add_f64 v[8:9], v[4:5], v[6:7]
	scratch_load_dwordx4 v[4:7], off, off offset:48
	v_mul_f64 v[218:219], v[210:211], v[216:217]
	v_fmac_f64_e32 v[218:219], v[212:213], v[214:215]
	v_add_f64 v[160:161], v[160:161], v[218:219]
	s_waitcnt vmcnt(0)
	v_add_f64 v[4:5], v[4:5], -v[8:9]
	v_add_f64 v[6:7], v[6:7], -v[160:161]
	scratch_store_dwordx4 off, v[4:7], off offset:48
	s_and_saveexec_b64 s[2:3], vcc
	s_cbranch_execz .LBB94_195
; %bb.194:
	scratch_load_dwordx4 v[6:9], off, s47
	v_mov_b32_e32 v3, v2
	v_mov_b32_e32 v4, v2
	;; [unrolled: 1-line block ×3, first 2 shown]
	scratch_store_dwordx4 off, v[2:5], off offset:32
	s_waitcnt vmcnt(1)
	ds_write_b128 v178, v[6:9]
.LBB94_195:
	s_or_b64 exec, exec, s[2:3]
	s_waitcnt lgkmcnt(0)
	; wave barrier
	ds_read_b128 v[16:19], v2 offset:544
	ds_read_b128 v[12:15], v2 offset:560
	;; [unrolled: 1-line block ×4, first 2 shown]
	scratch_load_dwordx4 v[20:23], off, off offset:48
	scratch_load_dwordx4 v[40:43], off, off offset:112
	scratch_load_dwordx4 v[72:75], off, off offset:176
	scratch_load_dwordx4 v[80:83], off, off offset:192
	scratch_load_dwordx4 v[88:91], off, off offset:208
	scratch_load_dwordx4 v[96:99], off, off offset:224
	scratch_load_dwordx4 v[104:107], off, off offset:240
	scratch_load_dwordx4 v[112:115], off, off offset:256
	scratch_load_dwordx4 v[120:123], off, off offset:272
	scratch_load_dwordx4 v[128:131], off, off offset:288
	scratch_load_dwordx4 v[136:139], off, off offset:304
	scratch_load_dwordx4 v[144:147], off, off offset:320
	scratch_load_dwordx4 v[152:155], off, off offset:336
	scratch_load_dwordx4 v[160:163], off, off offset:352
	scratch_load_dwordx4 v[168:171], off, off offset:368
	scratch_load_dwordx4 v[180:183], off, off offset:384
	scratch_load_dwordx4 v[190:193], off, off offset:400
	scratch_load_dwordx4 v[198:201], off, off offset:416
	scratch_load_dwordx4 v[206:209], off, off offset:432
	scratch_load_dwordx4 v[214:217], off, off offset:448
	scratch_load_dwordx4 v[250:253], off, off offset:464
	scratch_load_dwordx4 v[222:225], off, off offset:480
	v_cmp_lt_u32_e32 vcc, 1, v1
	scratch_load_dwordx4 v[48:51], off, off offset:128
	scratch_load_dwordx4 v[56:59], off, off offset:144
	scratch_load_dwordx4 v[64:67], off, off offset:160
	ds_read_b128 v[246:249], v2 offset:960
	s_waitcnt vmcnt(24) lgkmcnt(4)
	v_mul_f64 v[24:25], v[16:17], v[22:23]
	v_fmac_f64_e32 v[24:25], v[18:19], v[20:21]
	v_add_f64 v[28:29], v[24:25], 0
	scratch_load_dwordx4 v[24:27], off, off offset:64
	s_waitcnt vmcnt(0) lgkmcnt(3)
	v_mul_f64 v[30:31], v[12:13], v[26:27]
	v_fmac_f64_e32 v[30:31], v[14:15], v[24:25]
	v_add_f64 v[32:33], v[28:29], v[30:31]
	scratch_load_dwordx4 v[28:31], off, off offset:80
	v_mul_f64 v[14:15], v[14:15], v[26:27]
	v_fma_f64 v[12:13], v[12:13], v[24:25], -v[14:15]
	s_waitcnt vmcnt(0) lgkmcnt(2)
	v_mul_f64 v[34:35], v[8:9], v[30:31]
	v_fmac_f64_e32 v[34:35], v[10:11], v[28:29]
	v_add_f64 v[36:37], v[32:33], v[34:35]
	scratch_load_dwordx4 v[32:35], off, off offset:96
	v_mul_f64 v[10:11], v[10:11], v[30:31]
	v_fma_f64 v[8:9], v[8:9], v[28:29], -v[10:11]
	s_waitcnt vmcnt(0) lgkmcnt(1)
	v_mul_f64 v[38:39], v[4:5], v[34:35]
	v_fmac_f64_e32 v[38:39], v[6:7], v[32:33]
	v_add_f64 v[44:45], v[36:37], v[38:39]
	ds_read_b128 v[36:39], v2 offset:608
	v_mul_f64 v[6:7], v[6:7], v[34:35]
	v_fma_f64 v[4:5], v[4:5], v[32:33], -v[6:7]
	s_waitcnt lgkmcnt(0)
	v_mul_f64 v[46:47], v[36:37], v[42:43]
	v_fmac_f64_e32 v[46:47], v[38:39], v[40:41]
	v_add_f64 v[52:53], v[44:45], v[46:47]
	ds_read_b128 v[44:47], v2 offset:624
	s_waitcnt lgkmcnt(0)
	v_mul_f64 v[54:55], v[44:45], v[50:51]
	v_fmac_f64_e32 v[54:55], v[46:47], v[48:49]
	v_add_f64 v[60:61], v[52:53], v[54:55]
	ds_read_b128 v[52:55], v2 offset:640
	;; [unrolled: 5-line block ×21, first 2 shown]
	s_waitcnt lgkmcnt(0)
	v_mul_f64 v[218:219], v[210:211], v[216:217]
	v_fmac_f64_e32 v[218:219], v[212:213], v[214:215]
	v_add_f64 v[176:177], v[176:177], v[218:219]
	v_mul_f64 v[218:219], v[246:247], v[252:253]
	v_fmac_f64_e32 v[218:219], v[248:249], v[250:251]
	v_add_f64 v[176:177], v[176:177], v[218:219]
	ds_read_b128 v[218:221], v2 offset:976
	s_waitcnt lgkmcnt(0)
	v_mul_f64 v[2:3], v[218:219], v[224:225]
	v_fmac_f64_e32 v[2:3], v[220:221], v[222:223]
	v_add_f64 v[176:177], v[176:177], v[2:3]
	v_mul_f64 v[2:3], v[18:19], v[22:23]
	v_fma_f64 v[2:3], v[16:17], v[20:21], -v[2:3]
	v_add_f64 v[2:3], v[2:3], 0
	v_add_f64 v[2:3], v[2:3], v[12:13]
	;; [unrolled: 1-line block ×4, first 2 shown]
	v_mul_f64 v[4:5], v[38:39], v[42:43]
	v_fma_f64 v[4:5], v[36:37], v[40:41], -v[4:5]
	v_add_f64 v[2:3], v[2:3], v[4:5]
	v_mul_f64 v[4:5], v[46:47], v[50:51]
	v_fma_f64 v[4:5], v[44:45], v[48:49], -v[4:5]
	v_add_f64 v[2:3], v[2:3], v[4:5]
	;; [unrolled: 3-line block ×24, first 2 shown]
	scratch_load_dwordx4 v[2:5], off, off offset:32
	s_waitcnt vmcnt(0)
	v_add_f64 v[2:3], v[2:3], -v[6:7]
	v_add_f64 v[4:5], v[4:5], -v[176:177]
	scratch_store_dwordx4 off, v[2:5], off offset:32
	s_and_saveexec_b64 s[2:3], vcc
	s_cbranch_execz .LBB94_197
; %bb.196:
	scratch_load_dwordx4 v[2:5], off, s48
	v_mov_b32_e32 v6, 0
	v_mov_b32_e32 v7, v6
	;; [unrolled: 1-line block ×4, first 2 shown]
	scratch_store_dwordx4 off, v[6:9], off offset:16
	s_waitcnt vmcnt(1)
	ds_write_b128 v178, v[2:5]
.LBB94_197:
	s_or_b64 exec, exec, s[2:3]
	v_mov_b32_e32 v2, 0
	s_waitcnt lgkmcnt(0)
	; wave barrier
	ds_read_b128 v[16:19], v2 offset:528
	ds_read_b128 v[12:15], v2 offset:544
	;; [unrolled: 1-line block ×4, first 2 shown]
	scratch_load_dwordx4 v[20:23], off, off offset:32
	scratch_load_dwordx4 v[40:43], off, off offset:96
	;; [unrolled: 1-line block ×23, first 2 shown]
	v_cmp_ne_u32_e32 vcc, 0, v1
	scratch_load_dwordx4 v[48:51], off, off offset:112
	scratch_load_dwordx4 v[56:59], off, off offset:128
	;; [unrolled: 1-line block ×3, first 2 shown]
	ds_read_b128 v[246:249], v2 offset:960
	s_waitcnt vmcnt(25) lgkmcnt(4)
	v_mul_f64 v[24:25], v[16:17], v[22:23]
	v_fmac_f64_e32 v[24:25], v[18:19], v[20:21]
	v_add_f64 v[28:29], v[24:25], 0
	scratch_load_dwordx4 v[24:27], off, off offset:48
	v_mul_f64 v[18:19], v[18:19], v[22:23]
	v_fma_f64 v[16:17], v[16:17], v[20:21], -v[18:19]
	v_add_f64 v[16:17], v[16:17], 0
	s_waitcnt vmcnt(0) lgkmcnt(3)
	v_mul_f64 v[30:31], v[12:13], v[26:27]
	v_fmac_f64_e32 v[30:31], v[14:15], v[24:25]
	v_add_f64 v[32:33], v[28:29], v[30:31]
	scratch_load_dwordx4 v[28:31], off, off offset:64
	v_mul_f64 v[14:15], v[14:15], v[26:27]
	v_fma_f64 v[12:13], v[12:13], v[24:25], -v[14:15]
	v_add_f64 v[12:13], v[16:17], v[12:13]
	;; [unrolled: 8-line block ×3, first 2 shown]
	s_waitcnt vmcnt(0) lgkmcnt(1)
	v_mul_f64 v[38:39], v[4:5], v[34:35]
	v_fmac_f64_e32 v[38:39], v[6:7], v[32:33]
	v_add_f64 v[44:45], v[36:37], v[38:39]
	ds_read_b128 v[36:39], v2 offset:592
	v_mul_f64 v[6:7], v[6:7], v[34:35]
	v_fma_f64 v[4:5], v[4:5], v[32:33], -v[6:7]
	v_add_f64 v[4:5], v[8:9], v[4:5]
	s_waitcnt lgkmcnt(0)
	v_mul_f64 v[46:47], v[36:37], v[42:43]
	v_fmac_f64_e32 v[46:47], v[38:39], v[40:41]
	v_add_f64 v[52:53], v[44:45], v[46:47]
	ds_read_b128 v[44:47], v2 offset:608
	v_mul_f64 v[6:7], v[38:39], v[42:43]
	v_fma_f64 v[6:7], v[36:37], v[40:41], -v[6:7]
	v_add_f64 v[4:5], v[4:5], v[6:7]
	s_waitcnt lgkmcnt(0)
	;; [unrolled: 8-line block ×23, first 2 shown]
	v_mul_f64 v[226:227], v[218:219], v[224:225]
	v_fmac_f64_e32 v[226:227], v[220:221], v[222:223]
	v_add_f64 v[176:177], v[176:177], v[226:227]
	v_mul_f64 v[226:227], v[246:247], v[252:253]
	v_fmac_f64_e32 v[226:227], v[248:249], v[250:251]
	v_add_f64 v[176:177], v[176:177], v[226:227]
	ds_read_b128 v[226:229], v2 offset:976
	v_mul_f64 v[6:7], v[220:221], v[224:225]
	v_fma_f64 v[6:7], v[218:219], v[222:223], -v[6:7]
	v_add_f64 v[4:5], v[4:5], v[6:7]
	v_mul_f64 v[6:7], v[248:249], v[252:253]
	v_fma_f64 v[6:7], v[246:247], v[250:251], -v[6:7]
	v_add_f64 v[4:5], v[4:5], v[6:7]
	s_waitcnt lgkmcnt(0)
	v_mul_f64 v[6:7], v[228:229], v[232:233]
	v_fma_f64 v[6:7], v[226:227], v[230:231], -v[6:7]
	v_add_f64 v[8:9], v[4:5], v[6:7]
	scratch_load_dwordx4 v[4:7], off, off offset:16
	v_mul_f64 v[234:235], v[226:227], v[232:233]
	v_fmac_f64_e32 v[234:235], v[228:229], v[230:231]
	v_add_f64 v[176:177], v[176:177], v[234:235]
	s_waitcnt vmcnt(0)
	v_add_f64 v[4:5], v[4:5], -v[8:9]
	v_add_f64 v[6:7], v[6:7], -v[176:177]
	scratch_store_dwordx4 off, v[4:7], off offset:16
	s_and_saveexec_b64 s[2:3], vcc
	s_cbranch_execz .LBB94_199
; %bb.198:
	scratch_load_dwordx4 v[6:9], off, off
	v_mov_b32_e32 v3, v2
	v_mov_b32_e32 v4, v2
	;; [unrolled: 1-line block ×3, first 2 shown]
	scratch_store_dwordx4 off, v[2:5], off
	s_waitcnt vmcnt(1)
	ds_write_b128 v178, v[6:9]
.LBB94_199:
	s_or_b64 exec, exec, s[2:3]
	s_waitcnt lgkmcnt(0)
	; wave barrier
	ds_read_b128 v[16:19], v2 offset:512
	ds_read_b128 v[12:15], v2 offset:528
	;; [unrolled: 1-line block ×4, first 2 shown]
	scratch_load_dwordx4 v[20:23], off, off offset:16
	scratch_load_dwordx4 v[40:43], off, off offset:80
	;; [unrolled: 1-line block ×23, first 2 shown]
	s_and_b64 vcc, exec, s[14:15]
	scratch_load_dwordx4 v[48:51], off, off offset:96
	scratch_load_dwordx4 v[56:59], off, off offset:112
	;; [unrolled: 1-line block ×3, first 2 shown]
	ds_read_b128 v[252:255], v2 offset:976
	s_waitcnt vmcnt(25) lgkmcnt(4)
	v_mul_f64 v[24:25], v[16:17], v[22:23]
	v_fmac_f64_e32 v[24:25], v[18:19], v[20:21]
	v_add_f64 v[28:29], v[24:25], 0
	scratch_load_dwordx4 v[24:27], off, off offset:32
	s_waitcnt vmcnt(0) lgkmcnt(3)
	v_mul_f64 v[30:31], v[12:13], v[26:27]
	v_fmac_f64_e32 v[30:31], v[14:15], v[24:25]
	v_add_f64 v[32:33], v[28:29], v[30:31]
	scratch_load_dwordx4 v[28:31], off, off offset:48
	v_mul_f64 v[14:15], v[14:15], v[26:27]
	v_fma_f64 v[12:13], v[12:13], v[24:25], -v[14:15]
	s_waitcnt vmcnt(0) lgkmcnt(2)
	v_mul_f64 v[34:35], v[8:9], v[30:31]
	v_fmac_f64_e32 v[34:35], v[10:11], v[28:29]
	v_add_f64 v[36:37], v[32:33], v[34:35]
	scratch_load_dwordx4 v[32:35], off, off offset:64
	v_mul_f64 v[10:11], v[10:11], v[30:31]
	v_fma_f64 v[8:9], v[8:9], v[28:29], -v[10:11]
	s_waitcnt vmcnt(0) lgkmcnt(1)
	v_mul_f64 v[38:39], v[4:5], v[34:35]
	v_fmac_f64_e32 v[38:39], v[6:7], v[32:33]
	v_add_f64 v[44:45], v[36:37], v[38:39]
	ds_read_b128 v[36:39], v2 offset:576
	v_mul_f64 v[6:7], v[6:7], v[34:35]
	v_fma_f64 v[4:5], v[4:5], v[32:33], -v[6:7]
	s_waitcnt lgkmcnt(0)
	v_mul_f64 v[46:47], v[36:37], v[42:43]
	v_fmac_f64_e32 v[46:47], v[38:39], v[40:41]
	v_add_f64 v[52:53], v[44:45], v[46:47]
	ds_read_b128 v[44:47], v2 offset:592
	s_waitcnt lgkmcnt(0)
	v_mul_f64 v[54:55], v[44:45], v[50:51]
	v_fmac_f64_e32 v[54:55], v[46:47], v[48:49]
	v_add_f64 v[60:61], v[52:53], v[54:55]
	ds_read_b128 v[52:55], v2 offset:608
	;; [unrolled: 5-line block ×24, first 2 shown]
	s_waitcnt lgkmcnt(0)
	v_mul_f64 v[236:237], v[230:231], v[250:251]
	v_fmac_f64_e32 v[236:237], v[232:233], v[248:249]
	v_add_f64 v[246:247], v[234:235], v[236:237]
	scratch_load_dwordx4 v[234:237], off, off offset:480
	s_waitcnt vmcnt(0)
	v_mul_f64 v[2:3], v[252:253], v[236:237]
	v_fmac_f64_e32 v[2:3], v[254:255], v[234:235]
	v_add_f64 v[246:247], v[246:247], v[2:3]
	v_mul_f64 v[2:3], v[18:19], v[22:23]
	v_fma_f64 v[2:3], v[16:17], v[20:21], -v[2:3]
	v_add_f64 v[2:3], v[2:3], 0
	v_add_f64 v[2:3], v[2:3], v[12:13]
	v_add_f64 v[2:3], v[2:3], v[8:9]
	v_add_f64 v[2:3], v[2:3], v[4:5]
	v_mul_f64 v[4:5], v[38:39], v[42:43]
	v_fma_f64 v[4:5], v[36:37], v[40:41], -v[4:5]
	v_add_f64 v[2:3], v[2:3], v[4:5]
	v_mul_f64 v[4:5], v[46:47], v[50:51]
	v_fma_f64 v[4:5], v[44:45], v[48:49], -v[4:5]
	v_add_f64 v[2:3], v[2:3], v[4:5]
	;; [unrolled: 3-line block ×26, first 2 shown]
	scratch_load_dwordx4 v[2:5], off, off
	s_waitcnt vmcnt(0)
	v_add_f64 v[2:3], v[2:3], -v[6:7]
	v_add_f64 v[4:5], v[4:5], -v[246:247]
	scratch_store_dwordx4 off, v[2:5], off
	s_cbranch_vccz .LBB94_260
; %bb.200:
	s_nop 0
	v_mov_b32_e32 v2, 0
	global_load_dword v3, v2, s[12:13] offset:116
	s_load_dwordx2 s[2:3], s[0:1], 0x4
	v_bfe_u32 v4, v0, 10, 10
	v_bfe_u32 v0, v0, 20, 10
	s_waitcnt lgkmcnt(0)
	s_lshr_b32 s0, s2, 16
	s_mul_i32 s0, s0, s3
	v_mul_u32_u24_e32 v1, s0, v1
	v_mul_u32_u24_e32 v4, s3, v4
	v_add3_u32 v0, v1, v4, v0
	v_mov_b32_e32 v1, 0x3e8
	v_lshl_add_u32 v0, v0, 4, v1
	s_waitcnt vmcnt(0)
	v_readfirstlane_b32 s0, v3
	s_add_i32 s0, s0, -1
	s_cmp_lg_u32 s0, 29
	s_cbranch_scc0 .LBB94_202
; %bb.201:
	s_lshl_b32 s0, s0, 4
	scratch_load_dwordx4 v[4:7], off, s19
	scratch_load_dwordx4 v[8:11], off, s0
	s_waitcnt vmcnt(1)
	ds_write2_b64 v0, v[4:5], v[6:7] offset1:1
	s_waitcnt vmcnt(0)
	scratch_store_dwordx4 off, v[8:11], s19
	scratch_store_dwordx4 off, v[4:7], s0
.LBB94_202:
	global_load_dword v1, v2, s[12:13] offset:112
	s_waitcnt vmcnt(0)
	v_readfirstlane_b32 s0, v1
	s_add_i32 s0, s0, -1
	s_cmp_eq_u32 s0, 28
	s_cbranch_scc1 .LBB94_204
; %bb.203:
	s_lshl_b32 s0, s0, 4
	scratch_load_dwordx4 v[2:5], off, s20
	scratch_load_dwordx4 v[6:9], off, s0
	s_waitcnt vmcnt(1)
	ds_write2_b64 v0, v[2:3], v[4:5] offset1:1
	s_waitcnt vmcnt(0)
	scratch_store_dwordx4 off, v[6:9], s20
	scratch_store_dwordx4 off, v[2:5], s0
.LBB94_204:
	v_mov_b32_e32 v1, 0
	global_load_dword v2, v1, s[12:13] offset:108
	s_waitcnt vmcnt(0)
	v_readfirstlane_b32 s0, v2
	s_add_i32 s0, s0, -1
	s_cmp_eq_u32 s0, 27
	s_cbranch_scc1 .LBB94_206
; %bb.205:
	s_lshl_b32 s0, s0, 4
	scratch_load_dwordx4 v[2:5], off, s21
	scratch_load_dwordx4 v[6:9], off, s0
	s_waitcnt vmcnt(1)
	ds_write2_b64 v0, v[2:3], v[4:5] offset1:1
	s_waitcnt vmcnt(0)
	scratch_store_dwordx4 off, v[6:9], s21
	scratch_store_dwordx4 off, v[2:5], s0
.LBB94_206:
	global_load_dword v1, v1, s[12:13] offset:104
	s_waitcnt vmcnt(0)
	v_readfirstlane_b32 s0, v1
	s_add_i32 s0, s0, -1
	s_cmp_eq_u32 s0, 26
	s_cbranch_scc1 .LBB94_208
; %bb.207:
	s_lshl_b32 s0, s0, 4
	scratch_load_dwordx4 v[2:5], off, s22
	scratch_load_dwordx4 v[6:9], off, s0
	s_waitcnt vmcnt(1)
	ds_write2_b64 v0, v[2:3], v[4:5] offset1:1
	s_waitcnt vmcnt(0)
	scratch_store_dwordx4 off, v[6:9], s22
	scratch_store_dwordx4 off, v[2:5], s0
.LBB94_208:
	v_mov_b32_e32 v1, 0
	global_load_dword v2, v1, s[12:13] offset:100
	s_waitcnt vmcnt(0)
	v_readfirstlane_b32 s0, v2
	s_add_i32 s0, s0, -1
	s_cmp_eq_u32 s0, 25
	s_cbranch_scc1 .LBB94_210
; %bb.209:
	s_lshl_b32 s0, s0, 4
	scratch_load_dwordx4 v[2:5], off, s23
	scratch_load_dwordx4 v[6:9], off, s0
	s_waitcnt vmcnt(1)
	ds_write2_b64 v0, v[2:3], v[4:5] offset1:1
	s_waitcnt vmcnt(0)
	scratch_store_dwordx4 off, v[6:9], s23
	scratch_store_dwordx4 off, v[2:5], s0
.LBB94_210:
	;; [unrolled: 33-line block ×14, first 2 shown]
	global_load_dword v1, v1, s[12:13]
	s_waitcnt vmcnt(0)
	v_readfirstlane_b32 s0, v1
	s_add_i32 s0, s0, -1
	s_cmp_eq_u32 s0, 0
	s_cbranch_scc1 .LBB94_260
; %bb.259:
	s_lshl_b32 s0, s0, 4
	scratch_load_dwordx4 v[2:5], off, off
	scratch_load_dwordx4 v[6:9], off, s0
	s_waitcnt vmcnt(1)
	ds_write2_b64 v0, v[2:3], v[4:5] offset1:1
	s_waitcnt vmcnt(0)
	scratch_store_dwordx4 off, v[6:9], off
	scratch_store_dwordx4 off, v[2:5], s0
.LBB94_260:
	scratch_load_dwordx4 v[0:3], off, off
	s_nop 0
	v_accvgpr_read_b32 v5, a1
	v_accvgpr_read_b32 v4, a0
	s_waitcnt vmcnt(0)
	flat_store_dwordx4 v[184:185], v[0:3]
	scratch_load_dwordx4 v[0:3], off, s48
	s_waitcnt vmcnt(0)
	flat_store_dwordx4 v[4:5], v[0:3]
	scratch_load_dwordx4 v[0:3], off, s47
	v_accvgpr_read_b32 v5, a3
	v_accvgpr_read_b32 v4, a2
	s_waitcnt vmcnt(0)
	flat_store_dwordx4 v[4:5], v[0:3]
	scratch_load_dwordx4 v[0:3], off, s46
	v_accvgpr_read_b32 v4, a4
	v_accvgpr_read_b32 v5, a5
	;; [unrolled: 5-line block ×25, first 2 shown]
	s_waitcnt vmcnt(0)
	flat_store_dwordx4 v[4:5], v[0:3]
	scratch_load_dwordx4 v[0:3], off, s21
	s_waitcnt vmcnt(0)
	flat_store_dwordx4 v[238:239], v[0:3]
	scratch_load_dwordx4 v[0:3], off, s20
	s_waitcnt vmcnt(0)
	flat_store_dwordx4 v[240:241], v[0:3]
	scratch_load_dwordx4 v[0:3], off, s19
	s_waitcnt vmcnt(0)
	flat_store_dwordx4 v[242:243], v[0:3]
	scratch_load_dwordx4 v[0:3], off, s18
	s_waitcnt vmcnt(0)
	flat_store_dwordx4 v[244:245], v[0:3]
	s_endpgm
	.section	.rodata,"a",@progbits
	.p2align	6, 0x0
	.amdhsa_kernel _ZN9rocsolver6v33100L18getri_kernel_smallILi31E19rocblas_complex_numIdEPKPS3_EEvT1_iilPiilS8_bb
		.amdhsa_group_segment_fixed_size 2024
		.amdhsa_private_segment_fixed_size 512
		.amdhsa_kernarg_size 60
		.amdhsa_user_sgpr_count 4
		.amdhsa_user_sgpr_dispatch_ptr 1
		.amdhsa_user_sgpr_queue_ptr 0
		.amdhsa_user_sgpr_kernarg_segment_ptr 1
		.amdhsa_user_sgpr_dispatch_id 0
		.amdhsa_user_sgpr_kernarg_preload_length 0
		.amdhsa_user_sgpr_kernarg_preload_offset 0
		.amdhsa_user_sgpr_private_segment_size 0
		.amdhsa_uses_dynamic_stack 0
		.amdhsa_enable_private_segment 1
		.amdhsa_system_sgpr_workgroup_id_x 1
		.amdhsa_system_sgpr_workgroup_id_y 0
		.amdhsa_system_sgpr_workgroup_id_z 0
		.amdhsa_system_sgpr_workgroup_info 0
		.amdhsa_system_vgpr_workitem_id 2
		.amdhsa_next_free_vgpr 308
		.amdhsa_next_free_sgpr 58
		.amdhsa_accum_offset 256
		.amdhsa_reserve_vcc 1
		.amdhsa_float_round_mode_32 0
		.amdhsa_float_round_mode_16_64 0
		.amdhsa_float_denorm_mode_32 3
		.amdhsa_float_denorm_mode_16_64 3
		.amdhsa_dx10_clamp 1
		.amdhsa_ieee_mode 1
		.amdhsa_fp16_overflow 0
		.amdhsa_tg_split 0
		.amdhsa_exception_fp_ieee_invalid_op 0
		.amdhsa_exception_fp_denorm_src 0
		.amdhsa_exception_fp_ieee_div_zero 0
		.amdhsa_exception_fp_ieee_overflow 0
		.amdhsa_exception_fp_ieee_underflow 0
		.amdhsa_exception_fp_ieee_inexact 0
		.amdhsa_exception_int_div_zero 0
	.end_amdhsa_kernel
	.section	.text._ZN9rocsolver6v33100L18getri_kernel_smallILi31E19rocblas_complex_numIdEPKPS3_EEvT1_iilPiilS8_bb,"axG",@progbits,_ZN9rocsolver6v33100L18getri_kernel_smallILi31E19rocblas_complex_numIdEPKPS3_EEvT1_iilPiilS8_bb,comdat
.Lfunc_end94:
	.size	_ZN9rocsolver6v33100L18getri_kernel_smallILi31E19rocblas_complex_numIdEPKPS3_EEvT1_iilPiilS8_bb, .Lfunc_end94-_ZN9rocsolver6v33100L18getri_kernel_smallILi31E19rocblas_complex_numIdEPKPS3_EEvT1_iilPiilS8_bb
                                        ; -- End function
	.set _ZN9rocsolver6v33100L18getri_kernel_smallILi31E19rocblas_complex_numIdEPKPS3_EEvT1_iilPiilS8_bb.num_vgpr, 256
	.set _ZN9rocsolver6v33100L18getri_kernel_smallILi31E19rocblas_complex_numIdEPKPS3_EEvT1_iilPiilS8_bb.num_agpr, 52
	.set _ZN9rocsolver6v33100L18getri_kernel_smallILi31E19rocblas_complex_numIdEPKPS3_EEvT1_iilPiilS8_bb.numbered_sgpr, 58
	.set _ZN9rocsolver6v33100L18getri_kernel_smallILi31E19rocblas_complex_numIdEPKPS3_EEvT1_iilPiilS8_bb.num_named_barrier, 0
	.set _ZN9rocsolver6v33100L18getri_kernel_smallILi31E19rocblas_complex_numIdEPKPS3_EEvT1_iilPiilS8_bb.private_seg_size, 512
	.set _ZN9rocsolver6v33100L18getri_kernel_smallILi31E19rocblas_complex_numIdEPKPS3_EEvT1_iilPiilS8_bb.uses_vcc, 1
	.set _ZN9rocsolver6v33100L18getri_kernel_smallILi31E19rocblas_complex_numIdEPKPS3_EEvT1_iilPiilS8_bb.uses_flat_scratch, 0
	.set _ZN9rocsolver6v33100L18getri_kernel_smallILi31E19rocblas_complex_numIdEPKPS3_EEvT1_iilPiilS8_bb.has_dyn_sized_stack, 0
	.set _ZN9rocsolver6v33100L18getri_kernel_smallILi31E19rocblas_complex_numIdEPKPS3_EEvT1_iilPiilS8_bb.has_recursion, 0
	.set _ZN9rocsolver6v33100L18getri_kernel_smallILi31E19rocblas_complex_numIdEPKPS3_EEvT1_iilPiilS8_bb.has_indirect_call, 0
	.section	.AMDGPU.csdata,"",@progbits
; Kernel info:
; codeLenInByte = 45424
; TotalNumSgprs: 64
; NumVgprs: 256
; NumAgprs: 52
; TotalNumVgprs: 308
; ScratchSize: 512
; MemoryBound: 0
; FloatMode: 240
; IeeeMode: 1
; LDSByteSize: 2024 bytes/workgroup (compile time only)
; SGPRBlocks: 7
; VGPRBlocks: 38
; NumSGPRsForWavesPerEU: 64
; NumVGPRsForWavesPerEU: 308
; AccumOffset: 256
; Occupancy: 1
; WaveLimiterHint : 1
; COMPUTE_PGM_RSRC2:SCRATCH_EN: 1
; COMPUTE_PGM_RSRC2:USER_SGPR: 4
; COMPUTE_PGM_RSRC2:TRAP_HANDLER: 0
; COMPUTE_PGM_RSRC2:TGID_X_EN: 1
; COMPUTE_PGM_RSRC2:TGID_Y_EN: 0
; COMPUTE_PGM_RSRC2:TGID_Z_EN: 0
; COMPUTE_PGM_RSRC2:TIDIG_COMP_CNT: 2
; COMPUTE_PGM_RSRC3_GFX90A:ACCUM_OFFSET: 63
; COMPUTE_PGM_RSRC3_GFX90A:TG_SPLIT: 0
	.section	.text._ZN9rocsolver6v33100L18getri_kernel_smallILi32E19rocblas_complex_numIdEPKPS3_EEvT1_iilPiilS8_bb,"axG",@progbits,_ZN9rocsolver6v33100L18getri_kernel_smallILi32E19rocblas_complex_numIdEPKPS3_EEvT1_iilPiilS8_bb,comdat
	.globl	_ZN9rocsolver6v33100L18getri_kernel_smallILi32E19rocblas_complex_numIdEPKPS3_EEvT1_iilPiilS8_bb ; -- Begin function _ZN9rocsolver6v33100L18getri_kernel_smallILi32E19rocblas_complex_numIdEPKPS3_EEvT1_iilPiilS8_bb
	.p2align	8
	.type	_ZN9rocsolver6v33100L18getri_kernel_smallILi32E19rocblas_complex_numIdEPKPS3_EEvT1_iilPiilS8_bb,@function
_ZN9rocsolver6v33100L18getri_kernel_smallILi32E19rocblas_complex_numIdEPKPS3_EEvT1_iilPiilS8_bb: ; @_ZN9rocsolver6v33100L18getri_kernel_smallILi32E19rocblas_complex_numIdEPKPS3_EEvT1_iilPiilS8_bb
; %bb.0:
	v_and_b32_e32 v1, 0x3ff, v0
	v_cmp_gt_u32_e32 vcc, 32, v1
	s_and_saveexec_b64 s[6:7], vcc
	s_cbranch_execz .LBB95_142
; %bb.1:
	s_load_dword s18, s[2:3], 0x38
	s_load_dwordx2 s[6:7], s[2:3], 0x0
	s_load_dwordx4 s[8:11], s[2:3], 0x28
	s_waitcnt lgkmcnt(0)
	s_bitcmp1_b32 s18, 8
	s_cselect_b64 s[14:15], -1, 0
	s_ashr_i32 s5, s4, 31
	s_lshl_b64 s[12:13], s[4:5], 3
	s_add_u32 s6, s6, s12
	s_addc_u32 s7, s7, s13
	s_load_dwordx2 s[16:17], s[6:7], 0x0
	s_bfe_u32 s6, s18, 0x10008
	s_cmp_eq_u32 s6, 0
                                        ; implicit-def: $sgpr12_sgpr13
	s_cbranch_scc1 .LBB95_3
; %bb.2:
	s_load_dword s6, s[2:3], 0x20
	s_load_dwordx2 s[12:13], s[2:3], 0x18
	s_mul_i32 s7, s8, s5
	s_mul_hi_u32 s18, s8, s4
	s_add_i32 s18, s18, s7
	s_mul_i32 s9, s9, s4
	s_add_i32 s9, s18, s9
	s_mul_i32 s8, s8, s4
	s_waitcnt lgkmcnt(0)
	s_ashr_i32 s7, s6, 31
	s_lshl_b64 s[8:9], s[8:9], 2
	s_add_u32 s8, s12, s8
	s_addc_u32 s9, s13, s9
	s_lshl_b64 s[6:7], s[6:7], 2
	s_add_u32 s12, s8, s6
	s_addc_u32 s13, s9, s7
.LBB95_3:
	s_load_dwordx2 s[6:7], s[2:3], 0x8
	s_load_dword s8, s[2:3], 0x38
	v_lshlrev_b32_e32 v14, 4, v1
	v_mov_b32_e32 v15, 0
	s_movk_i32 s50, 0x160
	s_waitcnt lgkmcnt(0)
	s_ashr_i32 s3, s6, 31
	s_mov_b32 s2, s6
	s_lshl_b64 s[2:3], s[2:3], 4
	s_add_u32 s2, s16, s2
	s_addc_u32 s3, s17, s3
	v_lshl_add_u64 v[184:185], s[2:3], 0, v[14:15]
	flat_load_dwordx4 v[2:5], v[184:185]
	s_mov_b32 s16, s7
	s_ashr_i32 s17, s7, 31
	v_lshl_add_u64 v[6:7], s[16:17], 4, v[184:185]
	v_accvgpr_write_b32 a0, v6
	s_add_i32 s6, s7, s7
	v_accvgpr_write_b32 a1, v7
	s_movk_i32 s51, 0x170
	s_movk_i32 s52, 0x180
	;; [unrolled: 1-line block ×26, first 2 shown]
	s_mov_b32 s49, 16
	s_mov_b32 s48, 32
	;; [unrolled: 1-line block ×14, first 2 shown]
	s_bitcmp0_b32 s8, 0
	s_waitcnt vmcnt(0) lgkmcnt(0)
	scratch_store_dwordx4 off, v[2:5], off
	flat_load_dwordx4 v[2:5], v[6:7]
	v_add_u32_e32 v6, s6, v1
	v_ashrrev_i32_e32 v7, 31, v6
	v_lshl_add_u64 v[8:9], v[6:7], 4, s[2:3]
	v_add_u32_e32 v6, s7, v6
	v_accvgpr_write_b32 a2, v8
	v_ashrrev_i32_e32 v7, 31, v6
	v_accvgpr_write_b32 a3, v9
	s_waitcnt vmcnt(0) lgkmcnt(0)
	scratch_store_dwordx4 off, v[2:5], off offset:16
	flat_load_dwordx4 v[2:5], v[8:9]
	v_lshl_add_u64 v[8:9], v[6:7], 4, s[2:3]
	v_add_u32_e32 v6, s7, v6
	v_accvgpr_write_b32 a4, v8
	v_ashrrev_i32_e32 v7, 31, v6
	v_accvgpr_write_b32 a5, v9
	s_waitcnt vmcnt(0) lgkmcnt(0)
	scratch_store_dwordx4 off, v[2:5], off offset:32
	flat_load_dwordx4 v[2:5], v[8:9]
	;; [unrolled: 8-line block ×26, first 2 shown]
	v_lshl_add_u64 v[8:9], v[6:7], 4, s[2:3]
	v_add_u32_e32 v6, s7, v6
	v_ashrrev_i32_e32 v7, 31, v6
	v_lshl_add_u64 v[242:243], v[6:7], 4, s[2:3]
	v_add_u32_e32 v6, s7, v6
	v_ashrrev_i32_e32 v7, 31, v6
	;; [unrolled: 3-line block ×3, first 2 shown]
	v_lshl_add_u64 v[246:247], v[6:7], 4, s[2:3]
	v_accvgpr_write_b32 a55, v9
	v_accvgpr_write_b32 a54, v8
	s_mov_b64 s[6:7], -1
	s_waitcnt vmcnt(0) lgkmcnt(0)
	scratch_store_dwordx4 off, v[2:5], off offset:432
	flat_load_dwordx4 v[2:5], v[8:9]
	s_waitcnt vmcnt(0) lgkmcnt(0)
	scratch_store_dwordx4 off, v[2:5], off offset:448
	flat_load_dwordx4 v[2:5], v[242:243]
	s_waitcnt vmcnt(0) lgkmcnt(0)
	scratch_store_dwordx4 off, v[2:5], off offset:464
	flat_load_dwordx4 v[2:5], v[244:245]
	s_waitcnt vmcnt(0) lgkmcnt(0)
	scratch_store_dwordx4 off, v[2:5], off offset:480
	flat_load_dwordx4 v[2:5], v[246:247]
	s_waitcnt vmcnt(0) lgkmcnt(0)
	scratch_store_dwordx4 off, v[2:5], off offset:496
	s_cbranch_scc1 .LBB95_140
; %bb.4:
	v_cmp_eq_u32_e64 s[2:3], 0, v1
	s_and_saveexec_b64 s[6:7], s[2:3]
; %bb.5:
	v_mov_b32_e32 v2, 0
	ds_write_b32 v2, v2 offset:1024
; %bb.6:
	s_or_b64 exec, exec, s[6:7]
	s_waitcnt lgkmcnt(0)
	; wave barrier
	scratch_load_dwordx4 v[2:5], v14, off
	s_waitcnt vmcnt(0)
	v_cmp_eq_f64_e32 vcc, 0, v[2:3]
	v_cmp_eq_f64_e64 s[6:7], 0, v[4:5]
	s_and_b64 s[6:7], vcc, s[6:7]
	s_and_saveexec_b64 s[8:9], s[6:7]
	s_cbranch_execz .LBB95_10
; %bb.7:
	v_mov_b32_e32 v2, 0
	ds_read_b32 v4, v2 offset:1024
	v_add_u32_e32 v3, 1, v1
	s_waitcnt lgkmcnt(0)
	v_readfirstlane_b32 s6, v4
	s_cmp_eq_u32 s6, 0
	s_cselect_b64 s[16:17], -1, 0
	v_cmp_gt_i32_e32 vcc, s6, v3
	s_or_b64 s[16:17], s[16:17], vcc
	s_and_b64 exec, exec, s[16:17]
	s_cbranch_execz .LBB95_10
; %bb.8:
	s_mov_b64 s[16:17], 0
	v_mov_b32_e32 v4, s6
.LBB95_9:                               ; =>This Inner Loop Header: Depth=1
	ds_cmpst_rtn_b32 v4, v2, v4, v3 offset:1024
	s_waitcnt lgkmcnt(0)
	v_cmp_ne_u32_e32 vcc, 0, v4
	v_cmp_le_i32_e64 s[6:7], v4, v3
	s_and_b64 s[6:7], vcc, s[6:7]
	s_and_b64 s[6:7], exec, s[6:7]
	s_or_b64 s[16:17], s[6:7], s[16:17]
	s_andn2_b64 exec, exec, s[16:17]
	s_cbranch_execnz .LBB95_9
.LBB95_10:
	s_or_b64 exec, exec, s[8:9]
	v_mov_b32_e32 v3, 0
	; wave barrier
	ds_read_b32 v2, v3 offset:1024
	s_and_saveexec_b64 s[6:7], s[2:3]
	s_cbranch_execz .LBB95_12
; %bb.11:
	s_lshl_b64 s[8:9], s[4:5], 2
	s_add_u32 s8, s10, s8
	s_addc_u32 s9, s11, s9
	s_waitcnt lgkmcnt(0)
	global_store_dword v3, v2, s[8:9]
.LBB95_12:
	s_or_b64 exec, exec, s[6:7]
	s_waitcnt lgkmcnt(0)
	v_cmp_ne_u32_e32 vcc, 0, v2
	s_mov_b64 s[6:7], 0
	s_cbranch_vccnz .LBB95_140
; %bb.13:
	v_mov_b32_e32 v15, v14
	scratch_load_dwordx4 v[2:5], v15, off
                                        ; implicit-def: $vgpr6_vgpr7
                                        ; implicit-def: $vgpr10_vgpr11
	s_waitcnt vmcnt(0)
	v_cmp_ngt_f64_e64 s[6:7], |v[2:3]|, |v[4:5]|
	s_and_saveexec_b64 s[8:9], s[6:7]
	s_xor_b64 s[6:7], exec, s[8:9]
	s_cbranch_execz .LBB95_15
; %bb.14:
	v_div_scale_f64 v[6:7], s[8:9], v[4:5], v[4:5], v[2:3]
	v_rcp_f64_e32 v[8:9], v[6:7]
	v_div_scale_f64 v[10:11], vcc, v[2:3], v[4:5], v[2:3]
	v_fma_f64 v[12:13], -v[6:7], v[8:9], 1.0
	v_fmac_f64_e32 v[8:9], v[8:9], v[12:13]
	v_fma_f64 v[12:13], -v[6:7], v[8:9], 1.0
	v_fmac_f64_e32 v[8:9], v[8:9], v[12:13]
	v_mul_f64 v[12:13], v[10:11], v[8:9]
	v_fma_f64 v[6:7], -v[6:7], v[12:13], v[10:11]
	v_div_fmas_f64 v[6:7], v[6:7], v[8:9], v[12:13]
	v_div_fixup_f64 v[6:7], v[6:7], v[4:5], v[2:3]
	v_fmac_f64_e32 v[4:5], v[2:3], v[6:7]
	v_div_scale_f64 v[2:3], s[8:9], v[4:5], v[4:5], 1.0
	v_rcp_f64_e32 v[8:9], v[2:3]
	s_nop 0
	v_fma_f64 v[10:11], -v[2:3], v[8:9], 1.0
	v_fmac_f64_e32 v[8:9], v[8:9], v[10:11]
	v_fma_f64 v[10:11], -v[2:3], v[8:9], 1.0
	v_fmac_f64_e32 v[8:9], v[8:9], v[10:11]
	v_div_scale_f64 v[10:11], vcc, 1.0, v[4:5], 1.0
	v_mul_f64 v[12:13], v[10:11], v[8:9]
	v_fma_f64 v[2:3], -v[2:3], v[12:13], v[10:11]
	s_nop 1
	v_div_fmas_f64 v[2:3], v[2:3], v[8:9], v[12:13]
	v_div_fixup_f64 v[8:9], v[2:3], v[4:5], 1.0
	v_mul_f64 v[6:7], v[6:7], v[8:9]
	v_xor_b32_e32 v9, 0x80000000, v9
	v_xor_b32_e32 v11, 0x80000000, v7
	v_mov_b32_e32 v10, v6
                                        ; implicit-def: $vgpr2_vgpr3
.LBB95_15:
	s_andn2_saveexec_b64 s[6:7], s[6:7]
	s_cbranch_execz .LBB95_17
; %bb.16:
	v_div_scale_f64 v[6:7], s[8:9], v[2:3], v[2:3], v[4:5]
	v_rcp_f64_e32 v[8:9], v[6:7]
	v_div_scale_f64 v[10:11], vcc, v[4:5], v[2:3], v[4:5]
	v_fma_f64 v[12:13], -v[6:7], v[8:9], 1.0
	v_fmac_f64_e32 v[8:9], v[8:9], v[12:13]
	v_fma_f64 v[12:13], -v[6:7], v[8:9], 1.0
	v_fmac_f64_e32 v[8:9], v[8:9], v[12:13]
	v_mul_f64 v[12:13], v[10:11], v[8:9]
	v_fma_f64 v[6:7], -v[6:7], v[12:13], v[10:11]
	v_div_fmas_f64 v[6:7], v[6:7], v[8:9], v[12:13]
	v_div_fixup_f64 v[8:9], v[6:7], v[2:3], v[4:5]
	v_fmac_f64_e32 v[2:3], v[4:5], v[8:9]
	v_div_scale_f64 v[4:5], s[8:9], v[2:3], v[2:3], 1.0
	v_rcp_f64_e32 v[6:7], v[4:5]
	s_nop 0
	v_fma_f64 v[10:11], -v[4:5], v[6:7], 1.0
	v_fmac_f64_e32 v[6:7], v[6:7], v[10:11]
	v_fma_f64 v[10:11], -v[4:5], v[6:7], 1.0
	v_fmac_f64_e32 v[6:7], v[6:7], v[10:11]
	v_div_scale_f64 v[10:11], vcc, 1.0, v[2:3], 1.0
	v_mul_f64 v[12:13], v[10:11], v[6:7]
	v_fma_f64 v[4:5], -v[4:5], v[12:13], v[10:11]
	s_nop 1
	v_div_fmas_f64 v[4:5], v[4:5], v[6:7], v[12:13]
	v_div_fixup_f64 v[6:7], v[4:5], v[2:3], 1.0
	v_xor_b32_e32 v11, 0x80000000, v7
	v_mov_b32_e32 v10, v6
	v_mul_f64 v[8:9], v[8:9], -v[6:7]
.LBB95_17:
	s_or_b64 exec, exec, s[6:7]
	scratch_store_dwordx4 v15, v[6:9], off
	scratch_load_dwordx4 v[2:5], off, s49
	v_xor_b32_e32 v13, 0x80000000, v9
	v_mov_b32_e32 v12, v8
	v_add_u32_e32 v6, 0x200, v14
	ds_write_b128 v14, v[10:13]
	s_waitcnt vmcnt(0)
	ds_write_b128 v14, v[2:5] offset:512
	s_waitcnt lgkmcnt(0)
	; wave barrier
	s_and_saveexec_b64 s[6:7], s[2:3]
	s_cbranch_execz .LBB95_19
; %bb.18:
	scratch_load_dwordx4 v[2:5], v15, off
	ds_read_b128 v[8:11], v6
	v_mov_b32_e32 v7, 0
	ds_read_b128 v[16:19], v7 offset:16
	s_waitcnt vmcnt(0) lgkmcnt(1)
	v_mul_f64 v[12:13], v[10:11], v[4:5]
	v_mul_f64 v[4:5], v[8:9], v[4:5]
	v_fma_f64 v[8:9], v[8:9], v[2:3], -v[12:13]
	v_fmac_f64_e32 v[4:5], v[10:11], v[2:3]
	v_add_f64 v[2:3], v[8:9], 0
	v_add_f64 v[8:9], v[4:5], 0
	s_waitcnt lgkmcnt(0)
	v_mul_f64 v[10:11], v[8:9], v[18:19]
	v_mul_f64 v[4:5], v[2:3], v[18:19]
	v_fma_f64 v[2:3], v[2:3], v[16:17], -v[10:11]
	v_fmac_f64_e32 v[4:5], v[8:9], v[16:17]
	scratch_store_dwordx4 off, v[2:5], off offset:16
.LBB95_19:
	s_or_b64 exec, exec, s[6:7]
	; wave barrier
	scratch_load_dwordx4 v[2:5], off, s48
	v_cmp_gt_u32_e32 vcc, 2, v1
	s_waitcnt vmcnt(0)
	ds_write_b128 v6, v[2:5]
	s_waitcnt lgkmcnt(0)
	; wave barrier
	s_and_saveexec_b64 s[6:7], vcc
	s_cbranch_execz .LBB95_23
; %bb.20:
	scratch_load_dwordx4 v[2:5], v15, off
	ds_read_b128 v[8:11], v6
	s_waitcnt vmcnt(0) lgkmcnt(0)
	v_mul_f64 v[12:13], v[10:11], v[4:5]
	v_mul_f64 v[16:17], v[8:9], v[4:5]
	v_fma_f64 v[4:5], v[8:9], v[2:3], -v[12:13]
	v_fmac_f64_e32 v[16:17], v[10:11], v[2:3]
	v_add_f64 v[4:5], v[4:5], 0
	v_add_f64 v[2:3], v[16:17], 0
	s_and_saveexec_b64 s[8:9], s[2:3]
	s_cbranch_execz .LBB95_22
; %bb.21:
	scratch_load_dwordx4 v[8:11], off, off offset:16
	v_mov_b32_e32 v7, 0
	ds_read_b128 v[16:19], v7 offset:528
	s_waitcnt vmcnt(0) lgkmcnt(0)
	v_mul_f64 v[12:13], v[16:17], v[10:11]
	v_mul_f64 v[10:11], v[18:19], v[10:11]
	v_fmac_f64_e32 v[12:13], v[18:19], v[8:9]
	v_fma_f64 v[8:9], v[16:17], v[8:9], -v[10:11]
	v_add_f64 v[2:3], v[2:3], v[12:13]
	v_add_f64 v[4:5], v[4:5], v[8:9]
.LBB95_22:
	s_or_b64 exec, exec, s[8:9]
	v_mov_b32_e32 v7, 0
	ds_read_b128 v[8:11], v7 offset:32
	s_waitcnt lgkmcnt(0)
	v_mul_f64 v[16:17], v[2:3], v[10:11]
	v_mul_f64 v[12:13], v[4:5], v[10:11]
	v_fma_f64 v[10:11], v[4:5], v[8:9], -v[16:17]
	v_fmac_f64_e32 v[12:13], v[2:3], v[8:9]
	scratch_store_dwordx4 off, v[10:13], off offset:32
.LBB95_23:
	s_or_b64 exec, exec, s[6:7]
	; wave barrier
	scratch_load_dwordx4 v[2:5], off, s47
	v_cmp_gt_u32_e32 vcc, 3, v1
	v_add_u32_e32 v7, -1, v1
	s_waitcnt vmcnt(0)
	ds_write_b128 v6, v[2:5]
	s_waitcnt lgkmcnt(0)
	; wave barrier
	s_and_saveexec_b64 s[2:3], vcc
	s_cbranch_execz .LBB95_27
; %bb.24:
	v_add_u32_e32 v8, -1, v1
	v_add_u32_e32 v9, 0x200, v14
	v_mov_b32_e32 v10, v14
	v_mov_b64_e32 v[2:3], 0
	s_mov_b64 s[6:7], 0
	v_mov_b64_e32 v[4:5], 0
.LBB95_25:                              ; =>This Inner Loop Header: Depth=1
	scratch_load_dwordx4 v[16:19], v10, off
	ds_read_b128 v[20:23], v9
	v_add_u32_e32 v8, 1, v8
	v_cmp_lt_u32_e32 vcc, 1, v8
	v_add_u32_e32 v9, 16, v9
	v_add_u32_e32 v10, 16, v10
	s_or_b64 s[6:7], vcc, s[6:7]
	s_waitcnt vmcnt(0) lgkmcnt(0)
	v_mul_f64 v[12:13], v[22:23], v[18:19]
	v_mul_f64 v[18:19], v[20:21], v[18:19]
	v_fma_f64 v[12:13], v[20:21], v[16:17], -v[12:13]
	v_fmac_f64_e32 v[18:19], v[22:23], v[16:17]
	v_add_f64 v[4:5], v[4:5], v[12:13]
	v_add_f64 v[2:3], v[2:3], v[18:19]
	s_andn2_b64 exec, exec, s[6:7]
	s_cbranch_execnz .LBB95_25
; %bb.26:
	s_or_b64 exec, exec, s[6:7]
	v_mov_b32_e32 v8, 0
	ds_read_b128 v[8:11], v8 offset:48
	s_waitcnt lgkmcnt(0)
	v_mul_f64 v[16:17], v[2:3], v[10:11]
	v_mul_f64 v[12:13], v[4:5], v[10:11]
	v_fma_f64 v[10:11], v[4:5], v[8:9], -v[16:17]
	v_fmac_f64_e32 v[12:13], v[2:3], v[8:9]
	scratch_store_dwordx4 off, v[10:13], off offset:48
.LBB95_27:
	s_or_b64 exec, exec, s[2:3]
	; wave barrier
	scratch_load_dwordx4 v[2:5], off, s46
	v_cmp_gt_u32_e32 vcc, 4, v1
	s_waitcnt vmcnt(0)
	ds_write_b128 v6, v[2:5]
	s_waitcnt lgkmcnt(0)
	; wave barrier
	s_and_saveexec_b64 s[2:3], vcc
	s_cbranch_execz .LBB95_31
; %bb.28:
	v_add_u32_e32 v8, -1, v1
	v_add_u32_e32 v9, 0x200, v14
	v_mov_b32_e32 v10, v14
	v_mov_b64_e32 v[2:3], 0
	s_mov_b64 s[6:7], 0
	v_mov_b64_e32 v[4:5], 0
.LBB95_29:                              ; =>This Inner Loop Header: Depth=1
	scratch_load_dwordx4 v[16:19], v10, off
	ds_read_b128 v[20:23], v9
	v_add_u32_e32 v8, 1, v8
	v_cmp_lt_u32_e32 vcc, 2, v8
	v_add_u32_e32 v9, 16, v9
	v_add_u32_e32 v10, 16, v10
	s_or_b64 s[6:7], vcc, s[6:7]
	s_waitcnt vmcnt(0) lgkmcnt(0)
	v_mul_f64 v[12:13], v[22:23], v[18:19]
	v_mul_f64 v[18:19], v[20:21], v[18:19]
	v_fma_f64 v[12:13], v[20:21], v[16:17], -v[12:13]
	v_fmac_f64_e32 v[18:19], v[22:23], v[16:17]
	v_add_f64 v[4:5], v[4:5], v[12:13]
	v_add_f64 v[2:3], v[2:3], v[18:19]
	s_andn2_b64 exec, exec, s[6:7]
	s_cbranch_execnz .LBB95_29
; %bb.30:
	s_or_b64 exec, exec, s[6:7]
	v_mov_b32_e32 v8, 0
	ds_read_b128 v[8:11], v8 offset:64
	s_waitcnt lgkmcnt(0)
	v_mul_f64 v[16:17], v[2:3], v[10:11]
	v_mul_f64 v[12:13], v[4:5], v[10:11]
	v_fma_f64 v[10:11], v[4:5], v[8:9], -v[16:17]
	v_fmac_f64_e32 v[12:13], v[2:3], v[8:9]
	scratch_store_dwordx4 off, v[10:13], off offset:64
.LBB95_31:
	s_or_b64 exec, exec, s[2:3]
	; wave barrier
	scratch_load_dwordx4 v[2:5], off, s45
	v_cmp_gt_u32_e32 vcc, 5, v1
	;; [unrolled: 45-line block ×19, first 2 shown]
	s_waitcnt vmcnt(0)
	ds_write_b128 v6, v[2:5]
	s_waitcnt lgkmcnt(0)
	; wave barrier
	s_and_saveexec_b64 s[2:3], vcc
	s_cbranch_execz .LBB95_103
; %bb.100:
	v_add_u32_e32 v8, -1, v1
	v_add_u32_e32 v9, 0x200, v14
	v_mov_b32_e32 v10, v14
	v_mov_b64_e32 v[2:3], 0
	s_mov_b64 s[6:7], 0
	v_mov_b64_e32 v[4:5], 0
.LBB95_101:                             ; =>This Inner Loop Header: Depth=1
	scratch_load_dwordx4 v[16:19], v10, off
	ds_read_b128 v[20:23], v9
	v_add_u32_e32 v8, 1, v8
	v_cmp_lt_u32_e32 vcc, 20, v8
	v_add_u32_e32 v9, 16, v9
	v_add_u32_e32 v10, 16, v10
	s_or_b64 s[6:7], vcc, s[6:7]
	s_waitcnt vmcnt(0) lgkmcnt(0)
	v_mul_f64 v[12:13], v[22:23], v[18:19]
	v_mul_f64 v[18:19], v[20:21], v[18:19]
	v_fma_f64 v[12:13], v[20:21], v[16:17], -v[12:13]
	v_fmac_f64_e32 v[18:19], v[22:23], v[16:17]
	v_add_f64 v[4:5], v[4:5], v[12:13]
	v_add_f64 v[2:3], v[2:3], v[18:19]
	s_andn2_b64 exec, exec, s[6:7]
	s_cbranch_execnz .LBB95_101
; %bb.102:
	s_or_b64 exec, exec, s[6:7]
	v_mov_b32_e32 v8, 0
	ds_read_b128 v[8:11], v8 offset:352
	s_waitcnt lgkmcnt(0)
	v_mul_f64 v[16:17], v[2:3], v[10:11]
	v_mul_f64 v[12:13], v[4:5], v[10:11]
	v_fma_f64 v[10:11], v[4:5], v[8:9], -v[16:17]
	v_fmac_f64_e32 v[12:13], v[2:3], v[8:9]
	scratch_store_dwordx4 off, v[10:13], off offset:352
.LBB95_103:
	s_or_b64 exec, exec, s[2:3]
	; wave barrier
	scratch_load_dwordx4 v[2:5], off, s26
	v_cmp_gt_u32_e32 vcc, 23, v1
	s_waitcnt vmcnt(0)
	ds_write_b128 v6, v[2:5]
	s_waitcnt lgkmcnt(0)
	; wave barrier
	s_and_saveexec_b64 s[2:3], vcc
	s_cbranch_execz .LBB95_107
; %bb.104:
	v_add_u32_e32 v8, -1, v1
	v_add_u32_e32 v9, 0x200, v14
	v_mov_b32_e32 v10, v14
	v_mov_b64_e32 v[2:3], 0
	s_mov_b64 s[6:7], 0
	v_mov_b64_e32 v[4:5], 0
.LBB95_105:                             ; =>This Inner Loop Header: Depth=1
	scratch_load_dwordx4 v[16:19], v10, off
	ds_read_b128 v[20:23], v9
	v_add_u32_e32 v8, 1, v8
	v_cmp_lt_u32_e32 vcc, 21, v8
	v_add_u32_e32 v9, 16, v9
	v_add_u32_e32 v10, 16, v10
	s_or_b64 s[6:7], vcc, s[6:7]
	s_waitcnt vmcnt(0) lgkmcnt(0)
	v_mul_f64 v[12:13], v[22:23], v[18:19]
	v_mul_f64 v[18:19], v[20:21], v[18:19]
	v_fma_f64 v[12:13], v[20:21], v[16:17], -v[12:13]
	v_fmac_f64_e32 v[18:19], v[22:23], v[16:17]
	v_add_f64 v[4:5], v[4:5], v[12:13]
	v_add_f64 v[2:3], v[2:3], v[18:19]
	s_andn2_b64 exec, exec, s[6:7]
	s_cbranch_execnz .LBB95_105
; %bb.106:
	s_or_b64 exec, exec, s[6:7]
	v_mov_b32_e32 v8, 0
	ds_read_b128 v[8:11], v8 offset:368
	s_waitcnt lgkmcnt(0)
	v_mul_f64 v[16:17], v[2:3], v[10:11]
	v_mul_f64 v[12:13], v[4:5], v[10:11]
	v_fma_f64 v[10:11], v[4:5], v[8:9], -v[16:17]
	v_fmac_f64_e32 v[12:13], v[2:3], v[8:9]
	scratch_store_dwordx4 off, v[10:13], off offset:368
.LBB95_107:
	s_or_b64 exec, exec, s[2:3]
	; wave barrier
	scratch_load_dwordx4 v[2:5], off, s25
	v_cmp_gt_u32_e32 vcc, 24, v1
	;; [unrolled: 45-line block ×8, first 2 shown]
	s_waitcnt vmcnt(0)
	ds_write_b128 v6, v[2:5]
	s_waitcnt lgkmcnt(0)
	; wave barrier
	s_and_saveexec_b64 s[2:3], vcc
	s_cbranch_execz .LBB95_135
; %bb.132:
	v_add_u32_e32 v8, -1, v1
	v_add_u32_e32 v9, 0x200, v14
	v_mov_b32_e32 v10, v14
	v_mov_b64_e32 v[2:3], 0
	s_mov_b64 s[6:7], 0
	v_mov_b64_e32 v[4:5], 0
.LBB95_133:                             ; =>This Inner Loop Header: Depth=1
	scratch_load_dwordx4 v[16:19], v10, off
	ds_read_b128 v[20:23], v9
	v_add_u32_e32 v8, 1, v8
	v_cmp_lt_u32_e32 vcc, 28, v8
	v_add_u32_e32 v9, 16, v9
	v_add_u32_e32 v10, 16, v10
	s_or_b64 s[6:7], vcc, s[6:7]
	s_waitcnt vmcnt(0) lgkmcnt(0)
	v_mul_f64 v[12:13], v[22:23], v[18:19]
	v_mul_f64 v[18:19], v[20:21], v[18:19]
	v_fma_f64 v[12:13], v[20:21], v[16:17], -v[12:13]
	v_fmac_f64_e32 v[18:19], v[22:23], v[16:17]
	v_add_f64 v[4:5], v[4:5], v[12:13]
	v_add_f64 v[2:3], v[2:3], v[18:19]
	s_andn2_b64 exec, exec, s[6:7]
	s_cbranch_execnz .LBB95_133
; %bb.134:
	s_or_b64 exec, exec, s[6:7]
	v_mov_b32_e32 v8, 0
	ds_read_b128 v[8:11], v8 offset:480
	s_waitcnt lgkmcnt(0)
	v_mul_f64 v[16:17], v[2:3], v[10:11]
	v_mul_f64 v[12:13], v[4:5], v[10:11]
	v_fma_f64 v[10:11], v[4:5], v[8:9], -v[16:17]
	v_fmac_f64_e32 v[12:13], v[2:3], v[8:9]
	scratch_store_dwordx4 off, v[10:13], off offset:480
.LBB95_135:
	s_or_b64 exec, exec, s[2:3]
	; wave barrier
	scratch_load_dwordx4 v[2:5], off, s18
	v_cmp_ne_u32_e32 vcc, 31, v1
	s_waitcnt vmcnt(0)
	ds_write_b128 v6, v[2:5]
	s_waitcnt lgkmcnt(0)
	; wave barrier
	s_and_saveexec_b64 s[2:3], vcc
	s_cbranch_execz .LBB95_139
; %bb.136:
	v_add_u32_e32 v6, 0x200, v14
	v_mov_b32_e32 v8, v14
	v_mov_b64_e32 v[2:3], 0
	s_mov_b64 s[6:7], 0
	v_mov_b64_e32 v[4:5], 0
.LBB95_137:                             ; =>This Inner Loop Header: Depth=1
	scratch_load_dwordx4 v[10:13], v8, off
	ds_read_b128 v[14:17], v6
	v_add_u32_e32 v7, 1, v7
	v_cmp_lt_u32_e32 vcc, 29, v7
	v_add_u32_e32 v6, 16, v6
	v_add_u32_e32 v8, 16, v8
	s_or_b64 s[6:7], vcc, s[6:7]
	s_waitcnt vmcnt(0) lgkmcnt(0)
	v_mul_f64 v[18:19], v[16:17], v[12:13]
	v_mul_f64 v[12:13], v[14:15], v[12:13]
	v_fma_f64 v[14:15], v[14:15], v[10:11], -v[18:19]
	v_fmac_f64_e32 v[12:13], v[16:17], v[10:11]
	v_add_f64 v[4:5], v[4:5], v[14:15]
	v_add_f64 v[2:3], v[2:3], v[12:13]
	s_andn2_b64 exec, exec, s[6:7]
	s_cbranch_execnz .LBB95_137
; %bb.138:
	s_or_b64 exec, exec, s[6:7]
	v_mov_b32_e32 v6, 0
	ds_read_b128 v[6:9], v6 offset:496
	s_waitcnt lgkmcnt(0)
	v_mul_f64 v[12:13], v[2:3], v[8:9]
	v_mul_f64 v[10:11], v[4:5], v[8:9]
	v_fma_f64 v[8:9], v[4:5], v[6:7], -v[12:13]
	v_fmac_f64_e32 v[10:11], v[2:3], v[6:7]
	scratch_store_dwordx4 off, v[8:11], off offset:496
.LBB95_139:
	s_or_b64 exec, exec, s[2:3]
	s_mov_b64 s[6:7], -1
	; wave barrier
.LBB95_140:
	s_and_b64 vcc, exec, s[6:7]
	s_cbranch_vccz .LBB95_142
; %bb.141:
	s_lshl_b64 s[2:3], s[4:5], 2
	s_add_u32 s2, s10, s2
	s_addc_u32 s3, s11, s3
	v_mov_b32_e32 v2, 0
	global_load_dword v2, v2, s[2:3]
	s_waitcnt vmcnt(0)
	v_cmp_ne_u32_e32 vcc, 0, v2
	s_cbranch_vccz .LBB95_143
.LBB95_142:
	s_endpgm
.LBB95_143:
	v_mov_b32_e32 v2, 0x200
	v_lshl_add_u32 v250, v1, 4, v2
	v_cmp_eq_u32_e32 vcc, 31, v1
	s_and_saveexec_b64 s[2:3], vcc
	s_cbranch_execz .LBB95_145
; %bb.144:
	scratch_load_dwordx4 v[2:5], off, s19
	v_mov_b32_e32 v6, 0
	v_mov_b32_e32 v7, v6
	;; [unrolled: 1-line block ×4, first 2 shown]
	scratch_store_dwordx4 off, v[6:9], off offset:480
	s_waitcnt vmcnt(1)
	ds_write_b128 v250, v[2:5]
.LBB95_145:
	s_or_b64 exec, exec, s[2:3]
	s_waitcnt lgkmcnt(0)
	; wave barrier
	scratch_load_dwordx4 v[4:7], off, off offset:496
	scratch_load_dwordx4 v[8:11], off, off offset:480
	v_mov_b32_e32 v2, 0
	ds_read_b128 v[12:15], v2 offset:1008
	v_cmp_lt_u32_e32 vcc, 29, v1
	s_waitcnt vmcnt(1) lgkmcnt(0)
	v_mul_f64 v[16:17], v[12:13], v[6:7]
	v_mul_f64 v[6:7], v[14:15], v[6:7]
	v_fmac_f64_e32 v[16:17], v[14:15], v[4:5]
	v_fma_f64 v[4:5], v[12:13], v[4:5], -v[6:7]
	v_add_f64 v[6:7], v[16:17], 0
	v_add_f64 v[4:5], v[4:5], 0
	s_waitcnt vmcnt(0)
	v_add_f64 v[4:5], v[8:9], -v[4:5]
	v_add_f64 v[6:7], v[10:11], -v[6:7]
	scratch_store_dwordx4 off, v[4:7], off offset:480
	s_and_saveexec_b64 s[2:3], vcc
	s_cbranch_execz .LBB95_147
; %bb.146:
	scratch_load_dwordx4 v[6:9], off, s20
	v_mov_b32_e32 v3, v2
	v_mov_b32_e32 v4, v2
	;; [unrolled: 1-line block ×3, first 2 shown]
	scratch_store_dwordx4 off, v[2:5], off offset:464
	s_waitcnt vmcnt(1)
	ds_write_b128 v250, v[6:9]
.LBB95_147:
	s_or_b64 exec, exec, s[2:3]
	s_waitcnt lgkmcnt(0)
	; wave barrier
	scratch_load_dwordx4 v[4:7], off, off offset:480
	scratch_load_dwordx4 v[8:11], off, off offset:496
	;; [unrolled: 1-line block ×3, first 2 shown]
	ds_read_b128 v[16:19], v2 offset:992
	ds_read_b128 v[20:23], v2 offset:1008
	v_cmp_lt_u32_e32 vcc, 28, v1
	s_waitcnt vmcnt(2) lgkmcnt(1)
	v_mul_f64 v[2:3], v[16:17], v[6:7]
	v_mul_f64 v[6:7], v[18:19], v[6:7]
	s_waitcnt vmcnt(1) lgkmcnt(0)
	v_mul_f64 v[24:25], v[20:21], v[10:11]
	v_mul_f64 v[10:11], v[22:23], v[10:11]
	v_fmac_f64_e32 v[2:3], v[18:19], v[4:5]
	v_fma_f64 v[4:5], v[16:17], v[4:5], -v[6:7]
	v_fmac_f64_e32 v[24:25], v[22:23], v[8:9]
	v_fma_f64 v[6:7], v[20:21], v[8:9], -v[10:11]
	v_add_f64 v[2:3], v[2:3], 0
	v_add_f64 v[4:5], v[4:5], 0
	;; [unrolled: 1-line block ×4, first 2 shown]
	s_waitcnt vmcnt(0)
	v_add_f64 v[2:3], v[12:13], -v[2:3]
	v_add_f64 v[4:5], v[14:15], -v[8:9]
	scratch_store_dwordx4 off, v[2:5], off offset:464
	s_and_saveexec_b64 s[2:3], vcc
	s_cbranch_execz .LBB95_149
; %bb.148:
	scratch_load_dwordx4 v[2:5], off, s21
	v_mov_b32_e32 v6, 0
	v_mov_b32_e32 v7, v6
	;; [unrolled: 1-line block ×4, first 2 shown]
	scratch_store_dwordx4 off, v[6:9], off offset:448
	s_waitcnt vmcnt(1)
	ds_write_b128 v250, v[2:5]
.LBB95_149:
	s_or_b64 exec, exec, s[2:3]
	s_waitcnt lgkmcnt(0)
	; wave barrier
	scratch_load_dwordx4 v[4:7], off, off offset:464
	scratch_load_dwordx4 v[8:11], off, off offset:480
	scratch_load_dwordx4 v[12:15], off, off offset:496
	scratch_load_dwordx4 v[16:19], off, off offset:448
	v_mov_b32_e32 v2, 0
	ds_read_b128 v[20:23], v2 offset:976
	ds_read_b128 v[24:27], v2 offset:992
	;; [unrolled: 1-line block ×3, first 2 shown]
	v_cmp_lt_u32_e32 vcc, 27, v1
	s_waitcnt vmcnt(3) lgkmcnt(2)
	v_mul_f64 v[32:33], v[20:21], v[6:7]
	v_mul_f64 v[6:7], v[22:23], v[6:7]
	s_waitcnt vmcnt(2) lgkmcnt(1)
	v_mul_f64 v[34:35], v[24:25], v[10:11]
	v_mul_f64 v[10:11], v[26:27], v[10:11]
	v_fmac_f64_e32 v[32:33], v[22:23], v[4:5]
	v_fma_f64 v[4:5], v[20:21], v[4:5], -v[6:7]
	s_waitcnt vmcnt(1) lgkmcnt(0)
	v_mul_f64 v[36:37], v[28:29], v[14:15]
	v_mul_f64 v[14:15], v[30:31], v[14:15]
	v_fmac_f64_e32 v[34:35], v[26:27], v[8:9]
	v_fma_f64 v[6:7], v[24:25], v[8:9], -v[10:11]
	v_add_f64 v[10:11], v[32:33], 0
	v_add_f64 v[4:5], v[4:5], 0
	v_fmac_f64_e32 v[36:37], v[30:31], v[12:13]
	v_fma_f64 v[8:9], v[28:29], v[12:13], -v[14:15]
	v_add_f64 v[10:11], v[10:11], v[34:35]
	v_add_f64 v[4:5], v[4:5], v[6:7]
	;; [unrolled: 1-line block ×4, first 2 shown]
	s_waitcnt vmcnt(0)
	v_add_f64 v[4:5], v[16:17], -v[4:5]
	v_add_f64 v[6:7], v[18:19], -v[6:7]
	scratch_store_dwordx4 off, v[4:7], off offset:448
	s_and_saveexec_b64 s[2:3], vcc
	s_cbranch_execz .LBB95_151
; %bb.150:
	scratch_load_dwordx4 v[6:9], off, s22
	v_mov_b32_e32 v3, v2
	v_mov_b32_e32 v4, v2
	;; [unrolled: 1-line block ×3, first 2 shown]
	scratch_store_dwordx4 off, v[2:5], off offset:432
	s_waitcnt vmcnt(1)
	ds_write_b128 v250, v[6:9]
.LBB95_151:
	s_or_b64 exec, exec, s[2:3]
	s_waitcnt lgkmcnt(0)
	; wave barrier
	scratch_load_dwordx4 v[4:7], off, off offset:448
	scratch_load_dwordx4 v[8:11], off, off offset:464
	;; [unrolled: 1-line block ×5, first 2 shown]
	ds_read_b128 v[24:27], v2 offset:960
	ds_read_b128 v[28:31], v2 offset:976
	;; [unrolled: 1-line block ×4, first 2 shown]
	v_cmp_lt_u32_e32 vcc, 26, v1
	s_waitcnt vmcnt(4) lgkmcnt(3)
	v_mul_f64 v[2:3], v[24:25], v[6:7]
	v_mul_f64 v[6:7], v[26:27], v[6:7]
	s_waitcnt vmcnt(3) lgkmcnt(2)
	v_mul_f64 v[40:41], v[28:29], v[10:11]
	v_mul_f64 v[10:11], v[30:31], v[10:11]
	v_fmac_f64_e32 v[2:3], v[26:27], v[4:5]
	v_fma_f64 v[4:5], v[24:25], v[4:5], -v[6:7]
	s_waitcnt vmcnt(2) lgkmcnt(1)
	v_mul_f64 v[42:43], v[32:33], v[14:15]
	v_mul_f64 v[14:15], v[34:35], v[14:15]
	v_fmac_f64_e32 v[40:41], v[30:31], v[8:9]
	v_fma_f64 v[6:7], v[28:29], v[8:9], -v[10:11]
	v_add_f64 v[2:3], v[2:3], 0
	v_add_f64 v[4:5], v[4:5], 0
	s_waitcnt vmcnt(1) lgkmcnt(0)
	v_mul_f64 v[44:45], v[36:37], v[18:19]
	v_mul_f64 v[18:19], v[38:39], v[18:19]
	v_fmac_f64_e32 v[42:43], v[34:35], v[12:13]
	v_fma_f64 v[8:9], v[32:33], v[12:13], -v[14:15]
	v_add_f64 v[2:3], v[2:3], v[40:41]
	v_add_f64 v[4:5], v[4:5], v[6:7]
	v_fmac_f64_e32 v[44:45], v[38:39], v[16:17]
	v_fma_f64 v[10:11], v[36:37], v[16:17], -v[18:19]
	v_add_f64 v[2:3], v[2:3], v[42:43]
	v_add_f64 v[4:5], v[4:5], v[8:9]
	;; [unrolled: 1-line block ×4, first 2 shown]
	s_waitcnt vmcnt(0)
	v_add_f64 v[2:3], v[20:21], -v[2:3]
	v_add_f64 v[4:5], v[22:23], -v[6:7]
	scratch_store_dwordx4 off, v[2:5], off offset:432
	s_and_saveexec_b64 s[2:3], vcc
	s_cbranch_execz .LBB95_153
; %bb.152:
	scratch_load_dwordx4 v[2:5], off, s23
	v_mov_b32_e32 v6, 0
	v_mov_b32_e32 v7, v6
	;; [unrolled: 1-line block ×4, first 2 shown]
	scratch_store_dwordx4 off, v[6:9], off offset:416
	s_waitcnt vmcnt(1)
	ds_write_b128 v250, v[2:5]
.LBB95_153:
	s_or_b64 exec, exec, s[2:3]
	s_waitcnt lgkmcnt(0)
	; wave barrier
	scratch_load_dwordx4 v[4:7], off, off offset:432
	scratch_load_dwordx4 v[8:11], off, off offset:448
	scratch_load_dwordx4 v[12:15], off, off offset:464
	scratch_load_dwordx4 v[16:19], off, off offset:480
	scratch_load_dwordx4 v[20:23], off, off offset:496
	scratch_load_dwordx4 v[24:27], off, off offset:416
	v_mov_b32_e32 v2, 0
	ds_read_b128 v[28:31], v2 offset:944
	ds_read_b128 v[32:35], v2 offset:960
	;; [unrolled: 1-line block ×5, first 2 shown]
	v_cmp_lt_u32_e32 vcc, 25, v1
	s_waitcnt vmcnt(5) lgkmcnt(4)
	v_mul_f64 v[48:49], v[28:29], v[6:7]
	v_mul_f64 v[6:7], v[30:31], v[6:7]
	s_waitcnt vmcnt(4) lgkmcnt(3)
	v_mul_f64 v[50:51], v[32:33], v[10:11]
	s_waitcnt vmcnt(3) lgkmcnt(2)
	v_mul_f64 v[52:53], v[36:37], v[14:15]
	v_mul_f64 v[10:11], v[34:35], v[10:11]
	v_mul_f64 v[14:15], v[38:39], v[14:15]
	v_fmac_f64_e32 v[48:49], v[30:31], v[4:5]
	v_fma_f64 v[4:5], v[28:29], v[4:5], -v[6:7]
	v_fmac_f64_e32 v[50:51], v[34:35], v[8:9]
	v_fma_f64 v[6:7], v[32:33], v[8:9], -v[10:11]
	v_fma_f64 v[8:9], v[36:37], v[12:13], -v[14:15]
	v_add_f64 v[14:15], v[48:49], 0
	v_add_f64 v[4:5], v[4:5], 0
	s_waitcnt vmcnt(2) lgkmcnt(1)
	v_mul_f64 v[54:55], v[40:41], v[18:19]
	v_mul_f64 v[18:19], v[42:43], v[18:19]
	v_fmac_f64_e32 v[52:53], v[38:39], v[12:13]
	v_add_f64 v[14:15], v[14:15], v[50:51]
	v_add_f64 v[4:5], v[4:5], v[6:7]
	s_waitcnt vmcnt(1) lgkmcnt(0)
	v_mul_f64 v[56:57], v[44:45], v[22:23]
	v_mul_f64 v[22:23], v[46:47], v[22:23]
	v_fmac_f64_e32 v[54:55], v[42:43], v[16:17]
	v_fma_f64 v[10:11], v[40:41], v[16:17], -v[18:19]
	v_add_f64 v[6:7], v[14:15], v[52:53]
	v_add_f64 v[4:5], v[4:5], v[8:9]
	v_fmac_f64_e32 v[56:57], v[46:47], v[20:21]
	v_fma_f64 v[12:13], v[44:45], v[20:21], -v[22:23]
	v_add_f64 v[6:7], v[6:7], v[54:55]
	v_add_f64 v[4:5], v[4:5], v[10:11]
	;; [unrolled: 1-line block ×4, first 2 shown]
	s_waitcnt vmcnt(0)
	v_add_f64 v[4:5], v[24:25], -v[4:5]
	v_add_f64 v[6:7], v[26:27], -v[6:7]
	scratch_store_dwordx4 off, v[4:7], off offset:416
	s_and_saveexec_b64 s[2:3], vcc
	s_cbranch_execz .LBB95_155
; %bb.154:
	scratch_load_dwordx4 v[6:9], off, s24
	v_mov_b32_e32 v3, v2
	v_mov_b32_e32 v4, v2
	v_mov_b32_e32 v5, v2
	scratch_store_dwordx4 off, v[2:5], off offset:400
	s_waitcnt vmcnt(1)
	ds_write_b128 v250, v[6:9]
.LBB95_155:
	s_or_b64 exec, exec, s[2:3]
	s_waitcnt lgkmcnt(0)
	; wave barrier
	ds_read_b128 v[4:7], v2 offset:928
	ds_read_b128 v[8:11], v2 offset:944
	;; [unrolled: 1-line block ×4, first 2 shown]
	scratch_load_dwordx4 v[20:23], off, off offset:416
	scratch_load_dwordx4 v[40:43], off, off offset:480
	v_cmp_lt_u32_e32 vcc, 24, v1
	scratch_load_dwordx4 v[48:51], off, off offset:496
	s_waitcnt vmcnt(2) lgkmcnt(3)
	v_mul_f64 v[24:25], v[4:5], v[22:23]
	v_fmac_f64_e32 v[24:25], v[6:7], v[20:21]
	v_add_f64 v[28:29], v[24:25], 0
	scratch_load_dwordx4 v[24:27], off, off offset:432
	s_waitcnt vmcnt(0) lgkmcnt(2)
	v_mul_f64 v[30:31], v[8:9], v[26:27]
	v_fmac_f64_e32 v[30:31], v[10:11], v[24:25]
	v_add_f64 v[32:33], v[28:29], v[30:31]
	;; [unrolled: 5-line block ×4, first 2 shown]
	ds_read_b128 v[36:39], v2 offset:992
	s_waitcnt lgkmcnt(0)
	v_mul_f64 v[46:47], v[36:37], v[42:43]
	v_fmac_f64_e32 v[46:47], v[38:39], v[40:41]
	v_add_f64 v[52:53], v[44:45], v[46:47]
	ds_read_b128 v[44:47], v2 offset:1008
	s_waitcnt lgkmcnt(0)
	v_mul_f64 v[2:3], v[44:45], v[50:51]
	v_fmac_f64_e32 v[2:3], v[46:47], v[48:49]
	v_add_f64 v[52:53], v[52:53], v[2:3]
	v_mul_f64 v[2:3], v[6:7], v[22:23]
	v_fma_f64 v[2:3], v[4:5], v[20:21], -v[2:3]
	v_mul_f64 v[4:5], v[10:11], v[26:27]
	v_add_f64 v[2:3], v[2:3], 0
	v_fma_f64 v[4:5], v[8:9], v[24:25], -v[4:5]
	v_add_f64 v[2:3], v[2:3], v[4:5]
	v_mul_f64 v[4:5], v[14:15], v[30:31]
	v_fma_f64 v[4:5], v[12:13], v[28:29], -v[4:5]
	v_add_f64 v[2:3], v[2:3], v[4:5]
	v_mul_f64 v[4:5], v[18:19], v[34:35]
	;; [unrolled: 3-line block ×4, first 2 shown]
	v_fma_f64 v[4:5], v[44:45], v[48:49], -v[4:5]
	v_add_f64 v[6:7], v[2:3], v[4:5]
	scratch_load_dwordx4 v[2:5], off, off offset:400
	s_waitcnt vmcnt(0)
	v_add_f64 v[2:3], v[2:3], -v[6:7]
	v_add_f64 v[4:5], v[4:5], -v[52:53]
	scratch_store_dwordx4 off, v[2:5], off offset:400
	s_and_saveexec_b64 s[2:3], vcc
	s_cbranch_execz .LBB95_157
; %bb.156:
	scratch_load_dwordx4 v[2:5], off, s25
	v_mov_b32_e32 v6, 0
	v_mov_b32_e32 v7, v6
	;; [unrolled: 1-line block ×4, first 2 shown]
	scratch_store_dwordx4 off, v[6:9], off offset:384
	s_waitcnt vmcnt(1)
	ds_write_b128 v250, v[2:5]
.LBB95_157:
	s_or_b64 exec, exec, s[2:3]
	s_waitcnt lgkmcnt(0)
	; wave barrier
	scratch_load_dwordx4 v[4:7], off, off offset:400
	scratch_load_dwordx4 v[8:11], off, off offset:416
	;; [unrolled: 1-line block ×8, first 2 shown]
	v_mov_b32_e32 v2, 0
	ds_read_b128 v[36:39], v2 offset:912
	ds_read_b128 v[40:43], v2 offset:928
	;; [unrolled: 1-line block ×7, first 2 shown]
	v_cmp_lt_u32_e32 vcc, 23, v1
	s_waitcnt vmcnt(7) lgkmcnt(6)
	v_mul_f64 v[64:65], v[36:37], v[6:7]
	v_mul_f64 v[6:7], v[38:39], v[6:7]
	s_waitcnt vmcnt(6) lgkmcnt(5)
	v_mul_f64 v[66:67], v[40:41], v[10:11]
	s_waitcnt vmcnt(4) lgkmcnt(3)
	v_mul_f64 v[70:71], v[48:49], v[18:19]
	v_mul_f64 v[10:11], v[42:43], v[10:11]
	v_mul_f64 v[18:19], v[50:51], v[18:19]
	v_fmac_f64_e32 v[64:65], v[38:39], v[4:5]
	v_fma_f64 v[4:5], v[36:37], v[4:5], -v[6:7]
	v_mul_f64 v[68:69], v[44:45], v[14:15]
	v_mul_f64 v[14:15], v[46:47], v[14:15]
	v_fmac_f64_e32 v[66:67], v[42:43], v[8:9]
	v_fma_f64 v[6:7], v[40:41], v[8:9], -v[10:11]
	v_fma_f64 v[10:11], v[48:49], v[16:17], -v[18:19]
	v_add_f64 v[18:19], v[64:65], 0
	v_add_f64 v[4:5], v[4:5], 0
	v_fmac_f64_e32 v[68:69], v[46:47], v[12:13]
	v_fma_f64 v[8:9], v[44:45], v[12:13], -v[14:15]
	v_add_f64 v[18:19], v[18:19], v[66:67]
	v_add_f64 v[4:5], v[4:5], v[6:7]
	s_waitcnt vmcnt(3) lgkmcnt(2)
	v_mul_f64 v[72:73], v[52:53], v[22:23]
	v_mul_f64 v[22:23], v[54:55], v[22:23]
	v_fmac_f64_e32 v[70:71], v[50:51], v[16:17]
	v_add_f64 v[6:7], v[18:19], v[68:69]
	v_add_f64 v[4:5], v[4:5], v[8:9]
	s_waitcnt vmcnt(2) lgkmcnt(1)
	v_mul_f64 v[74:75], v[56:57], v[26:27]
	v_mul_f64 v[26:27], v[58:59], v[26:27]
	v_fmac_f64_e32 v[72:73], v[54:55], v[20:21]
	v_fma_f64 v[12:13], v[52:53], v[20:21], -v[22:23]
	v_add_f64 v[6:7], v[6:7], v[70:71]
	v_add_f64 v[4:5], v[4:5], v[10:11]
	s_waitcnt vmcnt(1) lgkmcnt(0)
	v_mul_f64 v[76:77], v[60:61], v[30:31]
	v_mul_f64 v[30:31], v[62:63], v[30:31]
	v_fmac_f64_e32 v[74:75], v[58:59], v[24:25]
	v_fma_f64 v[14:15], v[56:57], v[24:25], -v[26:27]
	v_add_f64 v[6:7], v[6:7], v[72:73]
	v_add_f64 v[4:5], v[4:5], v[12:13]
	v_fmac_f64_e32 v[76:77], v[62:63], v[28:29]
	v_fma_f64 v[16:17], v[60:61], v[28:29], -v[30:31]
	v_add_f64 v[6:7], v[6:7], v[74:75]
	v_add_f64 v[4:5], v[4:5], v[14:15]
	;; [unrolled: 1-line block ×4, first 2 shown]
	s_waitcnt vmcnt(0)
	v_add_f64 v[4:5], v[32:33], -v[4:5]
	v_add_f64 v[6:7], v[34:35], -v[6:7]
	scratch_store_dwordx4 off, v[4:7], off offset:384
	s_and_saveexec_b64 s[2:3], vcc
	s_cbranch_execz .LBB95_159
; %bb.158:
	scratch_load_dwordx4 v[6:9], off, s26
	v_mov_b32_e32 v3, v2
	v_mov_b32_e32 v4, v2
	;; [unrolled: 1-line block ×3, first 2 shown]
	scratch_store_dwordx4 off, v[2:5], off offset:368
	s_waitcnt vmcnt(1)
	ds_write_b128 v250, v[6:9]
.LBB95_159:
	s_or_b64 exec, exec, s[2:3]
	s_waitcnt lgkmcnt(0)
	; wave barrier
	scratch_load_dwordx4 v[4:7], off, off offset:384
	scratch_load_dwordx4 v[8:11], off, off offset:400
	;; [unrolled: 1-line block ×9, first 2 shown]
	ds_read_b128 v[40:43], v2 offset:896
	ds_read_b128 v[44:47], v2 offset:912
	;; [unrolled: 1-line block ×8, first 2 shown]
	v_cmp_lt_u32_e32 vcc, 22, v1
	s_waitcnt vmcnt(8) lgkmcnt(7)
	v_mul_f64 v[2:3], v[40:41], v[6:7]
	v_mul_f64 v[6:7], v[42:43], v[6:7]
	s_waitcnt vmcnt(7) lgkmcnt(6)
	v_mul_f64 v[72:73], v[44:45], v[10:11]
	v_mul_f64 v[10:11], v[46:47], v[10:11]
	v_fmac_f64_e32 v[2:3], v[42:43], v[4:5]
	v_fma_f64 v[4:5], v[40:41], v[4:5], -v[6:7]
	s_waitcnt vmcnt(6) lgkmcnt(5)
	v_mul_f64 v[74:75], v[48:49], v[14:15]
	v_mul_f64 v[14:15], v[50:51], v[14:15]
	v_fmac_f64_e32 v[72:73], v[46:47], v[8:9]
	v_fma_f64 v[6:7], v[44:45], v[8:9], -v[10:11]
	v_add_f64 v[2:3], v[2:3], 0
	v_add_f64 v[4:5], v[4:5], 0
	s_waitcnt vmcnt(5) lgkmcnt(4)
	v_mul_f64 v[76:77], v[52:53], v[18:19]
	v_mul_f64 v[18:19], v[54:55], v[18:19]
	v_fmac_f64_e32 v[74:75], v[50:51], v[12:13]
	v_fma_f64 v[8:9], v[48:49], v[12:13], -v[14:15]
	v_add_f64 v[2:3], v[2:3], v[72:73]
	v_add_f64 v[4:5], v[4:5], v[6:7]
	;; [unrolled: 7-line block ×6, first 2 shown]
	v_fmac_f64_e32 v[84:85], v[70:71], v[32:33]
	v_fma_f64 v[18:19], v[68:69], v[32:33], -v[34:35]
	v_add_f64 v[2:3], v[2:3], v[82:83]
	v_add_f64 v[4:5], v[4:5], v[16:17]
	;; [unrolled: 1-line block ×4, first 2 shown]
	s_waitcnt vmcnt(0)
	v_add_f64 v[2:3], v[36:37], -v[2:3]
	v_add_f64 v[4:5], v[38:39], -v[6:7]
	scratch_store_dwordx4 off, v[2:5], off offset:368
	s_and_saveexec_b64 s[2:3], vcc
	s_cbranch_execz .LBB95_161
; %bb.160:
	scratch_load_dwordx4 v[2:5], off, s27
	v_mov_b32_e32 v6, 0
	v_mov_b32_e32 v7, v6
	;; [unrolled: 1-line block ×4, first 2 shown]
	scratch_store_dwordx4 off, v[6:9], off offset:352
	s_waitcnt vmcnt(1)
	ds_write_b128 v250, v[2:5]
.LBB95_161:
	s_or_b64 exec, exec, s[2:3]
	s_waitcnt lgkmcnt(0)
	; wave barrier
	scratch_load_dwordx4 v[4:7], off, off offset:368
	scratch_load_dwordx4 v[8:11], off, off offset:384
	;; [unrolled: 1-line block ×10, first 2 shown]
	v_mov_b32_e32 v2, 0
	ds_read_b128 v[44:47], v2 offset:880
	ds_read_b128 v[48:51], v2 offset:896
	;; [unrolled: 1-line block ×9, first 2 shown]
	v_cmp_lt_u32_e32 vcc, 21, v1
	s_waitcnt vmcnt(9) lgkmcnt(8)
	v_mul_f64 v[80:81], v[44:45], v[6:7]
	v_mul_f64 v[6:7], v[46:47], v[6:7]
	s_waitcnt vmcnt(8) lgkmcnt(7)
	v_mul_f64 v[82:83], v[48:49], v[10:11]
	s_waitcnt vmcnt(7) lgkmcnt(6)
	;; [unrolled: 2-line block ×3, first 2 shown]
	v_mul_f64 v[88:89], v[60:61], v[22:23]
	v_mul_f64 v[10:11], v[50:51], v[10:11]
	v_mul_f64 v[14:15], v[54:55], v[14:15]
	v_mul_f64 v[22:23], v[62:63], v[22:23]
	v_fmac_f64_e32 v[80:81], v[46:47], v[4:5]
	v_fma_f64 v[4:5], v[44:45], v[4:5], -v[6:7]
	v_fmac_f64_e32 v[82:83], v[50:51], v[8:9]
	v_fmac_f64_e32 v[84:85], v[54:55], v[12:13]
	v_fma_f64 v[6:7], v[48:49], v[8:9], -v[10:11]
	v_fma_f64 v[8:9], v[52:53], v[12:13], -v[14:15]
	v_fma_f64 v[12:13], v[60:61], v[20:21], -v[22:23]
	v_add_f64 v[22:23], v[80:81], 0
	v_add_f64 v[4:5], v[4:5], 0
	v_mul_f64 v[86:87], v[56:57], v[18:19]
	v_mul_f64 v[18:19], v[58:59], v[18:19]
	v_add_f64 v[22:23], v[22:23], v[82:83]
	v_add_f64 v[4:5], v[4:5], v[6:7]
	v_fmac_f64_e32 v[86:87], v[58:59], v[16:17]
	v_fma_f64 v[10:11], v[56:57], v[16:17], -v[18:19]
	v_add_f64 v[6:7], v[22:23], v[84:85]
	v_add_f64 v[4:5], v[4:5], v[8:9]
	s_waitcnt vmcnt(4) lgkmcnt(3)
	v_mul_f64 v[90:91], v[64:65], v[26:27]
	v_mul_f64 v[26:27], v[66:67], v[26:27]
	v_fmac_f64_e32 v[88:89], v[62:63], v[20:21]
	v_add_f64 v[6:7], v[6:7], v[86:87]
	v_add_f64 v[4:5], v[4:5], v[10:11]
	s_waitcnt vmcnt(3) lgkmcnt(2)
	v_mul_f64 v[92:93], v[68:69], v[30:31]
	v_mul_f64 v[30:31], v[70:71], v[30:31]
	v_fmac_f64_e32 v[90:91], v[66:67], v[24:25]
	v_fma_f64 v[14:15], v[64:65], v[24:25], -v[26:27]
	v_add_f64 v[6:7], v[6:7], v[88:89]
	v_add_f64 v[4:5], v[4:5], v[12:13]
	s_waitcnt vmcnt(2) lgkmcnt(1)
	v_mul_f64 v[94:95], v[72:73], v[34:35]
	v_mul_f64 v[34:35], v[74:75], v[34:35]
	v_fmac_f64_e32 v[92:93], v[70:71], v[28:29]
	v_fma_f64 v[16:17], v[68:69], v[28:29], -v[30:31]
	;; [unrolled: 7-line block ×3, first 2 shown]
	v_add_f64 v[6:7], v[6:7], v[92:93]
	v_add_f64 v[4:5], v[4:5], v[16:17]
	v_fmac_f64_e32 v[96:97], v[78:79], v[36:37]
	v_fma_f64 v[20:21], v[76:77], v[36:37], -v[38:39]
	v_add_f64 v[6:7], v[6:7], v[94:95]
	v_add_f64 v[4:5], v[4:5], v[18:19]
	;; [unrolled: 1-line block ×4, first 2 shown]
	s_waitcnt vmcnt(0)
	v_add_f64 v[4:5], v[40:41], -v[4:5]
	v_add_f64 v[6:7], v[42:43], -v[6:7]
	scratch_store_dwordx4 off, v[4:7], off offset:352
	s_and_saveexec_b64 s[2:3], vcc
	s_cbranch_execz .LBB95_163
; %bb.162:
	scratch_load_dwordx4 v[6:9], off, s28
	v_mov_b32_e32 v3, v2
	v_mov_b32_e32 v4, v2
	;; [unrolled: 1-line block ×3, first 2 shown]
	scratch_store_dwordx4 off, v[2:5], off offset:336
	s_waitcnt vmcnt(1)
	ds_write_b128 v250, v[6:9]
.LBB95_163:
	s_or_b64 exec, exec, s[2:3]
	s_waitcnt lgkmcnt(0)
	; wave barrier
	ds_read_b128 v[4:7], v2 offset:864
	ds_read_b128 v[8:11], v2 offset:880
	;; [unrolled: 1-line block ×4, first 2 shown]
	scratch_load_dwordx4 v[20:23], off, off offset:352
	scratch_load_dwordx4 v[40:43], off, off offset:416
	;; [unrolled: 1-line block ×4, first 2 shown]
	v_cmp_lt_u32_e32 vcc, 20, v1
	scratch_load_dwordx4 v[48:51], off, off offset:432
	scratch_load_dwordx4 v[56:59], off, off offset:448
	;; [unrolled: 1-line block ×3, first 2 shown]
	s_waitcnt vmcnt(6) lgkmcnt(3)
	v_mul_f64 v[24:25], v[4:5], v[22:23]
	v_fmac_f64_e32 v[24:25], v[6:7], v[20:21]
	v_add_f64 v[28:29], v[24:25], 0
	scratch_load_dwordx4 v[24:27], off, off offset:368
	s_waitcnt vmcnt(0) lgkmcnt(2)
	v_mul_f64 v[30:31], v[8:9], v[26:27]
	v_fmac_f64_e32 v[30:31], v[10:11], v[24:25]
	v_add_f64 v[32:33], v[28:29], v[30:31]
	scratch_load_dwordx4 v[28:31], off, off offset:384
	;; [unrolled: 5-line block ×3, first 2 shown]
	s_waitcnt vmcnt(0) lgkmcnt(0)
	v_mul_f64 v[38:39], v[16:17], v[34:35]
	v_fmac_f64_e32 v[38:39], v[18:19], v[32:33]
	v_add_f64 v[44:45], v[36:37], v[38:39]
	ds_read_b128 v[36:39], v2 offset:928
	s_waitcnt lgkmcnt(0)
	v_mul_f64 v[46:47], v[36:37], v[42:43]
	v_fmac_f64_e32 v[46:47], v[38:39], v[40:41]
	v_add_f64 v[52:53], v[44:45], v[46:47]
	ds_read_b128 v[44:47], v2 offset:944
	s_waitcnt lgkmcnt(0)
	;; [unrolled: 5-line block ×6, first 2 shown]
	v_mul_f64 v[2:3], v[76:77], v[82:83]
	v_fmac_f64_e32 v[2:3], v[78:79], v[80:81]
	v_add_f64 v[84:85], v[84:85], v[2:3]
	v_mul_f64 v[2:3], v[6:7], v[22:23]
	v_fma_f64 v[2:3], v[4:5], v[20:21], -v[2:3]
	v_mul_f64 v[4:5], v[10:11], v[26:27]
	v_add_f64 v[2:3], v[2:3], 0
	v_fma_f64 v[4:5], v[8:9], v[24:25], -v[4:5]
	v_add_f64 v[2:3], v[2:3], v[4:5]
	v_mul_f64 v[4:5], v[14:15], v[30:31]
	v_fma_f64 v[4:5], v[12:13], v[28:29], -v[4:5]
	v_add_f64 v[2:3], v[2:3], v[4:5]
	v_mul_f64 v[4:5], v[18:19], v[34:35]
	;; [unrolled: 3-line block ×8, first 2 shown]
	v_fma_f64 v[4:5], v[76:77], v[80:81], -v[4:5]
	v_add_f64 v[6:7], v[2:3], v[4:5]
	scratch_load_dwordx4 v[2:5], off, off offset:336
	s_waitcnt vmcnt(0)
	v_add_f64 v[2:3], v[2:3], -v[6:7]
	v_add_f64 v[4:5], v[4:5], -v[84:85]
	scratch_store_dwordx4 off, v[2:5], off offset:336
	s_and_saveexec_b64 s[2:3], vcc
	s_cbranch_execz .LBB95_165
; %bb.164:
	scratch_load_dwordx4 v[2:5], off, s29
	v_mov_b32_e32 v6, 0
	v_mov_b32_e32 v7, v6
	;; [unrolled: 1-line block ×4, first 2 shown]
	scratch_store_dwordx4 off, v[6:9], off offset:320
	s_waitcnt vmcnt(1)
	ds_write_b128 v250, v[2:5]
.LBB95_165:
	s_or_b64 exec, exec, s[2:3]
	v_mov_b32_e32 v2, 0
	s_waitcnt lgkmcnt(0)
	; wave barrier
	ds_read_b128 v[4:7], v2 offset:848
	ds_read_b128 v[8:11], v2 offset:864
	;; [unrolled: 1-line block ×4, first 2 shown]
	scratch_load_dwordx4 v[20:23], off, off offset:336
	scratch_load_dwordx4 v[40:43], off, off offset:400
	;; [unrolled: 1-line block ×5, first 2 shown]
	v_cmp_lt_u32_e32 vcc, 19, v1
	scratch_load_dwordx4 v[48:51], off, off offset:416
	scratch_load_dwordx4 v[56:59], off, off offset:432
	;; [unrolled: 1-line block ×3, first 2 shown]
	s_waitcnt vmcnt(7) lgkmcnt(3)
	v_mul_f64 v[24:25], v[4:5], v[22:23]
	v_fmac_f64_e32 v[24:25], v[6:7], v[20:21]
	v_add_f64 v[28:29], v[24:25], 0
	scratch_load_dwordx4 v[24:27], off, off offset:352
	v_mul_f64 v[6:7], v[6:7], v[22:23]
	v_fma_f64 v[4:5], v[4:5], v[20:21], -v[6:7]
	v_add_f64 v[4:5], v[4:5], 0
	s_waitcnt vmcnt(0) lgkmcnt(2)
	v_mul_f64 v[30:31], v[8:9], v[26:27]
	v_fmac_f64_e32 v[30:31], v[10:11], v[24:25]
	v_add_f64 v[32:33], v[28:29], v[30:31]
	scratch_load_dwordx4 v[28:31], off, off offset:368
	v_mul_f64 v[6:7], v[10:11], v[26:27]
	v_fma_f64 v[6:7], v[8:9], v[24:25], -v[6:7]
	v_add_f64 v[4:5], v[4:5], v[6:7]
	;; [unrolled: 8-line block ×3, first 2 shown]
	s_waitcnt vmcnt(0) lgkmcnt(0)
	v_mul_f64 v[38:39], v[16:17], v[34:35]
	v_fmac_f64_e32 v[38:39], v[18:19], v[32:33]
	v_add_f64 v[44:45], v[36:37], v[38:39]
	ds_read_b128 v[36:39], v2 offset:912
	v_mul_f64 v[6:7], v[18:19], v[34:35]
	v_fma_f64 v[6:7], v[16:17], v[32:33], -v[6:7]
	v_add_f64 v[4:5], v[4:5], v[6:7]
	s_waitcnt lgkmcnt(0)
	v_mul_f64 v[46:47], v[36:37], v[42:43]
	v_fmac_f64_e32 v[46:47], v[38:39], v[40:41]
	v_add_f64 v[52:53], v[44:45], v[46:47]
	ds_read_b128 v[44:47], v2 offset:928
	v_mul_f64 v[6:7], v[38:39], v[42:43]
	v_fma_f64 v[6:7], v[36:37], v[40:41], -v[6:7]
	v_add_f64 v[4:5], v[4:5], v[6:7]
	s_waitcnt lgkmcnt(0)
	;; [unrolled: 8-line block ×7, first 2 shown]
	v_mul_f64 v[6:7], v[86:87], v[90:91]
	v_fma_f64 v[6:7], v[84:85], v[88:89], -v[6:7]
	v_add_f64 v[8:9], v[4:5], v[6:7]
	scratch_load_dwordx4 v[4:7], off, off offset:320
	v_mul_f64 v[94:95], v[84:85], v[90:91]
	v_fmac_f64_e32 v[94:95], v[86:87], v[88:89]
	v_add_f64 v[92:93], v[92:93], v[94:95]
	s_waitcnt vmcnt(0)
	v_add_f64 v[4:5], v[4:5], -v[8:9]
	v_add_f64 v[6:7], v[6:7], -v[92:93]
	scratch_store_dwordx4 off, v[4:7], off offset:320
	s_and_saveexec_b64 s[2:3], vcc
	s_cbranch_execz .LBB95_167
; %bb.166:
	scratch_load_dwordx4 v[6:9], off, s30
	v_mov_b32_e32 v3, v2
	v_mov_b32_e32 v4, v2
	v_mov_b32_e32 v5, v2
	scratch_store_dwordx4 off, v[2:5], off offset:304
	s_waitcnt vmcnt(1)
	ds_write_b128 v250, v[6:9]
.LBB95_167:
	s_or_b64 exec, exec, s[2:3]
	s_waitcnt lgkmcnt(0)
	; wave barrier
	scratch_load_dwordx4 v[4:7], off, off offset:320
	scratch_load_dwordx4 v[8:11], off, off offset:336
	scratch_load_dwordx4 v[12:15], off, off offset:352
	scratch_load_dwordx4 v[16:19], off, off offset:368
	scratch_load_dwordx4 v[20:23], off, off offset:384
	scratch_load_dwordx4 v[24:27], off, off offset:400
	scratch_load_dwordx4 v[28:31], off, off offset:416
	scratch_load_dwordx4 v[32:35], off, off offset:432
	scratch_load_dwordx4 v[36:39], off, off offset:448
	scratch_load_dwordx4 v[40:43], off, off offset:464
	scratch_load_dwordx4 v[44:47], off, off offset:480
	scratch_load_dwordx4 v[48:51], off, off offset:496
	ds_read_b128 v[52:55], v2 offset:832
	ds_read_b128 v[56:59], v2 offset:848
	;; [unrolled: 1-line block ×4, first 2 shown]
	scratch_load_dwordx4 v[68:71], off, off offset:304
	ds_read_b128 v[72:75], v2 offset:896
	ds_read_b128 v[76:79], v2 offset:912
	;; [unrolled: 1-line block ×8, first 2 shown]
	v_cmp_lt_u32_e32 vcc, 18, v1
	s_waitcnt vmcnt(12) lgkmcnt(11)
	v_mul_f64 v[2:3], v[52:53], v[6:7]
	s_waitcnt vmcnt(11) lgkmcnt(10)
	v_mul_f64 v[104:105], v[56:57], v[10:11]
	v_fmac_f64_e32 v[2:3], v[54:55], v[4:5]
	s_waitcnt vmcnt(10) lgkmcnt(9)
	v_mul_f64 v[106:107], v[60:61], v[14:15]
	v_mul_f64 v[6:7], v[54:55], v[6:7]
	v_fmac_f64_e32 v[104:105], v[58:59], v[8:9]
	v_add_f64 v[2:3], v[2:3], 0
	s_waitcnt vmcnt(9) lgkmcnt(8)
	v_mul_f64 v[108:109], v[64:65], v[18:19]
	v_mul_f64 v[10:11], v[58:59], v[10:11]
	v_fmac_f64_e32 v[106:107], v[62:63], v[12:13]
	v_fma_f64 v[4:5], v[52:53], v[4:5], -v[6:7]
	v_add_f64 v[2:3], v[2:3], v[104:105]
	s_waitcnt vmcnt(8) lgkmcnt(7)
	v_mul_f64 v[110:111], v[72:73], v[22:23]
	v_mul_f64 v[14:15], v[62:63], v[14:15]
	v_fmac_f64_e32 v[108:109], v[66:67], v[16:17]
	v_fma_f64 v[6:7], v[56:57], v[8:9], -v[10:11]
	v_add_f64 v[4:5], v[4:5], 0
	v_add_f64 v[2:3], v[2:3], v[106:107]
	s_waitcnt vmcnt(7) lgkmcnt(6)
	v_mul_f64 v[112:113], v[76:77], v[26:27]
	v_mul_f64 v[18:19], v[66:67], v[18:19]
	v_fmac_f64_e32 v[110:111], v[74:75], v[20:21]
	v_fma_f64 v[8:9], v[60:61], v[12:13], -v[14:15]
	v_add_f64 v[4:5], v[4:5], v[6:7]
	;; [unrolled: 7-line block ×8, first 2 shown]
	v_add_f64 v[2:3], v[2:3], v[120:121]
	v_mul_f64 v[46:47], v[98:99], v[46:47]
	v_fmac_f64_e32 v[124:125], v[102:103], v[48:49]
	v_fma_f64 v[22:23], v[92:93], v[40:41], -v[42:43]
	v_add_f64 v[4:5], v[4:5], v[20:21]
	v_add_f64 v[2:3], v[2:3], v[122:123]
	;; [unrolled: 1-line block ×4, first 2 shown]
	v_fma_f64 v[2:3], v[96:97], v[44:45], -v[46:47]
	v_add_f64 v[2:3], v[4:5], v[2:3]
	v_mul_f64 v[4:5], v[102:103], v[50:51]
	v_fma_f64 v[4:5], v[100:101], v[48:49], -v[4:5]
	v_add_f64 v[2:3], v[2:3], v[4:5]
	s_waitcnt vmcnt(0)
	v_add_f64 v[2:3], v[68:69], -v[2:3]
	v_add_f64 v[4:5], v[70:71], -v[6:7]
	scratch_store_dwordx4 off, v[2:5], off offset:304
	s_and_saveexec_b64 s[2:3], vcc
	s_cbranch_execz .LBB95_169
; %bb.168:
	scratch_load_dwordx4 v[2:5], off, s31
	v_mov_b32_e32 v6, 0
	v_mov_b32_e32 v7, v6
	;; [unrolled: 1-line block ×4, first 2 shown]
	scratch_store_dwordx4 off, v[6:9], off offset:288
	s_waitcnt vmcnt(1)
	ds_write_b128 v250, v[2:5]
.LBB95_169:
	s_or_b64 exec, exec, s[2:3]
	s_waitcnt lgkmcnt(0)
	; wave barrier
	scratch_load_dwordx4 v[4:7], off, off offset:304
	scratch_load_dwordx4 v[8:11], off, off offset:320
	;; [unrolled: 1-line block ×14, first 2 shown]
	v_mov_b32_e32 v2, 0
	ds_read_b128 v[60:63], v2 offset:816
	ds_read_b128 v[64:67], v2 offset:832
	;; [unrolled: 1-line block ×13, first 2 shown]
	v_cmp_lt_u32_e32 vcc, 17, v1
	s_waitcnt vmcnt(13) lgkmcnt(12)
	v_mul_f64 v[112:113], v[60:61], v[6:7]
	v_mul_f64 v[6:7], v[62:63], v[6:7]
	s_waitcnt vmcnt(12) lgkmcnt(11)
	v_mul_f64 v[114:115], v[64:65], v[10:11]
	v_mul_f64 v[10:11], v[66:67], v[10:11]
	v_fmac_f64_e32 v[112:113], v[62:63], v[4:5]
	v_fma_f64 v[4:5], v[60:61], v[4:5], -v[6:7]
	s_waitcnt vmcnt(11) lgkmcnt(10)
	v_mul_f64 v[116:117], v[68:69], v[14:15]
	v_mul_f64 v[14:15], v[70:71], v[14:15]
	v_fma_f64 v[6:7], v[64:65], v[8:9], -v[10:11]
	v_add_f64 v[4:5], v[4:5], 0
	s_waitcnt vmcnt(10) lgkmcnt(9)
	v_mul_f64 v[118:119], v[72:73], v[18:19]
	v_mul_f64 v[18:19], v[74:75], v[18:19]
	v_fmac_f64_e32 v[114:115], v[66:67], v[8:9]
	v_fma_f64 v[8:9], v[68:69], v[12:13], -v[14:15]
	v_add_f64 v[4:5], v[4:5], v[6:7]
	s_waitcnt vmcnt(9) lgkmcnt(8)
	v_mul_f64 v[120:121], v[76:77], v[22:23]
	v_mul_f64 v[22:23], v[78:79], v[22:23]
	v_fma_f64 v[10:11], v[72:73], v[16:17], -v[18:19]
	v_add_f64 v[4:5], v[4:5], v[8:9]
	s_waitcnt vmcnt(8) lgkmcnt(7)
	v_mul_f64 v[122:123], v[80:81], v[26:27]
	v_mul_f64 v[26:27], v[82:83], v[26:27]
	v_fmac_f64_e32 v[116:117], v[70:71], v[12:13]
	v_fma_f64 v[12:13], v[76:77], v[20:21], -v[22:23]
	v_add_f64 v[22:23], v[112:113], 0
	v_add_f64 v[4:5], v[4:5], v[10:11]
	s_waitcnt vmcnt(7) lgkmcnt(6)
	v_mul_f64 v[124:125], v[84:85], v[30:31]
	v_mul_f64 v[30:31], v[86:87], v[30:31]
	v_fma_f64 v[14:15], v[80:81], v[24:25], -v[26:27]
	v_add_f64 v[22:23], v[22:23], v[114:115]
	v_add_f64 v[4:5], v[4:5], v[12:13]
	s_waitcnt vmcnt(6) lgkmcnt(5)
	v_mul_f64 v[126:127], v[88:89], v[34:35]
	v_mul_f64 v[34:35], v[90:91], v[34:35]
	v_fmac_f64_e32 v[118:119], v[74:75], v[16:17]
	v_fma_f64 v[16:17], v[84:85], v[28:29], -v[30:31]
	v_add_f64 v[6:7], v[22:23], v[116:117]
	v_add_f64 v[4:5], v[4:5], v[14:15]
	s_waitcnt vmcnt(5) lgkmcnt(4)
	v_mul_f64 v[128:129], v[92:93], v[38:39]
	v_mul_f64 v[38:39], v[94:95], v[38:39]
	v_fmac_f64_e32 v[120:121], v[78:79], v[20:21]
	v_fma_f64 v[18:19], v[88:89], v[32:33], -v[34:35]
	v_add_f64 v[6:7], v[6:7], v[118:119]
	v_add_f64 v[4:5], v[4:5], v[16:17]
	v_fmac_f64_e32 v[122:123], v[82:83], v[24:25]
	v_fma_f64 v[20:21], v[92:93], v[36:37], -v[38:39]
	v_add_f64 v[6:7], v[6:7], v[120:121]
	v_add_f64 v[4:5], v[4:5], v[18:19]
	s_waitcnt vmcnt(4) lgkmcnt(3)
	v_mul_f64 v[8:9], v[98:99], v[42:43]
	v_fmac_f64_e32 v[124:125], v[86:87], v[28:29]
	v_add_f64 v[6:7], v[6:7], v[122:123]
	v_add_f64 v[4:5], v[4:5], v[20:21]
	v_fma_f64 v[8:9], v[96:97], v[40:41], -v[8:9]
	v_fmac_f64_e32 v[126:127], v[90:91], v[32:33]
	v_add_f64 v[6:7], v[6:7], v[124:125]
	v_add_f64 v[4:5], v[4:5], v[8:9]
	s_waitcnt vmcnt(3) lgkmcnt(2)
	v_mul_f64 v[8:9], v[102:103], v[46:47]
	v_mul_f64 v[130:131], v[96:97], v[42:43]
	v_fmac_f64_e32 v[128:129], v[94:95], v[36:37]
	v_add_f64 v[6:7], v[6:7], v[126:127]
	v_fma_f64 v[8:9], v[100:101], v[44:45], -v[8:9]
	v_mul_f64 v[132:133], v[100:101], v[46:47]
	v_fmac_f64_e32 v[130:131], v[98:99], v[40:41]
	v_add_f64 v[6:7], v[6:7], v[128:129]
	v_add_f64 v[4:5], v[4:5], v[8:9]
	s_waitcnt vmcnt(2) lgkmcnt(1)
	v_mul_f64 v[8:9], v[106:107], v[50:51]
	v_mul_f64 v[134:135], v[104:105], v[50:51]
	v_fmac_f64_e32 v[132:133], v[102:103], v[44:45]
	v_add_f64 v[6:7], v[6:7], v[130:131]
	v_fma_f64 v[8:9], v[104:105], v[48:49], -v[8:9]
	s_waitcnt vmcnt(1) lgkmcnt(0)
	v_mul_f64 v[136:137], v[108:109], v[54:55]
	v_fmac_f64_e32 v[134:135], v[106:107], v[48:49]
	v_add_f64 v[6:7], v[6:7], v[132:133]
	v_add_f64 v[4:5], v[4:5], v[8:9]
	v_mul_f64 v[8:9], v[110:111], v[54:55]
	v_fmac_f64_e32 v[136:137], v[110:111], v[52:53]
	v_add_f64 v[6:7], v[6:7], v[134:135]
	v_fma_f64 v[8:9], v[108:109], v[52:53], -v[8:9]
	v_add_f64 v[6:7], v[6:7], v[136:137]
	v_add_f64 v[4:5], v[4:5], v[8:9]
	s_waitcnt vmcnt(0)
	v_add_f64 v[4:5], v[56:57], -v[4:5]
	v_add_f64 v[6:7], v[58:59], -v[6:7]
	scratch_store_dwordx4 off, v[4:7], off offset:288
	s_and_saveexec_b64 s[2:3], vcc
	s_cbranch_execz .LBB95_171
; %bb.170:
	scratch_load_dwordx4 v[6:9], off, s33
	v_mov_b32_e32 v3, v2
	v_mov_b32_e32 v4, v2
	;; [unrolled: 1-line block ×3, first 2 shown]
	scratch_store_dwordx4 off, v[2:5], off offset:272
	s_waitcnt vmcnt(1)
	ds_write_b128 v250, v[6:9]
.LBB95_171:
	s_or_b64 exec, exec, s[2:3]
	s_waitcnt lgkmcnt(0)
	; wave barrier
	scratch_load_dwordx4 v[4:7], off, off offset:288
	scratch_load_dwordx4 v[8:11], off, off offset:304
	scratch_load_dwordx4 v[12:15], off, off offset:320
	scratch_load_dwordx4 v[16:19], off, off offset:336
	scratch_load_dwordx4 v[20:23], off, off offset:352
	scratch_load_dwordx4 v[24:27], off, off offset:368
	scratch_load_dwordx4 v[28:31], off, off offset:384
	scratch_load_dwordx4 v[32:35], off, off offset:400
	scratch_load_dwordx4 v[36:39], off, off offset:416
	scratch_load_dwordx4 v[40:43], off, off offset:432
	scratch_load_dwordx4 v[44:47], off, off offset:448
	scratch_load_dwordx4 v[48:51], off, off offset:464
	scratch_load_dwordx4 v[52:55], off, off offset:480
	scratch_load_dwordx4 v[56:59], off, off offset:496
	ds_read_b128 v[60:63], v2 offset:800
	ds_read_b128 v[64:67], v2 offset:816
	;; [unrolled: 1-line block ×14, first 2 shown]
	scratch_load_dwordx4 v[116:119], off, off offset:272
	v_cmp_lt_u32_e32 vcc, 16, v1
	s_waitcnt vmcnt(14) lgkmcnt(13)
	v_mul_f64 v[2:3], v[60:61], v[6:7]
	s_waitcnt vmcnt(13) lgkmcnt(12)
	v_mul_f64 v[120:121], v[64:65], v[10:11]
	v_fmac_f64_e32 v[2:3], v[62:63], v[4:5]
	s_waitcnt vmcnt(12) lgkmcnt(11)
	v_mul_f64 v[122:123], v[68:69], v[14:15]
	v_fmac_f64_e32 v[120:121], v[66:67], v[8:9]
	v_add_f64 v[2:3], v[2:3], 0
	s_waitcnt vmcnt(11) lgkmcnt(10)
	v_mul_f64 v[124:125], v[72:73], v[18:19]
	v_fmac_f64_e32 v[122:123], v[70:71], v[12:13]
	v_add_f64 v[2:3], v[2:3], v[120:121]
	;; [unrolled: 4-line block ×4, first 2 shown]
	s_waitcnt vmcnt(8) lgkmcnt(7)
	v_mul_f64 v[130:131], v[84:85], v[30:31]
	v_mul_f64 v[6:7], v[62:63], v[6:7]
	v_fmac_f64_e32 v[128:129], v[82:83], v[24:25]
	v_add_f64 v[2:3], v[2:3], v[126:127]
	s_waitcnt vmcnt(7) lgkmcnt(6)
	v_mul_f64 v[132:133], v[88:89], v[34:35]
	v_mul_f64 v[10:11], v[66:67], v[10:11]
	v_fmac_f64_e32 v[130:131], v[86:87], v[28:29]
	v_fma_f64 v[4:5], v[60:61], v[4:5], -v[6:7]
	v_add_f64 v[2:3], v[2:3], v[128:129]
	s_waitcnt vmcnt(6) lgkmcnt(5)
	v_mul_f64 v[134:135], v[92:93], v[38:39]
	v_mul_f64 v[14:15], v[70:71], v[14:15]
	v_fmac_f64_e32 v[132:133], v[90:91], v[32:33]
	v_fma_f64 v[6:7], v[64:65], v[8:9], -v[10:11]
	v_add_f64 v[4:5], v[4:5], 0
	v_add_f64 v[2:3], v[2:3], v[130:131]
	s_waitcnt vmcnt(5) lgkmcnt(4)
	v_mul_f64 v[136:137], v[96:97], v[42:43]
	v_mul_f64 v[18:19], v[74:75], v[18:19]
	v_fmac_f64_e32 v[134:135], v[94:95], v[36:37]
	v_fma_f64 v[8:9], v[68:69], v[12:13], -v[14:15]
	v_add_f64 v[4:5], v[4:5], v[6:7]
	;; [unrolled: 7-line block ×6, first 2 shown]
	v_add_f64 v[2:3], v[2:3], v[140:141]
	v_fmac_f64_e32 v[144:145], v[114:115], v[56:57]
	v_fma_f64 v[18:19], v[88:89], v[32:33], -v[34:35]
	v_add_f64 v[4:5], v[4:5], v[16:17]
	v_add_f64 v[2:3], v[2:3], v[142:143]
	;; [unrolled: 1-line block ×4, first 2 shown]
	v_mul_f64 v[4:5], v[94:95], v[38:39]
	v_fma_f64 v[4:5], v[92:93], v[36:37], -v[4:5]
	v_add_f64 v[2:3], v[2:3], v[4:5]
	v_mul_f64 v[4:5], v[98:99], v[42:43]
	v_fma_f64 v[4:5], v[96:97], v[40:41], -v[4:5]
	v_add_f64 v[2:3], v[2:3], v[4:5]
	;; [unrolled: 3-line block ×6, first 2 shown]
	s_waitcnt vmcnt(0)
	v_add_f64 v[2:3], v[116:117], -v[2:3]
	v_add_f64 v[4:5], v[118:119], -v[6:7]
	scratch_store_dwordx4 off, v[2:5], off offset:272
	s_and_saveexec_b64 s[2:3], vcc
	s_cbranch_execz .LBB95_173
; %bb.172:
	scratch_load_dwordx4 v[2:5], off, s34
	v_mov_b32_e32 v6, 0
	v_mov_b32_e32 v7, v6
	;; [unrolled: 1-line block ×4, first 2 shown]
	scratch_store_dwordx4 off, v[6:9], off offset:256
	s_waitcnt vmcnt(1)
	ds_write_b128 v250, v[2:5]
.LBB95_173:
	s_or_b64 exec, exec, s[2:3]
	s_waitcnt lgkmcnt(0)
	; wave barrier
	scratch_load_dwordx4 v[4:7], off, off offset:272
	scratch_load_dwordx4 v[8:11], off, off offset:288
	;; [unrolled: 1-line block ×16, first 2 shown]
	v_mov_b32_e32 v2, 0
	ds_read_b128 v[68:71], v2 offset:784
	ds_read_b128 v[72:75], v2 offset:800
	;; [unrolled: 1-line block ×15, first 2 shown]
	v_cmp_lt_u32_e32 vcc, 15, v1
	s_waitcnt vmcnt(15) lgkmcnt(14)
	v_mul_f64 v[128:129], v[68:69], v[6:7]
	v_mul_f64 v[6:7], v[70:71], v[6:7]
	s_waitcnt vmcnt(14) lgkmcnt(13)
	v_mul_f64 v[130:131], v[72:73], v[10:11]
	v_mul_f64 v[10:11], v[74:75], v[10:11]
	v_fmac_f64_e32 v[128:129], v[70:71], v[4:5]
	v_fma_f64 v[4:5], v[68:69], v[4:5], -v[6:7]
	s_waitcnt vmcnt(13) lgkmcnt(12)
	v_mul_f64 v[132:133], v[76:77], v[14:15]
	v_mul_f64 v[14:15], v[78:79], v[14:15]
	v_fma_f64 v[6:7], v[72:73], v[8:9], -v[10:11]
	v_add_f64 v[4:5], v[4:5], 0
	s_waitcnt vmcnt(12) lgkmcnt(11)
	v_mul_f64 v[134:135], v[80:81], v[18:19]
	v_mul_f64 v[18:19], v[82:83], v[18:19]
	v_fmac_f64_e32 v[130:131], v[74:75], v[8:9]
	v_fma_f64 v[8:9], v[76:77], v[12:13], -v[14:15]
	v_add_f64 v[4:5], v[4:5], v[6:7]
	s_waitcnt vmcnt(11) lgkmcnt(10)
	v_mul_f64 v[136:137], v[84:85], v[22:23]
	v_mul_f64 v[22:23], v[86:87], v[22:23]
	v_fma_f64 v[10:11], v[80:81], v[16:17], -v[18:19]
	v_add_f64 v[4:5], v[4:5], v[8:9]
	s_waitcnt vmcnt(10) lgkmcnt(9)
	v_mul_f64 v[138:139], v[88:89], v[26:27]
	v_mul_f64 v[26:27], v[90:91], v[26:27]
	v_fmac_f64_e32 v[132:133], v[78:79], v[12:13]
	v_fma_f64 v[12:13], v[84:85], v[20:21], -v[22:23]
	v_add_f64 v[4:5], v[4:5], v[10:11]
	v_fma_f64 v[14:15], v[88:89], v[24:25], -v[26:27]
	v_add_f64 v[4:5], v[4:5], v[12:13]
	s_waitcnt vmcnt(9) lgkmcnt(8)
	v_mul_f64 v[8:9], v[94:95], v[30:31]
	v_add_f64 v[4:5], v[4:5], v[14:15]
	v_fma_f64 v[8:9], v[92:93], v[28:29], -v[8:9]
	v_add_f64 v[4:5], v[4:5], v[8:9]
	s_waitcnt vmcnt(8) lgkmcnt(7)
	v_mul_f64 v[8:9], v[98:99], v[34:35]
	v_fma_f64 v[8:9], v[96:97], v[32:33], -v[8:9]
	v_fmac_f64_e32 v[134:135], v[82:83], v[16:17]
	v_add_f64 v[16:17], v[128:129], 0
	v_add_f64 v[4:5], v[4:5], v[8:9]
	s_waitcnt vmcnt(7) lgkmcnt(6)
	v_mul_f64 v[8:9], v[102:103], v[38:39]
	v_add_f64 v[16:17], v[16:17], v[130:131]
	v_fma_f64 v[8:9], v[100:101], v[36:37], -v[8:9]
	v_add_f64 v[6:7], v[16:17], v[132:133]
	v_add_f64 v[4:5], v[4:5], v[8:9]
	s_waitcnt vmcnt(6) lgkmcnt(5)
	v_mul_f64 v[8:9], v[106:107], v[42:43]
	v_fmac_f64_e32 v[136:137], v[86:87], v[20:21]
	v_add_f64 v[6:7], v[6:7], v[134:135]
	v_fma_f64 v[8:9], v[104:105], v[40:41], -v[8:9]
	v_mul_f64 v[140:141], v[92:93], v[30:31]
	v_fmac_f64_e32 v[138:139], v[90:91], v[24:25]
	v_add_f64 v[6:7], v[6:7], v[136:137]
	v_add_f64 v[4:5], v[4:5], v[8:9]
	s_waitcnt vmcnt(5) lgkmcnt(4)
	v_mul_f64 v[8:9], v[110:111], v[46:47]
	v_mul_f64 v[142:143], v[96:97], v[34:35]
	v_fmac_f64_e32 v[140:141], v[94:95], v[28:29]
	v_add_f64 v[6:7], v[6:7], v[138:139]
	v_fma_f64 v[8:9], v[108:109], v[44:45], -v[8:9]
	v_mul_f64 v[144:145], v[100:101], v[38:39]
	v_fmac_f64_e32 v[142:143], v[98:99], v[32:33]
	v_add_f64 v[6:7], v[6:7], v[140:141]
	v_add_f64 v[4:5], v[4:5], v[8:9]
	s_waitcnt vmcnt(4) lgkmcnt(3)
	v_mul_f64 v[8:9], v[114:115], v[50:51]
	;; [unrolled: 10-line block ×4, first 2 shown]
	v_mul_f64 v[154:155], v[120:121], v[58:59]
	v_fmac_f64_e32 v[152:153], v[118:119], v[52:53]
	v_add_f64 v[6:7], v[6:7], v[150:151]
	v_fma_f64 v[8:9], v[120:121], v[56:57], -v[8:9]
	s_waitcnt vmcnt(1) lgkmcnt(0)
	v_mul_f64 v[156:157], v[124:125], v[62:63]
	v_fmac_f64_e32 v[154:155], v[122:123], v[56:57]
	v_add_f64 v[6:7], v[6:7], v[152:153]
	v_add_f64 v[4:5], v[4:5], v[8:9]
	v_mul_f64 v[8:9], v[126:127], v[62:63]
	v_fmac_f64_e32 v[156:157], v[126:127], v[60:61]
	v_add_f64 v[6:7], v[6:7], v[154:155]
	v_fma_f64 v[8:9], v[124:125], v[60:61], -v[8:9]
	v_add_f64 v[6:7], v[6:7], v[156:157]
	v_add_f64 v[4:5], v[4:5], v[8:9]
	s_waitcnt vmcnt(0)
	v_add_f64 v[4:5], v[64:65], -v[4:5]
	v_add_f64 v[6:7], v[66:67], -v[6:7]
	scratch_store_dwordx4 off, v[4:7], off offset:256
	s_and_saveexec_b64 s[2:3], vcc
	s_cbranch_execz .LBB95_175
; %bb.174:
	scratch_load_dwordx4 v[6:9], off, s35
	v_mov_b32_e32 v3, v2
	v_mov_b32_e32 v4, v2
	;; [unrolled: 1-line block ×3, first 2 shown]
	scratch_store_dwordx4 off, v[2:5], off offset:240
	s_waitcnt vmcnt(1)
	ds_write_b128 v250, v[6:9]
.LBB95_175:
	s_or_b64 exec, exec, s[2:3]
	s_waitcnt lgkmcnt(0)
	; wave barrier
	scratch_load_dwordx4 v[4:7], off, off offset:256
	scratch_load_dwordx4 v[8:11], off, off offset:272
	;; [unrolled: 1-line block ×16, first 2 shown]
	ds_read_b128 v[68:71], v2 offset:768
	ds_read_b128 v[72:75], v2 offset:784
	;; [unrolled: 1-line block ×16, first 2 shown]
	scratch_load_dwordx4 v[132:135], off, off offset:240
	v_cmp_lt_u32_e32 vcc, 14, v1
	s_waitcnt vmcnt(16) lgkmcnt(14)
	v_mul_f64 v[2:3], v[68:69], v[6:7]
	s_waitcnt vmcnt(15)
	v_mul_f64 v[136:137], v[72:73], v[10:11]
	v_fmac_f64_e32 v[2:3], v[70:71], v[4:5]
	s_waitcnt vmcnt(14) lgkmcnt(13)
	v_mul_f64 v[138:139], v[76:77], v[14:15]
	v_fmac_f64_e32 v[136:137], v[74:75], v[8:9]
	v_add_f64 v[2:3], v[2:3], 0
	s_waitcnt vmcnt(13) lgkmcnt(12)
	v_mul_f64 v[140:141], v[80:81], v[18:19]
	v_fmac_f64_e32 v[138:139], v[78:79], v[12:13]
	v_add_f64 v[2:3], v[2:3], v[136:137]
	;; [unrolled: 4-line block ×10, first 2 shown]
	s_waitcnt vmcnt(4) lgkmcnt(3)
	v_mul_f64 v[158:159], v[116:117], v[54:55]
	v_mul_f64 v[6:7], v[70:71], v[6:7]
	v_fmac_f64_e32 v[156:157], v[114:115], v[48:49]
	v_add_f64 v[2:3], v[2:3], v[154:155]
	s_waitcnt vmcnt(3) lgkmcnt(2)
	v_mul_f64 v[160:161], v[120:121], v[58:59]
	v_mul_f64 v[10:11], v[74:75], v[10:11]
	v_fmac_f64_e32 v[158:159], v[118:119], v[52:53]
	v_fma_f64 v[4:5], v[68:69], v[4:5], -v[6:7]
	v_add_f64 v[2:3], v[2:3], v[156:157]
	s_waitcnt vmcnt(2) lgkmcnt(1)
	v_mul_f64 v[162:163], v[124:125], v[62:63]
	v_mul_f64 v[14:15], v[78:79], v[14:15]
	v_fmac_f64_e32 v[160:161], v[122:123], v[56:57]
	v_fma_f64 v[6:7], v[72:73], v[8:9], -v[10:11]
	v_add_f64 v[4:5], v[4:5], 0
	v_add_f64 v[2:3], v[2:3], v[158:159]
	s_waitcnt vmcnt(1) lgkmcnt(0)
	v_mul_f64 v[164:165], v[128:129], v[66:67]
	v_mul_f64 v[18:19], v[82:83], v[18:19]
	v_fmac_f64_e32 v[162:163], v[126:127], v[60:61]
	v_fma_f64 v[8:9], v[76:77], v[12:13], -v[14:15]
	v_add_f64 v[4:5], v[4:5], v[6:7]
	v_add_f64 v[2:3], v[2:3], v[160:161]
	v_mul_f64 v[26:27], v[86:87], v[26:27]
	v_fmac_f64_e32 v[164:165], v[130:131], v[64:65]
	v_fma_f64 v[10:11], v[80:81], v[16:17], -v[18:19]
	v_add_f64 v[4:5], v[4:5], v[8:9]
	v_add_f64 v[2:3], v[2:3], v[162:163]
	v_fma_f64 v[12:13], v[84:85], v[24:25], -v[26:27]
	v_add_f64 v[4:5], v[4:5], v[10:11]
	v_add_f64 v[6:7], v[2:3], v[164:165]
	v_mul_f64 v[2:3], v[90:91], v[22:23]
	v_add_f64 v[4:5], v[4:5], v[12:13]
	v_fma_f64 v[2:3], v[88:89], v[20:21], -v[2:3]
	v_add_f64 v[2:3], v[4:5], v[2:3]
	v_mul_f64 v[4:5], v[94:95], v[30:31]
	v_fma_f64 v[4:5], v[92:93], v[28:29], -v[4:5]
	v_add_f64 v[2:3], v[2:3], v[4:5]
	v_mul_f64 v[4:5], v[98:99], v[34:35]
	;; [unrolled: 3-line block ×10, first 2 shown]
	v_fma_f64 v[4:5], v[128:129], v[64:65], -v[4:5]
	v_add_f64 v[2:3], v[2:3], v[4:5]
	s_waitcnt vmcnt(0)
	v_add_f64 v[2:3], v[132:133], -v[2:3]
	v_add_f64 v[4:5], v[134:135], -v[6:7]
	scratch_store_dwordx4 off, v[2:5], off offset:240
	s_and_saveexec_b64 s[2:3], vcc
	s_cbranch_execz .LBB95_177
; %bb.176:
	scratch_load_dwordx4 v[2:5], off, s36
	v_mov_b32_e32 v6, 0
	v_mov_b32_e32 v7, v6
	;; [unrolled: 1-line block ×4, first 2 shown]
	scratch_store_dwordx4 off, v[6:9], off offset:224
	s_waitcnt vmcnt(1)
	ds_write_b128 v250, v[2:5]
.LBB95_177:
	s_or_b64 exec, exec, s[2:3]
	s_waitcnt lgkmcnt(0)
	; wave barrier
	scratch_load_dwordx4 v[4:7], off, off offset:240
	scratch_load_dwordx4 v[8:11], off, off offset:256
	;; [unrolled: 1-line block ×18, first 2 shown]
	v_mov_b32_e32 v2, 0
	ds_read_b128 v[76:79], v2 offset:752
	ds_read_b128 v[80:83], v2 offset:768
	;; [unrolled: 1-line block ×17, first 2 shown]
	v_cmp_lt_u32_e32 vcc, 13, v1
	s_waitcnt vmcnt(17) lgkmcnt(14)
	v_mul_f64 v[144:145], v[76:77], v[6:7]
	v_mul_f64 v[6:7], v[78:79], v[6:7]
	s_waitcnt vmcnt(16)
	v_mul_f64 v[146:147], v[80:81], v[10:11]
	v_mul_f64 v[10:11], v[82:83], v[10:11]
	v_fmac_f64_e32 v[144:145], v[78:79], v[4:5]
	v_fma_f64 v[4:5], v[76:77], v[4:5], -v[6:7]
	s_waitcnt vmcnt(15)
	v_mul_f64 v[148:149], v[84:85], v[18:19]
	v_mul_f64 v[18:19], v[86:87], v[18:19]
	v_fma_f64 v[6:7], v[80:81], v[8:9], -v[10:11]
	v_add_f64 v[4:5], v[4:5], 0
	s_waitcnt vmcnt(14) lgkmcnt(13)
	v_mul_f64 v[150:151], v[88:89], v[14:15]
	v_mul_f64 v[14:15], v[90:91], v[14:15]
	v_fmac_f64_e32 v[146:147], v[82:83], v[8:9]
	v_fma_f64 v[8:9], v[84:85], v[16:17], -v[18:19]
	v_add_f64 v[4:5], v[4:5], v[6:7]
	v_add_f64 v[4:5], v[4:5], v[8:9]
	v_fma_f64 v[8:9], v[88:89], v[12:13], -v[14:15]
	v_add_f64 v[4:5], v[4:5], v[8:9]
	s_waitcnt vmcnt(13) lgkmcnt(12)
	v_mul_f64 v[8:9], v[94:95], v[22:23]
	v_fma_f64 v[8:9], v[92:93], v[20:21], -v[8:9]
	v_add_f64 v[4:5], v[4:5], v[8:9]
	s_waitcnt vmcnt(12) lgkmcnt(11)
	v_mul_f64 v[8:9], v[98:99], v[26:27]
	;; [unrolled: 4-line block ×5, first 2 shown]
	v_fma_f64 v[8:9], v[108:109], v[36:37], -v[8:9]
	v_add_f64 v[10:11], v[144:145], 0
	v_add_f64 v[4:5], v[4:5], v[8:9]
	s_waitcnt vmcnt(8) lgkmcnt(7)
	v_mul_f64 v[8:9], v[114:115], v[42:43]
	v_fmac_f64_e32 v[148:149], v[86:87], v[16:17]
	v_add_f64 v[10:11], v[10:11], v[146:147]
	v_fma_f64 v[8:9], v[112:113], v[40:41], -v[8:9]
	v_mul_f64 v[152:153], v[92:93], v[22:23]
	v_fmac_f64_e32 v[150:151], v[90:91], v[12:13]
	v_add_f64 v[6:7], v[10:11], v[148:149]
	v_add_f64 v[4:5], v[4:5], v[8:9]
	s_waitcnt vmcnt(7) lgkmcnt(6)
	v_mul_f64 v[8:9], v[118:119], v[46:47]
	v_mul_f64 v[154:155], v[96:97], v[26:27]
	v_fmac_f64_e32 v[152:153], v[94:95], v[20:21]
	v_add_f64 v[6:7], v[6:7], v[150:151]
	v_fma_f64 v[8:9], v[116:117], v[44:45], -v[8:9]
	v_mul_f64 v[156:157], v[100:101], v[30:31]
	v_fmac_f64_e32 v[154:155], v[98:99], v[24:25]
	v_add_f64 v[6:7], v[6:7], v[152:153]
	v_add_f64 v[4:5], v[4:5], v[8:9]
	s_waitcnt vmcnt(6) lgkmcnt(5)
	v_mul_f64 v[8:9], v[122:123], v[50:51]
	;; [unrolled: 10-line block ×6, first 2 shown]
	v_mul_f64 v[174:175], v[136:137], v[66:67]
	v_fmac_f64_e32 v[172:173], v[134:135], v[60:61]
	v_add_f64 v[6:7], v[6:7], v[170:171]
	v_fma_f64 v[8:9], v[136:137], v[64:65], -v[8:9]
	s_waitcnt vmcnt(1) lgkmcnt(0)
	v_mul_f64 v[176:177], v[140:141], v[70:71]
	v_fmac_f64_e32 v[174:175], v[138:139], v[64:65]
	v_add_f64 v[6:7], v[6:7], v[172:173]
	v_add_f64 v[4:5], v[4:5], v[8:9]
	v_mul_f64 v[8:9], v[142:143], v[70:71]
	v_fmac_f64_e32 v[176:177], v[142:143], v[68:69]
	v_add_f64 v[6:7], v[6:7], v[174:175]
	v_fma_f64 v[8:9], v[140:141], v[68:69], -v[8:9]
	v_add_f64 v[6:7], v[6:7], v[176:177]
	v_add_f64 v[4:5], v[4:5], v[8:9]
	s_waitcnt vmcnt(0)
	v_add_f64 v[4:5], v[72:73], -v[4:5]
	v_add_f64 v[6:7], v[74:75], -v[6:7]
	scratch_store_dwordx4 off, v[4:7], off offset:224
	s_and_saveexec_b64 s[2:3], vcc
	s_cbranch_execz .LBB95_179
; %bb.178:
	scratch_load_dwordx4 v[6:9], off, s37
	v_mov_b32_e32 v3, v2
	v_mov_b32_e32 v4, v2
	;; [unrolled: 1-line block ×3, first 2 shown]
	scratch_store_dwordx4 off, v[2:5], off offset:208
	s_waitcnt vmcnt(1)
	ds_write_b128 v250, v[6:9]
.LBB95_179:
	s_or_b64 exec, exec, s[2:3]
	s_waitcnt lgkmcnt(0)
	; wave barrier
	scratch_load_dwordx4 v[4:7], off, off offset:224
	scratch_load_dwordx4 v[12:15], off, off offset:240
	;; [unrolled: 1-line block ×18, first 2 shown]
	ds_read_b128 v[76:79], v2 offset:736
	ds_read_b128 v[80:83], v2 offset:752
	ds_read_b128 v[84:87], v2 offset:768
	ds_read_b128 v[88:91], v2 offset:784
	ds_read_b128 v[92:95], v2 offset:800
	ds_read_b128 v[96:99], v2 offset:816
	ds_read_b128 v[100:103], v2 offset:832
	ds_read_b128 v[104:107], v2 offset:848
	ds_read_b128 v[108:111], v2 offset:864
	ds_read_b128 v[112:115], v2 offset:880
	ds_read_b128 v[116:119], v2 offset:896
	ds_read_b128 v[120:123], v2 offset:912
	ds_read_b128 v[124:127], v2 offset:928
	ds_read_b128 v[128:131], v2 offset:944
	ds_read_b128 v[132:135], v2 offset:960
	ds_read_b128 v[136:139], v2 offset:976
	ds_read_b128 v[140:143], v2 offset:992
	ds_read_b128 v[144:147], v2 offset:1008
	scratch_load_dwordx4 v[148:151], off, off offset:208
	v_cmp_lt_u32_e32 vcc, 12, v1
	s_waitcnt vmcnt(18) lgkmcnt(14)
	v_mul_f64 v[2:3], v[76:77], v[6:7]
	s_waitcnt vmcnt(17)
	v_mul_f64 v[152:153], v[80:81], v[14:15]
	v_fmac_f64_e32 v[2:3], v[78:79], v[4:5]
	s_waitcnt vmcnt(16)
	v_mul_f64 v[154:155], v[84:85], v[10:11]
	v_fmac_f64_e32 v[152:153], v[82:83], v[12:13]
	v_add_f64 v[2:3], v[2:3], 0
	s_waitcnt vmcnt(15)
	v_mul_f64 v[156:157], v[88:89], v[18:19]
	v_fmac_f64_e32 v[154:155], v[86:87], v[8:9]
	v_add_f64 v[2:3], v[2:3], v[152:153]
	s_waitcnt vmcnt(14) lgkmcnt(13)
	v_mul_f64 v[158:159], v[92:93], v[22:23]
	v_fmac_f64_e32 v[156:157], v[90:91], v[16:17]
	v_add_f64 v[2:3], v[2:3], v[154:155]
	s_waitcnt vmcnt(13) lgkmcnt(12)
	;; [unrolled: 4-line block ×13, first 2 shown]
	v_mul_f64 v[182:183], v[140:141], v[70:71]
	v_mul_f64 v[6:7], v[78:79], v[6:7]
	v_fmac_f64_e32 v[180:181], v[138:139], v[64:65]
	v_add_f64 v[2:3], v[2:3], v[178:179]
	s_waitcnt vmcnt(1) lgkmcnt(0)
	v_mul_f64 v[186:187], v[144:145], v[74:75]
	v_mul_f64 v[14:15], v[82:83], v[14:15]
	v_fmac_f64_e32 v[182:183], v[142:143], v[68:69]
	v_fma_f64 v[4:5], v[76:77], v[4:5], -v[6:7]
	v_add_f64 v[2:3], v[2:3], v[180:181]
	v_mul_f64 v[10:11], v[86:87], v[10:11]
	v_fmac_f64_e32 v[186:187], v[146:147], v[72:73]
	v_fma_f64 v[6:7], v[80:81], v[12:13], -v[14:15]
	v_add_f64 v[4:5], v[4:5], 0
	v_add_f64 v[2:3], v[2:3], v[182:183]
	;; [unrolled: 1-line block ×4, first 2 shown]
	v_fma_f64 v[2:3], v[84:85], v[8:9], -v[10:11]
	v_add_f64 v[2:3], v[4:5], v[2:3]
	v_mul_f64 v[4:5], v[90:91], v[18:19]
	v_fma_f64 v[4:5], v[88:89], v[16:17], -v[4:5]
	v_add_f64 v[2:3], v[2:3], v[4:5]
	v_mul_f64 v[4:5], v[94:95], v[22:23]
	;; [unrolled: 3-line block ×15, first 2 shown]
	v_fma_f64 v[4:5], v[144:145], v[72:73], -v[4:5]
	v_add_f64 v[2:3], v[2:3], v[4:5]
	s_waitcnt vmcnt(0)
	v_add_f64 v[2:3], v[148:149], -v[2:3]
	v_add_f64 v[4:5], v[150:151], -v[6:7]
	scratch_store_dwordx4 off, v[2:5], off offset:208
	s_and_saveexec_b64 s[2:3], vcc
	s_cbranch_execz .LBB95_181
; %bb.180:
	scratch_load_dwordx4 v[2:5], off, s38
	v_mov_b32_e32 v6, 0
	v_mov_b32_e32 v7, v6
	;; [unrolled: 1-line block ×4, first 2 shown]
	scratch_store_dwordx4 off, v[6:9], off offset:192
	s_waitcnt vmcnt(1)
	ds_write_b128 v250, v[2:5]
.LBB95_181:
	s_or_b64 exec, exec, s[2:3]
	v_mov_b32_e32 v2, 0
	s_waitcnt lgkmcnt(0)
	; wave barrier
	ds_read_b128 v[16:19], v2 offset:720
	ds_read_b128 v[12:15], v2 offset:736
	;; [unrolled: 1-line block ×4, first 2 shown]
	scratch_load_dwordx4 v[20:23], off, off offset:208
	scratch_load_dwordx4 v[40:43], off, off offset:272
	;; [unrolled: 1-line block ×13, first 2 shown]
	v_cmp_lt_u32_e32 vcc, 11, v1
	scratch_load_dwordx4 v[48:51], off, off offset:288
	scratch_load_dwordx4 v[56:59], off, off offset:304
	;; [unrolled: 1-line block ×3, first 2 shown]
	s_waitcnt vmcnt(15) lgkmcnt(3)
	v_mul_f64 v[24:25], v[16:17], v[22:23]
	v_fmac_f64_e32 v[24:25], v[18:19], v[20:21]
	v_add_f64 v[28:29], v[24:25], 0
	scratch_load_dwordx4 v[24:27], off, off offset:224
	v_mul_f64 v[18:19], v[18:19], v[22:23]
	v_fma_f64 v[16:17], v[16:17], v[20:21], -v[18:19]
	v_add_f64 v[16:17], v[16:17], 0
	s_waitcnt vmcnt(0) lgkmcnt(2)
	v_mul_f64 v[30:31], v[12:13], v[26:27]
	v_fmac_f64_e32 v[30:31], v[14:15], v[24:25]
	v_add_f64 v[32:33], v[28:29], v[30:31]
	scratch_load_dwordx4 v[28:31], off, off offset:240
	v_mul_f64 v[14:15], v[14:15], v[26:27]
	v_fma_f64 v[12:13], v[12:13], v[24:25], -v[14:15]
	v_add_f64 v[12:13], v[16:17], v[12:13]
	;; [unrolled: 8-line block ×3, first 2 shown]
	s_waitcnt vmcnt(0) lgkmcnt(0)
	v_mul_f64 v[38:39], v[4:5], v[34:35]
	v_fmac_f64_e32 v[38:39], v[6:7], v[32:33]
	v_add_f64 v[44:45], v[36:37], v[38:39]
	ds_read_b128 v[36:39], v2 offset:784
	v_mul_f64 v[6:7], v[6:7], v[34:35]
	v_fma_f64 v[4:5], v[4:5], v[32:33], -v[6:7]
	v_add_f64 v[4:5], v[8:9], v[4:5]
	s_waitcnt lgkmcnt(0)
	v_mul_f64 v[46:47], v[36:37], v[42:43]
	v_fmac_f64_e32 v[46:47], v[38:39], v[40:41]
	v_add_f64 v[52:53], v[44:45], v[46:47]
	ds_read_b128 v[44:47], v2 offset:800
	v_mul_f64 v[6:7], v[38:39], v[42:43]
	v_fma_f64 v[6:7], v[36:37], v[40:41], -v[6:7]
	v_add_f64 v[4:5], v[4:5], v[6:7]
	s_waitcnt lgkmcnt(0)
	;; [unrolled: 8-line block ×15, first 2 shown]
	v_mul_f64 v[6:7], v[152:153], v[156:157]
	v_fma_f64 v[6:7], v[150:151], v[154:155], -v[6:7]
	v_add_f64 v[8:9], v[4:5], v[6:7]
	scratch_load_dwordx4 v[4:7], off, off offset:192
	v_mul_f64 v[158:159], v[150:151], v[156:157]
	v_fmac_f64_e32 v[158:159], v[152:153], v[154:155]
	v_add_f64 v[88:89], v[88:89], v[158:159]
	s_waitcnt vmcnt(0)
	v_add_f64 v[4:5], v[4:5], -v[8:9]
	v_add_f64 v[6:7], v[6:7], -v[88:89]
	scratch_store_dwordx4 off, v[4:7], off offset:192
	s_and_saveexec_b64 s[2:3], vcc
	s_cbranch_execz .LBB95_183
; %bb.182:
	scratch_load_dwordx4 v[6:9], off, s39
	v_mov_b32_e32 v3, v2
	v_mov_b32_e32 v4, v2
	;; [unrolled: 1-line block ×3, first 2 shown]
	scratch_store_dwordx4 off, v[2:5], off offset:176
	s_waitcnt vmcnt(1)
	ds_write_b128 v250, v[6:9]
.LBB95_183:
	s_or_b64 exec, exec, s[2:3]
	s_waitcnt lgkmcnt(0)
	; wave barrier
	ds_read_b128 v[16:19], v2 offset:704
	ds_read_b128 v[12:15], v2 offset:720
	;; [unrolled: 1-line block ×4, first 2 shown]
	scratch_load_dwordx4 v[20:23], off, off offset:192
	scratch_load_dwordx4 v[40:43], off, off offset:256
	;; [unrolled: 1-line block ×14, first 2 shown]
	v_cmp_lt_u32_e32 vcc, 10, v1
	scratch_load_dwordx4 v[48:51], off, off offset:272
	scratch_load_dwordx4 v[56:59], off, off offset:288
	;; [unrolled: 1-line block ×3, first 2 shown]
	s_waitcnt vmcnt(16) lgkmcnt(3)
	v_mul_f64 v[24:25], v[16:17], v[22:23]
	v_fmac_f64_e32 v[24:25], v[18:19], v[20:21]
	v_add_f64 v[28:29], v[24:25], 0
	scratch_load_dwordx4 v[24:27], off, off offset:208
	s_waitcnt vmcnt(0) lgkmcnt(2)
	v_mul_f64 v[30:31], v[12:13], v[26:27]
	v_fmac_f64_e32 v[30:31], v[14:15], v[24:25]
	v_add_f64 v[32:33], v[28:29], v[30:31]
	scratch_load_dwordx4 v[28:31], off, off offset:224
	v_mul_f64 v[14:15], v[14:15], v[26:27]
	v_fma_f64 v[12:13], v[12:13], v[24:25], -v[14:15]
	s_waitcnt vmcnt(0) lgkmcnt(1)
	v_mul_f64 v[34:35], v[8:9], v[30:31]
	v_fmac_f64_e32 v[34:35], v[10:11], v[28:29]
	v_add_f64 v[36:37], v[32:33], v[34:35]
	scratch_load_dwordx4 v[32:35], off, off offset:240
	v_mul_f64 v[10:11], v[10:11], v[30:31]
	v_fma_f64 v[8:9], v[8:9], v[28:29], -v[10:11]
	s_waitcnt vmcnt(0) lgkmcnt(0)
	v_mul_f64 v[38:39], v[4:5], v[34:35]
	v_fmac_f64_e32 v[38:39], v[6:7], v[32:33]
	v_add_f64 v[44:45], v[36:37], v[38:39]
	ds_read_b128 v[36:39], v2 offset:768
	v_mul_f64 v[6:7], v[6:7], v[34:35]
	v_fma_f64 v[4:5], v[4:5], v[32:33], -v[6:7]
	s_waitcnt lgkmcnt(0)
	v_mul_f64 v[46:47], v[36:37], v[42:43]
	v_fmac_f64_e32 v[46:47], v[38:39], v[40:41]
	v_add_f64 v[52:53], v[44:45], v[46:47]
	ds_read_b128 v[44:47], v2 offset:784
	s_waitcnt lgkmcnt(0)
	v_mul_f64 v[54:55], v[44:45], v[50:51]
	v_fmac_f64_e32 v[54:55], v[46:47], v[48:49]
	v_add_f64 v[60:61], v[52:53], v[54:55]
	ds_read_b128 v[52:55], v2 offset:800
	;; [unrolled: 5-line block ×15, first 2 shown]
	s_waitcnt lgkmcnt(0)
	v_mul_f64 v[2:3], v[158:159], v[164:165]
	v_fmac_f64_e32 v[2:3], v[160:161], v[162:163]
	v_add_f64 v[96:97], v[96:97], v[2:3]
	v_mul_f64 v[2:3], v[18:19], v[22:23]
	v_fma_f64 v[2:3], v[16:17], v[20:21], -v[2:3]
	v_add_f64 v[2:3], v[2:3], 0
	v_add_f64 v[2:3], v[2:3], v[12:13]
	v_add_f64 v[2:3], v[2:3], v[8:9]
	v_add_f64 v[2:3], v[2:3], v[4:5]
	v_mul_f64 v[4:5], v[38:39], v[42:43]
	v_fma_f64 v[4:5], v[36:37], v[40:41], -v[4:5]
	v_add_f64 v[2:3], v[2:3], v[4:5]
	v_mul_f64 v[4:5], v[46:47], v[50:51]
	v_fma_f64 v[4:5], v[44:45], v[48:49], -v[4:5]
	v_add_f64 v[2:3], v[2:3], v[4:5]
	;; [unrolled: 3-line block ×16, first 2 shown]
	scratch_load_dwordx4 v[2:5], off, off offset:176
	s_waitcnt vmcnt(0)
	v_add_f64 v[2:3], v[2:3], -v[6:7]
	v_add_f64 v[4:5], v[4:5], -v[96:97]
	scratch_store_dwordx4 off, v[2:5], off offset:176
	s_and_saveexec_b64 s[2:3], vcc
	s_cbranch_execz .LBB95_185
; %bb.184:
	scratch_load_dwordx4 v[2:5], off, s40
	v_mov_b32_e32 v6, 0
	v_mov_b32_e32 v7, v6
	;; [unrolled: 1-line block ×4, first 2 shown]
	scratch_store_dwordx4 off, v[6:9], off offset:160
	s_waitcnt vmcnt(1)
	ds_write_b128 v250, v[2:5]
.LBB95_185:
	s_or_b64 exec, exec, s[2:3]
	v_mov_b32_e32 v2, 0
	s_waitcnt lgkmcnt(0)
	; wave barrier
	ds_read_b128 v[16:19], v2 offset:688
	ds_read_b128 v[12:15], v2 offset:704
	;; [unrolled: 1-line block ×4, first 2 shown]
	scratch_load_dwordx4 v[20:23], off, off offset:176
	scratch_load_dwordx4 v[40:43], off, off offset:240
	;; [unrolled: 1-line block ×15, first 2 shown]
	v_cmp_lt_u32_e32 vcc, 9, v1
	scratch_load_dwordx4 v[48:51], off, off offset:256
	scratch_load_dwordx4 v[56:59], off, off offset:272
	;; [unrolled: 1-line block ×3, first 2 shown]
	s_waitcnt vmcnt(17) lgkmcnt(3)
	v_mul_f64 v[24:25], v[16:17], v[22:23]
	v_fmac_f64_e32 v[24:25], v[18:19], v[20:21]
	v_add_f64 v[28:29], v[24:25], 0
	scratch_load_dwordx4 v[24:27], off, off offset:192
	v_mul_f64 v[18:19], v[18:19], v[22:23]
	v_fma_f64 v[16:17], v[16:17], v[20:21], -v[18:19]
	v_add_f64 v[16:17], v[16:17], 0
	s_waitcnt vmcnt(0) lgkmcnt(2)
	v_mul_f64 v[30:31], v[12:13], v[26:27]
	v_fmac_f64_e32 v[30:31], v[14:15], v[24:25]
	v_add_f64 v[32:33], v[28:29], v[30:31]
	scratch_load_dwordx4 v[28:31], off, off offset:208
	v_mul_f64 v[14:15], v[14:15], v[26:27]
	v_fma_f64 v[12:13], v[12:13], v[24:25], -v[14:15]
	v_add_f64 v[12:13], v[16:17], v[12:13]
	;; [unrolled: 8-line block ×3, first 2 shown]
	s_waitcnt vmcnt(0) lgkmcnt(0)
	v_mul_f64 v[38:39], v[4:5], v[34:35]
	v_fmac_f64_e32 v[38:39], v[6:7], v[32:33]
	v_add_f64 v[44:45], v[36:37], v[38:39]
	ds_read_b128 v[36:39], v2 offset:752
	v_mul_f64 v[6:7], v[6:7], v[34:35]
	v_fma_f64 v[4:5], v[4:5], v[32:33], -v[6:7]
	v_add_f64 v[4:5], v[8:9], v[4:5]
	s_waitcnt lgkmcnt(0)
	v_mul_f64 v[46:47], v[36:37], v[42:43]
	v_fmac_f64_e32 v[46:47], v[38:39], v[40:41]
	v_add_f64 v[52:53], v[44:45], v[46:47]
	ds_read_b128 v[44:47], v2 offset:768
	v_mul_f64 v[6:7], v[38:39], v[42:43]
	v_fma_f64 v[6:7], v[36:37], v[40:41], -v[6:7]
	v_add_f64 v[4:5], v[4:5], v[6:7]
	s_waitcnt lgkmcnt(0)
	;; [unrolled: 8-line block ×17, first 2 shown]
	v_mul_f64 v[6:7], v[168:169], v[172:173]
	v_fma_f64 v[6:7], v[166:167], v[170:171], -v[6:7]
	v_add_f64 v[8:9], v[4:5], v[6:7]
	scratch_load_dwordx4 v[4:7], off, off offset:160
	v_mul_f64 v[174:175], v[166:167], v[172:173]
	v_fmac_f64_e32 v[174:175], v[168:169], v[170:171]
	v_add_f64 v[104:105], v[104:105], v[174:175]
	s_waitcnt vmcnt(0)
	v_add_f64 v[4:5], v[4:5], -v[8:9]
	v_add_f64 v[6:7], v[6:7], -v[104:105]
	scratch_store_dwordx4 off, v[4:7], off offset:160
	s_and_saveexec_b64 s[2:3], vcc
	s_cbranch_execz .LBB95_187
; %bb.186:
	scratch_load_dwordx4 v[6:9], off, s41
	v_mov_b32_e32 v3, v2
	v_mov_b32_e32 v4, v2
	;; [unrolled: 1-line block ×3, first 2 shown]
	scratch_store_dwordx4 off, v[2:5], off offset:144
	s_waitcnt vmcnt(1)
	ds_write_b128 v250, v[6:9]
.LBB95_187:
	s_or_b64 exec, exec, s[2:3]
	s_waitcnt lgkmcnt(0)
	; wave barrier
	ds_read_b128 v[16:19], v2 offset:672
	ds_read_b128 v[12:15], v2 offset:688
	;; [unrolled: 1-line block ×4, first 2 shown]
	scratch_load_dwordx4 v[20:23], off, off offset:160
	scratch_load_dwordx4 v[40:43], off, off offset:224
	scratch_load_dwordx4 v[72:75], off, off offset:288
	scratch_load_dwordx4 v[80:83], off, off offset:304
	scratch_load_dwordx4 v[88:91], off, off offset:320
	scratch_load_dwordx4 v[96:99], off, off offset:336
	scratch_load_dwordx4 v[104:107], off, off offset:352
	scratch_load_dwordx4 v[112:115], off, off offset:368
	scratch_load_dwordx4 v[122:125], off, off offset:384
	scratch_load_dwordx4 v[130:133], off, off offset:400
	scratch_load_dwordx4 v[138:141], off, off offset:416
	scratch_load_dwordx4 v[146:149], off, off offset:432
	scratch_load_dwordx4 v[154:157], off, off offset:448
	scratch_load_dwordx4 v[162:165], off, off offset:464
	scratch_load_dwordx4 v[170:173], off, off offset:480
	scratch_load_dwordx4 v[178:181], off, off offset:496
	v_cmp_lt_u32_e32 vcc, 8, v1
	scratch_load_dwordx4 v[48:51], off, off offset:240
	scratch_load_dwordx4 v[56:59], off, off offset:256
	;; [unrolled: 1-line block ×3, first 2 shown]
	s_waitcnt vmcnt(18) lgkmcnt(3)
	v_mul_f64 v[24:25], v[16:17], v[22:23]
	v_fmac_f64_e32 v[24:25], v[18:19], v[20:21]
	v_add_f64 v[28:29], v[24:25], 0
	scratch_load_dwordx4 v[24:27], off, off offset:176
	s_waitcnt vmcnt(0) lgkmcnt(2)
	v_mul_f64 v[30:31], v[12:13], v[26:27]
	v_fmac_f64_e32 v[30:31], v[14:15], v[24:25]
	v_add_f64 v[32:33], v[28:29], v[30:31]
	scratch_load_dwordx4 v[28:31], off, off offset:192
	v_mul_f64 v[14:15], v[14:15], v[26:27]
	v_fma_f64 v[12:13], v[12:13], v[24:25], -v[14:15]
	s_waitcnt vmcnt(0) lgkmcnt(1)
	v_mul_f64 v[34:35], v[8:9], v[30:31]
	v_fmac_f64_e32 v[34:35], v[10:11], v[28:29]
	v_add_f64 v[36:37], v[32:33], v[34:35]
	scratch_load_dwordx4 v[32:35], off, off offset:208
	v_mul_f64 v[10:11], v[10:11], v[30:31]
	v_fma_f64 v[8:9], v[8:9], v[28:29], -v[10:11]
	s_waitcnt vmcnt(0) lgkmcnt(0)
	v_mul_f64 v[38:39], v[4:5], v[34:35]
	v_fmac_f64_e32 v[38:39], v[6:7], v[32:33]
	v_add_f64 v[44:45], v[36:37], v[38:39]
	ds_read_b128 v[36:39], v2 offset:736
	v_mul_f64 v[6:7], v[6:7], v[34:35]
	v_fma_f64 v[4:5], v[4:5], v[32:33], -v[6:7]
	s_waitcnt lgkmcnt(0)
	v_mul_f64 v[46:47], v[36:37], v[42:43]
	v_fmac_f64_e32 v[46:47], v[38:39], v[40:41]
	v_add_f64 v[52:53], v[44:45], v[46:47]
	ds_read_b128 v[44:47], v2 offset:752
	s_waitcnt lgkmcnt(0)
	v_mul_f64 v[54:55], v[44:45], v[50:51]
	v_fmac_f64_e32 v[54:55], v[46:47], v[48:49]
	v_add_f64 v[60:61], v[52:53], v[54:55]
	ds_read_b128 v[52:55], v2 offset:768
	;; [unrolled: 5-line block ×17, first 2 shown]
	s_waitcnt lgkmcnt(0)
	v_mul_f64 v[2:3], v[174:175], v[180:181]
	v_fmac_f64_e32 v[2:3], v[176:177], v[178:179]
	v_add_f64 v[120:121], v[120:121], v[2:3]
	v_mul_f64 v[2:3], v[18:19], v[22:23]
	v_fma_f64 v[2:3], v[16:17], v[20:21], -v[2:3]
	v_add_f64 v[2:3], v[2:3], 0
	v_add_f64 v[2:3], v[2:3], v[12:13]
	;; [unrolled: 1-line block ×4, first 2 shown]
	v_mul_f64 v[4:5], v[38:39], v[42:43]
	v_fma_f64 v[4:5], v[36:37], v[40:41], -v[4:5]
	v_add_f64 v[2:3], v[2:3], v[4:5]
	v_mul_f64 v[4:5], v[46:47], v[50:51]
	v_fma_f64 v[4:5], v[44:45], v[48:49], -v[4:5]
	v_add_f64 v[2:3], v[2:3], v[4:5]
	;; [unrolled: 3-line block ×18, first 2 shown]
	scratch_load_dwordx4 v[2:5], off, off offset:144
	s_waitcnt vmcnt(0)
	v_add_f64 v[2:3], v[2:3], -v[6:7]
	v_add_f64 v[4:5], v[4:5], -v[120:121]
	scratch_store_dwordx4 off, v[2:5], off offset:144
	s_and_saveexec_b64 s[2:3], vcc
	s_cbranch_execz .LBB95_189
; %bb.188:
	scratch_load_dwordx4 v[2:5], off, s42
	v_mov_b32_e32 v6, 0
	v_mov_b32_e32 v7, v6
	;; [unrolled: 1-line block ×4, first 2 shown]
	scratch_store_dwordx4 off, v[6:9], off offset:128
	s_waitcnt vmcnt(1)
	ds_write_b128 v250, v[2:5]
.LBB95_189:
	s_or_b64 exec, exec, s[2:3]
	v_mov_b32_e32 v2, 0
	s_waitcnt lgkmcnt(0)
	; wave barrier
	ds_read_b128 v[16:19], v2 offset:656
	ds_read_b128 v[12:15], v2 offset:672
	;; [unrolled: 1-line block ×4, first 2 shown]
	scratch_load_dwordx4 v[20:23], off, off offset:144
	scratch_load_dwordx4 v[40:43], off, off offset:208
	;; [unrolled: 1-line block ×17, first 2 shown]
	v_cmp_lt_u32_e32 vcc, 7, v1
	scratch_load_dwordx4 v[48:51], off, off offset:224
	scratch_load_dwordx4 v[56:59], off, off offset:240
	;; [unrolled: 1-line block ×3, first 2 shown]
	ds_read_b128 v[252:255], v2 offset:1008
	s_waitcnt vmcnt(19) lgkmcnt(4)
	v_mul_f64 v[24:25], v[16:17], v[22:23]
	v_fmac_f64_e32 v[24:25], v[18:19], v[20:21]
	v_add_f64 v[28:29], v[24:25], 0
	scratch_load_dwordx4 v[24:27], off, off offset:160
	v_mul_f64 v[18:19], v[18:19], v[22:23]
	v_fma_f64 v[16:17], v[16:17], v[20:21], -v[18:19]
	v_add_f64 v[16:17], v[16:17], 0
	s_waitcnt vmcnt(0) lgkmcnt(3)
	v_mul_f64 v[30:31], v[12:13], v[26:27]
	v_fmac_f64_e32 v[30:31], v[14:15], v[24:25]
	v_add_f64 v[32:33], v[28:29], v[30:31]
	scratch_load_dwordx4 v[28:31], off, off offset:176
	v_mul_f64 v[14:15], v[14:15], v[26:27]
	v_fma_f64 v[12:13], v[12:13], v[24:25], -v[14:15]
	v_add_f64 v[12:13], v[16:17], v[12:13]
	;; [unrolled: 8-line block ×3, first 2 shown]
	s_waitcnt vmcnt(0) lgkmcnt(1)
	v_mul_f64 v[38:39], v[4:5], v[34:35]
	v_fmac_f64_e32 v[38:39], v[6:7], v[32:33]
	v_add_f64 v[44:45], v[36:37], v[38:39]
	ds_read_b128 v[36:39], v2 offset:720
	v_mul_f64 v[6:7], v[6:7], v[34:35]
	v_fma_f64 v[4:5], v[4:5], v[32:33], -v[6:7]
	v_add_f64 v[4:5], v[8:9], v[4:5]
	s_waitcnt lgkmcnt(0)
	v_mul_f64 v[46:47], v[36:37], v[42:43]
	v_fmac_f64_e32 v[46:47], v[38:39], v[40:41]
	v_add_f64 v[52:53], v[44:45], v[46:47]
	ds_read_b128 v[44:47], v2 offset:736
	v_mul_f64 v[6:7], v[38:39], v[42:43]
	v_fma_f64 v[6:7], v[36:37], v[40:41], -v[6:7]
	v_add_f64 v[4:5], v[4:5], v[6:7]
	s_waitcnt lgkmcnt(0)
	;; [unrolled: 8-line block ×18, first 2 shown]
	v_mul_f64 v[6:7], v[176:177], v[180:181]
	v_fma_f64 v[6:7], v[174:175], v[178:179], -v[6:7]
	v_add_f64 v[4:5], v[4:5], v[6:7]
	v_mul_f64 v[6:7], v[254:255], v[188:189]
	v_fma_f64 v[6:7], v[252:253], v[186:187], -v[6:7]
	v_add_f64 v[8:9], v[4:5], v[6:7]
	scratch_load_dwordx4 v[4:7], off, off offset:128
	v_mul_f64 v[182:183], v[174:175], v[180:181]
	v_fmac_f64_e32 v[182:183], v[176:177], v[178:179]
	v_add_f64 v[128:129], v[128:129], v[182:183]
	v_mul_f64 v[182:183], v[252:253], v[188:189]
	v_fmac_f64_e32 v[182:183], v[254:255], v[186:187]
	v_add_f64 v[128:129], v[128:129], v[182:183]
	s_waitcnt vmcnt(0)
	v_add_f64 v[4:5], v[4:5], -v[8:9]
	v_add_f64 v[6:7], v[6:7], -v[128:129]
	scratch_store_dwordx4 off, v[4:7], off offset:128
	s_and_saveexec_b64 s[2:3], vcc
	s_cbranch_execz .LBB95_191
; %bb.190:
	scratch_load_dwordx4 v[6:9], off, s43
	v_mov_b32_e32 v3, v2
	v_mov_b32_e32 v4, v2
	;; [unrolled: 1-line block ×3, first 2 shown]
	scratch_store_dwordx4 off, v[2:5], off offset:112
	s_waitcnt vmcnt(1)
	ds_write_b128 v250, v[6:9]
.LBB95_191:
	s_or_b64 exec, exec, s[2:3]
	s_waitcnt lgkmcnt(0)
	; wave barrier
	ds_read_b128 v[16:19], v2 offset:640
	ds_read_b128 v[12:15], v2 offset:656
	;; [unrolled: 1-line block ×4, first 2 shown]
	scratch_load_dwordx4 v[20:23], off, off offset:128
	scratch_load_dwordx4 v[40:43], off, off offset:192
	scratch_load_dwordx4 v[72:75], off, off offset:256
	scratch_load_dwordx4 v[80:83], off, off offset:272
	scratch_load_dwordx4 v[88:91], off, off offset:288
	scratch_load_dwordx4 v[96:99], off, off offset:304
	scratch_load_dwordx4 v[104:107], off, off offset:320
	scratch_load_dwordx4 v[112:115], off, off offset:336
	scratch_load_dwordx4 v[120:123], off, off offset:352
	scratch_load_dwordx4 v[128:131], off, off offset:368
	scratch_load_dwordx4 v[136:139], off, off offset:384
	scratch_load_dwordx4 v[144:147], off, off offset:400
	scratch_load_dwordx4 v[154:157], off, off offset:416
	scratch_load_dwordx4 v[162:165], off, off offset:432
	scratch_load_dwordx4 v[170:173], off, off offset:448
	scratch_load_dwordx4 v[178:181], off, off offset:464
	scratch_load_dwordx4 v[252:255], off, off offset:480
	scratch_load_dwordx4 v[194:197], off, off offset:496
	v_cmp_lt_u32_e32 vcc, 6, v1
	scratch_load_dwordx4 v[48:51], off, off offset:208
	scratch_load_dwordx4 v[56:59], off, off offset:224
	;; [unrolled: 1-line block ×3, first 2 shown]
	ds_read_b128 v[186:189], v2 offset:992
	ds_read_b128 v[190:193], v2 offset:1008
	s_waitcnt vmcnt(20) lgkmcnt(5)
	v_mul_f64 v[24:25], v[16:17], v[22:23]
	v_fmac_f64_e32 v[24:25], v[18:19], v[20:21]
	v_add_f64 v[28:29], v[24:25], 0
	scratch_load_dwordx4 v[24:27], off, off offset:144
	s_waitcnt vmcnt(0) lgkmcnt(4)
	v_mul_f64 v[30:31], v[12:13], v[26:27]
	v_fmac_f64_e32 v[30:31], v[14:15], v[24:25]
	v_add_f64 v[32:33], v[28:29], v[30:31]
	scratch_load_dwordx4 v[28:31], off, off offset:160
	v_mul_f64 v[14:15], v[14:15], v[26:27]
	v_fma_f64 v[12:13], v[12:13], v[24:25], -v[14:15]
	s_waitcnt vmcnt(0) lgkmcnt(3)
	v_mul_f64 v[34:35], v[8:9], v[30:31]
	v_fmac_f64_e32 v[34:35], v[10:11], v[28:29]
	v_add_f64 v[36:37], v[32:33], v[34:35]
	scratch_load_dwordx4 v[32:35], off, off offset:176
	v_mul_f64 v[10:11], v[10:11], v[30:31]
	v_fma_f64 v[8:9], v[8:9], v[28:29], -v[10:11]
	s_waitcnt vmcnt(0) lgkmcnt(2)
	v_mul_f64 v[38:39], v[4:5], v[34:35]
	v_fmac_f64_e32 v[38:39], v[6:7], v[32:33]
	v_add_f64 v[44:45], v[36:37], v[38:39]
	ds_read_b128 v[36:39], v2 offset:704
	v_mul_f64 v[6:7], v[6:7], v[34:35]
	v_fma_f64 v[4:5], v[4:5], v[32:33], -v[6:7]
	s_waitcnt lgkmcnt(0)
	v_mul_f64 v[46:47], v[36:37], v[42:43]
	v_fmac_f64_e32 v[46:47], v[38:39], v[40:41]
	v_add_f64 v[52:53], v[44:45], v[46:47]
	ds_read_b128 v[44:47], v2 offset:720
	s_waitcnt lgkmcnt(0)
	v_mul_f64 v[54:55], v[44:45], v[50:51]
	v_fmac_f64_e32 v[54:55], v[46:47], v[48:49]
	v_add_f64 v[60:61], v[52:53], v[54:55]
	ds_read_b128 v[52:55], v2 offset:736
	;; [unrolled: 5-line block ×17, first 2 shown]
	v_mul_f64 v[2:3], v[190:191], v[196:197]
	v_fmac_f64_e32 v[2:3], v[192:193], v[194:195]
	s_waitcnt lgkmcnt(0)
	v_mul_f64 v[182:183], v[174:175], v[180:181]
	v_fmac_f64_e32 v[182:183], v[176:177], v[178:179]
	v_add_f64 v[148:149], v[148:149], v[182:183]
	v_mul_f64 v[182:183], v[186:187], v[254:255]
	v_fmac_f64_e32 v[182:183], v[188:189], v[252:253]
	v_add_f64 v[148:149], v[148:149], v[182:183]
	v_add_f64 v[148:149], v[148:149], v[2:3]
	v_mul_f64 v[2:3], v[18:19], v[22:23]
	v_fma_f64 v[2:3], v[16:17], v[20:21], -v[2:3]
	v_add_f64 v[2:3], v[2:3], 0
	v_add_f64 v[2:3], v[2:3], v[12:13]
	;; [unrolled: 1-line block ×4, first 2 shown]
	v_mul_f64 v[4:5], v[38:39], v[42:43]
	v_fma_f64 v[4:5], v[36:37], v[40:41], -v[4:5]
	v_add_f64 v[2:3], v[2:3], v[4:5]
	v_mul_f64 v[4:5], v[46:47], v[50:51]
	v_fma_f64 v[4:5], v[44:45], v[48:49], -v[4:5]
	v_add_f64 v[2:3], v[2:3], v[4:5]
	;; [unrolled: 3-line block ×20, first 2 shown]
	scratch_load_dwordx4 v[2:5], off, off offset:112
	s_waitcnt vmcnt(0)
	v_add_f64 v[2:3], v[2:3], -v[6:7]
	v_add_f64 v[4:5], v[4:5], -v[148:149]
	scratch_store_dwordx4 off, v[2:5], off offset:112
	s_and_saveexec_b64 s[2:3], vcc
	s_cbranch_execz .LBB95_193
; %bb.192:
	scratch_load_dwordx4 v[2:5], off, s44
	v_mov_b32_e32 v6, 0
	v_mov_b32_e32 v7, v6
	;; [unrolled: 1-line block ×4, first 2 shown]
	scratch_store_dwordx4 off, v[6:9], off offset:96
	s_waitcnt vmcnt(1)
	ds_write_b128 v250, v[2:5]
.LBB95_193:
	s_or_b64 exec, exec, s[2:3]
	v_mov_b32_e32 v2, 0
	s_waitcnt lgkmcnt(0)
	; wave barrier
	ds_read_b128 v[16:19], v2 offset:624
	ds_read_b128 v[12:15], v2 offset:640
	;; [unrolled: 1-line block ×4, first 2 shown]
	scratch_load_dwordx4 v[20:23], off, off offset:112
	scratch_load_dwordx4 v[40:43], off, off offset:176
	;; [unrolled: 1-line block ×19, first 2 shown]
	v_cmp_lt_u32_e32 vcc, 5, v1
	scratch_load_dwordx4 v[48:51], off, off offset:192
	scratch_load_dwordx4 v[56:59], off, off offset:208
	;; [unrolled: 1-line block ×3, first 2 shown]
	ds_read_b128 v[186:189], v2 offset:976
	ds_read_b128 v[194:197], v2 offset:992
	;; [unrolled: 1-line block ×3, first 2 shown]
	s_waitcnt vmcnt(21) lgkmcnt(6)
	v_mul_f64 v[24:25], v[16:17], v[22:23]
	v_fmac_f64_e32 v[24:25], v[18:19], v[20:21]
	v_add_f64 v[28:29], v[24:25], 0
	scratch_load_dwordx4 v[24:27], off, off offset:128
	v_mul_f64 v[18:19], v[18:19], v[22:23]
	v_fma_f64 v[16:17], v[16:17], v[20:21], -v[18:19]
	v_add_f64 v[16:17], v[16:17], 0
	s_waitcnt vmcnt(0) lgkmcnt(5)
	v_mul_f64 v[30:31], v[12:13], v[26:27]
	v_fmac_f64_e32 v[30:31], v[14:15], v[24:25]
	v_add_f64 v[32:33], v[28:29], v[30:31]
	scratch_load_dwordx4 v[28:31], off, off offset:144
	v_mul_f64 v[14:15], v[14:15], v[26:27]
	v_fma_f64 v[12:13], v[12:13], v[24:25], -v[14:15]
	v_add_f64 v[12:13], v[16:17], v[12:13]
	;; [unrolled: 8-line block ×3, first 2 shown]
	s_waitcnt vmcnt(0) lgkmcnt(3)
	v_mul_f64 v[38:39], v[4:5], v[34:35]
	v_fmac_f64_e32 v[38:39], v[6:7], v[32:33]
	v_add_f64 v[44:45], v[36:37], v[38:39]
	ds_read_b128 v[36:39], v2 offset:688
	v_mul_f64 v[6:7], v[6:7], v[34:35]
	v_fma_f64 v[4:5], v[4:5], v[32:33], -v[6:7]
	v_add_f64 v[4:5], v[8:9], v[4:5]
	s_waitcnt lgkmcnt(0)
	v_mul_f64 v[46:47], v[36:37], v[42:43]
	v_fmac_f64_e32 v[46:47], v[38:39], v[40:41]
	v_add_f64 v[52:53], v[44:45], v[46:47]
	ds_read_b128 v[44:47], v2 offset:704
	v_mul_f64 v[6:7], v[38:39], v[42:43]
	v_fma_f64 v[6:7], v[36:37], v[40:41], -v[6:7]
	v_add_f64 v[4:5], v[4:5], v[6:7]
	s_waitcnt lgkmcnt(0)
	;; [unrolled: 8-line block ×18, first 2 shown]
	v_mul_f64 v[6:7], v[176:177], v[180:181]
	v_fma_f64 v[6:7], v[174:175], v[178:179], -v[6:7]
	v_add_f64 v[4:5], v[4:5], v[6:7]
	v_mul_f64 v[6:7], v[188:189], v[192:193]
	v_fma_f64 v[6:7], v[186:187], v[190:191], -v[6:7]
	v_add_f64 v[4:5], v[4:5], v[6:7]
	;; [unrolled: 3-line block ×4, first 2 shown]
	scratch_load_dwordx4 v[4:7], off, off offset:96
	v_mul_f64 v[182:183], v[174:175], v[180:181]
	v_fmac_f64_e32 v[182:183], v[176:177], v[178:179]
	v_add_f64 v[144:145], v[144:145], v[182:183]
	v_mul_f64 v[182:183], v[186:187], v[192:193]
	v_fmac_f64_e32 v[182:183], v[188:189], v[190:191]
	v_add_f64 v[144:145], v[144:145], v[182:183]
	;; [unrolled: 3-line block ×4, first 2 shown]
	s_waitcnt vmcnt(0)
	v_add_f64 v[4:5], v[4:5], -v[8:9]
	v_add_f64 v[6:7], v[6:7], -v[144:145]
	scratch_store_dwordx4 off, v[4:7], off offset:96
	s_and_saveexec_b64 s[2:3], vcc
	s_cbranch_execz .LBB95_195
; %bb.194:
	scratch_load_dwordx4 v[6:9], off, s45
	v_mov_b32_e32 v3, v2
	v_mov_b32_e32 v4, v2
	;; [unrolled: 1-line block ×3, first 2 shown]
	scratch_store_dwordx4 off, v[2:5], off offset:80
	s_waitcnt vmcnt(1)
	ds_write_b128 v250, v[6:9]
.LBB95_195:
	s_or_b64 exec, exec, s[2:3]
	s_waitcnt lgkmcnt(0)
	; wave barrier
	ds_read_b128 v[16:19], v2 offset:608
	ds_read_b128 v[12:15], v2 offset:624
	ds_read_b128 v[8:11], v2 offset:640
	ds_read_b128 v[4:7], v2 offset:656
	scratch_load_dwordx4 v[20:23], off, off offset:96
	scratch_load_dwordx4 v[40:43], off, off offset:160
	;; [unrolled: 1-line block ×20, first 2 shown]
	v_cmp_lt_u32_e32 vcc, 4, v1
	scratch_load_dwordx4 v[48:51], off, off offset:176
	scratch_load_dwordx4 v[56:59], off, off offset:192
	;; [unrolled: 1-line block ×3, first 2 shown]
	ds_read_b128 v[186:189], v2 offset:960
	ds_read_b128 v[194:197], v2 offset:976
	;; [unrolled: 1-line block ×4, first 2 shown]
	s_waitcnt vmcnt(22) lgkmcnt(7)
	v_mul_f64 v[24:25], v[16:17], v[22:23]
	v_fmac_f64_e32 v[24:25], v[18:19], v[20:21]
	v_add_f64 v[28:29], v[24:25], 0
	scratch_load_dwordx4 v[24:27], off, off offset:112
	s_waitcnt vmcnt(0) lgkmcnt(6)
	v_mul_f64 v[30:31], v[12:13], v[26:27]
	v_fmac_f64_e32 v[30:31], v[14:15], v[24:25]
	v_add_f64 v[32:33], v[28:29], v[30:31]
	scratch_load_dwordx4 v[28:31], off, off offset:128
	v_mul_f64 v[14:15], v[14:15], v[26:27]
	v_fma_f64 v[12:13], v[12:13], v[24:25], -v[14:15]
	s_waitcnt vmcnt(0) lgkmcnt(5)
	v_mul_f64 v[34:35], v[8:9], v[30:31]
	v_fmac_f64_e32 v[34:35], v[10:11], v[28:29]
	v_add_f64 v[36:37], v[32:33], v[34:35]
	scratch_load_dwordx4 v[32:35], off, off offset:144
	v_mul_f64 v[10:11], v[10:11], v[30:31]
	v_fma_f64 v[8:9], v[8:9], v[28:29], -v[10:11]
	s_waitcnt vmcnt(0) lgkmcnt(4)
	v_mul_f64 v[38:39], v[4:5], v[34:35]
	v_fmac_f64_e32 v[38:39], v[6:7], v[32:33]
	v_add_f64 v[44:45], v[36:37], v[38:39]
	ds_read_b128 v[36:39], v2 offset:672
	v_mul_f64 v[6:7], v[6:7], v[34:35]
	v_fma_f64 v[4:5], v[4:5], v[32:33], -v[6:7]
	s_waitcnt lgkmcnt(0)
	v_mul_f64 v[46:47], v[36:37], v[42:43]
	v_fmac_f64_e32 v[46:47], v[38:39], v[40:41]
	v_add_f64 v[52:53], v[44:45], v[46:47]
	ds_read_b128 v[44:47], v2 offset:688
	s_waitcnt lgkmcnt(0)
	v_mul_f64 v[54:55], v[44:45], v[50:51]
	v_fmac_f64_e32 v[54:55], v[46:47], v[48:49]
	v_add_f64 v[60:61], v[52:53], v[54:55]
	ds_read_b128 v[52:55], v2 offset:704
	;; [unrolled: 5-line block ×17, first 2 shown]
	v_mul_f64 v[2:3], v[206:207], v[212:213]
	v_fmac_f64_e32 v[2:3], v[208:209], v[210:211]
	s_waitcnt lgkmcnt(0)
	v_mul_f64 v[182:183], v[174:175], v[180:181]
	v_fmac_f64_e32 v[182:183], v[176:177], v[178:179]
	v_add_f64 v[168:169], v[168:169], v[182:183]
	v_mul_f64 v[182:183], v[186:187], v[192:193]
	v_fmac_f64_e32 v[182:183], v[188:189], v[190:191]
	v_add_f64 v[168:169], v[168:169], v[182:183]
	;; [unrolled: 3-line block ×4, first 2 shown]
	v_add_f64 v[168:169], v[168:169], v[2:3]
	v_mul_f64 v[2:3], v[18:19], v[22:23]
	v_fma_f64 v[2:3], v[16:17], v[20:21], -v[2:3]
	v_add_f64 v[2:3], v[2:3], 0
	v_add_f64 v[2:3], v[2:3], v[12:13]
	;; [unrolled: 1-line block ×4, first 2 shown]
	v_mul_f64 v[4:5], v[38:39], v[42:43]
	v_fma_f64 v[4:5], v[36:37], v[40:41], -v[4:5]
	v_add_f64 v[2:3], v[2:3], v[4:5]
	v_mul_f64 v[4:5], v[46:47], v[50:51]
	v_fma_f64 v[4:5], v[44:45], v[48:49], -v[4:5]
	v_add_f64 v[2:3], v[2:3], v[4:5]
	;; [unrolled: 3-line block ×22, first 2 shown]
	scratch_load_dwordx4 v[2:5], off, off offset:80
	s_waitcnt vmcnt(0)
	v_add_f64 v[2:3], v[2:3], -v[6:7]
	v_add_f64 v[4:5], v[4:5], -v[168:169]
	scratch_store_dwordx4 off, v[2:5], off offset:80
	s_and_saveexec_b64 s[2:3], vcc
	s_cbranch_execz .LBB95_197
; %bb.196:
	scratch_load_dwordx4 v[2:5], off, s46
	v_mov_b32_e32 v6, 0
	v_mov_b32_e32 v7, v6
	;; [unrolled: 1-line block ×4, first 2 shown]
	scratch_store_dwordx4 off, v[6:9], off offset:64
	s_waitcnt vmcnt(1)
	ds_write_b128 v250, v[2:5]
.LBB95_197:
	s_or_b64 exec, exec, s[2:3]
	v_mov_b32_e32 v2, 0
	s_waitcnt lgkmcnt(0)
	; wave barrier
	ds_read_b128 v[16:19], v2 offset:592
	ds_read_b128 v[12:15], v2 offset:608
	;; [unrolled: 1-line block ×4, first 2 shown]
	scratch_load_dwordx4 v[20:23], off, off offset:80
	scratch_load_dwordx4 v[40:43], off, off offset:144
	;; [unrolled: 1-line block ×21, first 2 shown]
	v_cmp_lt_u32_e32 vcc, 3, v1
	scratch_load_dwordx4 v[48:51], off, off offset:160
	scratch_load_dwordx4 v[56:59], off, off offset:176
	;; [unrolled: 1-line block ×3, first 2 shown]
	ds_read_b128 v[186:189], v2 offset:944
	ds_read_b128 v[194:197], v2 offset:960
	;; [unrolled: 1-line block ×5, first 2 shown]
	s_waitcnt vmcnt(23) lgkmcnt(8)
	v_mul_f64 v[24:25], v[16:17], v[22:23]
	v_fmac_f64_e32 v[24:25], v[18:19], v[20:21]
	v_add_f64 v[28:29], v[24:25], 0
	scratch_load_dwordx4 v[24:27], off, off offset:96
	v_mul_f64 v[18:19], v[18:19], v[22:23]
	v_fma_f64 v[16:17], v[16:17], v[20:21], -v[18:19]
	v_add_f64 v[16:17], v[16:17], 0
	s_waitcnt vmcnt(0) lgkmcnt(7)
	v_mul_f64 v[30:31], v[12:13], v[26:27]
	v_fmac_f64_e32 v[30:31], v[14:15], v[24:25]
	v_add_f64 v[32:33], v[28:29], v[30:31]
	scratch_load_dwordx4 v[28:31], off, off offset:112
	v_mul_f64 v[14:15], v[14:15], v[26:27]
	v_fma_f64 v[12:13], v[12:13], v[24:25], -v[14:15]
	v_add_f64 v[12:13], v[16:17], v[12:13]
	;; [unrolled: 8-line block ×3, first 2 shown]
	s_waitcnt vmcnt(0) lgkmcnt(5)
	v_mul_f64 v[38:39], v[4:5], v[34:35]
	v_fmac_f64_e32 v[38:39], v[6:7], v[32:33]
	v_add_f64 v[44:45], v[36:37], v[38:39]
	ds_read_b128 v[36:39], v2 offset:656
	v_mul_f64 v[6:7], v[6:7], v[34:35]
	v_fma_f64 v[4:5], v[4:5], v[32:33], -v[6:7]
	v_add_f64 v[4:5], v[8:9], v[4:5]
	s_waitcnt lgkmcnt(0)
	v_mul_f64 v[46:47], v[36:37], v[42:43]
	v_fmac_f64_e32 v[46:47], v[38:39], v[40:41]
	v_add_f64 v[52:53], v[44:45], v[46:47]
	ds_read_b128 v[44:47], v2 offset:672
	v_mul_f64 v[6:7], v[38:39], v[42:43]
	v_fma_f64 v[6:7], v[36:37], v[40:41], -v[6:7]
	v_add_f64 v[4:5], v[4:5], v[6:7]
	s_waitcnt lgkmcnt(0)
	;; [unrolled: 8-line block ×18, first 2 shown]
	v_mul_f64 v[6:7], v[176:177], v[180:181]
	v_fma_f64 v[6:7], v[174:175], v[178:179], -v[6:7]
	v_add_f64 v[4:5], v[4:5], v[6:7]
	v_mul_f64 v[6:7], v[188:189], v[192:193]
	v_fma_f64 v[6:7], v[186:187], v[190:191], -v[6:7]
	v_add_f64 v[4:5], v[4:5], v[6:7]
	;; [unrolled: 3-line block ×6, first 2 shown]
	scratch_load_dwordx4 v[4:7], off, off offset:64
	v_mul_f64 v[182:183], v[174:175], v[180:181]
	v_fmac_f64_e32 v[182:183], v[176:177], v[178:179]
	v_add_f64 v[160:161], v[160:161], v[182:183]
	v_mul_f64 v[182:183], v[186:187], v[192:193]
	v_fmac_f64_e32 v[182:183], v[188:189], v[190:191]
	v_add_f64 v[160:161], v[160:161], v[182:183]
	;; [unrolled: 3-line block ×6, first 2 shown]
	s_waitcnt vmcnt(0)
	v_add_f64 v[4:5], v[4:5], -v[8:9]
	v_add_f64 v[6:7], v[6:7], -v[160:161]
	scratch_store_dwordx4 off, v[4:7], off offset:64
	s_and_saveexec_b64 s[2:3], vcc
	s_cbranch_execz .LBB95_199
; %bb.198:
	scratch_load_dwordx4 v[6:9], off, s47
	v_mov_b32_e32 v3, v2
	v_mov_b32_e32 v4, v2
	;; [unrolled: 1-line block ×3, first 2 shown]
	scratch_store_dwordx4 off, v[2:5], off offset:48
	s_waitcnt vmcnt(1)
	ds_write_b128 v250, v[6:9]
.LBB95_199:
	s_or_b64 exec, exec, s[2:3]
	s_waitcnt lgkmcnt(0)
	; wave barrier
	ds_read_b128 v[16:19], v2 offset:576
	ds_read_b128 v[12:15], v2 offset:592
	;; [unrolled: 1-line block ×4, first 2 shown]
	scratch_load_dwordx4 v[20:23], off, off offset:64
	scratch_load_dwordx4 v[40:43], off, off offset:128
	;; [unrolled: 1-line block ×22, first 2 shown]
	v_cmp_lt_u32_e32 vcc, 2, v1
	scratch_load_dwordx4 v[48:51], off, off offset:144
	scratch_load_dwordx4 v[56:59], off, off offset:160
	;; [unrolled: 1-line block ×3, first 2 shown]
	ds_read_b128 v[186:189], v2 offset:928
	ds_read_b128 v[194:197], v2 offset:944
	;; [unrolled: 1-line block ×6, first 2 shown]
	s_waitcnt vmcnt(24) lgkmcnt(9)
	v_mul_f64 v[24:25], v[16:17], v[22:23]
	v_fmac_f64_e32 v[24:25], v[18:19], v[20:21]
	v_add_f64 v[28:29], v[24:25], 0
	scratch_load_dwordx4 v[24:27], off, off offset:80
	s_waitcnt vmcnt(0) lgkmcnt(8)
	v_mul_f64 v[30:31], v[12:13], v[26:27]
	v_fmac_f64_e32 v[30:31], v[14:15], v[24:25]
	v_add_f64 v[32:33], v[28:29], v[30:31]
	scratch_load_dwordx4 v[28:31], off, off offset:96
	v_mul_f64 v[14:15], v[14:15], v[26:27]
	v_fma_f64 v[12:13], v[12:13], v[24:25], -v[14:15]
	s_waitcnt vmcnt(0) lgkmcnt(7)
	v_mul_f64 v[34:35], v[8:9], v[30:31]
	v_fmac_f64_e32 v[34:35], v[10:11], v[28:29]
	v_add_f64 v[36:37], v[32:33], v[34:35]
	scratch_load_dwordx4 v[32:35], off, off offset:112
	v_mul_f64 v[10:11], v[10:11], v[30:31]
	v_fma_f64 v[8:9], v[8:9], v[28:29], -v[10:11]
	s_waitcnt vmcnt(0) lgkmcnt(6)
	v_mul_f64 v[38:39], v[4:5], v[34:35]
	v_fmac_f64_e32 v[38:39], v[6:7], v[32:33]
	v_add_f64 v[44:45], v[36:37], v[38:39]
	ds_read_b128 v[36:39], v2 offset:640
	v_mul_f64 v[6:7], v[6:7], v[34:35]
	v_fma_f64 v[4:5], v[4:5], v[32:33], -v[6:7]
	s_waitcnt lgkmcnt(0)
	v_mul_f64 v[46:47], v[36:37], v[42:43]
	v_fmac_f64_e32 v[46:47], v[38:39], v[40:41]
	v_add_f64 v[52:53], v[44:45], v[46:47]
	ds_read_b128 v[44:47], v2 offset:656
	s_waitcnt lgkmcnt(0)
	v_mul_f64 v[54:55], v[44:45], v[50:51]
	v_fmac_f64_e32 v[54:55], v[46:47], v[48:49]
	v_add_f64 v[60:61], v[52:53], v[54:55]
	ds_read_b128 v[52:55], v2 offset:672
	;; [unrolled: 5-line block ×17, first 2 shown]
	v_mul_f64 v[2:3], v[222:223], v[228:229]
	v_fmac_f64_e32 v[2:3], v[224:225], v[226:227]
	s_waitcnt lgkmcnt(0)
	v_mul_f64 v[182:183], v[172:173], v[180:181]
	v_fmac_f64_e32 v[182:183], v[174:175], v[178:179]
	v_add_f64 v[176:177], v[176:177], v[182:183]
	v_mul_f64 v[182:183], v[186:187], v[192:193]
	v_fmac_f64_e32 v[182:183], v[188:189], v[190:191]
	v_add_f64 v[176:177], v[176:177], v[182:183]
	;; [unrolled: 3-line block ×6, first 2 shown]
	v_add_f64 v[176:177], v[176:177], v[2:3]
	v_mul_f64 v[2:3], v[18:19], v[22:23]
	v_fma_f64 v[2:3], v[16:17], v[20:21], -v[2:3]
	v_add_f64 v[2:3], v[2:3], 0
	v_add_f64 v[2:3], v[2:3], v[12:13]
	;; [unrolled: 1-line block ×4, first 2 shown]
	v_mul_f64 v[4:5], v[38:39], v[42:43]
	v_fma_f64 v[4:5], v[36:37], v[40:41], -v[4:5]
	v_add_f64 v[2:3], v[2:3], v[4:5]
	v_mul_f64 v[4:5], v[46:47], v[50:51]
	v_fma_f64 v[4:5], v[44:45], v[48:49], -v[4:5]
	v_add_f64 v[2:3], v[2:3], v[4:5]
	;; [unrolled: 3-line block ×24, first 2 shown]
	scratch_load_dwordx4 v[2:5], off, off offset:48
	s_waitcnt vmcnt(0)
	v_add_f64 v[2:3], v[2:3], -v[6:7]
	v_add_f64 v[4:5], v[4:5], -v[176:177]
	scratch_store_dwordx4 off, v[2:5], off offset:48
	s_and_saveexec_b64 s[2:3], vcc
	s_cbranch_execz .LBB95_201
; %bb.200:
	scratch_load_dwordx4 v[2:5], off, s48
	v_mov_b32_e32 v6, 0
	v_mov_b32_e32 v7, v6
	;; [unrolled: 1-line block ×4, first 2 shown]
	scratch_store_dwordx4 off, v[6:9], off offset:32
	s_waitcnt vmcnt(1)
	ds_write_b128 v250, v[2:5]
.LBB95_201:
	s_or_b64 exec, exec, s[2:3]
	v_mov_b32_e32 v2, 0
	s_waitcnt lgkmcnt(0)
	; wave barrier
	ds_read_b128 v[16:19], v2 offset:560
	ds_read_b128 v[12:15], v2 offset:576
	;; [unrolled: 1-line block ×4, first 2 shown]
	scratch_load_dwordx4 v[20:23], off, off offset:48
	scratch_load_dwordx4 v[40:43], off, off offset:112
	;; [unrolled: 1-line block ×23, first 2 shown]
	v_cmp_lt_u32_e32 vcc, 1, v1
	scratch_load_dwordx4 v[48:51], off, off offset:128
	scratch_load_dwordx4 v[56:59], off, off offset:144
	;; [unrolled: 1-line block ×3, first 2 shown]
	ds_read_b128 v[186:189], v2 offset:912
	ds_read_b128 v[194:197], v2 offset:928
	;; [unrolled: 1-line block ×7, first 2 shown]
	s_waitcnt vmcnt(25) lgkmcnt(10)
	v_mul_f64 v[24:25], v[16:17], v[22:23]
	v_fmac_f64_e32 v[24:25], v[18:19], v[20:21]
	v_add_f64 v[28:29], v[24:25], 0
	scratch_load_dwordx4 v[24:27], off, off offset:64
	v_mul_f64 v[18:19], v[18:19], v[22:23]
	v_fma_f64 v[16:17], v[16:17], v[20:21], -v[18:19]
	v_add_f64 v[16:17], v[16:17], 0
	s_waitcnt vmcnt(0) lgkmcnt(9)
	v_mul_f64 v[30:31], v[12:13], v[26:27]
	v_fmac_f64_e32 v[30:31], v[14:15], v[24:25]
	v_add_f64 v[32:33], v[28:29], v[30:31]
	scratch_load_dwordx4 v[28:31], off, off offset:80
	v_mul_f64 v[14:15], v[14:15], v[26:27]
	v_fma_f64 v[12:13], v[12:13], v[24:25], -v[14:15]
	v_add_f64 v[12:13], v[16:17], v[12:13]
	;; [unrolled: 8-line block ×3, first 2 shown]
	s_waitcnt vmcnt(0) lgkmcnt(7)
	v_mul_f64 v[38:39], v[4:5], v[34:35]
	v_fmac_f64_e32 v[38:39], v[6:7], v[32:33]
	v_add_f64 v[44:45], v[36:37], v[38:39]
	ds_read_b128 v[36:39], v2 offset:624
	v_mul_f64 v[6:7], v[6:7], v[34:35]
	v_fma_f64 v[4:5], v[4:5], v[32:33], -v[6:7]
	v_add_f64 v[4:5], v[8:9], v[4:5]
	s_waitcnt lgkmcnt(0)
	v_mul_f64 v[46:47], v[36:37], v[42:43]
	v_fmac_f64_e32 v[46:47], v[38:39], v[40:41]
	v_add_f64 v[52:53], v[44:45], v[46:47]
	ds_read_b128 v[44:47], v2 offset:640
	v_mul_f64 v[6:7], v[38:39], v[42:43]
	v_fma_f64 v[6:7], v[36:37], v[40:41], -v[6:7]
	v_add_f64 v[4:5], v[4:5], v[6:7]
	s_waitcnt lgkmcnt(0)
	;; [unrolled: 8-line block ×18, first 2 shown]
	v_mul_f64 v[6:7], v[174:175], v[180:181]
	v_fma_f64 v[6:7], v[172:173], v[178:179], -v[6:7]
	v_add_f64 v[4:5], v[4:5], v[6:7]
	v_mul_f64 v[6:7], v[188:189], v[192:193]
	v_fma_f64 v[6:7], v[186:187], v[190:191], -v[6:7]
	v_add_f64 v[4:5], v[4:5], v[6:7]
	;; [unrolled: 3-line block ×8, first 2 shown]
	scratch_load_dwordx4 v[4:7], off, off offset:32
	v_mul_f64 v[182:183], v[172:173], v[180:181]
	v_fmac_f64_e32 v[182:183], v[174:175], v[178:179]
	v_add_f64 v[176:177], v[176:177], v[182:183]
	v_mul_f64 v[182:183], v[186:187], v[192:193]
	v_fmac_f64_e32 v[182:183], v[188:189], v[190:191]
	v_add_f64 v[176:177], v[176:177], v[182:183]
	v_mul_f64 v[182:183], v[194:195], v[200:201]
	v_fmac_f64_e32 v[182:183], v[196:197], v[198:199]
	v_add_f64 v[176:177], v[176:177], v[182:183]
	v_mul_f64 v[182:183], v[202:203], v[208:209]
	v_fmac_f64_e32 v[182:183], v[204:205], v[206:207]
	v_add_f64 v[176:177], v[176:177], v[182:183]
	v_mul_f64 v[182:183], v[210:211], v[216:217]
	v_fmac_f64_e32 v[182:183], v[212:213], v[214:215]
	v_add_f64 v[176:177], v[176:177], v[182:183]
	v_mul_f64 v[182:183], v[218:219], v[224:225]
	v_fmac_f64_e32 v[182:183], v[220:221], v[222:223]
	v_add_f64 v[176:177], v[176:177], v[182:183]
	v_mul_f64 v[182:183], v[226:227], v[254:255]
	v_fmac_f64_e32 v[182:183], v[228:229], v[252:253]
	v_add_f64 v[176:177], v[176:177], v[182:183]
	v_mul_f64 v[182:183], v[230:231], v[236:237]
	v_fmac_f64_e32 v[182:183], v[232:233], v[234:235]
	v_add_f64 v[176:177], v[176:177], v[182:183]
	s_waitcnt vmcnt(0)
	v_add_f64 v[4:5], v[4:5], -v[8:9]
	v_add_f64 v[6:7], v[6:7], -v[176:177]
	scratch_store_dwordx4 off, v[4:7], off offset:32
	s_and_saveexec_b64 s[2:3], vcc
	s_cbranch_execz .LBB95_203
; %bb.202:
	scratch_load_dwordx4 v[6:9], off, s49
	v_mov_b32_e32 v3, v2
	v_mov_b32_e32 v4, v2
	;; [unrolled: 1-line block ×3, first 2 shown]
	scratch_store_dwordx4 off, v[2:5], off offset:16
	s_waitcnt vmcnt(1)
	ds_write_b128 v250, v[6:9]
.LBB95_203:
	s_or_b64 exec, exec, s[2:3]
	s_waitcnt lgkmcnt(0)
	; wave barrier
	ds_read_b128 v[16:19], v2 offset:544
	ds_read_b128 v[12:15], v2 offset:560
	;; [unrolled: 1-line block ×4, first 2 shown]
	scratch_load_dwordx4 v[20:23], off, off offset:32
	scratch_load_dwordx4 v[40:43], off, off offset:96
	;; [unrolled: 1-line block ×23, first 2 shown]
	v_cmp_ne_u32_e32 vcc, 0, v1
	scratch_load_dwordx4 v[48:51], off, off offset:112
	scratch_load_dwordx4 v[56:59], off, off offset:128
	scratch_load_dwordx4 v[64:67], off, off offset:144
	ds_read_b128 v[252:255], v2 offset:1008
	s_waitcnt vmcnt(25) lgkmcnt(4)
	v_mul_f64 v[24:25], v[16:17], v[22:23]
	v_fmac_f64_e32 v[24:25], v[18:19], v[20:21]
	v_add_f64 v[28:29], v[24:25], 0
	scratch_load_dwordx4 v[24:27], off, off offset:48
	s_waitcnt vmcnt(0) lgkmcnt(3)
	v_mul_f64 v[30:31], v[12:13], v[26:27]
	v_fmac_f64_e32 v[30:31], v[14:15], v[24:25]
	v_add_f64 v[32:33], v[28:29], v[30:31]
	scratch_load_dwordx4 v[28:31], off, off offset:64
	v_mul_f64 v[14:15], v[14:15], v[26:27]
	v_fma_f64 v[12:13], v[12:13], v[24:25], -v[14:15]
	s_waitcnt vmcnt(0) lgkmcnt(2)
	v_mul_f64 v[34:35], v[8:9], v[30:31]
	v_fmac_f64_e32 v[34:35], v[10:11], v[28:29]
	v_add_f64 v[36:37], v[32:33], v[34:35]
	scratch_load_dwordx4 v[32:35], off, off offset:80
	v_mul_f64 v[10:11], v[10:11], v[30:31]
	v_fma_f64 v[8:9], v[8:9], v[28:29], -v[10:11]
	s_waitcnt vmcnt(0) lgkmcnt(1)
	v_mul_f64 v[38:39], v[4:5], v[34:35]
	v_fmac_f64_e32 v[38:39], v[6:7], v[32:33]
	v_add_f64 v[44:45], v[36:37], v[38:39]
	ds_read_b128 v[36:39], v2 offset:608
	v_mul_f64 v[6:7], v[6:7], v[34:35]
	v_fma_f64 v[4:5], v[4:5], v[32:33], -v[6:7]
	s_waitcnt lgkmcnt(0)
	v_mul_f64 v[46:47], v[36:37], v[42:43]
	v_fmac_f64_e32 v[46:47], v[38:39], v[40:41]
	v_add_f64 v[52:53], v[44:45], v[46:47]
	ds_read_b128 v[44:47], v2 offset:624
	s_waitcnt lgkmcnt(0)
	v_mul_f64 v[54:55], v[44:45], v[50:51]
	v_fmac_f64_e32 v[54:55], v[46:47], v[48:49]
	v_add_f64 v[60:61], v[52:53], v[54:55]
	ds_read_b128 v[52:55], v2 offset:640
	;; [unrolled: 5-line block ×24, first 2 shown]
	s_waitcnt lgkmcnt(0)
	v_mul_f64 v[240:241], v[230:231], v[236:237]
	v_fmac_f64_e32 v[240:241], v[232:233], v[234:235]
	v_add_f64 v[248:249], v[238:239], v[240:241]
	scratch_load_dwordx4 v[238:241], off, off offset:496
	s_waitcnt vmcnt(0)
	v_mul_f64 v[2:3], v[252:253], v[240:241]
	v_fmac_f64_e32 v[2:3], v[254:255], v[238:239]
	v_add_f64 v[248:249], v[248:249], v[2:3]
	v_mul_f64 v[2:3], v[18:19], v[22:23]
	v_fma_f64 v[2:3], v[16:17], v[20:21], -v[2:3]
	v_add_f64 v[2:3], v[2:3], 0
	v_add_f64 v[2:3], v[2:3], v[12:13]
	;; [unrolled: 1-line block ×4, first 2 shown]
	v_mul_f64 v[4:5], v[38:39], v[42:43]
	v_fma_f64 v[4:5], v[36:37], v[40:41], -v[4:5]
	v_add_f64 v[2:3], v[2:3], v[4:5]
	v_mul_f64 v[4:5], v[46:47], v[50:51]
	v_fma_f64 v[4:5], v[44:45], v[48:49], -v[4:5]
	v_add_f64 v[2:3], v[2:3], v[4:5]
	;; [unrolled: 3-line block ×26, first 2 shown]
	scratch_load_dwordx4 v[2:5], off, off offset:16
	s_waitcnt vmcnt(0)
	v_add_f64 v[2:3], v[2:3], -v[6:7]
	v_add_f64 v[4:5], v[4:5], -v[248:249]
	scratch_store_dwordx4 off, v[2:5], off offset:16
	s_and_saveexec_b64 s[2:3], vcc
	s_cbranch_execz .LBB95_205
; %bb.204:
	scratch_load_dwordx4 v[2:5], off, off
	v_mov_b32_e32 v6, 0
	v_mov_b32_e32 v7, v6
	;; [unrolled: 1-line block ×4, first 2 shown]
	scratch_store_dwordx4 off, v[6:9], off
	s_waitcnt vmcnt(1)
	ds_write_b128 v250, v[2:5]
.LBB95_205:
	s_or_b64 exec, exec, s[2:3]
	s_waitcnt lgkmcnt(0)
	; wave barrier
	scratch_load_dwordx4 v[10:13], off, off offset:16
	scratch_load_dwordx4 v[6:9], off, off offset:32
	scratch_load_dwordx4 v[2:5], off, off offset:48
	scratch_load_dwordx4 v[14:17], off, off offset:64
	scratch_load_dwordx4 v[18:21], off, off offset:80
	scratch_load_dwordx4 v[22:25], off, off offset:96
	scratch_load_dwordx4 v[26:29], off, off offset:112
	scratch_load_dwordx4 v[30:33], off, off offset:128
	scratch_load_dwordx4 v[34:37], off, off offset:144
	scratch_load_dwordx4 v[38:41], off, off offset:160
	scratch_load_dwordx4 v[42:45], off, off offset:176
	scratch_load_dwordx4 v[46:49], off, off offset:192
	scratch_load_dwordx4 v[50:53], off, off offset:208
	scratch_load_dwordx4 v[54:57], off, off offset:224
	scratch_load_dwordx4 v[58:61], off, off offset:240
	scratch_load_dwordx4 v[62:65], off, off offset:256
	scratch_load_dwordx4 v[66:69], off, off offset:272
	scratch_load_dwordx4 v[70:73], off, off offset:288
	scratch_load_dwordx4 v[74:77], off, off offset:304
	scratch_load_dwordx4 v[78:81], off, off offset:320
	scratch_load_dwordx4 v[82:85], off, off offset:336
	scratch_load_dwordx4 v[86:89], off, off offset:352
	scratch_load_dwordx4 v[90:93], off, off offset:368
	scratch_load_dwordx4 v[94:97], off, off offset:384
	scratch_load_dwordx4 v[98:101], off, off offset:400
	scratch_load_dwordx4 v[102:105], off, off offset:416
	scratch_load_dwordx4 v[106:109], off, off offset:432
	scratch_load_dwordx4 v[110:113], off, off offset:448
	scratch_load_dwordx4 v[114:117], off, off offset:464
	scratch_load_dwordx4 v[118:121], off, off offset:480
	scratch_load_dwordx4 v[122:125], off, off offset:496
	scratch_load_dwordx4 v[128:131], off, off
	v_mov_b32_e32 v126, 0
	ds_read_b128 v[132:135], v126 offset:528
	ds_read_b128 v[136:139], v126 offset:544
	;; [unrolled: 1-line block ×18, first 2 shown]
	s_and_b64 vcc, exec, s[14:15]
	s_waitcnt vmcnt(31) lgkmcnt(14)
	v_mul_f64 v[202:203], v[132:133], v[12:13]
	s_waitcnt vmcnt(30)
	v_mul_f64 v[204:205], v[136:137], v[8:9]
	v_fmac_f64_e32 v[202:203], v[134:135], v[10:11]
	s_waitcnt vmcnt(29)
	v_mul_f64 v[206:207], v[140:141], v[4:5]
	v_fmac_f64_e32 v[204:205], v[138:139], v[6:7]
	v_add_f64 v[202:203], v[202:203], 0
	s_waitcnt vmcnt(28)
	v_mul_f64 v[208:209], v[144:145], v[16:17]
	v_fmac_f64_e32 v[206:207], v[142:143], v[2:3]
	v_add_f64 v[202:203], v[202:203], v[204:205]
	s_waitcnt vmcnt(27) lgkmcnt(13)
	v_mul_f64 v[210:211], v[148:149], v[20:21]
	v_fmac_f64_e32 v[208:209], v[146:147], v[14:15]
	v_add_f64 v[202:203], v[202:203], v[206:207]
	s_waitcnt vmcnt(26) lgkmcnt(12)
	;; [unrolled: 4-line block ×11, first 2 shown]
	v_mul_f64 v[230:231], v[190:191], v[60:61]
	v_fmac_f64_e32 v[228:229], v[188:189], v[54:55]
	v_add_f64 v[202:203], v[202:203], v[226:227]
	v_fmac_f64_e32 v[230:231], v[192:193], v[58:59]
	v_add_f64 v[202:203], v[202:203], v[228:229]
	s_waitcnt vmcnt(16) lgkmcnt(2)
	v_mul_f64 v[204:205], v[194:195], v[64:65]
	v_add_f64 v[202:203], v[202:203], v[230:231]
	v_fmac_f64_e32 v[204:205], v[196:197], v[62:63]
	v_add_f64 v[206:207], v[202:203], v[204:205]
	ds_read_b128 v[202:205], v126 offset:800
	s_waitcnt vmcnt(15) lgkmcnt(2)
	v_mul_f64 v[208:209], v[198:199], v[68:69]
	v_fmac_f64_e32 v[208:209], v[200:201], v[66:67]
	v_add_f64 v[210:211], v[206:207], v[208:209]
	ds_read_b128 v[206:209], v126 offset:816
	s_waitcnt vmcnt(14) lgkmcnt(1)
	v_mul_f64 v[212:213], v[202:203], v[72:73]
	;; [unrolled: 5-line block ×10, first 2 shown]
	v_fmac_f64_e32 v[254:255], v[236:237], v[102:103]
	v_add_f64 v[252:253], v[252:253], v[254:255]
	v_mul_f64 v[12:13], v[134:135], v[12:13]
	s_waitcnt vmcnt(5) lgkmcnt(0)
	v_mul_f64 v[254:255], v[238:239], v[108:109]
	v_fmac_f64_e32 v[254:255], v[240:241], v[106:107]
	v_add_f64 v[252:253], v[252:253], v[254:255]
	v_fma_f64 v[254:255], v[132:133], v[10:11], -v[12:13]
	ds_read_b128 v[10:13], v126 offset:976
	v_mul_f64 v[8:9], v[138:139], v[8:9]
	s_waitcnt vmcnt(4)
	v_mul_f64 v[132:133], v[248:249], v[112:113]
	v_fma_f64 v[136:137], v[136:137], v[6:7], -v[8:9]
	ds_read_b128 v[6:9], v126 offset:992
	v_fmac_f64_e32 v[132:133], v[250:251], v[110:111]
	v_add_f64 v[252:253], v[252:253], v[132:133]
	ds_read_b128 v[132:135], v126 offset:1008
	s_waitcnt vmcnt(3) lgkmcnt(2)
	v_mul_f64 v[138:139], v[10:11], v[116:117]
	v_fmac_f64_e32 v[138:139], v[12:13], v[114:115]
	v_add_f64 v[138:139], v[252:253], v[138:139]
	s_waitcnt vmcnt(2) lgkmcnt(1)
	v_mul_f64 v[252:253], v[6:7], v[120:121]
	v_fmac_f64_e32 v[252:253], v[8:9], v[118:119]
	v_add_f64 v[138:139], v[138:139], v[252:253]
	;; [unrolled: 4-line block ×3, first 2 shown]
	v_add_f64 v[252:253], v[254:255], 0
	v_mul_f64 v[4:5], v[142:143], v[4:5]
	v_add_f64 v[136:137], v[252:253], v[136:137]
	v_fma_f64 v[2:3], v[140:141], v[2:3], -v[4:5]
	v_mul_f64 v[4:5], v[146:147], v[16:17]
	v_add_f64 v[2:3], v[136:137], v[2:3]
	v_fma_f64 v[4:5], v[144:145], v[14:15], -v[4:5]
	v_add_f64 v[2:3], v[2:3], v[4:5]
	v_mul_f64 v[4:5], v[150:151], v[20:21]
	v_fma_f64 v[4:5], v[148:149], v[18:19], -v[4:5]
	v_add_f64 v[2:3], v[2:3], v[4:5]
	v_mul_f64 v[4:5], v[154:155], v[24:25]
	;; [unrolled: 3-line block ×27, first 2 shown]
	v_fma_f64 v[4:5], v[132:133], v[122:123], -v[4:5]
	v_add_f64 v[2:3], v[2:3], v[4:5]
	s_waitcnt vmcnt(0)
	v_add_f64 v[2:3], v[128:129], -v[2:3]
	v_add_f64 v[4:5], v[130:131], -v[138:139]
	scratch_store_dwordx4 off, v[2:5], off
	s_cbranch_vccz .LBB95_268
; %bb.206:
	global_load_dword v2, v126, s[12:13] offset:120
	s_load_dwordx2 s[2:3], s[0:1], 0x4
	v_bfe_u32 v3, v0, 10, 10
	v_bfe_u32 v0, v0, 20, 10
	s_waitcnt lgkmcnt(0)
	s_lshr_b32 s0, s2, 16
	s_mul_i32 s0, s0, s3
	v_mul_u32_u24_e32 v1, s0, v1
	v_mul_u32_u24_e32 v3, s3, v3
	v_add3_u32 v0, v1, v3, v0
	v_mov_b32_e32 v1, 0x408
	v_lshl_add_u32 v0, v0, 4, v1
	s_waitcnt vmcnt(0)
	v_readfirstlane_b32 s0, v2
	s_add_i32 s0, s0, -1
	s_cmp_lg_u32 s0, 30
	s_cbranch_scc0 .LBB95_208
; %bb.207:
	s_lshl_b32 s0, s0, 4
	scratch_load_dwordx4 v[2:5], off, s19
	scratch_load_dwordx4 v[6:9], off, s0
	s_waitcnt vmcnt(1)
	ds_write2_b64 v0, v[2:3], v[4:5] offset1:1
	s_waitcnt vmcnt(0)
	scratch_store_dwordx4 off, v[6:9], s19
	scratch_store_dwordx4 off, v[2:5], s0
.LBB95_208:
	v_mov_b32_e32 v1, 0
	global_load_dword v2, v1, s[12:13] offset:116
	s_waitcnt vmcnt(0)
	v_readfirstlane_b32 s0, v2
	s_add_i32 s0, s0, -1
	s_cmp_eq_u32 s0, 29
	s_cbranch_scc1 .LBB95_210
; %bb.209:
	s_lshl_b32 s0, s0, 4
	scratch_load_dwordx4 v[2:5], off, s20
	scratch_load_dwordx4 v[6:9], off, s0
	s_waitcnt vmcnt(1)
	ds_write2_b64 v0, v[2:3], v[4:5] offset1:1
	s_waitcnt vmcnt(0)
	scratch_store_dwordx4 off, v[6:9], s20
	scratch_store_dwordx4 off, v[2:5], s0
.LBB95_210:
	global_load_dword v1, v1, s[12:13] offset:112
	s_waitcnt vmcnt(0)
	v_readfirstlane_b32 s0, v1
	s_add_i32 s0, s0, -1
	s_cmp_eq_u32 s0, 28
	s_cbranch_scc1 .LBB95_212
; %bb.211:
	s_lshl_b32 s0, s0, 4
	scratch_load_dwordx4 v[2:5], off, s21
	scratch_load_dwordx4 v[6:9], off, s0
	s_waitcnt vmcnt(1)
	ds_write2_b64 v0, v[2:3], v[4:5] offset1:1
	s_waitcnt vmcnt(0)
	scratch_store_dwordx4 off, v[6:9], s21
	scratch_store_dwordx4 off, v[2:5], s0
.LBB95_212:
	v_mov_b32_e32 v1, 0
	global_load_dword v2, v1, s[12:13] offset:108
	s_waitcnt vmcnt(0)
	v_readfirstlane_b32 s0, v2
	s_add_i32 s0, s0, -1
	s_cmp_eq_u32 s0, 27
	s_cbranch_scc1 .LBB95_214
; %bb.213:
	s_lshl_b32 s0, s0, 4
	scratch_load_dwordx4 v[2:5], off, s22
	scratch_load_dwordx4 v[6:9], off, s0
	s_waitcnt vmcnt(1)
	ds_write2_b64 v0, v[2:3], v[4:5] offset1:1
	s_waitcnt vmcnt(0)
	scratch_store_dwordx4 off, v[6:9], s22
	scratch_store_dwordx4 off, v[2:5], s0
.LBB95_214:
	global_load_dword v1, v1, s[12:13] offset:104
	s_waitcnt vmcnt(0)
	v_readfirstlane_b32 s0, v1
	s_add_i32 s0, s0, -1
	s_cmp_eq_u32 s0, 26
	s_cbranch_scc1 .LBB95_216
; %bb.215:
	s_lshl_b32 s0, s0, 4
	scratch_load_dwordx4 v[2:5], off, s23
	scratch_load_dwordx4 v[6:9], off, s0
	s_waitcnt vmcnt(1)
	ds_write2_b64 v0, v[2:3], v[4:5] offset1:1
	s_waitcnt vmcnt(0)
	scratch_store_dwordx4 off, v[6:9], s23
	scratch_store_dwordx4 off, v[2:5], s0
.LBB95_216:
	;; [unrolled: 33-line block ×14, first 2 shown]
	v_mov_b32_e32 v1, 0
	global_load_dword v2, v1, s[12:13] offset:4
	s_waitcnt vmcnt(0)
	v_readfirstlane_b32 s0, v2
	s_add_i32 s0, s0, -1
	s_cmp_eq_u32 s0, 1
	s_cbranch_scc1 .LBB95_266
; %bb.265:
	s_lshl_b32 s0, s0, 4
	scratch_load_dwordx4 v[2:5], off, s49
	scratch_load_dwordx4 v[6:9], off, s0
	s_waitcnt vmcnt(1)
	ds_write2_b64 v0, v[2:3], v[4:5] offset1:1
	s_waitcnt vmcnt(0)
	scratch_store_dwordx4 off, v[6:9], s49
	scratch_store_dwordx4 off, v[2:5], s0
.LBB95_266:
	global_load_dword v1, v1, s[12:13]
	s_waitcnt vmcnt(0)
	v_readfirstlane_b32 s0, v1
	s_add_i32 s0, s0, -1
	s_cmp_eq_u32 s0, 0
	s_cbranch_scc1 .LBB95_268
; %bb.267:
	s_lshl_b32 s0, s0, 4
	scratch_load_dwordx4 v[2:5], off, off
	scratch_load_dwordx4 v[6:9], off, s0
	s_waitcnt vmcnt(1)
	ds_write2_b64 v0, v[2:3], v[4:5] offset1:1
	s_waitcnt vmcnt(0)
	scratch_store_dwordx4 off, v[6:9], off
	scratch_store_dwordx4 off, v[2:5], s0
.LBB95_268:
	scratch_load_dwordx4 v[0:3], off, off
	s_nop 0
	v_accvgpr_read_b32 v5, a1
	v_accvgpr_read_b32 v4, a0
	s_waitcnt vmcnt(0)
	flat_store_dwordx4 v[184:185], v[0:3]
	scratch_load_dwordx4 v[0:3], off, s49
	s_waitcnt vmcnt(0)
	flat_store_dwordx4 v[4:5], v[0:3]
	scratch_load_dwordx4 v[0:3], off, s48
	v_accvgpr_read_b32 v5, a3
	v_accvgpr_read_b32 v4, a2
	s_waitcnt vmcnt(0)
	flat_store_dwordx4 v[4:5], v[0:3]
	scratch_load_dwordx4 v[0:3], off, s47
	v_accvgpr_read_b32 v4, a4
	v_accvgpr_read_b32 v5, a5
	;; [unrolled: 5-line block ×27, first 2 shown]
	s_waitcnt vmcnt(0)
	flat_store_dwordx4 v[4:5], v[0:3]
	scratch_load_dwordx4 v[0:3], off, s20
	s_waitcnt vmcnt(0)
	flat_store_dwordx4 v[242:243], v[0:3]
	scratch_load_dwordx4 v[0:3], off, s19
	;; [unrolled: 3-line block ×3, first 2 shown]
	s_waitcnt vmcnt(0)
	flat_store_dwordx4 v[246:247], v[0:3]
	s_endpgm
	.section	.rodata,"a",@progbits
	.p2align	6, 0x0
	.amdhsa_kernel _ZN9rocsolver6v33100L18getri_kernel_smallILi32E19rocblas_complex_numIdEPKPS3_EEvT1_iilPiilS8_bb
		.amdhsa_group_segment_fixed_size 2056
		.amdhsa_private_segment_fixed_size 528
		.amdhsa_kernarg_size 60
		.amdhsa_user_sgpr_count 4
		.amdhsa_user_sgpr_dispatch_ptr 1
		.amdhsa_user_sgpr_queue_ptr 0
		.amdhsa_user_sgpr_kernarg_segment_ptr 1
		.amdhsa_user_sgpr_dispatch_id 0
		.amdhsa_user_sgpr_kernarg_preload_length 0
		.amdhsa_user_sgpr_kernarg_preload_offset 0
		.amdhsa_user_sgpr_private_segment_size 0
		.amdhsa_uses_dynamic_stack 0
		.amdhsa_enable_private_segment 1
		.amdhsa_system_sgpr_workgroup_id_x 1
		.amdhsa_system_sgpr_workgroup_id_y 0
		.amdhsa_system_sgpr_workgroup_id_z 0
		.amdhsa_system_sgpr_workgroup_info 0
		.amdhsa_system_vgpr_workitem_id 2
		.amdhsa_next_free_vgpr 312
		.amdhsa_next_free_sgpr 60
		.amdhsa_accum_offset 256
		.amdhsa_reserve_vcc 1
		.amdhsa_float_round_mode_32 0
		.amdhsa_float_round_mode_16_64 0
		.amdhsa_float_denorm_mode_32 3
		.amdhsa_float_denorm_mode_16_64 3
		.amdhsa_dx10_clamp 1
		.amdhsa_ieee_mode 1
		.amdhsa_fp16_overflow 0
		.amdhsa_tg_split 0
		.amdhsa_exception_fp_ieee_invalid_op 0
		.amdhsa_exception_fp_denorm_src 0
		.amdhsa_exception_fp_ieee_div_zero 0
		.amdhsa_exception_fp_ieee_overflow 0
		.amdhsa_exception_fp_ieee_underflow 0
		.amdhsa_exception_fp_ieee_inexact 0
		.amdhsa_exception_int_div_zero 0
	.end_amdhsa_kernel
	.section	.text._ZN9rocsolver6v33100L18getri_kernel_smallILi32E19rocblas_complex_numIdEPKPS3_EEvT1_iilPiilS8_bb,"axG",@progbits,_ZN9rocsolver6v33100L18getri_kernel_smallILi32E19rocblas_complex_numIdEPKPS3_EEvT1_iilPiilS8_bb,comdat
.Lfunc_end95:
	.size	_ZN9rocsolver6v33100L18getri_kernel_smallILi32E19rocblas_complex_numIdEPKPS3_EEvT1_iilPiilS8_bb, .Lfunc_end95-_ZN9rocsolver6v33100L18getri_kernel_smallILi32E19rocblas_complex_numIdEPKPS3_EEvT1_iilPiilS8_bb
                                        ; -- End function
	.set _ZN9rocsolver6v33100L18getri_kernel_smallILi32E19rocblas_complex_numIdEPKPS3_EEvT1_iilPiilS8_bb.num_vgpr, 256
	.set _ZN9rocsolver6v33100L18getri_kernel_smallILi32E19rocblas_complex_numIdEPKPS3_EEvT1_iilPiilS8_bb.num_agpr, 56
	.set _ZN9rocsolver6v33100L18getri_kernel_smallILi32E19rocblas_complex_numIdEPKPS3_EEvT1_iilPiilS8_bb.numbered_sgpr, 60
	.set _ZN9rocsolver6v33100L18getri_kernel_smallILi32E19rocblas_complex_numIdEPKPS3_EEvT1_iilPiilS8_bb.num_named_barrier, 0
	.set _ZN9rocsolver6v33100L18getri_kernel_smallILi32E19rocblas_complex_numIdEPKPS3_EEvT1_iilPiilS8_bb.private_seg_size, 528
	.set _ZN9rocsolver6v33100L18getri_kernel_smallILi32E19rocblas_complex_numIdEPKPS3_EEvT1_iilPiilS8_bb.uses_vcc, 1
	.set _ZN9rocsolver6v33100L18getri_kernel_smallILi32E19rocblas_complex_numIdEPKPS3_EEvT1_iilPiilS8_bb.uses_flat_scratch, 0
	.set _ZN9rocsolver6v33100L18getri_kernel_smallILi32E19rocblas_complex_numIdEPKPS3_EEvT1_iilPiilS8_bb.has_dyn_sized_stack, 0
	.set _ZN9rocsolver6v33100L18getri_kernel_smallILi32E19rocblas_complex_numIdEPKPS3_EEvT1_iilPiilS8_bb.has_recursion, 0
	.set _ZN9rocsolver6v33100L18getri_kernel_smallILi32E19rocblas_complex_numIdEPKPS3_EEvT1_iilPiilS8_bb.has_indirect_call, 0
	.section	.AMDGPU.csdata,"",@progbits
; Kernel info:
; codeLenInByte = 47844
; TotalNumSgprs: 66
; NumVgprs: 256
; NumAgprs: 56
; TotalNumVgprs: 312
; ScratchSize: 528
; MemoryBound: 0
; FloatMode: 240
; IeeeMode: 1
; LDSByteSize: 2056 bytes/workgroup (compile time only)
; SGPRBlocks: 8
; VGPRBlocks: 38
; NumSGPRsForWavesPerEU: 66
; NumVGPRsForWavesPerEU: 312
; AccumOffset: 256
; Occupancy: 1
; WaveLimiterHint : 1
; COMPUTE_PGM_RSRC2:SCRATCH_EN: 1
; COMPUTE_PGM_RSRC2:USER_SGPR: 4
; COMPUTE_PGM_RSRC2:TRAP_HANDLER: 0
; COMPUTE_PGM_RSRC2:TGID_X_EN: 1
; COMPUTE_PGM_RSRC2:TGID_Y_EN: 0
; COMPUTE_PGM_RSRC2:TGID_Z_EN: 0
; COMPUTE_PGM_RSRC2:TIDIG_COMP_CNT: 2
; COMPUTE_PGM_RSRC3_GFX90A:ACCUM_OFFSET: 63
; COMPUTE_PGM_RSRC3_GFX90A:TG_SPLIT: 0
	.section	.text._ZN9rocsolver6v33100L18getri_kernel_smallILi33E19rocblas_complex_numIdEPKPS3_EEvT1_iilPiilS8_bb,"axG",@progbits,_ZN9rocsolver6v33100L18getri_kernel_smallILi33E19rocblas_complex_numIdEPKPS3_EEvT1_iilPiilS8_bb,comdat
	.globl	_ZN9rocsolver6v33100L18getri_kernel_smallILi33E19rocblas_complex_numIdEPKPS3_EEvT1_iilPiilS8_bb ; -- Begin function _ZN9rocsolver6v33100L18getri_kernel_smallILi33E19rocblas_complex_numIdEPKPS3_EEvT1_iilPiilS8_bb
	.p2align	8
	.type	_ZN9rocsolver6v33100L18getri_kernel_smallILi33E19rocblas_complex_numIdEPKPS3_EEvT1_iilPiilS8_bb,@function
_ZN9rocsolver6v33100L18getri_kernel_smallILi33E19rocblas_complex_numIdEPKPS3_EEvT1_iilPiilS8_bb: ; @_ZN9rocsolver6v33100L18getri_kernel_smallILi33E19rocblas_complex_numIdEPKPS3_EEvT1_iilPiilS8_bb
; %bb.0:
	v_cmp_gt_u32_e32 vcc, 33, v0
	s_and_saveexec_b64 s[4:5], vcc
	s_cbranch_execz .LBB96_146
; %bb.1:
	s_load_dword s14, s[0:1], 0x38
	s_load_dwordx2 s[8:9], s[0:1], 0x0
	s_load_dwordx4 s[4:7], s[0:1], 0x28
	s_waitcnt lgkmcnt(0)
	s_bitcmp1_b32 s14, 8
	s_cselect_b64 s[10:11], -1, 0
	s_ashr_i32 s3, s2, 31
	s_lshl_b64 s[12:13], s[2:3], 3
	s_add_u32 s8, s8, s12
	s_addc_u32 s9, s9, s13
	s_load_dwordx2 s[12:13], s[8:9], 0x0
	s_bfe_u32 s8, s14, 0x10008
	s_cmp_eq_u32 s8, 0
                                        ; implicit-def: $sgpr8_sgpr9
	s_cbranch_scc1 .LBB96_3
; %bb.2:
	s_load_dword s8, s[0:1], 0x20
	s_load_dwordx2 s[14:15], s[0:1], 0x18
	s_mul_i32 s9, s4, s3
	s_mul_hi_u32 s16, s4, s2
	s_add_i32 s16, s16, s9
	s_mul_i32 s5, s5, s2
	s_add_i32 s5, s16, s5
	s_mul_i32 s4, s4, s2
	s_waitcnt lgkmcnt(0)
	s_ashr_i32 s9, s8, 31
	s_lshl_b64 s[4:5], s[4:5], 2
	s_add_u32 s14, s14, s4
	s_addc_u32 s15, s15, s5
	s_lshl_b64 s[4:5], s[8:9], 2
	s_add_u32 s8, s14, s4
	s_addc_u32 s9, s15, s5
.LBB96_3:
	s_load_dwordx2 s[4:5], s[0:1], 0x8
	s_load_dword s14, s[0:1], 0x38
	v_lshlrev_b32_e32 v14, 4, v0
	v_mov_b32_e32 v15, 0
	s_movk_i32 s15, 0xb0
	s_waitcnt lgkmcnt(0)
	s_ashr_i32 s1, s4, 31
	s_mov_b32 s0, s4
	s_lshl_b64 s[0:1], s[0:1], 4
	s_add_u32 s0, s12, s0
	s_addc_u32 s1, s13, s1
	v_lshl_add_u64 v[240:241], s[0:1], 0, v[14:15]
	flat_load_dwordx4 v[2:5], v[240:241]
	s_mov_b32 s12, s5
	s_ashr_i32 s13, s5, 31
	v_lshl_add_u64 v[6:7], s[12:13], 4, v[240:241]
	v_accvgpr_write_b32 a0, v6
	s_add_i32 s4, s5, s5
	v_accvgpr_write_b32 a1, v7
	s_movk_i32 s12, 0x90
	s_movk_i32 s13, 0xa0
	;; [unrolled: 1-line block ×23, first 2 shown]
	s_add_i32 s40, s12, 16
	s_add_i32 s39, s13, 16
	;; [unrolled: 1-line block ×24, first 2 shown]
	s_mov_b32 s48, 32
	s_mov_b32 s47, 48
	;; [unrolled: 1-line block ×3, first 2 shown]
	s_movk_i32 s45, 0x50
	s_waitcnt vmcnt(0) lgkmcnt(0)
	scratch_store_dwordx4 off, v[2:5], off offset:16
	flat_load_dwordx4 v[2:5], v[6:7]
	v_add_u32_e32 v6, s4, v0
	v_ashrrev_i32_e32 v7, 31, v6
	v_lshl_add_u64 v[8:9], v[6:7], 4, s[0:1]
	v_add_u32_e32 v6, s5, v6
	v_accvgpr_write_b32 a2, v8
	v_ashrrev_i32_e32 v7, 31, v6
	v_accvgpr_write_b32 a3, v9
	s_movk_i32 s4, 0x70
	s_add_i32 s42, s4, 16
	s_waitcnt vmcnt(0) lgkmcnt(0)
	scratch_store_dwordx4 off, v[2:5], off offset:32
	flat_load_dwordx4 v[2:5], v[8:9]
	v_lshl_add_u64 v[8:9], v[6:7], 4, s[0:1]
	v_add_u32_e32 v6, s5, v6
	v_accvgpr_write_b32 a4, v8
	v_ashrrev_i32_e32 v7, 31, v6
	v_accvgpr_write_b32 a5, v9
	s_waitcnt vmcnt(0) lgkmcnt(0)
	scratch_store_dwordx4 off, v[2:5], off offset:48
	flat_load_dwordx4 v[2:5], v[8:9]
	v_lshl_add_u64 v[8:9], v[6:7], 4, s[0:1]
	v_add_u32_e32 v6, s5, v6
	v_accvgpr_write_b32 a6, v8
	v_ashrrev_i32_e32 v7, 31, v6
	v_accvgpr_write_b32 a7, v9
	;; [unrolled: 8-line block ×25, first 2 shown]
	s_waitcnt vmcnt(0) lgkmcnt(0)
	scratch_store_dwordx4 off, v[2:5], off offset:432
	flat_load_dwordx4 v[2:5], v[8:9]
	v_lshl_add_u64 v[8:9], v[6:7], 4, s[0:1]
	v_add_u32_e32 v6, s5, v6
	v_ashrrev_i32_e32 v7, 31, v6
	v_lshl_add_u64 v[254:255], v[6:7], 4, s[0:1]
	v_add_u32_e32 v6, s5, v6
	v_accvgpr_write_b32 a55, v9
	v_ashrrev_i32_e32 v7, 31, v6
	v_accvgpr_write_b32 a54, v8
	s_waitcnt vmcnt(0) lgkmcnt(0)
	scratch_store_dwordx4 off, v[2:5], off offset:448
	flat_load_dwordx4 v[2:5], v[8:9]
	v_lshl_add_u64 v[8:9], v[6:7], 4, s[0:1]
	v_add_u32_e32 v6, s5, v6
	v_ashrrev_i32_e32 v7, 31, v6
	v_lshl_add_u64 v[246:247], v[6:7], 4, s[0:1]
	v_add_u32_e32 v6, s5, v6
	v_ashrrev_i32_e32 v7, 31, v6
	v_lshl_add_u64 v[248:249], v[6:7], 4, s[0:1]
	s_movk_i32 s0, 0x50
	s_movk_i32 s1, 0x60
	;; [unrolled: 1-line block ×3, first 2 shown]
	v_accvgpr_write_b32 a57, v9
	s_add_i32 s44, s0, 16
	s_add_i32 s43, s1, 16
	;; [unrolled: 1-line block ×3, first 2 shown]
	v_accvgpr_write_b32 a56, v8
	s_bitcmp0_b32 s14, 0
	s_mov_b64 s[4:5], -1
	s_waitcnt vmcnt(0) lgkmcnt(0)
	scratch_store_dwordx4 off, v[2:5], off offset:464
	flat_load_dwordx4 v[2:5], v[254:255]
	s_waitcnt vmcnt(0) lgkmcnt(0)
	scratch_store_dwordx4 off, v[2:5], off offset:480
	flat_load_dwordx4 v[2:5], v[8:9]
	;; [unrolled: 3-line block ×4, first 2 shown]
	s_waitcnt vmcnt(0) lgkmcnt(0)
	scratch_store_dwordx4 off, v[2:5], off offset:528
	s_cbranch_scc1 .LBB96_144
; %bb.4:
	v_cmp_eq_u32_e64 s[0:1], 0, v0
	s_and_saveexec_b64 s[4:5], s[0:1]
; %bb.5:
	v_mov_b32_e32 v1, 0
	ds_write_b32 v1, v1 offset:1056
; %bb.6:
	s_or_b64 exec, exec, s[4:5]
	s_waitcnt lgkmcnt(0)
	; wave barrier
	scratch_load_dwordx4 v[2:5], v14, off offset:16
	s_waitcnt vmcnt(0)
	v_cmp_eq_f64_e32 vcc, 0, v[2:3]
	v_cmp_eq_f64_e64 s[4:5], 0, v[4:5]
	s_and_b64 s[4:5], vcc, s[4:5]
	s_and_saveexec_b64 s[12:13], s[4:5]
	s_cbranch_execz .LBB96_10
; %bb.7:
	v_mov_b32_e32 v1, 0
	ds_read_b32 v3, v1 offset:1056
	v_add_u32_e32 v2, 1, v0
	s_waitcnt lgkmcnt(0)
	v_readfirstlane_b32 s4, v3
	s_cmp_eq_u32 s4, 0
	s_cselect_b64 s[14:15], -1, 0
	v_cmp_gt_i32_e32 vcc, s4, v2
	s_or_b64 s[14:15], s[14:15], vcc
	s_and_b64 exec, exec, s[14:15]
	s_cbranch_execz .LBB96_10
; %bb.8:
	s_mov_b64 s[14:15], 0
	v_mov_b32_e32 v3, s4
.LBB96_9:                               ; =>This Inner Loop Header: Depth=1
	ds_cmpst_rtn_b32 v3, v1, v3, v2 offset:1056
	s_waitcnt lgkmcnt(0)
	v_cmp_ne_u32_e32 vcc, 0, v3
	v_cmp_le_i32_e64 s[4:5], v3, v2
	s_and_b64 s[4:5], vcc, s[4:5]
	s_and_b64 s[4:5], exec, s[4:5]
	s_or_b64 s[14:15], s[4:5], s[14:15]
	s_andn2_b64 exec, exec, s[14:15]
	s_cbranch_execnz .LBB96_9
.LBB96_10:
	s_or_b64 exec, exec, s[12:13]
	v_mov_b32_e32 v2, 0
	; wave barrier
	ds_read_b32 v1, v2 offset:1056
	s_and_saveexec_b64 s[4:5], s[0:1]
	s_cbranch_execz .LBB96_12
; %bb.11:
	s_lshl_b64 s[12:13], s[2:3], 2
	s_add_u32 s12, s6, s12
	s_addc_u32 s13, s7, s13
	s_waitcnt lgkmcnt(0)
	global_store_dword v2, v1, s[12:13]
.LBB96_12:
	s_or_b64 exec, exec, s[4:5]
	s_waitcnt lgkmcnt(0)
	v_cmp_ne_u32_e32 vcc, 0, v1
	s_mov_b64 s[4:5], 0
	s_cbranch_vccnz .LBB96_144
; %bb.13:
	v_add_u32_e32 v15, 16, v14
	scratch_load_dwordx4 v[2:5], v15, off
                                        ; implicit-def: $vgpr6_vgpr7
                                        ; implicit-def: $vgpr10_vgpr11
	s_waitcnt vmcnt(0)
	v_cmp_ngt_f64_e64 s[4:5], |v[2:3]|, |v[4:5]|
	s_and_saveexec_b64 s[12:13], s[4:5]
	s_xor_b64 s[4:5], exec, s[12:13]
	s_cbranch_execz .LBB96_15
; %bb.14:
	v_div_scale_f64 v[6:7], s[12:13], v[4:5], v[4:5], v[2:3]
	v_rcp_f64_e32 v[8:9], v[6:7]
	v_div_scale_f64 v[10:11], vcc, v[2:3], v[4:5], v[2:3]
	v_fma_f64 v[12:13], -v[6:7], v[8:9], 1.0
	v_fmac_f64_e32 v[8:9], v[8:9], v[12:13]
	v_fma_f64 v[12:13], -v[6:7], v[8:9], 1.0
	v_fmac_f64_e32 v[8:9], v[8:9], v[12:13]
	v_mul_f64 v[12:13], v[10:11], v[8:9]
	v_fma_f64 v[6:7], -v[6:7], v[12:13], v[10:11]
	v_div_fmas_f64 v[6:7], v[6:7], v[8:9], v[12:13]
	v_div_fixup_f64 v[6:7], v[6:7], v[4:5], v[2:3]
	v_fmac_f64_e32 v[4:5], v[2:3], v[6:7]
	v_div_scale_f64 v[2:3], s[12:13], v[4:5], v[4:5], 1.0
	v_rcp_f64_e32 v[8:9], v[2:3]
	s_nop 0
	v_fma_f64 v[10:11], -v[2:3], v[8:9], 1.0
	v_fmac_f64_e32 v[8:9], v[8:9], v[10:11]
	v_fma_f64 v[10:11], -v[2:3], v[8:9], 1.0
	v_fmac_f64_e32 v[8:9], v[8:9], v[10:11]
	v_div_scale_f64 v[10:11], vcc, 1.0, v[4:5], 1.0
	v_mul_f64 v[12:13], v[10:11], v[8:9]
	v_fma_f64 v[2:3], -v[2:3], v[12:13], v[10:11]
	s_nop 1
	v_div_fmas_f64 v[2:3], v[2:3], v[8:9], v[12:13]
	v_div_fixup_f64 v[8:9], v[2:3], v[4:5], 1.0
	v_mul_f64 v[6:7], v[6:7], v[8:9]
	v_xor_b32_e32 v9, 0x80000000, v9
	v_xor_b32_e32 v11, 0x80000000, v7
	v_mov_b32_e32 v10, v6
                                        ; implicit-def: $vgpr2_vgpr3
.LBB96_15:
	s_andn2_saveexec_b64 s[4:5], s[4:5]
	s_cbranch_execz .LBB96_17
; %bb.16:
	v_div_scale_f64 v[6:7], s[12:13], v[2:3], v[2:3], v[4:5]
	v_rcp_f64_e32 v[8:9], v[6:7]
	v_div_scale_f64 v[10:11], vcc, v[4:5], v[2:3], v[4:5]
	v_fma_f64 v[12:13], -v[6:7], v[8:9], 1.0
	v_fmac_f64_e32 v[8:9], v[8:9], v[12:13]
	v_fma_f64 v[12:13], -v[6:7], v[8:9], 1.0
	v_fmac_f64_e32 v[8:9], v[8:9], v[12:13]
	v_mul_f64 v[12:13], v[10:11], v[8:9]
	v_fma_f64 v[6:7], -v[6:7], v[12:13], v[10:11]
	v_div_fmas_f64 v[6:7], v[6:7], v[8:9], v[12:13]
	v_div_fixup_f64 v[8:9], v[6:7], v[2:3], v[4:5]
	v_fmac_f64_e32 v[2:3], v[4:5], v[8:9]
	v_div_scale_f64 v[4:5], s[12:13], v[2:3], v[2:3], 1.0
	v_rcp_f64_e32 v[6:7], v[4:5]
	s_nop 0
	v_fma_f64 v[10:11], -v[4:5], v[6:7], 1.0
	v_fmac_f64_e32 v[6:7], v[6:7], v[10:11]
	v_fma_f64 v[10:11], -v[4:5], v[6:7], 1.0
	v_fmac_f64_e32 v[6:7], v[6:7], v[10:11]
	v_div_scale_f64 v[10:11], vcc, 1.0, v[2:3], 1.0
	v_mul_f64 v[12:13], v[10:11], v[6:7]
	v_fma_f64 v[4:5], -v[4:5], v[12:13], v[10:11]
	s_nop 1
	v_div_fmas_f64 v[4:5], v[4:5], v[6:7], v[12:13]
	v_div_fixup_f64 v[6:7], v[4:5], v[2:3], 1.0
	v_xor_b32_e32 v11, 0x80000000, v7
	v_mov_b32_e32 v10, v6
	v_mul_f64 v[8:9], v[8:9], -v[6:7]
.LBB96_17:
	s_or_b64 exec, exec, s[4:5]
	scratch_store_dwordx4 v15, v[6:9], off
	scratch_load_dwordx4 v[2:5], off, s48
	v_xor_b32_e32 v13, 0x80000000, v9
	v_mov_b32_e32 v12, v8
	v_add_u32_e32 v1, 0x210, v14
	ds_write_b128 v14, v[10:13]
	s_waitcnt vmcnt(0)
	ds_write_b128 v14, v[2:5] offset:528
	s_waitcnt lgkmcnt(0)
	; wave barrier
	s_and_saveexec_b64 s[4:5], s[0:1]
	s_cbranch_execz .LBB96_19
; %bb.18:
	scratch_load_dwordx4 v[2:5], v15, off
	ds_read_b128 v[6:9], v1
	v_mov_b32_e32 v10, 0
	ds_read_b128 v[10:13], v10 offset:16
	s_waitcnt vmcnt(0) lgkmcnt(1)
	v_mul_f64 v[16:17], v[8:9], v[4:5]
	v_mul_f64 v[4:5], v[6:7], v[4:5]
	v_fma_f64 v[6:7], v[6:7], v[2:3], -v[16:17]
	v_fmac_f64_e32 v[4:5], v[8:9], v[2:3]
	v_add_f64 v[2:3], v[6:7], 0
	v_add_f64 v[6:7], v[4:5], 0
	s_waitcnt lgkmcnt(0)
	v_mul_f64 v[8:9], v[6:7], v[12:13]
	v_mul_f64 v[4:5], v[2:3], v[12:13]
	v_fma_f64 v[2:3], v[2:3], v[10:11], -v[8:9]
	v_fmac_f64_e32 v[4:5], v[6:7], v[10:11]
	scratch_store_dwordx4 off, v[2:5], off offset:32
.LBB96_19:
	s_or_b64 exec, exec, s[4:5]
	; wave barrier
	scratch_load_dwordx4 v[2:5], off, s47
	v_cmp_gt_u32_e32 vcc, 2, v0
	s_waitcnt vmcnt(0)
	ds_write_b128 v1, v[2:5]
	s_waitcnt lgkmcnt(0)
	; wave barrier
	s_and_saveexec_b64 s[4:5], vcc
	s_cbranch_execz .LBB96_23
; %bb.20:
	scratch_load_dwordx4 v[2:5], v15, off
	ds_read_b128 v[6:9], v1
	s_waitcnt vmcnt(0) lgkmcnt(0)
	v_mul_f64 v[10:11], v[8:9], v[4:5]
	v_mul_f64 v[12:13], v[6:7], v[4:5]
	v_fma_f64 v[4:5], v[6:7], v[2:3], -v[10:11]
	v_fmac_f64_e32 v[12:13], v[8:9], v[2:3]
	v_add_f64 v[4:5], v[4:5], 0
	v_add_f64 v[2:3], v[12:13], 0
	s_and_saveexec_b64 s[12:13], s[0:1]
	s_cbranch_execz .LBB96_22
; %bb.21:
	scratch_load_dwordx4 v[6:9], off, off offset:32
	v_mov_b32_e32 v10, 0
	ds_read_b128 v[10:13], v10 offset:544
	s_waitcnt vmcnt(0) lgkmcnt(0)
	v_mul_f64 v[16:17], v[10:11], v[8:9]
	v_mul_f64 v[8:9], v[12:13], v[8:9]
	v_fmac_f64_e32 v[16:17], v[12:13], v[6:7]
	v_fma_f64 v[6:7], v[10:11], v[6:7], -v[8:9]
	v_add_f64 v[2:3], v[2:3], v[16:17]
	v_add_f64 v[4:5], v[4:5], v[6:7]
.LBB96_22:
	s_or_b64 exec, exec, s[12:13]
	v_mov_b32_e32 v6, 0
	ds_read_b128 v[6:9], v6 offset:32
	s_waitcnt lgkmcnt(0)
	v_mul_f64 v[12:13], v[2:3], v[8:9]
	v_mul_f64 v[10:11], v[4:5], v[8:9]
	v_fma_f64 v[8:9], v[4:5], v[6:7], -v[12:13]
	v_fmac_f64_e32 v[10:11], v[2:3], v[6:7]
	scratch_store_dwordx4 off, v[8:11], off offset:48
.LBB96_23:
	s_or_b64 exec, exec, s[4:5]
	; wave barrier
	scratch_load_dwordx4 v[2:5], off, s46
	v_cmp_gt_u32_e32 vcc, 3, v0
	v_add_u32_e32 v6, -1, v0
	s_waitcnt vmcnt(0)
	ds_write_b128 v1, v[2:5]
	s_waitcnt lgkmcnt(0)
	; wave barrier
	s_and_saveexec_b64 s[0:1], vcc
	s_cbranch_execz .LBB96_27
; %bb.24:
	v_add_u32_e32 v7, -1, v0
	v_add_u32_e32 v8, 0x210, v14
	v_add_u32_e32 v9, 16, v14
	v_mov_b64_e32 v[2:3], 0
	s_mov_b64 s[4:5], 0
	v_mov_b64_e32 v[4:5], 0
.LBB96_25:                              ; =>This Inner Loop Header: Depth=1
	scratch_load_dwordx4 v[10:13], v9, off
	ds_read_b128 v[16:19], v8
	v_add_u32_e32 v7, 1, v7
	v_cmp_lt_u32_e32 vcc, 1, v7
	v_add_u32_e32 v8, 16, v8
	v_add_u32_e32 v9, 16, v9
	s_or_b64 s[4:5], vcc, s[4:5]
	s_waitcnt vmcnt(0) lgkmcnt(0)
	v_mul_f64 v[20:21], v[18:19], v[12:13]
	v_mul_f64 v[12:13], v[16:17], v[12:13]
	v_fma_f64 v[16:17], v[16:17], v[10:11], -v[20:21]
	v_fmac_f64_e32 v[12:13], v[18:19], v[10:11]
	v_add_f64 v[4:5], v[4:5], v[16:17]
	v_add_f64 v[2:3], v[2:3], v[12:13]
	s_andn2_b64 exec, exec, s[4:5]
	s_cbranch_execnz .LBB96_25
; %bb.26:
	s_or_b64 exec, exec, s[4:5]
	v_mov_b32_e32 v7, 0
	ds_read_b128 v[8:11], v7 offset:48
	s_waitcnt lgkmcnt(0)
	v_mul_f64 v[16:17], v[2:3], v[10:11]
	v_mul_f64 v[12:13], v[4:5], v[10:11]
	v_fma_f64 v[10:11], v[4:5], v[8:9], -v[16:17]
	v_fmac_f64_e32 v[12:13], v[2:3], v[8:9]
	scratch_store_dwordx4 off, v[10:13], off offset:64
.LBB96_27:
	s_or_b64 exec, exec, s[0:1]
	; wave barrier
	scratch_load_dwordx4 v[2:5], off, s45
	v_cmp_gt_u32_e32 vcc, 4, v0
	s_waitcnt vmcnt(0)
	ds_write_b128 v1, v[2:5]
	s_waitcnt lgkmcnt(0)
	; wave barrier
	s_and_saveexec_b64 s[0:1], vcc
	s_cbranch_execz .LBB96_31
; %bb.28:
	v_add_u32_e32 v7, -1, v0
	v_add_u32_e32 v8, 0x210, v14
	v_add_u32_e32 v9, 16, v14
	v_mov_b64_e32 v[2:3], 0
	s_mov_b64 s[4:5], 0
	v_mov_b64_e32 v[4:5], 0
.LBB96_29:                              ; =>This Inner Loop Header: Depth=1
	scratch_load_dwordx4 v[10:13], v9, off
	ds_read_b128 v[16:19], v8
	v_add_u32_e32 v7, 1, v7
	v_cmp_lt_u32_e32 vcc, 2, v7
	v_add_u32_e32 v8, 16, v8
	v_add_u32_e32 v9, 16, v9
	s_or_b64 s[4:5], vcc, s[4:5]
	s_waitcnt vmcnt(0) lgkmcnt(0)
	v_mul_f64 v[20:21], v[18:19], v[12:13]
	v_mul_f64 v[12:13], v[16:17], v[12:13]
	v_fma_f64 v[16:17], v[16:17], v[10:11], -v[20:21]
	v_fmac_f64_e32 v[12:13], v[18:19], v[10:11]
	v_add_f64 v[4:5], v[4:5], v[16:17]
	v_add_f64 v[2:3], v[2:3], v[12:13]
	s_andn2_b64 exec, exec, s[4:5]
	s_cbranch_execnz .LBB96_29
; %bb.30:
	s_or_b64 exec, exec, s[4:5]
	v_mov_b32_e32 v7, 0
	ds_read_b128 v[8:11], v7 offset:64
	s_waitcnt lgkmcnt(0)
	v_mul_f64 v[16:17], v[2:3], v[10:11]
	v_mul_f64 v[12:13], v[4:5], v[10:11]
	v_fma_f64 v[10:11], v[4:5], v[8:9], -v[16:17]
	v_fmac_f64_e32 v[12:13], v[2:3], v[8:9]
	scratch_store_dwordx4 off, v[10:13], off offset:80
.LBB96_31:
	s_or_b64 exec, exec, s[0:1]
	; wave barrier
	scratch_load_dwordx4 v[2:5], off, s44
	v_cmp_gt_u32_e32 vcc, 5, v0
	;; [unrolled: 45-line block ×19, first 2 shown]
	s_waitcnt vmcnt(0)
	ds_write_b128 v1, v[2:5]
	s_waitcnt lgkmcnt(0)
	; wave barrier
	s_and_saveexec_b64 s[0:1], vcc
	s_cbranch_execz .LBB96_103
; %bb.100:
	v_add_u32_e32 v7, -1, v0
	v_add_u32_e32 v8, 0x210, v14
	v_add_u32_e32 v9, 16, v14
	v_mov_b64_e32 v[2:3], 0
	s_mov_b64 s[4:5], 0
	v_mov_b64_e32 v[4:5], 0
.LBB96_101:                             ; =>This Inner Loop Header: Depth=1
	scratch_load_dwordx4 v[10:13], v9, off
	ds_read_b128 v[16:19], v8
	v_add_u32_e32 v7, 1, v7
	v_cmp_lt_u32_e32 vcc, 20, v7
	v_add_u32_e32 v8, 16, v8
	v_add_u32_e32 v9, 16, v9
	s_or_b64 s[4:5], vcc, s[4:5]
	s_waitcnt vmcnt(0) lgkmcnt(0)
	v_mul_f64 v[20:21], v[18:19], v[12:13]
	v_mul_f64 v[12:13], v[16:17], v[12:13]
	v_fma_f64 v[16:17], v[16:17], v[10:11], -v[20:21]
	v_fmac_f64_e32 v[12:13], v[18:19], v[10:11]
	v_add_f64 v[4:5], v[4:5], v[16:17]
	v_add_f64 v[2:3], v[2:3], v[12:13]
	s_andn2_b64 exec, exec, s[4:5]
	s_cbranch_execnz .LBB96_101
; %bb.102:
	s_or_b64 exec, exec, s[4:5]
	v_mov_b32_e32 v7, 0
	ds_read_b128 v[8:11], v7 offset:352
	s_waitcnt lgkmcnt(0)
	v_mul_f64 v[16:17], v[2:3], v[10:11]
	v_mul_f64 v[12:13], v[4:5], v[10:11]
	v_fma_f64 v[10:11], v[4:5], v[8:9], -v[16:17]
	v_fmac_f64_e32 v[12:13], v[2:3], v[8:9]
	scratch_store_dwordx4 off, v[10:13], off offset:368
.LBB96_103:
	s_or_b64 exec, exec, s[0:1]
	; wave barrier
	scratch_load_dwordx4 v[2:5], off, s25
	v_cmp_gt_u32_e32 vcc, 23, v0
	s_waitcnt vmcnt(0)
	ds_write_b128 v1, v[2:5]
	s_waitcnt lgkmcnt(0)
	; wave barrier
	s_and_saveexec_b64 s[0:1], vcc
	s_cbranch_execz .LBB96_107
; %bb.104:
	v_add_u32_e32 v7, -1, v0
	v_add_u32_e32 v8, 0x210, v14
	v_add_u32_e32 v9, 16, v14
	v_mov_b64_e32 v[2:3], 0
	s_mov_b64 s[4:5], 0
	v_mov_b64_e32 v[4:5], 0
.LBB96_105:                             ; =>This Inner Loop Header: Depth=1
	scratch_load_dwordx4 v[10:13], v9, off
	ds_read_b128 v[16:19], v8
	v_add_u32_e32 v7, 1, v7
	v_cmp_lt_u32_e32 vcc, 21, v7
	v_add_u32_e32 v8, 16, v8
	v_add_u32_e32 v9, 16, v9
	s_or_b64 s[4:5], vcc, s[4:5]
	s_waitcnt vmcnt(0) lgkmcnt(0)
	v_mul_f64 v[20:21], v[18:19], v[12:13]
	v_mul_f64 v[12:13], v[16:17], v[12:13]
	v_fma_f64 v[16:17], v[16:17], v[10:11], -v[20:21]
	v_fmac_f64_e32 v[12:13], v[18:19], v[10:11]
	v_add_f64 v[4:5], v[4:5], v[16:17]
	v_add_f64 v[2:3], v[2:3], v[12:13]
	s_andn2_b64 exec, exec, s[4:5]
	s_cbranch_execnz .LBB96_105
; %bb.106:
	s_or_b64 exec, exec, s[4:5]
	v_mov_b32_e32 v7, 0
	ds_read_b128 v[8:11], v7 offset:368
	s_waitcnt lgkmcnt(0)
	v_mul_f64 v[16:17], v[2:3], v[10:11]
	v_mul_f64 v[12:13], v[4:5], v[10:11]
	v_fma_f64 v[10:11], v[4:5], v[8:9], -v[16:17]
	v_fmac_f64_e32 v[12:13], v[2:3], v[8:9]
	scratch_store_dwordx4 off, v[10:13], off offset:384
.LBB96_107:
	s_or_b64 exec, exec, s[0:1]
	; wave barrier
	scratch_load_dwordx4 v[2:5], off, s24
	v_cmp_gt_u32_e32 vcc, 24, v0
	;; [unrolled: 45-line block ×9, first 2 shown]
	s_waitcnt vmcnt(0)
	ds_write_b128 v1, v[2:5]
	s_waitcnt lgkmcnt(0)
	; wave barrier
	s_and_saveexec_b64 s[0:1], vcc
	s_cbranch_execz .LBB96_139
; %bb.136:
	v_add_u32_e32 v7, -1, v0
	v_add_u32_e32 v8, 0x210, v14
	v_add_u32_e32 v9, 16, v14
	v_mov_b64_e32 v[2:3], 0
	s_mov_b64 s[4:5], 0
	v_mov_b64_e32 v[4:5], 0
.LBB96_137:                             ; =>This Inner Loop Header: Depth=1
	scratch_load_dwordx4 v[10:13], v9, off
	ds_read_b128 v[16:19], v8
	v_add_u32_e32 v7, 1, v7
	v_cmp_lt_u32_e32 vcc, 29, v7
	v_add_u32_e32 v8, 16, v8
	v_add_u32_e32 v9, 16, v9
	s_or_b64 s[4:5], vcc, s[4:5]
	s_waitcnt vmcnt(0) lgkmcnt(0)
	v_mul_f64 v[20:21], v[18:19], v[12:13]
	v_mul_f64 v[12:13], v[16:17], v[12:13]
	v_fma_f64 v[16:17], v[16:17], v[10:11], -v[20:21]
	v_fmac_f64_e32 v[12:13], v[18:19], v[10:11]
	v_add_f64 v[4:5], v[4:5], v[16:17]
	v_add_f64 v[2:3], v[2:3], v[12:13]
	s_andn2_b64 exec, exec, s[4:5]
	s_cbranch_execnz .LBB96_137
; %bb.138:
	s_or_b64 exec, exec, s[4:5]
	v_mov_b32_e32 v7, 0
	ds_read_b128 v[8:11], v7 offset:496
	s_waitcnt lgkmcnt(0)
	v_mul_f64 v[16:17], v[2:3], v[10:11]
	v_mul_f64 v[12:13], v[4:5], v[10:11]
	v_fma_f64 v[10:11], v[4:5], v[8:9], -v[16:17]
	v_fmac_f64_e32 v[12:13], v[2:3], v[8:9]
	scratch_store_dwordx4 off, v[10:13], off offset:512
.LBB96_139:
	s_or_b64 exec, exec, s[0:1]
	; wave barrier
	scratch_load_dwordx4 v[2:5], off, s16
	v_cmp_ne_u32_e32 vcc, 32, v0
	s_waitcnt vmcnt(0)
	ds_write_b128 v1, v[2:5]
	s_waitcnt lgkmcnt(0)
	; wave barrier
	s_and_saveexec_b64 s[0:1], vcc
	s_cbranch_execz .LBB96_143
; %bb.140:
	v_add_u32_e32 v1, 0x210, v14
	v_add_u32_e32 v7, 16, v14
	v_mov_b64_e32 v[2:3], 0
	s_mov_b64 s[4:5], 0
	v_mov_b64_e32 v[4:5], 0
.LBB96_141:                             ; =>This Inner Loop Header: Depth=1
	scratch_load_dwordx4 v[8:11], v7, off
	ds_read_b128 v[12:15], v1
	v_add_u32_e32 v6, 1, v6
	v_cmp_lt_u32_e32 vcc, 30, v6
	v_add_u32_e32 v1, 16, v1
	v_add_u32_e32 v7, 16, v7
	s_or_b64 s[4:5], vcc, s[4:5]
	s_waitcnt vmcnt(0) lgkmcnt(0)
	v_mul_f64 v[16:17], v[14:15], v[10:11]
	v_mul_f64 v[10:11], v[12:13], v[10:11]
	v_fma_f64 v[12:13], v[12:13], v[8:9], -v[16:17]
	v_fmac_f64_e32 v[10:11], v[14:15], v[8:9]
	v_add_f64 v[4:5], v[4:5], v[12:13]
	v_add_f64 v[2:3], v[2:3], v[10:11]
	s_andn2_b64 exec, exec, s[4:5]
	s_cbranch_execnz .LBB96_141
; %bb.142:
	s_or_b64 exec, exec, s[4:5]
	v_mov_b32_e32 v1, 0
	ds_read_b128 v[6:9], v1 offset:512
	s_waitcnt lgkmcnt(0)
	v_mul_f64 v[12:13], v[2:3], v[8:9]
	v_mul_f64 v[10:11], v[4:5], v[8:9]
	v_fma_f64 v[8:9], v[4:5], v[6:7], -v[12:13]
	v_fmac_f64_e32 v[10:11], v[2:3], v[6:7]
	scratch_store_dwordx4 off, v[8:11], off offset:528
.LBB96_143:
	s_or_b64 exec, exec, s[0:1]
	s_mov_b64 s[4:5], -1
	; wave barrier
.LBB96_144:
	s_and_b64 vcc, exec, s[4:5]
	s_cbranch_vccz .LBB96_146
; %bb.145:
	s_lshl_b64 s[0:1], s[2:3], 2
	s_add_u32 s0, s6, s0
	s_addc_u32 s1, s7, s1
	v_mov_b32_e32 v1, 0
	global_load_dword v1, v1, s[0:1]
	s_waitcnt vmcnt(0)
	v_cmp_ne_u32_e32 vcc, 0, v1
	s_cbranch_vccz .LBB96_147
.LBB96_146:
	s_endpgm
.LBB96_147:
	v_mov_b32_e32 v1, 0x210
	v_lshl_add_u32 v1, v0, 4, v1
	v_cmp_eq_u32_e32 vcc, 32, v0
	s_and_saveexec_b64 s[0:1], vcc
	s_cbranch_execz .LBB96_149
; %bb.148:
	scratch_load_dwordx4 v[2:5], off, s17
	v_mov_b32_e32 v6, 0
	v_mov_b32_e32 v7, v6
	;; [unrolled: 1-line block ×4, first 2 shown]
	scratch_store_dwordx4 off, v[6:9], off offset:512
	s_waitcnt vmcnt(1)
	ds_write_b128 v1, v[2:5]
.LBB96_149:
	s_or_b64 exec, exec, s[0:1]
	s_waitcnt lgkmcnt(0)
	; wave barrier
	scratch_load_dwordx4 v[4:7], off, off offset:528
	scratch_load_dwordx4 v[8:11], off, off offset:512
	v_mov_b32_e32 v2, 0
	ds_read_b128 v[12:15], v2 offset:1040
	v_cmp_lt_u32_e32 vcc, 30, v0
	s_waitcnt vmcnt(1) lgkmcnt(0)
	v_mul_f64 v[16:17], v[12:13], v[6:7]
	v_mul_f64 v[6:7], v[14:15], v[6:7]
	v_fmac_f64_e32 v[16:17], v[14:15], v[4:5]
	v_fma_f64 v[4:5], v[12:13], v[4:5], -v[6:7]
	v_add_f64 v[6:7], v[16:17], 0
	v_add_f64 v[4:5], v[4:5], 0
	s_waitcnt vmcnt(0)
	v_add_f64 v[4:5], v[8:9], -v[4:5]
	v_add_f64 v[6:7], v[10:11], -v[6:7]
	scratch_store_dwordx4 off, v[4:7], off offset:512
	s_and_saveexec_b64 s[0:1], vcc
	s_cbranch_execz .LBB96_151
; %bb.150:
	scratch_load_dwordx4 v[6:9], off, s18
	v_mov_b32_e32 v3, v2
	v_mov_b32_e32 v4, v2
	v_mov_b32_e32 v5, v2
	scratch_store_dwordx4 off, v[2:5], off offset:496
	s_waitcnt vmcnt(1)
	ds_write_b128 v1, v[6:9]
.LBB96_151:
	s_or_b64 exec, exec, s[0:1]
	s_waitcnt lgkmcnt(0)
	; wave barrier
	scratch_load_dwordx4 v[4:7], off, off offset:512
	scratch_load_dwordx4 v[8:11], off, off offset:528
	scratch_load_dwordx4 v[12:15], off, off offset:496
	ds_read_b128 v[16:19], v2 offset:1024
	ds_read_b128 v[20:23], v2 offset:1040
	v_cmp_lt_u32_e32 vcc, 29, v0
	s_waitcnt vmcnt(2) lgkmcnt(1)
	v_mul_f64 v[2:3], v[16:17], v[6:7]
	v_mul_f64 v[6:7], v[18:19], v[6:7]
	s_waitcnt vmcnt(1) lgkmcnt(0)
	v_mul_f64 v[24:25], v[20:21], v[10:11]
	v_mul_f64 v[10:11], v[22:23], v[10:11]
	v_fmac_f64_e32 v[2:3], v[18:19], v[4:5]
	v_fma_f64 v[4:5], v[16:17], v[4:5], -v[6:7]
	v_fmac_f64_e32 v[24:25], v[22:23], v[8:9]
	v_fma_f64 v[6:7], v[20:21], v[8:9], -v[10:11]
	v_add_f64 v[2:3], v[2:3], 0
	v_add_f64 v[4:5], v[4:5], 0
	;; [unrolled: 1-line block ×4, first 2 shown]
	s_waitcnt vmcnt(0)
	v_add_f64 v[2:3], v[12:13], -v[2:3]
	v_add_f64 v[4:5], v[14:15], -v[8:9]
	scratch_store_dwordx4 off, v[2:5], off offset:496
	s_and_saveexec_b64 s[0:1], vcc
	s_cbranch_execz .LBB96_153
; %bb.152:
	scratch_load_dwordx4 v[2:5], off, s19
	v_mov_b32_e32 v6, 0
	v_mov_b32_e32 v7, v6
	;; [unrolled: 1-line block ×4, first 2 shown]
	scratch_store_dwordx4 off, v[6:9], off offset:480
	s_waitcnt vmcnt(1)
	ds_write_b128 v1, v[2:5]
.LBB96_153:
	s_or_b64 exec, exec, s[0:1]
	s_waitcnt lgkmcnt(0)
	; wave barrier
	scratch_load_dwordx4 v[4:7], off, off offset:496
	scratch_load_dwordx4 v[8:11], off, off offset:512
	;; [unrolled: 1-line block ×4, first 2 shown]
	v_mov_b32_e32 v2, 0
	ds_read_b128 v[20:23], v2 offset:1008
	ds_read_b128 v[24:27], v2 offset:1024
	;; [unrolled: 1-line block ×3, first 2 shown]
	v_cmp_lt_u32_e32 vcc, 28, v0
	s_waitcnt vmcnt(3) lgkmcnt(2)
	v_mul_f64 v[32:33], v[20:21], v[6:7]
	v_mul_f64 v[6:7], v[22:23], v[6:7]
	s_waitcnt vmcnt(2) lgkmcnt(1)
	v_mul_f64 v[34:35], v[24:25], v[10:11]
	v_mul_f64 v[10:11], v[26:27], v[10:11]
	v_fmac_f64_e32 v[32:33], v[22:23], v[4:5]
	v_fma_f64 v[4:5], v[20:21], v[4:5], -v[6:7]
	s_waitcnt vmcnt(1) lgkmcnt(0)
	v_mul_f64 v[36:37], v[28:29], v[14:15]
	v_mul_f64 v[14:15], v[30:31], v[14:15]
	v_fmac_f64_e32 v[34:35], v[26:27], v[8:9]
	v_fma_f64 v[6:7], v[24:25], v[8:9], -v[10:11]
	v_add_f64 v[10:11], v[32:33], 0
	v_add_f64 v[4:5], v[4:5], 0
	v_fmac_f64_e32 v[36:37], v[30:31], v[12:13]
	v_fma_f64 v[8:9], v[28:29], v[12:13], -v[14:15]
	v_add_f64 v[10:11], v[10:11], v[34:35]
	v_add_f64 v[4:5], v[4:5], v[6:7]
	;; [unrolled: 1-line block ×4, first 2 shown]
	s_waitcnt vmcnt(0)
	v_add_f64 v[4:5], v[16:17], -v[4:5]
	v_add_f64 v[6:7], v[18:19], -v[6:7]
	scratch_store_dwordx4 off, v[4:7], off offset:480
	s_and_saveexec_b64 s[0:1], vcc
	s_cbranch_execz .LBB96_155
; %bb.154:
	scratch_load_dwordx4 v[6:9], off, s20
	v_mov_b32_e32 v3, v2
	v_mov_b32_e32 v4, v2
	;; [unrolled: 1-line block ×3, first 2 shown]
	scratch_store_dwordx4 off, v[2:5], off offset:464
	s_waitcnt vmcnt(1)
	ds_write_b128 v1, v[6:9]
.LBB96_155:
	s_or_b64 exec, exec, s[0:1]
	s_waitcnt lgkmcnt(0)
	; wave barrier
	scratch_load_dwordx4 v[4:7], off, off offset:480
	scratch_load_dwordx4 v[8:11], off, off offset:496
	;; [unrolled: 1-line block ×5, first 2 shown]
	ds_read_b128 v[24:27], v2 offset:992
	ds_read_b128 v[28:31], v2 offset:1008
	;; [unrolled: 1-line block ×4, first 2 shown]
	v_cmp_lt_u32_e32 vcc, 27, v0
	s_waitcnt vmcnt(4) lgkmcnt(3)
	v_mul_f64 v[2:3], v[24:25], v[6:7]
	v_mul_f64 v[6:7], v[26:27], v[6:7]
	s_waitcnt vmcnt(3) lgkmcnt(2)
	v_mul_f64 v[40:41], v[28:29], v[10:11]
	v_mul_f64 v[10:11], v[30:31], v[10:11]
	v_fmac_f64_e32 v[2:3], v[26:27], v[4:5]
	v_fma_f64 v[4:5], v[24:25], v[4:5], -v[6:7]
	s_waitcnt vmcnt(2) lgkmcnt(1)
	v_mul_f64 v[42:43], v[32:33], v[14:15]
	v_mul_f64 v[14:15], v[34:35], v[14:15]
	v_fmac_f64_e32 v[40:41], v[30:31], v[8:9]
	v_fma_f64 v[6:7], v[28:29], v[8:9], -v[10:11]
	v_add_f64 v[2:3], v[2:3], 0
	v_add_f64 v[4:5], v[4:5], 0
	s_waitcnt vmcnt(1) lgkmcnt(0)
	v_mul_f64 v[44:45], v[36:37], v[18:19]
	v_mul_f64 v[18:19], v[38:39], v[18:19]
	v_fmac_f64_e32 v[42:43], v[34:35], v[12:13]
	v_fma_f64 v[8:9], v[32:33], v[12:13], -v[14:15]
	v_add_f64 v[2:3], v[2:3], v[40:41]
	v_add_f64 v[4:5], v[4:5], v[6:7]
	v_fmac_f64_e32 v[44:45], v[38:39], v[16:17]
	v_fma_f64 v[10:11], v[36:37], v[16:17], -v[18:19]
	v_add_f64 v[2:3], v[2:3], v[42:43]
	v_add_f64 v[4:5], v[4:5], v[8:9]
	;; [unrolled: 1-line block ×4, first 2 shown]
	s_waitcnt vmcnt(0)
	v_add_f64 v[2:3], v[20:21], -v[2:3]
	v_add_f64 v[4:5], v[22:23], -v[6:7]
	scratch_store_dwordx4 off, v[2:5], off offset:464
	s_and_saveexec_b64 s[0:1], vcc
	s_cbranch_execz .LBB96_157
; %bb.156:
	scratch_load_dwordx4 v[2:5], off, s21
	v_mov_b32_e32 v6, 0
	v_mov_b32_e32 v7, v6
	;; [unrolled: 1-line block ×4, first 2 shown]
	scratch_store_dwordx4 off, v[6:9], off offset:448
	s_waitcnt vmcnt(1)
	ds_write_b128 v1, v[2:5]
.LBB96_157:
	s_or_b64 exec, exec, s[0:1]
	s_waitcnt lgkmcnt(0)
	; wave barrier
	scratch_load_dwordx4 v[4:7], off, off offset:464
	scratch_load_dwordx4 v[8:11], off, off offset:480
	;; [unrolled: 1-line block ×6, first 2 shown]
	v_mov_b32_e32 v2, 0
	ds_read_b128 v[28:31], v2 offset:976
	ds_read_b128 v[32:35], v2 offset:992
	;; [unrolled: 1-line block ×5, first 2 shown]
	v_cmp_lt_u32_e32 vcc, 26, v0
	s_waitcnt vmcnt(5) lgkmcnt(4)
	v_mul_f64 v[48:49], v[28:29], v[6:7]
	v_mul_f64 v[6:7], v[30:31], v[6:7]
	s_waitcnt vmcnt(4) lgkmcnt(3)
	v_mul_f64 v[50:51], v[32:33], v[10:11]
	s_waitcnt vmcnt(3) lgkmcnt(2)
	v_mul_f64 v[52:53], v[36:37], v[14:15]
	v_mul_f64 v[10:11], v[34:35], v[10:11]
	;; [unrolled: 1-line block ×3, first 2 shown]
	v_fmac_f64_e32 v[48:49], v[30:31], v[4:5]
	v_fma_f64 v[4:5], v[28:29], v[4:5], -v[6:7]
	v_fmac_f64_e32 v[50:51], v[34:35], v[8:9]
	v_fma_f64 v[6:7], v[32:33], v[8:9], -v[10:11]
	v_fma_f64 v[8:9], v[36:37], v[12:13], -v[14:15]
	v_add_f64 v[14:15], v[48:49], 0
	v_add_f64 v[4:5], v[4:5], 0
	s_waitcnt vmcnt(2) lgkmcnt(1)
	v_mul_f64 v[54:55], v[40:41], v[18:19]
	v_mul_f64 v[18:19], v[42:43], v[18:19]
	v_fmac_f64_e32 v[52:53], v[38:39], v[12:13]
	v_add_f64 v[14:15], v[14:15], v[50:51]
	v_add_f64 v[4:5], v[4:5], v[6:7]
	s_waitcnt vmcnt(1) lgkmcnt(0)
	v_mul_f64 v[56:57], v[44:45], v[22:23]
	v_mul_f64 v[22:23], v[46:47], v[22:23]
	v_fmac_f64_e32 v[54:55], v[42:43], v[16:17]
	v_fma_f64 v[10:11], v[40:41], v[16:17], -v[18:19]
	v_add_f64 v[6:7], v[14:15], v[52:53]
	v_add_f64 v[4:5], v[4:5], v[8:9]
	v_fmac_f64_e32 v[56:57], v[46:47], v[20:21]
	v_fma_f64 v[12:13], v[44:45], v[20:21], -v[22:23]
	v_add_f64 v[6:7], v[6:7], v[54:55]
	v_add_f64 v[4:5], v[4:5], v[10:11]
	;; [unrolled: 1-line block ×4, first 2 shown]
	s_waitcnt vmcnt(0)
	v_add_f64 v[4:5], v[24:25], -v[4:5]
	v_add_f64 v[6:7], v[26:27], -v[6:7]
	scratch_store_dwordx4 off, v[4:7], off offset:448
	s_and_saveexec_b64 s[0:1], vcc
	s_cbranch_execz .LBB96_159
; %bb.158:
	scratch_load_dwordx4 v[6:9], off, s22
	v_mov_b32_e32 v3, v2
	v_mov_b32_e32 v4, v2
	;; [unrolled: 1-line block ×3, first 2 shown]
	scratch_store_dwordx4 off, v[2:5], off offset:432
	s_waitcnt vmcnt(1)
	ds_write_b128 v1, v[6:9]
.LBB96_159:
	s_or_b64 exec, exec, s[0:1]
	s_waitcnt lgkmcnt(0)
	; wave barrier
	ds_read_b128 v[4:7], v2 offset:960
	ds_read_b128 v[8:11], v2 offset:976
	;; [unrolled: 1-line block ×4, first 2 shown]
	scratch_load_dwordx4 v[20:23], off, off offset:448
	scratch_load_dwordx4 v[40:43], off, off offset:512
	v_cmp_lt_u32_e32 vcc, 25, v0
	scratch_load_dwordx4 v[48:51], off, off offset:528
	s_waitcnt vmcnt(2) lgkmcnt(3)
	v_mul_f64 v[24:25], v[4:5], v[22:23]
	v_fmac_f64_e32 v[24:25], v[6:7], v[20:21]
	v_add_f64 v[28:29], v[24:25], 0
	scratch_load_dwordx4 v[24:27], off, off offset:464
	s_waitcnt vmcnt(0) lgkmcnt(2)
	v_mul_f64 v[30:31], v[8:9], v[26:27]
	v_fmac_f64_e32 v[30:31], v[10:11], v[24:25]
	v_add_f64 v[32:33], v[28:29], v[30:31]
	;; [unrolled: 5-line block ×4, first 2 shown]
	ds_read_b128 v[36:39], v2 offset:1024
	s_waitcnt lgkmcnt(0)
	v_mul_f64 v[46:47], v[36:37], v[42:43]
	v_fmac_f64_e32 v[46:47], v[38:39], v[40:41]
	v_add_f64 v[52:53], v[44:45], v[46:47]
	ds_read_b128 v[44:47], v2 offset:1040
	s_waitcnt lgkmcnt(0)
	v_mul_f64 v[2:3], v[44:45], v[50:51]
	v_fmac_f64_e32 v[2:3], v[46:47], v[48:49]
	v_add_f64 v[52:53], v[52:53], v[2:3]
	v_mul_f64 v[2:3], v[6:7], v[22:23]
	v_fma_f64 v[2:3], v[4:5], v[20:21], -v[2:3]
	v_mul_f64 v[4:5], v[10:11], v[26:27]
	v_add_f64 v[2:3], v[2:3], 0
	v_fma_f64 v[4:5], v[8:9], v[24:25], -v[4:5]
	v_add_f64 v[2:3], v[2:3], v[4:5]
	v_mul_f64 v[4:5], v[14:15], v[30:31]
	v_fma_f64 v[4:5], v[12:13], v[28:29], -v[4:5]
	v_add_f64 v[2:3], v[2:3], v[4:5]
	v_mul_f64 v[4:5], v[18:19], v[34:35]
	;; [unrolled: 3-line block ×4, first 2 shown]
	v_fma_f64 v[4:5], v[44:45], v[48:49], -v[4:5]
	v_add_f64 v[6:7], v[2:3], v[4:5]
	scratch_load_dwordx4 v[2:5], off, off offset:432
	s_waitcnt vmcnt(0)
	v_add_f64 v[2:3], v[2:3], -v[6:7]
	v_add_f64 v[4:5], v[4:5], -v[52:53]
	scratch_store_dwordx4 off, v[2:5], off offset:432
	s_and_saveexec_b64 s[0:1], vcc
	s_cbranch_execz .LBB96_161
; %bb.160:
	scratch_load_dwordx4 v[2:5], off, s23
	v_mov_b32_e32 v6, 0
	v_mov_b32_e32 v7, v6
	;; [unrolled: 1-line block ×4, first 2 shown]
	scratch_store_dwordx4 off, v[6:9], off offset:416
	s_waitcnt vmcnt(1)
	ds_write_b128 v1, v[2:5]
.LBB96_161:
	s_or_b64 exec, exec, s[0:1]
	s_waitcnt lgkmcnt(0)
	; wave barrier
	scratch_load_dwordx4 v[4:7], off, off offset:432
	scratch_load_dwordx4 v[8:11], off, off offset:448
	;; [unrolled: 1-line block ×8, first 2 shown]
	v_mov_b32_e32 v2, 0
	ds_read_b128 v[36:39], v2 offset:944
	ds_read_b128 v[40:43], v2 offset:960
	;; [unrolled: 1-line block ×7, first 2 shown]
	v_cmp_lt_u32_e32 vcc, 24, v0
	s_waitcnt vmcnt(7) lgkmcnt(6)
	v_mul_f64 v[64:65], v[36:37], v[6:7]
	v_mul_f64 v[6:7], v[38:39], v[6:7]
	s_waitcnt vmcnt(6) lgkmcnt(5)
	v_mul_f64 v[66:67], v[40:41], v[10:11]
	s_waitcnt vmcnt(4) lgkmcnt(3)
	v_mul_f64 v[70:71], v[48:49], v[18:19]
	v_mul_f64 v[10:11], v[42:43], v[10:11]
	;; [unrolled: 1-line block ×3, first 2 shown]
	v_fmac_f64_e32 v[64:65], v[38:39], v[4:5]
	v_fma_f64 v[4:5], v[36:37], v[4:5], -v[6:7]
	v_mul_f64 v[68:69], v[44:45], v[14:15]
	v_mul_f64 v[14:15], v[46:47], v[14:15]
	v_fmac_f64_e32 v[66:67], v[42:43], v[8:9]
	v_fma_f64 v[6:7], v[40:41], v[8:9], -v[10:11]
	v_fma_f64 v[10:11], v[48:49], v[16:17], -v[18:19]
	v_add_f64 v[18:19], v[64:65], 0
	v_add_f64 v[4:5], v[4:5], 0
	v_fmac_f64_e32 v[68:69], v[46:47], v[12:13]
	v_fma_f64 v[8:9], v[44:45], v[12:13], -v[14:15]
	v_add_f64 v[18:19], v[18:19], v[66:67]
	v_add_f64 v[4:5], v[4:5], v[6:7]
	s_waitcnt vmcnt(3) lgkmcnt(2)
	v_mul_f64 v[72:73], v[52:53], v[22:23]
	v_mul_f64 v[22:23], v[54:55], v[22:23]
	v_fmac_f64_e32 v[70:71], v[50:51], v[16:17]
	v_add_f64 v[6:7], v[18:19], v[68:69]
	v_add_f64 v[4:5], v[4:5], v[8:9]
	s_waitcnt vmcnt(2) lgkmcnt(1)
	v_mul_f64 v[74:75], v[56:57], v[26:27]
	v_mul_f64 v[26:27], v[58:59], v[26:27]
	v_fmac_f64_e32 v[72:73], v[54:55], v[20:21]
	v_fma_f64 v[12:13], v[52:53], v[20:21], -v[22:23]
	v_add_f64 v[6:7], v[6:7], v[70:71]
	v_add_f64 v[4:5], v[4:5], v[10:11]
	s_waitcnt vmcnt(1) lgkmcnt(0)
	v_mul_f64 v[76:77], v[60:61], v[30:31]
	v_mul_f64 v[30:31], v[62:63], v[30:31]
	v_fmac_f64_e32 v[74:75], v[58:59], v[24:25]
	v_fma_f64 v[14:15], v[56:57], v[24:25], -v[26:27]
	v_add_f64 v[6:7], v[6:7], v[72:73]
	v_add_f64 v[4:5], v[4:5], v[12:13]
	v_fmac_f64_e32 v[76:77], v[62:63], v[28:29]
	v_fma_f64 v[16:17], v[60:61], v[28:29], -v[30:31]
	v_add_f64 v[6:7], v[6:7], v[74:75]
	v_add_f64 v[4:5], v[4:5], v[14:15]
	;; [unrolled: 1-line block ×4, first 2 shown]
	s_waitcnt vmcnt(0)
	v_add_f64 v[4:5], v[32:33], -v[4:5]
	v_add_f64 v[6:7], v[34:35], -v[6:7]
	scratch_store_dwordx4 off, v[4:7], off offset:416
	s_and_saveexec_b64 s[0:1], vcc
	s_cbranch_execz .LBB96_163
; %bb.162:
	scratch_load_dwordx4 v[6:9], off, s24
	v_mov_b32_e32 v3, v2
	v_mov_b32_e32 v4, v2
	;; [unrolled: 1-line block ×3, first 2 shown]
	scratch_store_dwordx4 off, v[2:5], off offset:400
	s_waitcnt vmcnt(1)
	ds_write_b128 v1, v[6:9]
.LBB96_163:
	s_or_b64 exec, exec, s[0:1]
	s_waitcnt lgkmcnt(0)
	; wave barrier
	scratch_load_dwordx4 v[4:7], off, off offset:416
	scratch_load_dwordx4 v[8:11], off, off offset:432
	;; [unrolled: 1-line block ×9, first 2 shown]
	ds_read_b128 v[40:43], v2 offset:928
	ds_read_b128 v[44:47], v2 offset:944
	;; [unrolled: 1-line block ×8, first 2 shown]
	v_cmp_lt_u32_e32 vcc, 23, v0
	s_waitcnt vmcnt(8) lgkmcnt(7)
	v_mul_f64 v[2:3], v[40:41], v[6:7]
	v_mul_f64 v[6:7], v[42:43], v[6:7]
	s_waitcnt vmcnt(7) lgkmcnt(6)
	v_mul_f64 v[72:73], v[44:45], v[10:11]
	v_mul_f64 v[10:11], v[46:47], v[10:11]
	v_fmac_f64_e32 v[2:3], v[42:43], v[4:5]
	v_fma_f64 v[4:5], v[40:41], v[4:5], -v[6:7]
	s_waitcnt vmcnt(6) lgkmcnt(5)
	v_mul_f64 v[74:75], v[48:49], v[14:15]
	v_mul_f64 v[14:15], v[50:51], v[14:15]
	v_fmac_f64_e32 v[72:73], v[46:47], v[8:9]
	v_fma_f64 v[6:7], v[44:45], v[8:9], -v[10:11]
	v_add_f64 v[2:3], v[2:3], 0
	v_add_f64 v[4:5], v[4:5], 0
	s_waitcnt vmcnt(5) lgkmcnt(4)
	v_mul_f64 v[76:77], v[52:53], v[18:19]
	v_mul_f64 v[18:19], v[54:55], v[18:19]
	v_fmac_f64_e32 v[74:75], v[50:51], v[12:13]
	v_fma_f64 v[8:9], v[48:49], v[12:13], -v[14:15]
	v_add_f64 v[2:3], v[2:3], v[72:73]
	v_add_f64 v[4:5], v[4:5], v[6:7]
	;; [unrolled: 7-line block ×6, first 2 shown]
	v_fmac_f64_e32 v[84:85], v[70:71], v[32:33]
	v_fma_f64 v[18:19], v[68:69], v[32:33], -v[34:35]
	v_add_f64 v[2:3], v[2:3], v[82:83]
	v_add_f64 v[4:5], v[4:5], v[16:17]
	;; [unrolled: 1-line block ×4, first 2 shown]
	s_waitcnt vmcnt(0)
	v_add_f64 v[2:3], v[36:37], -v[2:3]
	v_add_f64 v[4:5], v[38:39], -v[6:7]
	scratch_store_dwordx4 off, v[2:5], off offset:400
	s_and_saveexec_b64 s[0:1], vcc
	s_cbranch_execz .LBB96_165
; %bb.164:
	scratch_load_dwordx4 v[2:5], off, s25
	v_mov_b32_e32 v6, 0
	v_mov_b32_e32 v7, v6
	;; [unrolled: 1-line block ×4, first 2 shown]
	scratch_store_dwordx4 off, v[6:9], off offset:384
	s_waitcnt vmcnt(1)
	ds_write_b128 v1, v[2:5]
.LBB96_165:
	s_or_b64 exec, exec, s[0:1]
	s_waitcnt lgkmcnt(0)
	; wave barrier
	scratch_load_dwordx4 v[4:7], off, off offset:400
	scratch_load_dwordx4 v[8:11], off, off offset:416
	;; [unrolled: 1-line block ×10, first 2 shown]
	v_mov_b32_e32 v2, 0
	ds_read_b128 v[44:47], v2 offset:912
	ds_read_b128 v[48:51], v2 offset:928
	;; [unrolled: 1-line block ×9, first 2 shown]
	v_cmp_lt_u32_e32 vcc, 22, v0
	s_waitcnt vmcnt(9) lgkmcnt(8)
	v_mul_f64 v[80:81], v[44:45], v[6:7]
	v_mul_f64 v[6:7], v[46:47], v[6:7]
	s_waitcnt vmcnt(8) lgkmcnt(7)
	v_mul_f64 v[82:83], v[48:49], v[10:11]
	s_waitcnt vmcnt(7) lgkmcnt(6)
	;; [unrolled: 2-line block ×3, first 2 shown]
	v_mul_f64 v[88:89], v[60:61], v[22:23]
	v_mul_f64 v[10:11], v[50:51], v[10:11]
	v_mul_f64 v[14:15], v[54:55], v[14:15]
	v_mul_f64 v[22:23], v[62:63], v[22:23]
	v_fmac_f64_e32 v[80:81], v[46:47], v[4:5]
	v_fma_f64 v[4:5], v[44:45], v[4:5], -v[6:7]
	v_fmac_f64_e32 v[82:83], v[50:51], v[8:9]
	v_fmac_f64_e32 v[84:85], v[54:55], v[12:13]
	v_fma_f64 v[6:7], v[48:49], v[8:9], -v[10:11]
	v_fma_f64 v[8:9], v[52:53], v[12:13], -v[14:15]
	;; [unrolled: 1-line block ×3, first 2 shown]
	v_add_f64 v[22:23], v[80:81], 0
	v_add_f64 v[4:5], v[4:5], 0
	v_mul_f64 v[86:87], v[56:57], v[18:19]
	v_mul_f64 v[18:19], v[58:59], v[18:19]
	v_add_f64 v[22:23], v[22:23], v[82:83]
	v_add_f64 v[4:5], v[4:5], v[6:7]
	v_fmac_f64_e32 v[86:87], v[58:59], v[16:17]
	v_fma_f64 v[10:11], v[56:57], v[16:17], -v[18:19]
	v_add_f64 v[6:7], v[22:23], v[84:85]
	v_add_f64 v[4:5], v[4:5], v[8:9]
	s_waitcnt vmcnt(4) lgkmcnt(3)
	v_mul_f64 v[90:91], v[64:65], v[26:27]
	v_mul_f64 v[26:27], v[66:67], v[26:27]
	v_fmac_f64_e32 v[88:89], v[62:63], v[20:21]
	v_add_f64 v[6:7], v[6:7], v[86:87]
	v_add_f64 v[4:5], v[4:5], v[10:11]
	s_waitcnt vmcnt(3) lgkmcnt(2)
	v_mul_f64 v[92:93], v[68:69], v[30:31]
	v_mul_f64 v[30:31], v[70:71], v[30:31]
	v_fmac_f64_e32 v[90:91], v[66:67], v[24:25]
	v_fma_f64 v[14:15], v[64:65], v[24:25], -v[26:27]
	v_add_f64 v[6:7], v[6:7], v[88:89]
	v_add_f64 v[4:5], v[4:5], v[12:13]
	s_waitcnt vmcnt(2) lgkmcnt(1)
	v_mul_f64 v[94:95], v[72:73], v[34:35]
	v_mul_f64 v[34:35], v[74:75], v[34:35]
	v_fmac_f64_e32 v[92:93], v[70:71], v[28:29]
	v_fma_f64 v[16:17], v[68:69], v[28:29], -v[30:31]
	;; [unrolled: 7-line block ×3, first 2 shown]
	v_add_f64 v[6:7], v[6:7], v[92:93]
	v_add_f64 v[4:5], v[4:5], v[16:17]
	v_fmac_f64_e32 v[96:97], v[78:79], v[36:37]
	v_fma_f64 v[20:21], v[76:77], v[36:37], -v[38:39]
	v_add_f64 v[6:7], v[6:7], v[94:95]
	v_add_f64 v[4:5], v[4:5], v[18:19]
	v_add_f64 v[6:7], v[6:7], v[96:97]
	v_add_f64 v[4:5], v[4:5], v[20:21]
	s_waitcnt vmcnt(0)
	v_add_f64 v[4:5], v[40:41], -v[4:5]
	v_add_f64 v[6:7], v[42:43], -v[6:7]
	scratch_store_dwordx4 off, v[4:7], off offset:384
	s_and_saveexec_b64 s[0:1], vcc
	s_cbranch_execz .LBB96_167
; %bb.166:
	scratch_load_dwordx4 v[6:9], off, s26
	v_mov_b32_e32 v3, v2
	v_mov_b32_e32 v4, v2
	;; [unrolled: 1-line block ×3, first 2 shown]
	scratch_store_dwordx4 off, v[2:5], off offset:368
	s_waitcnt vmcnt(1)
	ds_write_b128 v1, v[6:9]
.LBB96_167:
	s_or_b64 exec, exec, s[0:1]
	s_waitcnt lgkmcnt(0)
	; wave barrier
	ds_read_b128 v[4:7], v2 offset:896
	ds_read_b128 v[8:11], v2 offset:912
	;; [unrolled: 1-line block ×4, first 2 shown]
	scratch_load_dwordx4 v[20:23], off, off offset:384
	scratch_load_dwordx4 v[40:43], off, off offset:448
	;; [unrolled: 1-line block ×4, first 2 shown]
	v_cmp_lt_u32_e32 vcc, 21, v0
	scratch_load_dwordx4 v[48:51], off, off offset:464
	scratch_load_dwordx4 v[56:59], off, off offset:480
	scratch_load_dwordx4 v[64:67], off, off offset:496
	s_waitcnt vmcnt(6) lgkmcnt(3)
	v_mul_f64 v[24:25], v[4:5], v[22:23]
	v_fmac_f64_e32 v[24:25], v[6:7], v[20:21]
	v_add_f64 v[28:29], v[24:25], 0
	scratch_load_dwordx4 v[24:27], off, off offset:400
	s_waitcnt vmcnt(0) lgkmcnt(2)
	v_mul_f64 v[30:31], v[8:9], v[26:27]
	v_fmac_f64_e32 v[30:31], v[10:11], v[24:25]
	v_add_f64 v[32:33], v[28:29], v[30:31]
	scratch_load_dwordx4 v[28:31], off, off offset:416
	s_waitcnt vmcnt(0) lgkmcnt(1)
	v_mul_f64 v[34:35], v[12:13], v[30:31]
	v_fmac_f64_e32 v[34:35], v[14:15], v[28:29]
	v_add_f64 v[36:37], v[32:33], v[34:35]
	scratch_load_dwordx4 v[32:35], off, off offset:432
	s_waitcnt vmcnt(0) lgkmcnt(0)
	v_mul_f64 v[38:39], v[16:17], v[34:35]
	v_fmac_f64_e32 v[38:39], v[18:19], v[32:33]
	v_add_f64 v[44:45], v[36:37], v[38:39]
	ds_read_b128 v[36:39], v2 offset:960
	s_waitcnt lgkmcnt(0)
	v_mul_f64 v[46:47], v[36:37], v[42:43]
	v_fmac_f64_e32 v[46:47], v[38:39], v[40:41]
	v_add_f64 v[52:53], v[44:45], v[46:47]
	ds_read_b128 v[44:47], v2 offset:976
	s_waitcnt lgkmcnt(0)
	;; [unrolled: 5-line block ×6, first 2 shown]
	v_mul_f64 v[2:3], v[76:77], v[82:83]
	v_fmac_f64_e32 v[2:3], v[78:79], v[80:81]
	v_add_f64 v[84:85], v[84:85], v[2:3]
	v_mul_f64 v[2:3], v[6:7], v[22:23]
	v_fma_f64 v[2:3], v[4:5], v[20:21], -v[2:3]
	v_mul_f64 v[4:5], v[10:11], v[26:27]
	v_add_f64 v[2:3], v[2:3], 0
	v_fma_f64 v[4:5], v[8:9], v[24:25], -v[4:5]
	v_add_f64 v[2:3], v[2:3], v[4:5]
	v_mul_f64 v[4:5], v[14:15], v[30:31]
	v_fma_f64 v[4:5], v[12:13], v[28:29], -v[4:5]
	v_add_f64 v[2:3], v[2:3], v[4:5]
	v_mul_f64 v[4:5], v[18:19], v[34:35]
	;; [unrolled: 3-line block ×8, first 2 shown]
	v_fma_f64 v[4:5], v[76:77], v[80:81], -v[4:5]
	v_add_f64 v[6:7], v[2:3], v[4:5]
	scratch_load_dwordx4 v[2:5], off, off offset:368
	s_waitcnt vmcnt(0)
	v_add_f64 v[2:3], v[2:3], -v[6:7]
	v_add_f64 v[4:5], v[4:5], -v[84:85]
	scratch_store_dwordx4 off, v[2:5], off offset:368
	s_and_saveexec_b64 s[0:1], vcc
	s_cbranch_execz .LBB96_169
; %bb.168:
	scratch_load_dwordx4 v[2:5], off, s27
	v_mov_b32_e32 v6, 0
	v_mov_b32_e32 v7, v6
	;; [unrolled: 1-line block ×4, first 2 shown]
	scratch_store_dwordx4 off, v[6:9], off offset:352
	s_waitcnt vmcnt(1)
	ds_write_b128 v1, v[2:5]
.LBB96_169:
	s_or_b64 exec, exec, s[0:1]
	v_mov_b32_e32 v2, 0
	s_waitcnt lgkmcnt(0)
	; wave barrier
	ds_read_b128 v[4:7], v2 offset:880
	ds_read_b128 v[8:11], v2 offset:896
	;; [unrolled: 1-line block ×4, first 2 shown]
	scratch_load_dwordx4 v[20:23], off, off offset:368
	scratch_load_dwordx4 v[40:43], off, off offset:432
	;; [unrolled: 1-line block ×5, first 2 shown]
	v_cmp_lt_u32_e32 vcc, 20, v0
	scratch_load_dwordx4 v[48:51], off, off offset:448
	scratch_load_dwordx4 v[56:59], off, off offset:464
	;; [unrolled: 1-line block ×3, first 2 shown]
	s_waitcnt vmcnt(7) lgkmcnt(3)
	v_mul_f64 v[24:25], v[4:5], v[22:23]
	v_fmac_f64_e32 v[24:25], v[6:7], v[20:21]
	v_add_f64 v[28:29], v[24:25], 0
	scratch_load_dwordx4 v[24:27], off, off offset:384
	v_mul_f64 v[6:7], v[6:7], v[22:23]
	v_fma_f64 v[4:5], v[4:5], v[20:21], -v[6:7]
	v_add_f64 v[4:5], v[4:5], 0
	s_waitcnt vmcnt(0) lgkmcnt(2)
	v_mul_f64 v[30:31], v[8:9], v[26:27]
	v_fmac_f64_e32 v[30:31], v[10:11], v[24:25]
	v_add_f64 v[32:33], v[28:29], v[30:31]
	scratch_load_dwordx4 v[28:31], off, off offset:400
	v_mul_f64 v[6:7], v[10:11], v[26:27]
	v_fma_f64 v[6:7], v[8:9], v[24:25], -v[6:7]
	v_add_f64 v[4:5], v[4:5], v[6:7]
	;; [unrolled: 8-line block ×3, first 2 shown]
	s_waitcnt vmcnt(0) lgkmcnt(0)
	v_mul_f64 v[38:39], v[16:17], v[34:35]
	v_fmac_f64_e32 v[38:39], v[18:19], v[32:33]
	v_add_f64 v[44:45], v[36:37], v[38:39]
	ds_read_b128 v[36:39], v2 offset:944
	v_mul_f64 v[6:7], v[18:19], v[34:35]
	v_fma_f64 v[6:7], v[16:17], v[32:33], -v[6:7]
	v_add_f64 v[4:5], v[4:5], v[6:7]
	s_waitcnt lgkmcnt(0)
	v_mul_f64 v[46:47], v[36:37], v[42:43]
	v_fmac_f64_e32 v[46:47], v[38:39], v[40:41]
	v_add_f64 v[52:53], v[44:45], v[46:47]
	ds_read_b128 v[44:47], v2 offset:960
	v_mul_f64 v[6:7], v[38:39], v[42:43]
	v_fma_f64 v[6:7], v[36:37], v[40:41], -v[6:7]
	v_add_f64 v[4:5], v[4:5], v[6:7]
	s_waitcnt lgkmcnt(0)
	;; [unrolled: 8-line block ×7, first 2 shown]
	v_mul_f64 v[6:7], v[86:87], v[90:91]
	v_fma_f64 v[6:7], v[84:85], v[88:89], -v[6:7]
	v_add_f64 v[8:9], v[4:5], v[6:7]
	scratch_load_dwordx4 v[4:7], off, off offset:352
	v_mul_f64 v[94:95], v[84:85], v[90:91]
	v_fmac_f64_e32 v[94:95], v[86:87], v[88:89]
	v_add_f64 v[92:93], v[92:93], v[94:95]
	s_waitcnt vmcnt(0)
	v_add_f64 v[4:5], v[4:5], -v[8:9]
	v_add_f64 v[6:7], v[6:7], -v[92:93]
	scratch_store_dwordx4 off, v[4:7], off offset:352
	s_and_saveexec_b64 s[0:1], vcc
	s_cbranch_execz .LBB96_171
; %bb.170:
	scratch_load_dwordx4 v[6:9], off, s28
	v_mov_b32_e32 v3, v2
	v_mov_b32_e32 v4, v2
	;; [unrolled: 1-line block ×3, first 2 shown]
	scratch_store_dwordx4 off, v[2:5], off offset:336
	s_waitcnt vmcnt(1)
	ds_write_b128 v1, v[6:9]
.LBB96_171:
	s_or_b64 exec, exec, s[0:1]
	s_waitcnt lgkmcnt(0)
	; wave barrier
	scratch_load_dwordx4 v[4:7], off, off offset:352
	scratch_load_dwordx4 v[8:11], off, off offset:368
	;; [unrolled: 1-line block ×12, first 2 shown]
	ds_read_b128 v[52:55], v2 offset:864
	ds_read_b128 v[56:59], v2 offset:880
	;; [unrolled: 1-line block ×4, first 2 shown]
	scratch_load_dwordx4 v[68:71], off, off offset:336
	ds_read_b128 v[72:75], v2 offset:928
	ds_read_b128 v[76:79], v2 offset:944
	;; [unrolled: 1-line block ×8, first 2 shown]
	v_cmp_lt_u32_e32 vcc, 19, v0
	s_waitcnt vmcnt(12) lgkmcnt(11)
	v_mul_f64 v[2:3], v[52:53], v[6:7]
	s_waitcnt vmcnt(11) lgkmcnt(10)
	v_mul_f64 v[104:105], v[56:57], v[10:11]
	v_fmac_f64_e32 v[2:3], v[54:55], v[4:5]
	s_waitcnt vmcnt(10) lgkmcnt(9)
	v_mul_f64 v[106:107], v[60:61], v[14:15]
	v_mul_f64 v[6:7], v[54:55], v[6:7]
	v_fmac_f64_e32 v[104:105], v[58:59], v[8:9]
	v_add_f64 v[2:3], v[2:3], 0
	s_waitcnt vmcnt(9) lgkmcnt(8)
	v_mul_f64 v[108:109], v[64:65], v[18:19]
	v_mul_f64 v[10:11], v[58:59], v[10:11]
	v_fmac_f64_e32 v[106:107], v[62:63], v[12:13]
	v_fma_f64 v[4:5], v[52:53], v[4:5], -v[6:7]
	v_add_f64 v[2:3], v[2:3], v[104:105]
	s_waitcnt vmcnt(8) lgkmcnt(7)
	v_mul_f64 v[110:111], v[72:73], v[22:23]
	v_mul_f64 v[14:15], v[62:63], v[14:15]
	v_fmac_f64_e32 v[108:109], v[66:67], v[16:17]
	v_fma_f64 v[6:7], v[56:57], v[8:9], -v[10:11]
	v_add_f64 v[4:5], v[4:5], 0
	v_add_f64 v[2:3], v[2:3], v[106:107]
	s_waitcnt vmcnt(7) lgkmcnt(6)
	v_mul_f64 v[112:113], v[76:77], v[26:27]
	v_mul_f64 v[18:19], v[66:67], v[18:19]
	v_fmac_f64_e32 v[110:111], v[74:75], v[20:21]
	v_fma_f64 v[8:9], v[60:61], v[12:13], -v[14:15]
	v_add_f64 v[4:5], v[4:5], v[6:7]
	;; [unrolled: 7-line block ×8, first 2 shown]
	v_add_f64 v[2:3], v[2:3], v[120:121]
	v_mul_f64 v[46:47], v[98:99], v[46:47]
	v_fmac_f64_e32 v[124:125], v[102:103], v[48:49]
	v_fma_f64 v[22:23], v[92:93], v[40:41], -v[42:43]
	v_add_f64 v[4:5], v[4:5], v[20:21]
	v_add_f64 v[2:3], v[2:3], v[122:123]
	;; [unrolled: 1-line block ×4, first 2 shown]
	v_fma_f64 v[2:3], v[96:97], v[44:45], -v[46:47]
	v_add_f64 v[2:3], v[4:5], v[2:3]
	v_mul_f64 v[4:5], v[102:103], v[50:51]
	v_fma_f64 v[4:5], v[100:101], v[48:49], -v[4:5]
	v_add_f64 v[2:3], v[2:3], v[4:5]
	s_waitcnt vmcnt(0)
	v_add_f64 v[2:3], v[68:69], -v[2:3]
	v_add_f64 v[4:5], v[70:71], -v[6:7]
	scratch_store_dwordx4 off, v[2:5], off offset:336
	s_and_saveexec_b64 s[0:1], vcc
	s_cbranch_execz .LBB96_173
; %bb.172:
	scratch_load_dwordx4 v[2:5], off, s29
	v_mov_b32_e32 v6, 0
	v_mov_b32_e32 v7, v6
	;; [unrolled: 1-line block ×4, first 2 shown]
	scratch_store_dwordx4 off, v[6:9], off offset:320
	s_waitcnt vmcnt(1)
	ds_write_b128 v1, v[2:5]
.LBB96_173:
	s_or_b64 exec, exec, s[0:1]
	s_waitcnt lgkmcnt(0)
	; wave barrier
	scratch_load_dwordx4 v[4:7], off, off offset:336
	scratch_load_dwordx4 v[8:11], off, off offset:352
	;; [unrolled: 1-line block ×14, first 2 shown]
	v_mov_b32_e32 v2, 0
	ds_read_b128 v[60:63], v2 offset:848
	ds_read_b128 v[64:67], v2 offset:864
	;; [unrolled: 1-line block ×13, first 2 shown]
	v_cmp_lt_u32_e32 vcc, 18, v0
	s_waitcnt vmcnt(13) lgkmcnt(12)
	v_mul_f64 v[112:113], v[60:61], v[6:7]
	v_mul_f64 v[6:7], v[62:63], v[6:7]
	s_waitcnt vmcnt(12) lgkmcnt(11)
	v_mul_f64 v[114:115], v[64:65], v[10:11]
	v_mul_f64 v[10:11], v[66:67], v[10:11]
	v_fmac_f64_e32 v[112:113], v[62:63], v[4:5]
	v_fma_f64 v[4:5], v[60:61], v[4:5], -v[6:7]
	s_waitcnt vmcnt(11) lgkmcnt(10)
	v_mul_f64 v[116:117], v[68:69], v[14:15]
	v_mul_f64 v[14:15], v[70:71], v[14:15]
	v_fma_f64 v[6:7], v[64:65], v[8:9], -v[10:11]
	v_add_f64 v[4:5], v[4:5], 0
	s_waitcnt vmcnt(10) lgkmcnt(9)
	v_mul_f64 v[118:119], v[72:73], v[18:19]
	v_mul_f64 v[18:19], v[74:75], v[18:19]
	v_fmac_f64_e32 v[114:115], v[66:67], v[8:9]
	v_fma_f64 v[8:9], v[68:69], v[12:13], -v[14:15]
	v_add_f64 v[4:5], v[4:5], v[6:7]
	s_waitcnt vmcnt(9) lgkmcnt(8)
	v_mul_f64 v[120:121], v[76:77], v[22:23]
	v_mul_f64 v[22:23], v[78:79], v[22:23]
	v_fma_f64 v[10:11], v[72:73], v[16:17], -v[18:19]
	v_add_f64 v[4:5], v[4:5], v[8:9]
	s_waitcnt vmcnt(8) lgkmcnt(7)
	v_mul_f64 v[122:123], v[80:81], v[26:27]
	v_mul_f64 v[26:27], v[82:83], v[26:27]
	v_fmac_f64_e32 v[116:117], v[70:71], v[12:13]
	v_fma_f64 v[12:13], v[76:77], v[20:21], -v[22:23]
	v_add_f64 v[22:23], v[112:113], 0
	v_add_f64 v[4:5], v[4:5], v[10:11]
	s_waitcnt vmcnt(7) lgkmcnt(6)
	v_mul_f64 v[124:125], v[84:85], v[30:31]
	v_mul_f64 v[30:31], v[86:87], v[30:31]
	v_fma_f64 v[14:15], v[80:81], v[24:25], -v[26:27]
	v_add_f64 v[22:23], v[22:23], v[114:115]
	v_add_f64 v[4:5], v[4:5], v[12:13]
	s_waitcnt vmcnt(6) lgkmcnt(5)
	v_mul_f64 v[126:127], v[88:89], v[34:35]
	v_mul_f64 v[34:35], v[90:91], v[34:35]
	v_fmac_f64_e32 v[118:119], v[74:75], v[16:17]
	v_fma_f64 v[16:17], v[84:85], v[28:29], -v[30:31]
	v_add_f64 v[6:7], v[22:23], v[116:117]
	v_add_f64 v[4:5], v[4:5], v[14:15]
	s_waitcnt vmcnt(5) lgkmcnt(4)
	v_mul_f64 v[128:129], v[92:93], v[38:39]
	v_mul_f64 v[38:39], v[94:95], v[38:39]
	v_fmac_f64_e32 v[120:121], v[78:79], v[20:21]
	v_fma_f64 v[18:19], v[88:89], v[32:33], -v[34:35]
	v_add_f64 v[6:7], v[6:7], v[118:119]
	v_add_f64 v[4:5], v[4:5], v[16:17]
	v_fmac_f64_e32 v[122:123], v[82:83], v[24:25]
	v_fma_f64 v[20:21], v[92:93], v[36:37], -v[38:39]
	v_add_f64 v[6:7], v[6:7], v[120:121]
	v_add_f64 v[4:5], v[4:5], v[18:19]
	s_waitcnt vmcnt(4) lgkmcnt(3)
	v_mul_f64 v[8:9], v[98:99], v[42:43]
	v_fmac_f64_e32 v[124:125], v[86:87], v[28:29]
	v_add_f64 v[6:7], v[6:7], v[122:123]
	v_add_f64 v[4:5], v[4:5], v[20:21]
	v_fma_f64 v[8:9], v[96:97], v[40:41], -v[8:9]
	v_fmac_f64_e32 v[126:127], v[90:91], v[32:33]
	v_add_f64 v[6:7], v[6:7], v[124:125]
	v_add_f64 v[4:5], v[4:5], v[8:9]
	s_waitcnt vmcnt(3) lgkmcnt(2)
	v_mul_f64 v[8:9], v[102:103], v[46:47]
	v_mul_f64 v[130:131], v[96:97], v[42:43]
	v_fmac_f64_e32 v[128:129], v[94:95], v[36:37]
	v_add_f64 v[6:7], v[6:7], v[126:127]
	v_fma_f64 v[8:9], v[100:101], v[44:45], -v[8:9]
	v_mul_f64 v[132:133], v[100:101], v[46:47]
	v_fmac_f64_e32 v[130:131], v[98:99], v[40:41]
	v_add_f64 v[6:7], v[6:7], v[128:129]
	v_add_f64 v[4:5], v[4:5], v[8:9]
	s_waitcnt vmcnt(2) lgkmcnt(1)
	v_mul_f64 v[8:9], v[106:107], v[50:51]
	v_mul_f64 v[134:135], v[104:105], v[50:51]
	v_fmac_f64_e32 v[132:133], v[102:103], v[44:45]
	v_add_f64 v[6:7], v[6:7], v[130:131]
	v_fma_f64 v[8:9], v[104:105], v[48:49], -v[8:9]
	s_waitcnt vmcnt(1) lgkmcnt(0)
	v_mul_f64 v[136:137], v[108:109], v[54:55]
	v_fmac_f64_e32 v[134:135], v[106:107], v[48:49]
	v_add_f64 v[6:7], v[6:7], v[132:133]
	v_add_f64 v[4:5], v[4:5], v[8:9]
	v_mul_f64 v[8:9], v[110:111], v[54:55]
	v_fmac_f64_e32 v[136:137], v[110:111], v[52:53]
	v_add_f64 v[6:7], v[6:7], v[134:135]
	v_fma_f64 v[8:9], v[108:109], v[52:53], -v[8:9]
	v_add_f64 v[6:7], v[6:7], v[136:137]
	v_add_f64 v[4:5], v[4:5], v[8:9]
	s_waitcnt vmcnt(0)
	v_add_f64 v[4:5], v[56:57], -v[4:5]
	v_add_f64 v[6:7], v[58:59], -v[6:7]
	scratch_store_dwordx4 off, v[4:7], off offset:320
	s_and_saveexec_b64 s[0:1], vcc
	s_cbranch_execz .LBB96_175
; %bb.174:
	scratch_load_dwordx4 v[6:9], off, s30
	v_mov_b32_e32 v3, v2
	v_mov_b32_e32 v4, v2
	;; [unrolled: 1-line block ×3, first 2 shown]
	scratch_store_dwordx4 off, v[2:5], off offset:304
	s_waitcnt vmcnt(1)
	ds_write_b128 v1, v[6:9]
.LBB96_175:
	s_or_b64 exec, exec, s[0:1]
	s_waitcnt lgkmcnt(0)
	; wave barrier
	scratch_load_dwordx4 v[4:7], off, off offset:320
	scratch_load_dwordx4 v[8:11], off, off offset:336
	;; [unrolled: 1-line block ×14, first 2 shown]
	ds_read_b128 v[60:63], v2 offset:832
	ds_read_b128 v[64:67], v2 offset:848
	;; [unrolled: 1-line block ×14, first 2 shown]
	scratch_load_dwordx4 v[116:119], off, off offset:304
	v_cmp_lt_u32_e32 vcc, 17, v0
	s_waitcnt vmcnt(14) lgkmcnt(13)
	v_mul_f64 v[2:3], v[60:61], v[6:7]
	s_waitcnt vmcnt(13) lgkmcnt(12)
	v_mul_f64 v[120:121], v[64:65], v[10:11]
	v_fmac_f64_e32 v[2:3], v[62:63], v[4:5]
	s_waitcnt vmcnt(12) lgkmcnt(11)
	v_mul_f64 v[122:123], v[68:69], v[14:15]
	v_fmac_f64_e32 v[120:121], v[66:67], v[8:9]
	v_add_f64 v[2:3], v[2:3], 0
	s_waitcnt vmcnt(11) lgkmcnt(10)
	v_mul_f64 v[124:125], v[72:73], v[18:19]
	v_fmac_f64_e32 v[122:123], v[70:71], v[12:13]
	v_add_f64 v[2:3], v[2:3], v[120:121]
	;; [unrolled: 4-line block ×4, first 2 shown]
	s_waitcnt vmcnt(8) lgkmcnt(7)
	v_mul_f64 v[130:131], v[84:85], v[30:31]
	v_mul_f64 v[6:7], v[62:63], v[6:7]
	v_fmac_f64_e32 v[128:129], v[82:83], v[24:25]
	v_add_f64 v[2:3], v[2:3], v[126:127]
	s_waitcnt vmcnt(7) lgkmcnt(6)
	v_mul_f64 v[132:133], v[88:89], v[34:35]
	v_mul_f64 v[10:11], v[66:67], v[10:11]
	v_fmac_f64_e32 v[130:131], v[86:87], v[28:29]
	v_fma_f64 v[4:5], v[60:61], v[4:5], -v[6:7]
	v_add_f64 v[2:3], v[2:3], v[128:129]
	s_waitcnt vmcnt(6) lgkmcnt(5)
	v_mul_f64 v[134:135], v[92:93], v[38:39]
	v_mul_f64 v[14:15], v[70:71], v[14:15]
	v_fmac_f64_e32 v[132:133], v[90:91], v[32:33]
	v_fma_f64 v[6:7], v[64:65], v[8:9], -v[10:11]
	v_add_f64 v[4:5], v[4:5], 0
	v_add_f64 v[2:3], v[2:3], v[130:131]
	s_waitcnt vmcnt(5) lgkmcnt(4)
	v_mul_f64 v[136:137], v[96:97], v[42:43]
	v_mul_f64 v[18:19], v[74:75], v[18:19]
	v_fmac_f64_e32 v[134:135], v[94:95], v[36:37]
	v_fma_f64 v[8:9], v[68:69], v[12:13], -v[14:15]
	v_add_f64 v[4:5], v[4:5], v[6:7]
	;; [unrolled: 7-line block ×6, first 2 shown]
	v_add_f64 v[2:3], v[2:3], v[140:141]
	v_fmac_f64_e32 v[144:145], v[114:115], v[56:57]
	v_fma_f64 v[18:19], v[88:89], v[32:33], -v[34:35]
	v_add_f64 v[4:5], v[4:5], v[16:17]
	v_add_f64 v[2:3], v[2:3], v[142:143]
	;; [unrolled: 1-line block ×4, first 2 shown]
	v_mul_f64 v[4:5], v[94:95], v[38:39]
	v_fma_f64 v[4:5], v[92:93], v[36:37], -v[4:5]
	v_add_f64 v[2:3], v[2:3], v[4:5]
	v_mul_f64 v[4:5], v[98:99], v[42:43]
	v_fma_f64 v[4:5], v[96:97], v[40:41], -v[4:5]
	v_add_f64 v[2:3], v[2:3], v[4:5]
	;; [unrolled: 3-line block ×6, first 2 shown]
	s_waitcnt vmcnt(0)
	v_add_f64 v[2:3], v[116:117], -v[2:3]
	v_add_f64 v[4:5], v[118:119], -v[6:7]
	scratch_store_dwordx4 off, v[2:5], off offset:304
	s_and_saveexec_b64 s[0:1], vcc
	s_cbranch_execz .LBB96_177
; %bb.176:
	scratch_load_dwordx4 v[2:5], off, s31
	v_mov_b32_e32 v6, 0
	v_mov_b32_e32 v7, v6
	;; [unrolled: 1-line block ×4, first 2 shown]
	scratch_store_dwordx4 off, v[6:9], off offset:288
	s_waitcnt vmcnt(1)
	ds_write_b128 v1, v[2:5]
.LBB96_177:
	s_or_b64 exec, exec, s[0:1]
	s_waitcnt lgkmcnt(0)
	; wave barrier
	scratch_load_dwordx4 v[4:7], off, off offset:304
	scratch_load_dwordx4 v[8:11], off, off offset:320
	;; [unrolled: 1-line block ×16, first 2 shown]
	v_mov_b32_e32 v2, 0
	ds_read_b128 v[68:71], v2 offset:816
	ds_read_b128 v[72:75], v2 offset:832
	;; [unrolled: 1-line block ×15, first 2 shown]
	v_cmp_lt_u32_e32 vcc, 16, v0
	s_waitcnt vmcnt(15) lgkmcnt(14)
	v_mul_f64 v[128:129], v[68:69], v[6:7]
	v_mul_f64 v[6:7], v[70:71], v[6:7]
	s_waitcnt vmcnt(14) lgkmcnt(13)
	v_mul_f64 v[130:131], v[72:73], v[10:11]
	v_mul_f64 v[10:11], v[74:75], v[10:11]
	v_fmac_f64_e32 v[128:129], v[70:71], v[4:5]
	v_fma_f64 v[4:5], v[68:69], v[4:5], -v[6:7]
	s_waitcnt vmcnt(13) lgkmcnt(12)
	v_mul_f64 v[132:133], v[76:77], v[14:15]
	v_mul_f64 v[14:15], v[78:79], v[14:15]
	v_fma_f64 v[6:7], v[72:73], v[8:9], -v[10:11]
	v_add_f64 v[4:5], v[4:5], 0
	s_waitcnt vmcnt(12) lgkmcnt(11)
	v_mul_f64 v[134:135], v[80:81], v[18:19]
	v_mul_f64 v[18:19], v[82:83], v[18:19]
	v_fmac_f64_e32 v[130:131], v[74:75], v[8:9]
	v_fma_f64 v[8:9], v[76:77], v[12:13], -v[14:15]
	v_add_f64 v[4:5], v[4:5], v[6:7]
	s_waitcnt vmcnt(11) lgkmcnt(10)
	v_mul_f64 v[136:137], v[84:85], v[22:23]
	v_mul_f64 v[22:23], v[86:87], v[22:23]
	v_fma_f64 v[10:11], v[80:81], v[16:17], -v[18:19]
	v_add_f64 v[4:5], v[4:5], v[8:9]
	s_waitcnt vmcnt(10) lgkmcnt(9)
	v_mul_f64 v[138:139], v[88:89], v[26:27]
	v_mul_f64 v[26:27], v[90:91], v[26:27]
	v_fmac_f64_e32 v[132:133], v[78:79], v[12:13]
	v_fma_f64 v[12:13], v[84:85], v[20:21], -v[22:23]
	v_add_f64 v[4:5], v[4:5], v[10:11]
	v_fma_f64 v[14:15], v[88:89], v[24:25], -v[26:27]
	v_add_f64 v[4:5], v[4:5], v[12:13]
	s_waitcnt vmcnt(9) lgkmcnt(8)
	v_mul_f64 v[8:9], v[94:95], v[30:31]
	v_add_f64 v[4:5], v[4:5], v[14:15]
	v_fma_f64 v[8:9], v[92:93], v[28:29], -v[8:9]
	v_add_f64 v[4:5], v[4:5], v[8:9]
	s_waitcnt vmcnt(8) lgkmcnt(7)
	v_mul_f64 v[8:9], v[98:99], v[34:35]
	v_fma_f64 v[8:9], v[96:97], v[32:33], -v[8:9]
	v_fmac_f64_e32 v[134:135], v[82:83], v[16:17]
	v_add_f64 v[16:17], v[128:129], 0
	v_add_f64 v[4:5], v[4:5], v[8:9]
	s_waitcnt vmcnt(7) lgkmcnt(6)
	v_mul_f64 v[8:9], v[102:103], v[38:39]
	v_add_f64 v[16:17], v[16:17], v[130:131]
	v_fma_f64 v[8:9], v[100:101], v[36:37], -v[8:9]
	v_add_f64 v[6:7], v[16:17], v[132:133]
	v_add_f64 v[4:5], v[4:5], v[8:9]
	s_waitcnt vmcnt(6) lgkmcnt(5)
	v_mul_f64 v[8:9], v[106:107], v[42:43]
	v_fmac_f64_e32 v[136:137], v[86:87], v[20:21]
	v_add_f64 v[6:7], v[6:7], v[134:135]
	v_fma_f64 v[8:9], v[104:105], v[40:41], -v[8:9]
	v_mul_f64 v[140:141], v[92:93], v[30:31]
	v_fmac_f64_e32 v[138:139], v[90:91], v[24:25]
	v_add_f64 v[6:7], v[6:7], v[136:137]
	v_add_f64 v[4:5], v[4:5], v[8:9]
	s_waitcnt vmcnt(5) lgkmcnt(4)
	v_mul_f64 v[8:9], v[110:111], v[46:47]
	v_mul_f64 v[142:143], v[96:97], v[34:35]
	v_fmac_f64_e32 v[140:141], v[94:95], v[28:29]
	v_add_f64 v[6:7], v[6:7], v[138:139]
	v_fma_f64 v[8:9], v[108:109], v[44:45], -v[8:9]
	v_mul_f64 v[144:145], v[100:101], v[38:39]
	v_fmac_f64_e32 v[142:143], v[98:99], v[32:33]
	v_add_f64 v[6:7], v[6:7], v[140:141]
	v_add_f64 v[4:5], v[4:5], v[8:9]
	s_waitcnt vmcnt(4) lgkmcnt(3)
	v_mul_f64 v[8:9], v[114:115], v[50:51]
	;; [unrolled: 10-line block ×4, first 2 shown]
	v_mul_f64 v[154:155], v[120:121], v[58:59]
	v_fmac_f64_e32 v[152:153], v[118:119], v[52:53]
	v_add_f64 v[6:7], v[6:7], v[150:151]
	v_fma_f64 v[8:9], v[120:121], v[56:57], -v[8:9]
	s_waitcnt vmcnt(1) lgkmcnt(0)
	v_mul_f64 v[156:157], v[124:125], v[62:63]
	v_fmac_f64_e32 v[154:155], v[122:123], v[56:57]
	v_add_f64 v[6:7], v[6:7], v[152:153]
	v_add_f64 v[4:5], v[4:5], v[8:9]
	v_mul_f64 v[8:9], v[126:127], v[62:63]
	v_fmac_f64_e32 v[156:157], v[126:127], v[60:61]
	v_add_f64 v[6:7], v[6:7], v[154:155]
	v_fma_f64 v[8:9], v[124:125], v[60:61], -v[8:9]
	v_add_f64 v[6:7], v[6:7], v[156:157]
	v_add_f64 v[4:5], v[4:5], v[8:9]
	s_waitcnt vmcnt(0)
	v_add_f64 v[4:5], v[64:65], -v[4:5]
	v_add_f64 v[6:7], v[66:67], -v[6:7]
	scratch_store_dwordx4 off, v[4:7], off offset:288
	s_and_saveexec_b64 s[0:1], vcc
	s_cbranch_execz .LBB96_179
; %bb.178:
	scratch_load_dwordx4 v[6:9], off, s33
	v_mov_b32_e32 v3, v2
	v_mov_b32_e32 v4, v2
	;; [unrolled: 1-line block ×3, first 2 shown]
	scratch_store_dwordx4 off, v[2:5], off offset:272
	s_waitcnt vmcnt(1)
	ds_write_b128 v1, v[6:9]
.LBB96_179:
	s_or_b64 exec, exec, s[0:1]
	s_waitcnt lgkmcnt(0)
	; wave barrier
	scratch_load_dwordx4 v[4:7], off, off offset:288
	scratch_load_dwordx4 v[8:11], off, off offset:304
	;; [unrolled: 1-line block ×16, first 2 shown]
	ds_read_b128 v[68:71], v2 offset:800
	ds_read_b128 v[72:75], v2 offset:816
	;; [unrolled: 1-line block ×16, first 2 shown]
	scratch_load_dwordx4 v[132:135], off, off offset:272
	v_cmp_lt_u32_e32 vcc, 15, v0
	s_waitcnt vmcnt(16) lgkmcnt(14)
	v_mul_f64 v[2:3], v[68:69], v[6:7]
	s_waitcnt vmcnt(15)
	v_mul_f64 v[136:137], v[72:73], v[10:11]
	v_fmac_f64_e32 v[2:3], v[70:71], v[4:5]
	s_waitcnt vmcnt(14) lgkmcnt(13)
	v_mul_f64 v[138:139], v[76:77], v[14:15]
	v_fmac_f64_e32 v[136:137], v[74:75], v[8:9]
	v_add_f64 v[2:3], v[2:3], 0
	s_waitcnt vmcnt(13) lgkmcnt(12)
	v_mul_f64 v[140:141], v[80:81], v[18:19]
	v_fmac_f64_e32 v[138:139], v[78:79], v[12:13]
	v_add_f64 v[2:3], v[2:3], v[136:137]
	;; [unrolled: 4-line block ×10, first 2 shown]
	s_waitcnt vmcnt(4) lgkmcnt(3)
	v_mul_f64 v[158:159], v[116:117], v[54:55]
	v_mul_f64 v[6:7], v[70:71], v[6:7]
	v_fmac_f64_e32 v[156:157], v[114:115], v[48:49]
	v_add_f64 v[2:3], v[2:3], v[154:155]
	s_waitcnt vmcnt(3) lgkmcnt(2)
	v_mul_f64 v[160:161], v[120:121], v[58:59]
	v_mul_f64 v[10:11], v[74:75], v[10:11]
	v_fmac_f64_e32 v[158:159], v[118:119], v[52:53]
	v_fma_f64 v[4:5], v[68:69], v[4:5], -v[6:7]
	v_add_f64 v[2:3], v[2:3], v[156:157]
	s_waitcnt vmcnt(2) lgkmcnt(1)
	v_mul_f64 v[162:163], v[124:125], v[62:63]
	v_mul_f64 v[14:15], v[78:79], v[14:15]
	v_fmac_f64_e32 v[160:161], v[122:123], v[56:57]
	v_fma_f64 v[6:7], v[72:73], v[8:9], -v[10:11]
	v_add_f64 v[4:5], v[4:5], 0
	v_add_f64 v[2:3], v[2:3], v[158:159]
	s_waitcnt vmcnt(1) lgkmcnt(0)
	v_mul_f64 v[164:165], v[128:129], v[66:67]
	v_mul_f64 v[18:19], v[82:83], v[18:19]
	v_fmac_f64_e32 v[162:163], v[126:127], v[60:61]
	v_fma_f64 v[8:9], v[76:77], v[12:13], -v[14:15]
	v_add_f64 v[4:5], v[4:5], v[6:7]
	v_add_f64 v[2:3], v[2:3], v[160:161]
	v_mul_f64 v[26:27], v[86:87], v[26:27]
	v_fmac_f64_e32 v[164:165], v[130:131], v[64:65]
	v_fma_f64 v[10:11], v[80:81], v[16:17], -v[18:19]
	v_add_f64 v[4:5], v[4:5], v[8:9]
	v_add_f64 v[2:3], v[2:3], v[162:163]
	v_fma_f64 v[12:13], v[84:85], v[24:25], -v[26:27]
	v_add_f64 v[4:5], v[4:5], v[10:11]
	v_add_f64 v[6:7], v[2:3], v[164:165]
	v_mul_f64 v[2:3], v[90:91], v[22:23]
	v_add_f64 v[4:5], v[4:5], v[12:13]
	v_fma_f64 v[2:3], v[88:89], v[20:21], -v[2:3]
	v_add_f64 v[2:3], v[4:5], v[2:3]
	v_mul_f64 v[4:5], v[94:95], v[30:31]
	v_fma_f64 v[4:5], v[92:93], v[28:29], -v[4:5]
	v_add_f64 v[2:3], v[2:3], v[4:5]
	v_mul_f64 v[4:5], v[98:99], v[34:35]
	;; [unrolled: 3-line block ×10, first 2 shown]
	v_fma_f64 v[4:5], v[128:129], v[64:65], -v[4:5]
	v_add_f64 v[2:3], v[2:3], v[4:5]
	s_waitcnt vmcnt(0)
	v_add_f64 v[2:3], v[132:133], -v[2:3]
	v_add_f64 v[4:5], v[134:135], -v[6:7]
	scratch_store_dwordx4 off, v[2:5], off offset:272
	s_and_saveexec_b64 s[0:1], vcc
	s_cbranch_execz .LBB96_181
; %bb.180:
	scratch_load_dwordx4 v[2:5], off, s34
	v_mov_b32_e32 v6, 0
	v_mov_b32_e32 v7, v6
	;; [unrolled: 1-line block ×4, first 2 shown]
	scratch_store_dwordx4 off, v[6:9], off offset:256
	s_waitcnt vmcnt(1)
	ds_write_b128 v1, v[2:5]
.LBB96_181:
	s_or_b64 exec, exec, s[0:1]
	s_waitcnt lgkmcnt(0)
	; wave barrier
	scratch_load_dwordx4 v[4:7], off, off offset:272
	scratch_load_dwordx4 v[8:11], off, off offset:288
	scratch_load_dwordx4 v[16:19], off, off offset:304
	scratch_load_dwordx4 v[12:15], off, off offset:320
	scratch_load_dwordx4 v[20:23], off, off offset:336
	scratch_load_dwordx4 v[24:27], off, off offset:352
	scratch_load_dwordx4 v[28:31], off, off offset:368
	scratch_load_dwordx4 v[32:35], off, off offset:384
	scratch_load_dwordx4 v[36:39], off, off offset:400
	scratch_load_dwordx4 v[40:43], off, off offset:416
	scratch_load_dwordx4 v[44:47], off, off offset:432
	scratch_load_dwordx4 v[48:51], off, off offset:448
	scratch_load_dwordx4 v[52:55], off, off offset:464
	scratch_load_dwordx4 v[56:59], off, off offset:480
	scratch_load_dwordx4 v[60:63], off, off offset:496
	scratch_load_dwordx4 v[64:67], off, off offset:512
	scratch_load_dwordx4 v[68:71], off, off offset:528
	scratch_load_dwordx4 v[72:75], off, off offset:256
	v_mov_b32_e32 v2, 0
	ds_read_b128 v[76:79], v2 offset:784
	ds_read_b128 v[80:83], v2 offset:800
	;; [unrolled: 1-line block ×17, first 2 shown]
	v_cmp_lt_u32_e32 vcc, 14, v0
	s_waitcnt vmcnt(17) lgkmcnt(14)
	v_mul_f64 v[144:145], v[76:77], v[6:7]
	v_mul_f64 v[6:7], v[78:79], v[6:7]
	s_waitcnt vmcnt(16)
	v_mul_f64 v[146:147], v[80:81], v[10:11]
	v_mul_f64 v[10:11], v[82:83], v[10:11]
	v_fmac_f64_e32 v[144:145], v[78:79], v[4:5]
	v_fma_f64 v[4:5], v[76:77], v[4:5], -v[6:7]
	s_waitcnt vmcnt(15)
	v_mul_f64 v[148:149], v[84:85], v[18:19]
	v_mul_f64 v[18:19], v[86:87], v[18:19]
	v_fma_f64 v[6:7], v[80:81], v[8:9], -v[10:11]
	v_add_f64 v[4:5], v[4:5], 0
	s_waitcnt vmcnt(14) lgkmcnt(13)
	v_mul_f64 v[150:151], v[88:89], v[14:15]
	v_mul_f64 v[14:15], v[90:91], v[14:15]
	v_fmac_f64_e32 v[146:147], v[82:83], v[8:9]
	v_fma_f64 v[8:9], v[84:85], v[16:17], -v[18:19]
	v_add_f64 v[4:5], v[4:5], v[6:7]
	v_add_f64 v[4:5], v[4:5], v[8:9]
	v_fma_f64 v[8:9], v[88:89], v[12:13], -v[14:15]
	v_add_f64 v[4:5], v[4:5], v[8:9]
	s_waitcnt vmcnt(13) lgkmcnt(12)
	v_mul_f64 v[8:9], v[94:95], v[22:23]
	v_fma_f64 v[8:9], v[92:93], v[20:21], -v[8:9]
	v_add_f64 v[4:5], v[4:5], v[8:9]
	s_waitcnt vmcnt(12) lgkmcnt(11)
	v_mul_f64 v[8:9], v[98:99], v[26:27]
	;; [unrolled: 4-line block ×5, first 2 shown]
	v_fma_f64 v[8:9], v[108:109], v[36:37], -v[8:9]
	v_add_f64 v[10:11], v[144:145], 0
	v_add_f64 v[4:5], v[4:5], v[8:9]
	s_waitcnt vmcnt(8) lgkmcnt(7)
	v_mul_f64 v[8:9], v[114:115], v[42:43]
	v_fmac_f64_e32 v[148:149], v[86:87], v[16:17]
	v_add_f64 v[10:11], v[10:11], v[146:147]
	v_fma_f64 v[8:9], v[112:113], v[40:41], -v[8:9]
	v_mul_f64 v[152:153], v[92:93], v[22:23]
	v_fmac_f64_e32 v[150:151], v[90:91], v[12:13]
	v_add_f64 v[6:7], v[10:11], v[148:149]
	v_add_f64 v[4:5], v[4:5], v[8:9]
	s_waitcnt vmcnt(7) lgkmcnt(6)
	v_mul_f64 v[8:9], v[118:119], v[46:47]
	v_mul_f64 v[154:155], v[96:97], v[26:27]
	v_fmac_f64_e32 v[152:153], v[94:95], v[20:21]
	v_add_f64 v[6:7], v[6:7], v[150:151]
	v_fma_f64 v[8:9], v[116:117], v[44:45], -v[8:9]
	v_mul_f64 v[156:157], v[100:101], v[30:31]
	v_fmac_f64_e32 v[154:155], v[98:99], v[24:25]
	v_add_f64 v[6:7], v[6:7], v[152:153]
	v_add_f64 v[4:5], v[4:5], v[8:9]
	s_waitcnt vmcnt(6) lgkmcnt(5)
	v_mul_f64 v[8:9], v[122:123], v[50:51]
	;; [unrolled: 10-line block ×6, first 2 shown]
	v_mul_f64 v[174:175], v[136:137], v[66:67]
	v_fmac_f64_e32 v[172:173], v[134:135], v[60:61]
	v_add_f64 v[6:7], v[6:7], v[170:171]
	v_fma_f64 v[8:9], v[136:137], v[64:65], -v[8:9]
	s_waitcnt vmcnt(1) lgkmcnt(0)
	v_mul_f64 v[176:177], v[140:141], v[70:71]
	v_fmac_f64_e32 v[174:175], v[138:139], v[64:65]
	v_add_f64 v[6:7], v[6:7], v[172:173]
	v_add_f64 v[4:5], v[4:5], v[8:9]
	v_mul_f64 v[8:9], v[142:143], v[70:71]
	v_fmac_f64_e32 v[176:177], v[142:143], v[68:69]
	v_add_f64 v[6:7], v[6:7], v[174:175]
	v_fma_f64 v[8:9], v[140:141], v[68:69], -v[8:9]
	v_add_f64 v[6:7], v[6:7], v[176:177]
	v_add_f64 v[4:5], v[4:5], v[8:9]
	s_waitcnt vmcnt(0)
	v_add_f64 v[4:5], v[72:73], -v[4:5]
	v_add_f64 v[6:7], v[74:75], -v[6:7]
	scratch_store_dwordx4 off, v[4:7], off offset:256
	s_and_saveexec_b64 s[0:1], vcc
	s_cbranch_execz .LBB96_183
; %bb.182:
	scratch_load_dwordx4 v[6:9], off, s35
	v_mov_b32_e32 v3, v2
	v_mov_b32_e32 v4, v2
	;; [unrolled: 1-line block ×3, first 2 shown]
	scratch_store_dwordx4 off, v[2:5], off offset:240
	s_waitcnt vmcnt(1)
	ds_write_b128 v1, v[6:9]
.LBB96_183:
	s_or_b64 exec, exec, s[0:1]
	s_waitcnt lgkmcnt(0)
	; wave barrier
	scratch_load_dwordx4 v[4:7], off, off offset:256
	scratch_load_dwordx4 v[12:15], off, off offset:272
	;; [unrolled: 1-line block ×18, first 2 shown]
	ds_read_b128 v[76:79], v2 offset:768
	ds_read_b128 v[80:83], v2 offset:784
	;; [unrolled: 1-line block ×18, first 2 shown]
	scratch_load_dwordx4 v[148:151], off, off offset:240
	v_cmp_lt_u32_e32 vcc, 13, v0
	s_waitcnt vmcnt(18) lgkmcnt(14)
	v_mul_f64 v[2:3], v[76:77], v[6:7]
	s_waitcnt vmcnt(17)
	v_mul_f64 v[152:153], v[80:81], v[14:15]
	v_fmac_f64_e32 v[2:3], v[78:79], v[4:5]
	s_waitcnt vmcnt(16)
	v_mul_f64 v[154:155], v[84:85], v[10:11]
	v_fmac_f64_e32 v[152:153], v[82:83], v[12:13]
	v_add_f64 v[2:3], v[2:3], 0
	s_waitcnt vmcnt(15)
	v_mul_f64 v[156:157], v[88:89], v[18:19]
	v_fmac_f64_e32 v[154:155], v[86:87], v[8:9]
	v_add_f64 v[2:3], v[2:3], v[152:153]
	s_waitcnt vmcnt(14) lgkmcnt(13)
	v_mul_f64 v[158:159], v[92:93], v[22:23]
	v_fmac_f64_e32 v[156:157], v[90:91], v[16:17]
	v_add_f64 v[2:3], v[2:3], v[154:155]
	s_waitcnt vmcnt(13) lgkmcnt(12)
	;; [unrolled: 4-line block ×13, first 2 shown]
	v_mul_f64 v[182:183], v[140:141], v[70:71]
	v_mul_f64 v[6:7], v[78:79], v[6:7]
	v_fmac_f64_e32 v[180:181], v[138:139], v[64:65]
	v_add_f64 v[2:3], v[2:3], v[178:179]
	s_waitcnt vmcnt(1) lgkmcnt(0)
	v_mul_f64 v[184:185], v[144:145], v[74:75]
	v_mul_f64 v[14:15], v[82:83], v[14:15]
	v_fmac_f64_e32 v[182:183], v[142:143], v[68:69]
	v_fma_f64 v[4:5], v[76:77], v[4:5], -v[6:7]
	v_add_f64 v[2:3], v[2:3], v[180:181]
	v_mul_f64 v[10:11], v[86:87], v[10:11]
	v_fmac_f64_e32 v[184:185], v[146:147], v[72:73]
	v_fma_f64 v[6:7], v[80:81], v[12:13], -v[14:15]
	v_add_f64 v[4:5], v[4:5], 0
	v_add_f64 v[2:3], v[2:3], v[182:183]
	;; [unrolled: 1-line block ×4, first 2 shown]
	v_fma_f64 v[2:3], v[84:85], v[8:9], -v[10:11]
	v_add_f64 v[2:3], v[4:5], v[2:3]
	v_mul_f64 v[4:5], v[90:91], v[18:19]
	v_fma_f64 v[4:5], v[88:89], v[16:17], -v[4:5]
	v_add_f64 v[2:3], v[2:3], v[4:5]
	v_mul_f64 v[4:5], v[94:95], v[22:23]
	;; [unrolled: 3-line block ×15, first 2 shown]
	v_fma_f64 v[4:5], v[144:145], v[72:73], -v[4:5]
	v_add_f64 v[2:3], v[2:3], v[4:5]
	s_waitcnt vmcnt(0)
	v_add_f64 v[2:3], v[148:149], -v[2:3]
	v_add_f64 v[4:5], v[150:151], -v[6:7]
	scratch_store_dwordx4 off, v[2:5], off offset:240
	s_and_saveexec_b64 s[0:1], vcc
	s_cbranch_execz .LBB96_185
; %bb.184:
	scratch_load_dwordx4 v[2:5], off, s36
	v_mov_b32_e32 v6, 0
	v_mov_b32_e32 v7, v6
	v_mov_b32_e32 v8, v6
	v_mov_b32_e32 v9, v6
	scratch_store_dwordx4 off, v[6:9], off offset:224
	s_waitcnt vmcnt(1)
	ds_write_b128 v1, v[2:5]
.LBB96_185:
	s_or_b64 exec, exec, s[0:1]
	v_mov_b32_e32 v2, 0
	s_waitcnt lgkmcnt(0)
	; wave barrier
	ds_read_b128 v[16:19], v2 offset:752
	ds_read_b128 v[12:15], v2 offset:768
	;; [unrolled: 1-line block ×4, first 2 shown]
	scratch_load_dwordx4 v[20:23], off, off offset:240
	scratch_load_dwordx4 v[40:43], off, off offset:304
	;; [unrolled: 1-line block ×13, first 2 shown]
	v_cmp_lt_u32_e32 vcc, 12, v0
	scratch_load_dwordx4 v[48:51], off, off offset:320
	scratch_load_dwordx4 v[56:59], off, off offset:336
	;; [unrolled: 1-line block ×3, first 2 shown]
	s_waitcnt vmcnt(15) lgkmcnt(3)
	v_mul_f64 v[24:25], v[16:17], v[22:23]
	v_fmac_f64_e32 v[24:25], v[18:19], v[20:21]
	v_add_f64 v[28:29], v[24:25], 0
	scratch_load_dwordx4 v[24:27], off, off offset:256
	v_mul_f64 v[18:19], v[18:19], v[22:23]
	v_fma_f64 v[16:17], v[16:17], v[20:21], -v[18:19]
	v_add_f64 v[16:17], v[16:17], 0
	s_waitcnt vmcnt(0) lgkmcnt(2)
	v_mul_f64 v[30:31], v[12:13], v[26:27]
	v_fmac_f64_e32 v[30:31], v[14:15], v[24:25]
	v_add_f64 v[32:33], v[28:29], v[30:31]
	scratch_load_dwordx4 v[28:31], off, off offset:272
	v_mul_f64 v[14:15], v[14:15], v[26:27]
	v_fma_f64 v[12:13], v[12:13], v[24:25], -v[14:15]
	v_add_f64 v[12:13], v[16:17], v[12:13]
	;; [unrolled: 8-line block ×3, first 2 shown]
	s_waitcnt vmcnt(0) lgkmcnt(0)
	v_mul_f64 v[38:39], v[4:5], v[34:35]
	v_fmac_f64_e32 v[38:39], v[6:7], v[32:33]
	v_add_f64 v[44:45], v[36:37], v[38:39]
	ds_read_b128 v[36:39], v2 offset:816
	v_mul_f64 v[6:7], v[6:7], v[34:35]
	v_fma_f64 v[4:5], v[4:5], v[32:33], -v[6:7]
	v_add_f64 v[4:5], v[8:9], v[4:5]
	s_waitcnt lgkmcnt(0)
	v_mul_f64 v[46:47], v[36:37], v[42:43]
	v_fmac_f64_e32 v[46:47], v[38:39], v[40:41]
	v_add_f64 v[52:53], v[44:45], v[46:47]
	ds_read_b128 v[44:47], v2 offset:832
	v_mul_f64 v[6:7], v[38:39], v[42:43]
	v_fma_f64 v[6:7], v[36:37], v[40:41], -v[6:7]
	v_add_f64 v[4:5], v[4:5], v[6:7]
	s_waitcnt lgkmcnt(0)
	;; [unrolled: 8-line block ×15, first 2 shown]
	v_mul_f64 v[6:7], v[152:153], v[156:157]
	v_fma_f64 v[6:7], v[150:151], v[154:155], -v[6:7]
	v_add_f64 v[8:9], v[4:5], v[6:7]
	scratch_load_dwordx4 v[4:7], off, off offset:224
	v_mul_f64 v[158:159], v[150:151], v[156:157]
	v_fmac_f64_e32 v[158:159], v[152:153], v[154:155]
	v_add_f64 v[88:89], v[88:89], v[158:159]
	s_waitcnt vmcnt(0)
	v_add_f64 v[4:5], v[4:5], -v[8:9]
	v_add_f64 v[6:7], v[6:7], -v[88:89]
	scratch_store_dwordx4 off, v[4:7], off offset:224
	s_and_saveexec_b64 s[0:1], vcc
	s_cbranch_execz .LBB96_187
; %bb.186:
	scratch_load_dwordx4 v[6:9], off, s37
	v_mov_b32_e32 v3, v2
	v_mov_b32_e32 v4, v2
	;; [unrolled: 1-line block ×3, first 2 shown]
	scratch_store_dwordx4 off, v[2:5], off offset:208
	s_waitcnt vmcnt(1)
	ds_write_b128 v1, v[6:9]
.LBB96_187:
	s_or_b64 exec, exec, s[0:1]
	s_waitcnt lgkmcnt(0)
	; wave barrier
	ds_read_b128 v[16:19], v2 offset:736
	ds_read_b128 v[12:15], v2 offset:752
	;; [unrolled: 1-line block ×4, first 2 shown]
	scratch_load_dwordx4 v[20:23], off, off offset:224
	scratch_load_dwordx4 v[40:43], off, off offset:288
	;; [unrolled: 1-line block ×14, first 2 shown]
	v_cmp_lt_u32_e32 vcc, 11, v0
	scratch_load_dwordx4 v[48:51], off, off offset:304
	scratch_load_dwordx4 v[56:59], off, off offset:320
	;; [unrolled: 1-line block ×3, first 2 shown]
	s_waitcnt vmcnt(16) lgkmcnt(3)
	v_mul_f64 v[24:25], v[16:17], v[22:23]
	v_fmac_f64_e32 v[24:25], v[18:19], v[20:21]
	v_add_f64 v[28:29], v[24:25], 0
	scratch_load_dwordx4 v[24:27], off, off offset:240
	s_waitcnt vmcnt(0) lgkmcnt(2)
	v_mul_f64 v[30:31], v[12:13], v[26:27]
	v_fmac_f64_e32 v[30:31], v[14:15], v[24:25]
	v_add_f64 v[32:33], v[28:29], v[30:31]
	scratch_load_dwordx4 v[28:31], off, off offset:256
	v_mul_f64 v[14:15], v[14:15], v[26:27]
	v_fma_f64 v[12:13], v[12:13], v[24:25], -v[14:15]
	s_waitcnt vmcnt(0) lgkmcnt(1)
	v_mul_f64 v[34:35], v[8:9], v[30:31]
	v_fmac_f64_e32 v[34:35], v[10:11], v[28:29]
	v_add_f64 v[36:37], v[32:33], v[34:35]
	scratch_load_dwordx4 v[32:35], off, off offset:272
	v_mul_f64 v[10:11], v[10:11], v[30:31]
	v_fma_f64 v[8:9], v[8:9], v[28:29], -v[10:11]
	s_waitcnt vmcnt(0) lgkmcnt(0)
	v_mul_f64 v[38:39], v[4:5], v[34:35]
	v_fmac_f64_e32 v[38:39], v[6:7], v[32:33]
	v_add_f64 v[44:45], v[36:37], v[38:39]
	ds_read_b128 v[36:39], v2 offset:800
	v_mul_f64 v[6:7], v[6:7], v[34:35]
	v_fma_f64 v[4:5], v[4:5], v[32:33], -v[6:7]
	s_waitcnt lgkmcnt(0)
	v_mul_f64 v[46:47], v[36:37], v[42:43]
	v_fmac_f64_e32 v[46:47], v[38:39], v[40:41]
	v_add_f64 v[52:53], v[44:45], v[46:47]
	ds_read_b128 v[44:47], v2 offset:816
	s_waitcnt lgkmcnt(0)
	v_mul_f64 v[54:55], v[44:45], v[50:51]
	v_fmac_f64_e32 v[54:55], v[46:47], v[48:49]
	v_add_f64 v[60:61], v[52:53], v[54:55]
	ds_read_b128 v[52:55], v2 offset:832
	;; [unrolled: 5-line block ×15, first 2 shown]
	s_waitcnt lgkmcnt(0)
	v_mul_f64 v[2:3], v[158:159], v[164:165]
	v_fmac_f64_e32 v[2:3], v[160:161], v[162:163]
	v_add_f64 v[96:97], v[96:97], v[2:3]
	v_mul_f64 v[2:3], v[18:19], v[22:23]
	v_fma_f64 v[2:3], v[16:17], v[20:21], -v[2:3]
	v_add_f64 v[2:3], v[2:3], 0
	v_add_f64 v[2:3], v[2:3], v[12:13]
	;; [unrolled: 1-line block ×4, first 2 shown]
	v_mul_f64 v[4:5], v[38:39], v[42:43]
	v_fma_f64 v[4:5], v[36:37], v[40:41], -v[4:5]
	v_add_f64 v[2:3], v[2:3], v[4:5]
	v_mul_f64 v[4:5], v[46:47], v[50:51]
	v_fma_f64 v[4:5], v[44:45], v[48:49], -v[4:5]
	v_add_f64 v[2:3], v[2:3], v[4:5]
	;; [unrolled: 3-line block ×16, first 2 shown]
	scratch_load_dwordx4 v[2:5], off, off offset:208
	s_waitcnt vmcnt(0)
	v_add_f64 v[2:3], v[2:3], -v[6:7]
	v_add_f64 v[4:5], v[4:5], -v[96:97]
	scratch_store_dwordx4 off, v[2:5], off offset:208
	s_and_saveexec_b64 s[0:1], vcc
	s_cbranch_execz .LBB96_189
; %bb.188:
	scratch_load_dwordx4 v[2:5], off, s38
	v_mov_b32_e32 v6, 0
	v_mov_b32_e32 v7, v6
	;; [unrolled: 1-line block ×4, first 2 shown]
	scratch_store_dwordx4 off, v[6:9], off offset:192
	s_waitcnt vmcnt(1)
	ds_write_b128 v1, v[2:5]
.LBB96_189:
	s_or_b64 exec, exec, s[0:1]
	v_mov_b32_e32 v2, 0
	s_waitcnt lgkmcnt(0)
	; wave barrier
	ds_read_b128 v[16:19], v2 offset:720
	ds_read_b128 v[12:15], v2 offset:736
	;; [unrolled: 1-line block ×4, first 2 shown]
	scratch_load_dwordx4 v[20:23], off, off offset:208
	scratch_load_dwordx4 v[40:43], off, off offset:272
	scratch_load_dwordx4 v[72:75], off, off offset:336
	scratch_load_dwordx4 v[80:83], off, off offset:352
	scratch_load_dwordx4 v[88:91], off, off offset:368
	scratch_load_dwordx4 v[96:99], off, off offset:384
	scratch_load_dwordx4 v[106:109], off, off offset:400
	scratch_load_dwordx4 v[114:117], off, off offset:416
	scratch_load_dwordx4 v[122:125], off, off offset:432
	scratch_load_dwordx4 v[130:133], off, off offset:448
	scratch_load_dwordx4 v[138:141], off, off offset:464
	scratch_load_dwordx4 v[146:149], off, off offset:480
	scratch_load_dwordx4 v[154:157], off, off offset:496
	scratch_load_dwordx4 v[162:165], off, off offset:512
	scratch_load_dwordx4 v[170:173], off, off offset:528
	v_cmp_lt_u32_e32 vcc, 10, v0
	scratch_load_dwordx4 v[48:51], off, off offset:288
	scratch_load_dwordx4 v[56:59], off, off offset:304
	scratch_load_dwordx4 v[64:67], off, off offset:320
	s_waitcnt vmcnt(17) lgkmcnt(3)
	v_mul_f64 v[24:25], v[16:17], v[22:23]
	v_fmac_f64_e32 v[24:25], v[18:19], v[20:21]
	v_add_f64 v[28:29], v[24:25], 0
	scratch_load_dwordx4 v[24:27], off, off offset:224
	v_mul_f64 v[18:19], v[18:19], v[22:23]
	v_fma_f64 v[16:17], v[16:17], v[20:21], -v[18:19]
	v_add_f64 v[16:17], v[16:17], 0
	s_waitcnt vmcnt(0) lgkmcnt(2)
	v_mul_f64 v[30:31], v[12:13], v[26:27]
	v_fmac_f64_e32 v[30:31], v[14:15], v[24:25]
	v_add_f64 v[32:33], v[28:29], v[30:31]
	scratch_load_dwordx4 v[28:31], off, off offset:240
	v_mul_f64 v[14:15], v[14:15], v[26:27]
	v_fma_f64 v[12:13], v[12:13], v[24:25], -v[14:15]
	v_add_f64 v[12:13], v[16:17], v[12:13]
	;; [unrolled: 8-line block ×3, first 2 shown]
	s_waitcnt vmcnt(0) lgkmcnt(0)
	v_mul_f64 v[38:39], v[4:5], v[34:35]
	v_fmac_f64_e32 v[38:39], v[6:7], v[32:33]
	v_add_f64 v[44:45], v[36:37], v[38:39]
	ds_read_b128 v[36:39], v2 offset:784
	v_mul_f64 v[6:7], v[6:7], v[34:35]
	v_fma_f64 v[4:5], v[4:5], v[32:33], -v[6:7]
	v_add_f64 v[4:5], v[8:9], v[4:5]
	s_waitcnt lgkmcnt(0)
	v_mul_f64 v[46:47], v[36:37], v[42:43]
	v_fmac_f64_e32 v[46:47], v[38:39], v[40:41]
	v_add_f64 v[52:53], v[44:45], v[46:47]
	ds_read_b128 v[44:47], v2 offset:800
	v_mul_f64 v[6:7], v[38:39], v[42:43]
	v_fma_f64 v[6:7], v[36:37], v[40:41], -v[6:7]
	v_add_f64 v[4:5], v[4:5], v[6:7]
	s_waitcnt lgkmcnt(0)
	;; [unrolled: 8-line block ×17, first 2 shown]
	v_mul_f64 v[6:7], v[168:169], v[172:173]
	v_fma_f64 v[6:7], v[166:167], v[170:171], -v[6:7]
	v_add_f64 v[8:9], v[4:5], v[6:7]
	scratch_load_dwordx4 v[4:7], off, off offset:192
	v_mul_f64 v[174:175], v[166:167], v[172:173]
	v_fmac_f64_e32 v[174:175], v[168:169], v[170:171]
	v_add_f64 v[104:105], v[104:105], v[174:175]
	s_waitcnt vmcnt(0)
	v_add_f64 v[4:5], v[4:5], -v[8:9]
	v_add_f64 v[6:7], v[6:7], -v[104:105]
	scratch_store_dwordx4 off, v[4:7], off offset:192
	s_and_saveexec_b64 s[0:1], vcc
	s_cbranch_execz .LBB96_191
; %bb.190:
	scratch_load_dwordx4 v[6:9], off, s39
	v_mov_b32_e32 v3, v2
	v_mov_b32_e32 v4, v2
	;; [unrolled: 1-line block ×3, first 2 shown]
	scratch_store_dwordx4 off, v[2:5], off offset:176
	s_waitcnt vmcnt(1)
	ds_write_b128 v1, v[6:9]
.LBB96_191:
	s_or_b64 exec, exec, s[0:1]
	s_waitcnt lgkmcnt(0)
	; wave barrier
	ds_read_b128 v[16:19], v2 offset:704
	ds_read_b128 v[12:15], v2 offset:720
	;; [unrolled: 1-line block ×4, first 2 shown]
	scratch_load_dwordx4 v[20:23], off, off offset:192
	scratch_load_dwordx4 v[40:43], off, off offset:256
	;; [unrolled: 1-line block ×16, first 2 shown]
	v_cmp_lt_u32_e32 vcc, 9, v0
	scratch_load_dwordx4 v[48:51], off, off offset:272
	scratch_load_dwordx4 v[56:59], off, off offset:288
	;; [unrolled: 1-line block ×3, first 2 shown]
	s_waitcnt vmcnt(18) lgkmcnt(3)
	v_mul_f64 v[24:25], v[16:17], v[22:23]
	v_fmac_f64_e32 v[24:25], v[18:19], v[20:21]
	v_add_f64 v[28:29], v[24:25], 0
	scratch_load_dwordx4 v[24:27], off, off offset:208
	s_waitcnt vmcnt(0) lgkmcnt(2)
	v_mul_f64 v[30:31], v[12:13], v[26:27]
	v_fmac_f64_e32 v[30:31], v[14:15], v[24:25]
	v_add_f64 v[32:33], v[28:29], v[30:31]
	scratch_load_dwordx4 v[28:31], off, off offset:224
	v_mul_f64 v[14:15], v[14:15], v[26:27]
	v_fma_f64 v[12:13], v[12:13], v[24:25], -v[14:15]
	s_waitcnt vmcnt(0) lgkmcnt(1)
	v_mul_f64 v[34:35], v[8:9], v[30:31]
	v_fmac_f64_e32 v[34:35], v[10:11], v[28:29]
	v_add_f64 v[36:37], v[32:33], v[34:35]
	scratch_load_dwordx4 v[32:35], off, off offset:240
	v_mul_f64 v[10:11], v[10:11], v[30:31]
	v_fma_f64 v[8:9], v[8:9], v[28:29], -v[10:11]
	s_waitcnt vmcnt(0) lgkmcnt(0)
	v_mul_f64 v[38:39], v[4:5], v[34:35]
	v_fmac_f64_e32 v[38:39], v[6:7], v[32:33]
	v_add_f64 v[44:45], v[36:37], v[38:39]
	ds_read_b128 v[36:39], v2 offset:768
	v_mul_f64 v[6:7], v[6:7], v[34:35]
	v_fma_f64 v[4:5], v[4:5], v[32:33], -v[6:7]
	s_waitcnt lgkmcnt(0)
	v_mul_f64 v[46:47], v[36:37], v[42:43]
	v_fmac_f64_e32 v[46:47], v[38:39], v[40:41]
	v_add_f64 v[52:53], v[44:45], v[46:47]
	ds_read_b128 v[44:47], v2 offset:784
	s_waitcnt lgkmcnt(0)
	v_mul_f64 v[54:55], v[44:45], v[50:51]
	v_fmac_f64_e32 v[54:55], v[46:47], v[48:49]
	v_add_f64 v[60:61], v[52:53], v[54:55]
	ds_read_b128 v[52:55], v2 offset:800
	;; [unrolled: 5-line block ×17, first 2 shown]
	s_waitcnt lgkmcnt(0)
	v_mul_f64 v[2:3], v[174:175], v[180:181]
	v_fmac_f64_e32 v[2:3], v[176:177], v[178:179]
	v_add_f64 v[120:121], v[120:121], v[2:3]
	v_mul_f64 v[2:3], v[18:19], v[22:23]
	v_fma_f64 v[2:3], v[16:17], v[20:21], -v[2:3]
	v_add_f64 v[2:3], v[2:3], 0
	v_add_f64 v[2:3], v[2:3], v[12:13]
	;; [unrolled: 1-line block ×4, first 2 shown]
	v_mul_f64 v[4:5], v[38:39], v[42:43]
	v_fma_f64 v[4:5], v[36:37], v[40:41], -v[4:5]
	v_add_f64 v[2:3], v[2:3], v[4:5]
	v_mul_f64 v[4:5], v[46:47], v[50:51]
	v_fma_f64 v[4:5], v[44:45], v[48:49], -v[4:5]
	v_add_f64 v[2:3], v[2:3], v[4:5]
	;; [unrolled: 3-line block ×18, first 2 shown]
	scratch_load_dwordx4 v[2:5], off, off offset:176
	s_waitcnt vmcnt(0)
	v_add_f64 v[2:3], v[2:3], -v[6:7]
	v_add_f64 v[4:5], v[4:5], -v[120:121]
	scratch_store_dwordx4 off, v[2:5], off offset:176
	s_and_saveexec_b64 s[0:1], vcc
	s_cbranch_execz .LBB96_193
; %bb.192:
	scratch_load_dwordx4 v[2:5], off, s40
	v_mov_b32_e32 v6, 0
	v_mov_b32_e32 v7, v6
	v_mov_b32_e32 v8, v6
	v_mov_b32_e32 v9, v6
	scratch_store_dwordx4 off, v[6:9], off offset:160
	s_waitcnt vmcnt(1)
	ds_write_b128 v1, v[2:5]
.LBB96_193:
	s_or_b64 exec, exec, s[0:1]
	v_mov_b32_e32 v2, 0
	s_waitcnt lgkmcnt(0)
	; wave barrier
	ds_read_b128 v[16:19], v2 offset:688
	ds_read_b128 v[12:15], v2 offset:704
	;; [unrolled: 1-line block ×4, first 2 shown]
	scratch_load_dwordx4 v[20:23], off, off offset:176
	scratch_load_dwordx4 v[40:43], off, off offset:240
	;; [unrolled: 1-line block ×17, first 2 shown]
	v_cmp_lt_u32_e32 vcc, 8, v0
	scratch_load_dwordx4 v[48:51], off, off offset:256
	scratch_load_dwordx4 v[56:59], off, off offset:272
	;; [unrolled: 1-line block ×3, first 2 shown]
	s_waitcnt vmcnt(19) lgkmcnt(3)
	v_mul_f64 v[24:25], v[16:17], v[22:23]
	v_fmac_f64_e32 v[24:25], v[18:19], v[20:21]
	v_add_f64 v[28:29], v[24:25], 0
	scratch_load_dwordx4 v[24:27], off, off offset:192
	v_mul_f64 v[18:19], v[18:19], v[22:23]
	v_fma_f64 v[16:17], v[16:17], v[20:21], -v[18:19]
	v_add_f64 v[16:17], v[16:17], 0
	s_waitcnt vmcnt(0) lgkmcnt(2)
	v_mul_f64 v[30:31], v[12:13], v[26:27]
	v_fmac_f64_e32 v[30:31], v[14:15], v[24:25]
	v_add_f64 v[32:33], v[28:29], v[30:31]
	scratch_load_dwordx4 v[28:31], off, off offset:208
	v_mul_f64 v[14:15], v[14:15], v[26:27]
	v_fma_f64 v[12:13], v[12:13], v[24:25], -v[14:15]
	v_add_f64 v[12:13], v[16:17], v[12:13]
	;; [unrolled: 8-line block ×3, first 2 shown]
	s_waitcnt vmcnt(0) lgkmcnt(0)
	v_mul_f64 v[38:39], v[4:5], v[34:35]
	v_fmac_f64_e32 v[38:39], v[6:7], v[32:33]
	v_add_f64 v[44:45], v[36:37], v[38:39]
	ds_read_b128 v[36:39], v2 offset:752
	v_mul_f64 v[6:7], v[6:7], v[34:35]
	v_fma_f64 v[4:5], v[4:5], v[32:33], -v[6:7]
	v_add_f64 v[4:5], v[8:9], v[4:5]
	s_waitcnt lgkmcnt(0)
	v_mul_f64 v[46:47], v[36:37], v[42:43]
	v_fmac_f64_e32 v[46:47], v[38:39], v[40:41]
	v_add_f64 v[52:53], v[44:45], v[46:47]
	ds_read_b128 v[44:47], v2 offset:768
	v_mul_f64 v[6:7], v[38:39], v[42:43]
	v_fma_f64 v[6:7], v[36:37], v[40:41], -v[6:7]
	v_add_f64 v[4:5], v[4:5], v[6:7]
	s_waitcnt lgkmcnt(0)
	;; [unrolled: 8-line block ×19, first 2 shown]
	v_mul_f64 v[6:7], v[184:185], v[188:189]
	v_fma_f64 v[6:7], v[182:183], v[186:187], -v[6:7]
	v_add_f64 v[8:9], v[4:5], v[6:7]
	scratch_load_dwordx4 v[4:7], off, off offset:160
	v_mul_f64 v[190:191], v[182:183], v[188:189]
	v_fmac_f64_e32 v[190:191], v[184:185], v[186:187]
	v_add_f64 v[128:129], v[128:129], v[190:191]
	s_waitcnt vmcnt(0)
	v_add_f64 v[4:5], v[4:5], -v[8:9]
	v_add_f64 v[6:7], v[6:7], -v[128:129]
	scratch_store_dwordx4 off, v[4:7], off offset:160
	s_and_saveexec_b64 s[0:1], vcc
	s_cbranch_execz .LBB96_195
; %bb.194:
	scratch_load_dwordx4 v[6:9], off, s41
	v_mov_b32_e32 v3, v2
	v_mov_b32_e32 v4, v2
	;; [unrolled: 1-line block ×3, first 2 shown]
	scratch_store_dwordx4 off, v[2:5], off offset:144
	s_waitcnt vmcnt(1)
	ds_write_b128 v1, v[6:9]
.LBB96_195:
	s_or_b64 exec, exec, s[0:1]
	s_waitcnt lgkmcnt(0)
	; wave barrier
	ds_read_b128 v[16:19], v2 offset:672
	ds_read_b128 v[12:15], v2 offset:688
	;; [unrolled: 1-line block ×4, first 2 shown]
	scratch_load_dwordx4 v[20:23], off, off offset:160
	scratch_load_dwordx4 v[40:43], off, off offset:224
	;; [unrolled: 1-line block ×18, first 2 shown]
	v_cmp_lt_u32_e32 vcc, 7, v0
	scratch_load_dwordx4 v[48:51], off, off offset:240
	scratch_load_dwordx4 v[56:59], off, off offset:256
	;; [unrolled: 1-line block ×3, first 2 shown]
	s_waitcnt vmcnt(20) lgkmcnt(3)
	v_mul_f64 v[24:25], v[16:17], v[22:23]
	v_fmac_f64_e32 v[24:25], v[18:19], v[20:21]
	v_add_f64 v[28:29], v[24:25], 0
	scratch_load_dwordx4 v[24:27], off, off offset:176
	s_waitcnt vmcnt(0) lgkmcnt(2)
	v_mul_f64 v[30:31], v[12:13], v[26:27]
	v_fmac_f64_e32 v[30:31], v[14:15], v[24:25]
	v_add_f64 v[32:33], v[28:29], v[30:31]
	scratch_load_dwordx4 v[28:31], off, off offset:192
	v_mul_f64 v[14:15], v[14:15], v[26:27]
	v_fma_f64 v[12:13], v[12:13], v[24:25], -v[14:15]
	s_waitcnt vmcnt(0) lgkmcnt(1)
	v_mul_f64 v[34:35], v[8:9], v[30:31]
	v_fmac_f64_e32 v[34:35], v[10:11], v[28:29]
	v_add_f64 v[36:37], v[32:33], v[34:35]
	scratch_load_dwordx4 v[32:35], off, off offset:208
	v_mul_f64 v[10:11], v[10:11], v[30:31]
	v_fma_f64 v[8:9], v[8:9], v[28:29], -v[10:11]
	s_waitcnt vmcnt(0) lgkmcnt(0)
	v_mul_f64 v[38:39], v[4:5], v[34:35]
	v_fmac_f64_e32 v[38:39], v[6:7], v[32:33]
	v_add_f64 v[44:45], v[36:37], v[38:39]
	ds_read_b128 v[36:39], v2 offset:736
	v_mul_f64 v[6:7], v[6:7], v[34:35]
	v_fma_f64 v[4:5], v[4:5], v[32:33], -v[6:7]
	s_waitcnt lgkmcnt(0)
	v_mul_f64 v[46:47], v[36:37], v[42:43]
	v_fmac_f64_e32 v[46:47], v[38:39], v[40:41]
	v_add_f64 v[52:53], v[44:45], v[46:47]
	ds_read_b128 v[44:47], v2 offset:752
	s_waitcnt lgkmcnt(0)
	v_mul_f64 v[54:55], v[44:45], v[50:51]
	v_fmac_f64_e32 v[54:55], v[46:47], v[48:49]
	v_add_f64 v[60:61], v[52:53], v[54:55]
	ds_read_b128 v[52:55], v2 offset:768
	;; [unrolled: 5-line block ×19, first 2 shown]
	s_waitcnt lgkmcnt(0)
	v_mul_f64 v[2:3], v[190:191], v[196:197]
	v_fmac_f64_e32 v[2:3], v[192:193], v[194:195]
	v_add_f64 v[148:149], v[148:149], v[2:3]
	v_mul_f64 v[2:3], v[18:19], v[22:23]
	v_fma_f64 v[2:3], v[16:17], v[20:21], -v[2:3]
	v_add_f64 v[2:3], v[2:3], 0
	v_add_f64 v[2:3], v[2:3], v[12:13]
	;; [unrolled: 1-line block ×4, first 2 shown]
	v_mul_f64 v[4:5], v[38:39], v[42:43]
	v_fma_f64 v[4:5], v[36:37], v[40:41], -v[4:5]
	v_add_f64 v[2:3], v[2:3], v[4:5]
	v_mul_f64 v[4:5], v[46:47], v[50:51]
	v_fma_f64 v[4:5], v[44:45], v[48:49], -v[4:5]
	v_add_f64 v[2:3], v[2:3], v[4:5]
	;; [unrolled: 3-line block ×20, first 2 shown]
	scratch_load_dwordx4 v[2:5], off, off offset:144
	s_waitcnt vmcnt(0)
	v_add_f64 v[2:3], v[2:3], -v[6:7]
	v_add_f64 v[4:5], v[4:5], -v[148:149]
	scratch_store_dwordx4 off, v[2:5], off offset:144
	s_and_saveexec_b64 s[0:1], vcc
	s_cbranch_execz .LBB96_197
; %bb.196:
	scratch_load_dwordx4 v[2:5], off, s42
	v_mov_b32_e32 v6, 0
	v_mov_b32_e32 v7, v6
	;; [unrolled: 1-line block ×4, first 2 shown]
	scratch_store_dwordx4 off, v[6:9], off offset:128
	s_waitcnt vmcnt(1)
	ds_write_b128 v1, v[2:5]
.LBB96_197:
	s_or_b64 exec, exec, s[0:1]
	v_mov_b32_e32 v2, 0
	s_waitcnt lgkmcnt(0)
	; wave barrier
	ds_read_b128 v[16:19], v2 offset:656
	ds_read_b128 v[12:15], v2 offset:672
	;; [unrolled: 1-line block ×4, first 2 shown]
	scratch_load_dwordx4 v[20:23], off, off offset:144
	scratch_load_dwordx4 v[40:43], off, off offset:208
	;; [unrolled: 1-line block ×19, first 2 shown]
	v_cmp_lt_u32_e32 vcc, 6, v0
	scratch_load_dwordx4 v[48:51], off, off offset:224
	scratch_load_dwordx4 v[56:59], off, off offset:240
	;; [unrolled: 1-line block ×3, first 2 shown]
	s_waitcnt vmcnt(21) lgkmcnt(3)
	v_mul_f64 v[24:25], v[16:17], v[22:23]
	v_fmac_f64_e32 v[24:25], v[18:19], v[20:21]
	v_add_f64 v[28:29], v[24:25], 0
	scratch_load_dwordx4 v[24:27], off, off offset:160
	v_mul_f64 v[18:19], v[18:19], v[22:23]
	v_fma_f64 v[16:17], v[16:17], v[20:21], -v[18:19]
	v_add_f64 v[16:17], v[16:17], 0
	s_waitcnt vmcnt(0) lgkmcnt(2)
	v_mul_f64 v[30:31], v[12:13], v[26:27]
	v_fmac_f64_e32 v[30:31], v[14:15], v[24:25]
	v_add_f64 v[32:33], v[28:29], v[30:31]
	scratch_load_dwordx4 v[28:31], off, off offset:176
	v_mul_f64 v[14:15], v[14:15], v[26:27]
	v_fma_f64 v[12:13], v[12:13], v[24:25], -v[14:15]
	v_add_f64 v[12:13], v[16:17], v[12:13]
	;; [unrolled: 8-line block ×3, first 2 shown]
	s_waitcnt vmcnt(0) lgkmcnt(0)
	v_mul_f64 v[38:39], v[4:5], v[34:35]
	v_fmac_f64_e32 v[38:39], v[6:7], v[32:33]
	v_add_f64 v[44:45], v[36:37], v[38:39]
	ds_read_b128 v[36:39], v2 offset:720
	v_mul_f64 v[6:7], v[6:7], v[34:35]
	v_fma_f64 v[4:5], v[4:5], v[32:33], -v[6:7]
	v_add_f64 v[4:5], v[8:9], v[4:5]
	s_waitcnt lgkmcnt(0)
	v_mul_f64 v[46:47], v[36:37], v[42:43]
	v_fmac_f64_e32 v[46:47], v[38:39], v[40:41]
	v_add_f64 v[52:53], v[44:45], v[46:47]
	ds_read_b128 v[44:47], v2 offset:736
	v_mul_f64 v[6:7], v[38:39], v[42:43]
	v_fma_f64 v[6:7], v[36:37], v[40:41], -v[6:7]
	v_add_f64 v[4:5], v[4:5], v[6:7]
	s_waitcnt lgkmcnt(0)
	v_mul_f64 v[54:55], v[44:45], v[50:51]
	v_fmac_f64_e32 v[54:55], v[46:47], v[48:49]
	v_add_f64 v[60:61], v[52:53], v[54:55]
	ds_read_b128 v[52:55], v2 offset:752
	v_mul_f64 v[6:7], v[46:47], v[50:51]
	v_fma_f64 v[6:7], v[44:45], v[48:49], -v[6:7]
	v_add_f64 v[4:5], v[4:5], v[6:7]
	s_waitcnt lgkmcnt(0)
	v_mul_f64 v[62:63], v[52:53], v[58:59]
	v_fmac_f64_e32 v[62:63], v[54:55], v[56:57]
	v_add_f64 v[68:69], v[60:61], v[62:63]
	ds_read_b128 v[60:63], v2 offset:768
	v_mul_f64 v[6:7], v[54:55], v[58:59]
	v_fma_f64 v[6:7], v[52:53], v[56:57], -v[6:7]
	v_add_f64 v[4:5], v[4:5], v[6:7]
	s_waitcnt lgkmcnt(0)
	v_mul_f64 v[70:71], v[60:61], v[66:67]
	v_fmac_f64_e32 v[70:71], v[62:63], v[64:65]
	v_add_f64 v[76:77], v[68:69], v[70:71]
	ds_read_b128 v[68:71], v2 offset:784
	v_mul_f64 v[6:7], v[62:63], v[66:67]
	v_fma_f64 v[6:7], v[60:61], v[64:65], -v[6:7]
	v_add_f64 v[4:5], v[4:5], v[6:7]
	s_waitcnt lgkmcnt(0)
	v_mul_f64 v[78:79], v[68:69], v[74:75]
	v_fmac_f64_e32 v[78:79], v[70:71], v[72:73]
	v_add_f64 v[84:85], v[76:77], v[78:79]
	ds_read_b128 v[76:79], v2 offset:800
	v_mul_f64 v[6:7], v[70:71], v[74:75]
	v_fma_f64 v[6:7], v[68:69], v[72:73], -v[6:7]
	v_add_f64 v[4:5], v[4:5], v[6:7]
	s_waitcnt lgkmcnt(0)
	v_mul_f64 v[86:87], v[76:77], v[82:83]
	v_fmac_f64_e32 v[86:87], v[78:79], v[80:81]
	v_add_f64 v[92:93], v[84:85], v[86:87]
	ds_read_b128 v[84:87], v2 offset:816
	v_mul_f64 v[6:7], v[78:79], v[82:83]
	v_fma_f64 v[6:7], v[76:77], v[80:81], -v[6:7]
	v_add_f64 v[4:5], v[4:5], v[6:7]
	s_waitcnt lgkmcnt(0)
	v_mul_f64 v[94:95], v[84:85], v[90:91]
	v_fmac_f64_e32 v[94:95], v[86:87], v[88:89]
	v_add_f64 v[100:101], v[92:93], v[94:95]
	ds_read_b128 v[92:95], v2 offset:832
	v_mul_f64 v[6:7], v[86:87], v[90:91]
	v_fma_f64 v[6:7], v[84:85], v[88:89], -v[6:7]
	v_add_f64 v[4:5], v[4:5], v[6:7]
	s_waitcnt lgkmcnt(0)
	v_mul_f64 v[102:103], v[92:93], v[98:99]
	v_fmac_f64_e32 v[102:103], v[94:95], v[96:97]
	v_add_f64 v[108:109], v[100:101], v[102:103]
	ds_read_b128 v[100:103], v2 offset:848
	v_mul_f64 v[6:7], v[94:95], v[98:99]
	v_fma_f64 v[6:7], v[92:93], v[96:97], -v[6:7]
	v_add_f64 v[4:5], v[4:5], v[6:7]
	s_waitcnt lgkmcnt(0)
	v_mul_f64 v[110:111], v[100:101], v[106:107]
	v_fmac_f64_e32 v[110:111], v[102:103], v[104:105]
	v_add_f64 v[116:117], v[108:109], v[110:111]
	ds_read_b128 v[108:111], v2 offset:864
	v_mul_f64 v[6:7], v[102:103], v[106:107]
	v_fma_f64 v[6:7], v[100:101], v[104:105], -v[6:7]
	v_add_f64 v[4:5], v[4:5], v[6:7]
	s_waitcnt lgkmcnt(0)
	v_mul_f64 v[118:119], v[108:109], v[114:115]
	v_fmac_f64_e32 v[118:119], v[110:111], v[112:113]
	v_add_f64 v[124:125], v[116:117], v[118:119]
	ds_read_b128 v[116:119], v2 offset:880
	v_mul_f64 v[6:7], v[110:111], v[114:115]
	v_fma_f64 v[6:7], v[108:109], v[112:113], -v[6:7]
	v_add_f64 v[4:5], v[4:5], v[6:7]
	s_waitcnt lgkmcnt(0)
	v_mul_f64 v[126:127], v[116:117], v[122:123]
	v_fmac_f64_e32 v[126:127], v[118:119], v[120:121]
	v_add_f64 v[132:133], v[124:125], v[126:127]
	ds_read_b128 v[124:127], v2 offset:896
	v_mul_f64 v[6:7], v[118:119], v[122:123]
	v_fma_f64 v[6:7], v[116:117], v[120:121], -v[6:7]
	v_add_f64 v[4:5], v[4:5], v[6:7]
	s_waitcnt lgkmcnt(0)
	v_mul_f64 v[134:135], v[124:125], v[130:131]
	v_fmac_f64_e32 v[134:135], v[126:127], v[128:129]
	v_add_f64 v[140:141], v[132:133], v[134:135]
	ds_read_b128 v[132:135], v2 offset:912
	v_mul_f64 v[6:7], v[126:127], v[130:131]
	v_fma_f64 v[6:7], v[124:125], v[128:129], -v[6:7]
	v_add_f64 v[4:5], v[4:5], v[6:7]
	s_waitcnt lgkmcnt(0)
	v_mul_f64 v[142:143], v[132:133], v[138:139]
	v_fmac_f64_e32 v[142:143], v[134:135], v[136:137]
	v_add_f64 v[144:145], v[140:141], v[142:143]
	ds_read_b128 v[140:143], v2 offset:928
	v_mul_f64 v[6:7], v[134:135], v[138:139]
	v_fma_f64 v[6:7], v[132:133], v[136:137], -v[6:7]
	v_add_f64 v[4:5], v[4:5], v[6:7]
	s_waitcnt lgkmcnt(0)
	v_mul_f64 v[150:151], v[140:141], v[148:149]
	v_fmac_f64_e32 v[150:151], v[142:143], v[146:147]
	v_add_f64 v[144:145], v[144:145], v[150:151]
	ds_read_b128 v[150:153], v2 offset:944
	v_mul_f64 v[6:7], v[142:143], v[148:149]
	v_fma_f64 v[6:7], v[140:141], v[146:147], -v[6:7]
	v_add_f64 v[4:5], v[4:5], v[6:7]
	s_waitcnt lgkmcnt(0)
	v_mul_f64 v[158:159], v[150:151], v[156:157]
	v_fmac_f64_e32 v[158:159], v[152:153], v[154:155]
	v_add_f64 v[144:145], v[144:145], v[158:159]
	ds_read_b128 v[158:161], v2 offset:960
	v_mul_f64 v[6:7], v[152:153], v[156:157]
	v_fma_f64 v[6:7], v[150:151], v[154:155], -v[6:7]
	v_add_f64 v[4:5], v[4:5], v[6:7]
	s_waitcnt lgkmcnt(0)
	v_mul_f64 v[166:167], v[158:159], v[164:165]
	v_fmac_f64_e32 v[166:167], v[160:161], v[162:163]
	v_add_f64 v[144:145], v[144:145], v[166:167]
	ds_read_b128 v[166:169], v2 offset:976
	v_mul_f64 v[6:7], v[160:161], v[164:165]
	v_fma_f64 v[6:7], v[158:159], v[162:163], -v[6:7]
	v_add_f64 v[4:5], v[4:5], v[6:7]
	s_waitcnt lgkmcnt(0)
	v_mul_f64 v[174:175], v[166:167], v[172:173]
	v_fmac_f64_e32 v[174:175], v[168:169], v[170:171]
	v_add_f64 v[144:145], v[144:145], v[174:175]
	ds_read_b128 v[174:177], v2 offset:992
	v_mul_f64 v[6:7], v[168:169], v[172:173]
	v_fma_f64 v[6:7], v[166:167], v[170:171], -v[6:7]
	v_add_f64 v[4:5], v[4:5], v[6:7]
	s_waitcnt lgkmcnt(0)
	v_mul_f64 v[182:183], v[174:175], v[180:181]
	v_fmac_f64_e32 v[182:183], v[176:177], v[178:179]
	v_add_f64 v[144:145], v[144:145], v[182:183]
	ds_read_b128 v[182:185], v2 offset:1008
	v_mul_f64 v[6:7], v[176:177], v[180:181]
	v_fma_f64 v[6:7], v[174:175], v[178:179], -v[6:7]
	v_add_f64 v[4:5], v[4:5], v[6:7]
	s_waitcnt lgkmcnt(0)
	v_mul_f64 v[190:191], v[182:183], v[188:189]
	v_fmac_f64_e32 v[190:191], v[184:185], v[186:187]
	v_add_f64 v[144:145], v[144:145], v[190:191]
	ds_read_b128 v[190:193], v2 offset:1024
	v_mul_f64 v[6:7], v[184:185], v[188:189]
	v_fma_f64 v[6:7], v[182:183], v[186:187], -v[6:7]
	v_add_f64 v[4:5], v[4:5], v[6:7]
	s_waitcnt lgkmcnt(0)
	v_mul_f64 v[198:199], v[190:191], v[196:197]
	v_fmac_f64_e32 v[198:199], v[192:193], v[194:195]
	v_add_f64 v[144:145], v[144:145], v[198:199]
	ds_read_b128 v[198:201], v2 offset:1040
	v_mul_f64 v[6:7], v[192:193], v[196:197]
	v_fma_f64 v[6:7], v[190:191], v[194:195], -v[6:7]
	v_add_f64 v[4:5], v[4:5], v[6:7]
	s_waitcnt lgkmcnt(0)
	v_mul_f64 v[6:7], v[200:201], v[204:205]
	v_fma_f64 v[6:7], v[198:199], v[202:203], -v[6:7]
	v_add_f64 v[8:9], v[4:5], v[6:7]
	scratch_load_dwordx4 v[4:7], off, off offset:128
	v_mul_f64 v[206:207], v[198:199], v[204:205]
	v_fmac_f64_e32 v[206:207], v[200:201], v[202:203]
	v_add_f64 v[144:145], v[144:145], v[206:207]
	s_waitcnt vmcnt(0)
	v_add_f64 v[4:5], v[4:5], -v[8:9]
	v_add_f64 v[6:7], v[6:7], -v[144:145]
	scratch_store_dwordx4 off, v[4:7], off offset:128
	s_and_saveexec_b64 s[0:1], vcc
	s_cbranch_execz .LBB96_199
; %bb.198:
	scratch_load_dwordx4 v[6:9], off, s43
	v_mov_b32_e32 v3, v2
	v_mov_b32_e32 v4, v2
	;; [unrolled: 1-line block ×3, first 2 shown]
	scratch_store_dwordx4 off, v[2:5], off offset:112
	s_waitcnt vmcnt(1)
	ds_write_b128 v1, v[6:9]
.LBB96_199:
	s_or_b64 exec, exec, s[0:1]
	s_waitcnt lgkmcnt(0)
	; wave barrier
	ds_read_b128 v[16:19], v2 offset:640
	ds_read_b128 v[12:15], v2 offset:656
	;; [unrolled: 1-line block ×4, first 2 shown]
	scratch_load_dwordx4 v[20:23], off, off offset:128
	scratch_load_dwordx4 v[40:43], off, off offset:192
	;; [unrolled: 1-line block ×20, first 2 shown]
	v_cmp_lt_u32_e32 vcc, 5, v0
	scratch_load_dwordx4 v[48:51], off, off offset:208
	scratch_load_dwordx4 v[56:59], off, off offset:224
	;; [unrolled: 1-line block ×3, first 2 shown]
	s_waitcnt vmcnt(22) lgkmcnt(3)
	v_mul_f64 v[24:25], v[16:17], v[22:23]
	v_fmac_f64_e32 v[24:25], v[18:19], v[20:21]
	v_add_f64 v[28:29], v[24:25], 0
	scratch_load_dwordx4 v[24:27], off, off offset:144
	s_waitcnt vmcnt(0) lgkmcnt(2)
	v_mul_f64 v[30:31], v[12:13], v[26:27]
	v_fmac_f64_e32 v[30:31], v[14:15], v[24:25]
	v_add_f64 v[32:33], v[28:29], v[30:31]
	scratch_load_dwordx4 v[28:31], off, off offset:160
	v_mul_f64 v[14:15], v[14:15], v[26:27]
	v_fma_f64 v[12:13], v[12:13], v[24:25], -v[14:15]
	s_waitcnt vmcnt(0) lgkmcnt(1)
	v_mul_f64 v[34:35], v[8:9], v[30:31]
	v_fmac_f64_e32 v[34:35], v[10:11], v[28:29]
	v_add_f64 v[36:37], v[32:33], v[34:35]
	scratch_load_dwordx4 v[32:35], off, off offset:176
	v_mul_f64 v[10:11], v[10:11], v[30:31]
	v_fma_f64 v[8:9], v[8:9], v[28:29], -v[10:11]
	s_waitcnt vmcnt(0) lgkmcnt(0)
	v_mul_f64 v[38:39], v[4:5], v[34:35]
	v_fmac_f64_e32 v[38:39], v[6:7], v[32:33]
	v_add_f64 v[44:45], v[36:37], v[38:39]
	ds_read_b128 v[36:39], v2 offset:704
	v_mul_f64 v[6:7], v[6:7], v[34:35]
	v_fma_f64 v[4:5], v[4:5], v[32:33], -v[6:7]
	s_waitcnt lgkmcnt(0)
	v_mul_f64 v[46:47], v[36:37], v[42:43]
	v_fmac_f64_e32 v[46:47], v[38:39], v[40:41]
	v_add_f64 v[52:53], v[44:45], v[46:47]
	ds_read_b128 v[44:47], v2 offset:720
	s_waitcnt lgkmcnt(0)
	v_mul_f64 v[54:55], v[44:45], v[50:51]
	v_fmac_f64_e32 v[54:55], v[46:47], v[48:49]
	v_add_f64 v[60:61], v[52:53], v[54:55]
	ds_read_b128 v[52:55], v2 offset:736
	;; [unrolled: 5-line block ×21, first 2 shown]
	s_waitcnt lgkmcnt(0)
	v_mul_f64 v[2:3], v[206:207], v[212:213]
	v_fmac_f64_e32 v[2:3], v[208:209], v[210:211]
	v_add_f64 v[168:169], v[168:169], v[2:3]
	v_mul_f64 v[2:3], v[18:19], v[22:23]
	v_fma_f64 v[2:3], v[16:17], v[20:21], -v[2:3]
	v_add_f64 v[2:3], v[2:3], 0
	v_add_f64 v[2:3], v[2:3], v[12:13]
	v_add_f64 v[2:3], v[2:3], v[8:9]
	v_add_f64 v[2:3], v[2:3], v[4:5]
	v_mul_f64 v[4:5], v[38:39], v[42:43]
	v_fma_f64 v[4:5], v[36:37], v[40:41], -v[4:5]
	v_add_f64 v[2:3], v[2:3], v[4:5]
	v_mul_f64 v[4:5], v[46:47], v[50:51]
	v_fma_f64 v[4:5], v[44:45], v[48:49], -v[4:5]
	v_add_f64 v[2:3], v[2:3], v[4:5]
	;; [unrolled: 3-line block ×22, first 2 shown]
	scratch_load_dwordx4 v[2:5], off, off offset:112
	s_waitcnt vmcnt(0)
	v_add_f64 v[2:3], v[2:3], -v[6:7]
	v_add_f64 v[4:5], v[4:5], -v[168:169]
	scratch_store_dwordx4 off, v[2:5], off offset:112
	s_and_saveexec_b64 s[0:1], vcc
	s_cbranch_execz .LBB96_201
; %bb.200:
	scratch_load_dwordx4 v[2:5], off, s44
	v_mov_b32_e32 v6, 0
	v_mov_b32_e32 v7, v6
	;; [unrolled: 1-line block ×4, first 2 shown]
	scratch_store_dwordx4 off, v[6:9], off offset:96
	s_waitcnt vmcnt(1)
	ds_write_b128 v1, v[2:5]
.LBB96_201:
	s_or_b64 exec, exec, s[0:1]
	v_mov_b32_e32 v2, 0
	s_waitcnt lgkmcnt(0)
	; wave barrier
	ds_read_b128 v[16:19], v2 offset:624
	ds_read_b128 v[12:15], v2 offset:640
	;; [unrolled: 1-line block ×4, first 2 shown]
	scratch_load_dwordx4 v[20:23], off, off offset:112
	scratch_load_dwordx4 v[40:43], off, off offset:176
	;; [unrolled: 1-line block ×21, first 2 shown]
	v_cmp_lt_u32_e32 vcc, 4, v0
	scratch_load_dwordx4 v[48:51], off, off offset:192
	scratch_load_dwordx4 v[56:59], off, off offset:208
	;; [unrolled: 1-line block ×3, first 2 shown]
	s_waitcnt vmcnt(23) lgkmcnt(3)
	v_mul_f64 v[24:25], v[16:17], v[22:23]
	v_fmac_f64_e32 v[24:25], v[18:19], v[20:21]
	v_add_f64 v[28:29], v[24:25], 0
	scratch_load_dwordx4 v[24:27], off, off offset:128
	v_mul_f64 v[18:19], v[18:19], v[22:23]
	v_fma_f64 v[16:17], v[16:17], v[20:21], -v[18:19]
	v_add_f64 v[16:17], v[16:17], 0
	s_waitcnt vmcnt(0) lgkmcnt(2)
	v_mul_f64 v[30:31], v[12:13], v[26:27]
	v_fmac_f64_e32 v[30:31], v[14:15], v[24:25]
	v_add_f64 v[32:33], v[28:29], v[30:31]
	scratch_load_dwordx4 v[28:31], off, off offset:144
	v_mul_f64 v[14:15], v[14:15], v[26:27]
	v_fma_f64 v[12:13], v[12:13], v[24:25], -v[14:15]
	v_add_f64 v[12:13], v[16:17], v[12:13]
	;; [unrolled: 8-line block ×3, first 2 shown]
	s_waitcnt vmcnt(0) lgkmcnt(0)
	v_mul_f64 v[38:39], v[4:5], v[34:35]
	v_fmac_f64_e32 v[38:39], v[6:7], v[32:33]
	v_add_f64 v[44:45], v[36:37], v[38:39]
	ds_read_b128 v[36:39], v2 offset:688
	v_mul_f64 v[6:7], v[6:7], v[34:35]
	v_fma_f64 v[4:5], v[4:5], v[32:33], -v[6:7]
	v_add_f64 v[4:5], v[8:9], v[4:5]
	s_waitcnt lgkmcnt(0)
	v_mul_f64 v[46:47], v[36:37], v[42:43]
	v_fmac_f64_e32 v[46:47], v[38:39], v[40:41]
	v_add_f64 v[52:53], v[44:45], v[46:47]
	ds_read_b128 v[44:47], v2 offset:704
	v_mul_f64 v[6:7], v[38:39], v[42:43]
	v_fma_f64 v[6:7], v[36:37], v[40:41], -v[6:7]
	v_add_f64 v[4:5], v[4:5], v[6:7]
	s_waitcnt lgkmcnt(0)
	;; [unrolled: 8-line block ×23, first 2 shown]
	v_mul_f64 v[6:7], v[216:217], v[220:221]
	v_fma_f64 v[6:7], v[214:215], v[218:219], -v[6:7]
	v_add_f64 v[8:9], v[4:5], v[6:7]
	scratch_load_dwordx4 v[4:7], off, off offset:96
	v_mul_f64 v[222:223], v[214:215], v[220:221]
	v_fmac_f64_e32 v[222:223], v[216:217], v[218:219]
	v_add_f64 v[160:161], v[160:161], v[222:223]
	s_waitcnt vmcnt(0)
	v_add_f64 v[4:5], v[4:5], -v[8:9]
	v_add_f64 v[6:7], v[6:7], -v[160:161]
	scratch_store_dwordx4 off, v[4:7], off offset:96
	s_and_saveexec_b64 s[0:1], vcc
	s_cbranch_execz .LBB96_203
; %bb.202:
	scratch_load_dwordx4 v[6:9], off, s45
	v_mov_b32_e32 v3, v2
	v_mov_b32_e32 v4, v2
	;; [unrolled: 1-line block ×3, first 2 shown]
	scratch_store_dwordx4 off, v[2:5], off offset:80
	s_waitcnt vmcnt(1)
	ds_write_b128 v1, v[6:9]
.LBB96_203:
	s_or_b64 exec, exec, s[0:1]
	s_waitcnt lgkmcnt(0)
	; wave barrier
	ds_read_b128 v[16:19], v2 offset:608
	ds_read_b128 v[12:15], v2 offset:624
	;; [unrolled: 1-line block ×4, first 2 shown]
	scratch_load_dwordx4 v[20:23], off, off offset:96
	scratch_load_dwordx4 v[40:43], off, off offset:160
	;; [unrolled: 1-line block ×22, first 2 shown]
	v_cmp_lt_u32_e32 vcc, 3, v0
	scratch_load_dwordx4 v[48:51], off, off offset:176
	scratch_load_dwordx4 v[56:59], off, off offset:192
	;; [unrolled: 1-line block ×3, first 2 shown]
	s_waitcnt vmcnt(24) lgkmcnt(3)
	v_mul_f64 v[24:25], v[16:17], v[22:23]
	v_fmac_f64_e32 v[24:25], v[18:19], v[20:21]
	v_add_f64 v[28:29], v[24:25], 0
	scratch_load_dwordx4 v[24:27], off, off offset:112
	s_waitcnt vmcnt(0) lgkmcnt(2)
	v_mul_f64 v[30:31], v[12:13], v[26:27]
	v_fmac_f64_e32 v[30:31], v[14:15], v[24:25]
	v_add_f64 v[32:33], v[28:29], v[30:31]
	scratch_load_dwordx4 v[28:31], off, off offset:128
	v_mul_f64 v[14:15], v[14:15], v[26:27]
	v_fma_f64 v[12:13], v[12:13], v[24:25], -v[14:15]
	s_waitcnt vmcnt(0) lgkmcnt(1)
	v_mul_f64 v[34:35], v[8:9], v[30:31]
	v_fmac_f64_e32 v[34:35], v[10:11], v[28:29]
	v_add_f64 v[36:37], v[32:33], v[34:35]
	scratch_load_dwordx4 v[32:35], off, off offset:144
	v_mul_f64 v[10:11], v[10:11], v[30:31]
	v_fma_f64 v[8:9], v[8:9], v[28:29], -v[10:11]
	s_waitcnt vmcnt(0) lgkmcnt(0)
	v_mul_f64 v[38:39], v[4:5], v[34:35]
	v_fmac_f64_e32 v[38:39], v[6:7], v[32:33]
	v_add_f64 v[44:45], v[36:37], v[38:39]
	ds_read_b128 v[36:39], v2 offset:672
	v_mul_f64 v[6:7], v[6:7], v[34:35]
	v_fma_f64 v[4:5], v[4:5], v[32:33], -v[6:7]
	s_waitcnt lgkmcnt(0)
	v_mul_f64 v[46:47], v[36:37], v[42:43]
	v_fmac_f64_e32 v[46:47], v[38:39], v[40:41]
	v_add_f64 v[52:53], v[44:45], v[46:47]
	ds_read_b128 v[44:47], v2 offset:688
	s_waitcnt lgkmcnt(0)
	v_mul_f64 v[54:55], v[44:45], v[50:51]
	v_fmac_f64_e32 v[54:55], v[46:47], v[48:49]
	v_add_f64 v[60:61], v[52:53], v[54:55]
	ds_read_b128 v[52:55], v2 offset:704
	;; [unrolled: 5-line block ×23, first 2 shown]
	s_waitcnt lgkmcnt(0)
	v_mul_f64 v[2:3], v[222:223], v[228:229]
	v_fmac_f64_e32 v[2:3], v[224:225], v[226:227]
	v_add_f64 v[176:177], v[176:177], v[2:3]
	v_mul_f64 v[2:3], v[18:19], v[22:23]
	v_fma_f64 v[2:3], v[16:17], v[20:21], -v[2:3]
	v_add_f64 v[2:3], v[2:3], 0
	v_add_f64 v[2:3], v[2:3], v[12:13]
	;; [unrolled: 1-line block ×4, first 2 shown]
	v_mul_f64 v[4:5], v[38:39], v[42:43]
	v_fma_f64 v[4:5], v[36:37], v[40:41], -v[4:5]
	v_add_f64 v[2:3], v[2:3], v[4:5]
	v_mul_f64 v[4:5], v[46:47], v[50:51]
	v_fma_f64 v[4:5], v[44:45], v[48:49], -v[4:5]
	v_add_f64 v[2:3], v[2:3], v[4:5]
	;; [unrolled: 3-line block ×24, first 2 shown]
	scratch_load_dwordx4 v[2:5], off, off offset:80
	s_waitcnt vmcnt(0)
	v_add_f64 v[2:3], v[2:3], -v[6:7]
	v_add_f64 v[4:5], v[4:5], -v[176:177]
	scratch_store_dwordx4 off, v[2:5], off offset:80
	s_and_saveexec_b64 s[0:1], vcc
	s_cbranch_execz .LBB96_205
; %bb.204:
	scratch_load_dwordx4 v[2:5], off, s46
	v_mov_b32_e32 v6, 0
	v_mov_b32_e32 v7, v6
	;; [unrolled: 1-line block ×4, first 2 shown]
	scratch_store_dwordx4 off, v[6:9], off offset:64
	s_waitcnt vmcnt(1)
	ds_write_b128 v1, v[2:5]
.LBB96_205:
	s_or_b64 exec, exec, s[0:1]
	v_mov_b32_e32 v2, 0
	s_waitcnt lgkmcnt(0)
	; wave barrier
	ds_read_b128 v[16:19], v2 offset:592
	ds_read_b128 v[12:15], v2 offset:608
	;; [unrolled: 1-line block ×4, first 2 shown]
	scratch_load_dwordx4 v[20:23], off, off offset:80
	scratch_load_dwordx4 v[40:43], off, off offset:144
	;; [unrolled: 1-line block ×23, first 2 shown]
	v_cmp_lt_u32_e32 vcc, 2, v0
	scratch_load_dwordx4 v[48:51], off, off offset:160
	scratch_load_dwordx4 v[56:59], off, off offset:176
	;; [unrolled: 1-line block ×3, first 2 shown]
	s_waitcnt vmcnt(25) lgkmcnt(3)
	v_mul_f64 v[24:25], v[16:17], v[22:23]
	v_fmac_f64_e32 v[24:25], v[18:19], v[20:21]
	v_add_f64 v[28:29], v[24:25], 0
	scratch_load_dwordx4 v[24:27], off, off offset:96
	v_mul_f64 v[18:19], v[18:19], v[22:23]
	v_fma_f64 v[16:17], v[16:17], v[20:21], -v[18:19]
	v_add_f64 v[16:17], v[16:17], 0
	s_waitcnt vmcnt(0) lgkmcnt(2)
	v_mul_f64 v[30:31], v[12:13], v[26:27]
	v_fmac_f64_e32 v[30:31], v[14:15], v[24:25]
	v_add_f64 v[32:33], v[28:29], v[30:31]
	scratch_load_dwordx4 v[28:31], off, off offset:112
	v_mul_f64 v[14:15], v[14:15], v[26:27]
	v_fma_f64 v[12:13], v[12:13], v[24:25], -v[14:15]
	v_add_f64 v[12:13], v[16:17], v[12:13]
	;; [unrolled: 8-line block ×3, first 2 shown]
	s_waitcnt vmcnt(0) lgkmcnt(0)
	v_mul_f64 v[38:39], v[4:5], v[34:35]
	v_fmac_f64_e32 v[38:39], v[6:7], v[32:33]
	v_add_f64 v[44:45], v[36:37], v[38:39]
	ds_read_b128 v[36:39], v2 offset:656
	v_mul_f64 v[6:7], v[6:7], v[34:35]
	v_fma_f64 v[4:5], v[4:5], v[32:33], -v[6:7]
	v_add_f64 v[4:5], v[8:9], v[4:5]
	s_waitcnt lgkmcnt(0)
	v_mul_f64 v[46:47], v[36:37], v[42:43]
	v_fmac_f64_e32 v[46:47], v[38:39], v[40:41]
	v_add_f64 v[52:53], v[44:45], v[46:47]
	ds_read_b128 v[44:47], v2 offset:672
	v_mul_f64 v[6:7], v[38:39], v[42:43]
	v_fma_f64 v[6:7], v[36:37], v[40:41], -v[6:7]
	v_add_f64 v[4:5], v[4:5], v[6:7]
	s_waitcnt lgkmcnt(0)
	;; [unrolled: 8-line block ×25, first 2 shown]
	v_mul_f64 v[6:7], v[232:233], v[236:237]
	v_fma_f64 v[6:7], v[230:231], v[234:235], -v[6:7]
	v_add_f64 v[8:9], v[4:5], v[6:7]
	scratch_load_dwordx4 v[4:7], off, off offset:64
	v_mul_f64 v[238:239], v[230:231], v[236:237]
	v_fmac_f64_e32 v[238:239], v[232:233], v[234:235]
	v_add_f64 v[176:177], v[176:177], v[238:239]
	s_waitcnt vmcnt(0)
	v_add_f64 v[4:5], v[4:5], -v[8:9]
	v_add_f64 v[6:7], v[6:7], -v[176:177]
	scratch_store_dwordx4 off, v[4:7], off offset:64
	s_and_saveexec_b64 s[0:1], vcc
	s_cbranch_execz .LBB96_207
; %bb.206:
	scratch_load_dwordx4 v[6:9], off, s47
	v_mov_b32_e32 v3, v2
	v_mov_b32_e32 v4, v2
	;; [unrolled: 1-line block ×3, first 2 shown]
	scratch_store_dwordx4 off, v[2:5], off offset:48
	s_waitcnt vmcnt(1)
	ds_write_b128 v1, v[6:9]
.LBB96_207:
	s_or_b64 exec, exec, s[0:1]
	s_waitcnt lgkmcnt(0)
	; wave barrier
	ds_read_b128 v[16:19], v2 offset:576
	ds_read_b128 v[12:15], v2 offset:592
	;; [unrolled: 1-line block ×4, first 2 shown]
	scratch_load_dwordx4 v[20:23], off, off offset:64
	scratch_load_dwordx4 v[40:43], off, off offset:128
	;; [unrolled: 1-line block ×24, first 2 shown]
	v_cmp_lt_u32_e32 vcc, 1, v0
	scratch_load_dwordx4 v[48:51], off, off offset:144
	scratch_load_dwordx4 v[56:59], off, off offset:160
	;; [unrolled: 1-line block ×3, first 2 shown]
	ds_read_b128 v[250:253], v2 offset:1040
	s_waitcnt vmcnt(26) lgkmcnt(4)
	v_mul_f64 v[24:25], v[16:17], v[22:23]
	v_fmac_f64_e32 v[24:25], v[18:19], v[20:21]
	v_add_f64 v[28:29], v[24:25], 0
	scratch_load_dwordx4 v[24:27], off, off offset:80
	s_waitcnt vmcnt(0) lgkmcnt(3)
	v_mul_f64 v[30:31], v[12:13], v[26:27]
	v_fmac_f64_e32 v[30:31], v[14:15], v[24:25]
	v_add_f64 v[32:33], v[28:29], v[30:31]
	scratch_load_dwordx4 v[28:31], off, off offset:96
	v_mul_f64 v[14:15], v[14:15], v[26:27]
	v_fma_f64 v[12:13], v[12:13], v[24:25], -v[14:15]
	s_waitcnt vmcnt(0) lgkmcnt(2)
	v_mul_f64 v[34:35], v[8:9], v[30:31]
	v_fmac_f64_e32 v[34:35], v[10:11], v[28:29]
	v_add_f64 v[36:37], v[32:33], v[34:35]
	scratch_load_dwordx4 v[32:35], off, off offset:112
	v_mul_f64 v[10:11], v[10:11], v[30:31]
	v_fma_f64 v[8:9], v[8:9], v[28:29], -v[10:11]
	s_waitcnt vmcnt(0) lgkmcnt(1)
	v_mul_f64 v[38:39], v[4:5], v[34:35]
	v_fmac_f64_e32 v[38:39], v[6:7], v[32:33]
	v_add_f64 v[44:45], v[36:37], v[38:39]
	ds_read_b128 v[36:39], v2 offset:640
	v_mul_f64 v[6:7], v[6:7], v[34:35]
	v_fma_f64 v[4:5], v[4:5], v[32:33], -v[6:7]
	s_waitcnt lgkmcnt(0)
	v_mul_f64 v[46:47], v[36:37], v[42:43]
	v_fmac_f64_e32 v[46:47], v[38:39], v[40:41]
	v_add_f64 v[52:53], v[44:45], v[46:47]
	ds_read_b128 v[44:47], v2 offset:656
	s_waitcnt lgkmcnt(0)
	v_mul_f64 v[54:55], v[44:45], v[50:51]
	v_fmac_f64_e32 v[54:55], v[46:47], v[48:49]
	v_add_f64 v[60:61], v[52:53], v[54:55]
	ds_read_b128 v[52:55], v2 offset:672
	;; [unrolled: 5-line block ×24, first 2 shown]
	v_mul_f64 v[2:3], v[250:251], v[244:245]
	v_fmac_f64_e32 v[2:3], v[252:253], v[242:243]
	s_waitcnt lgkmcnt(0)
	v_mul_f64 v[238:239], v[230:231], v[236:237]
	v_fmac_f64_e32 v[238:239], v[232:233], v[234:235]
	v_add_f64 v[184:185], v[184:185], v[238:239]
	v_add_f64 v[184:185], v[184:185], v[2:3]
	v_mul_f64 v[2:3], v[18:19], v[22:23]
	v_fma_f64 v[2:3], v[16:17], v[20:21], -v[2:3]
	v_add_f64 v[2:3], v[2:3], 0
	v_add_f64 v[2:3], v[2:3], v[12:13]
	;; [unrolled: 1-line block ×4, first 2 shown]
	v_mul_f64 v[4:5], v[38:39], v[42:43]
	v_fma_f64 v[4:5], v[36:37], v[40:41], -v[4:5]
	v_add_f64 v[2:3], v[2:3], v[4:5]
	v_mul_f64 v[4:5], v[46:47], v[50:51]
	v_fma_f64 v[4:5], v[44:45], v[48:49], -v[4:5]
	v_add_f64 v[2:3], v[2:3], v[4:5]
	;; [unrolled: 3-line block ×26, first 2 shown]
	scratch_load_dwordx4 v[2:5], off, off offset:48
	s_waitcnt vmcnt(0)
	v_add_f64 v[2:3], v[2:3], -v[6:7]
	v_add_f64 v[4:5], v[4:5], -v[184:185]
	scratch_store_dwordx4 off, v[2:5], off offset:48
	s_and_saveexec_b64 s[0:1], vcc
	s_cbranch_execz .LBB96_209
; %bb.208:
	scratch_load_dwordx4 v[2:5], off, s48
	v_mov_b32_e32 v6, 0
	v_mov_b32_e32 v7, v6
	;; [unrolled: 1-line block ×4, first 2 shown]
	scratch_store_dwordx4 off, v[6:9], off offset:32
	s_waitcnt vmcnt(1)
	ds_write_b128 v1, v[2:5]
.LBB96_209:
	s_or_b64 exec, exec, s[0:1]
	s_waitcnt lgkmcnt(0)
	; wave barrier
	scratch_load_dwordx4 v[16:19], off, off offset:48
	scratch_load_dwordx4 v[12:15], off, off offset:64
	;; [unrolled: 1-line block ×32, first 2 shown]
	v_mov_b32_e32 v2, 0
	ds_read_b128 v[132:135], v2 offset:560
	ds_read_b128 v[136:139], v2 offset:576
	;; [unrolled: 1-line block ×17, first 2 shown]
	v_cmp_ne_u32_e32 vcc, 0, v0
	s_waitcnt vmcnt(31) lgkmcnt(14)
	v_mul_f64 v[200:201], v[132:133], v[18:19]
	s_waitcnt vmcnt(30)
	v_mul_f64 v[202:203], v[136:137], v[14:15]
	v_fmac_f64_e32 v[200:201], v[134:135], v[16:17]
	s_waitcnt vmcnt(29)
	v_mul_f64 v[204:205], v[140:141], v[10:11]
	v_fmac_f64_e32 v[202:203], v[138:139], v[12:13]
	v_add_f64 v[200:201], v[200:201], 0
	s_waitcnt vmcnt(28) lgkmcnt(13)
	v_mul_f64 v[206:207], v[144:145], v[6:7]
	v_fmac_f64_e32 v[204:205], v[142:143], v[8:9]
	v_add_f64 v[200:201], v[200:201], v[202:203]
	s_waitcnt vmcnt(27) lgkmcnt(12)
	;; [unrolled: 4-line block ×12, first 2 shown]
	v_mul_f64 v[228:229], v[188:189], v[62:63]
	v_fmac_f64_e32 v[226:227], v[186:187], v[56:57]
	v_add_f64 v[200:201], v[200:201], v[224:225]
	v_fmac_f64_e32 v[228:229], v[190:191], v[60:61]
	v_add_f64 v[200:201], v[200:201], v[226:227]
	s_waitcnt vmcnt(16) lgkmcnt(1)
	v_mul_f64 v[202:203], v[192:193], v[66:67]
	v_add_f64 v[200:201], v[200:201], v[228:229]
	v_fmac_f64_e32 v[202:203], v[194:195], v[64:65]
	s_waitcnt vmcnt(15) lgkmcnt(0)
	v_mul_f64 v[206:207], v[196:197], v[70:71]
	v_add_f64 v[204:205], v[200:201], v[202:203]
	ds_read_b128 v[200:203], v2 offset:832
	v_fmac_f64_e32 v[206:207], v[198:199], v[68:69]
	v_add_f64 v[208:209], v[204:205], v[206:207]
	ds_read_b128 v[204:207], v2 offset:848
	v_mul_f64 v[18:19], v[134:135], v[18:19]
	s_waitcnt vmcnt(14) lgkmcnt(1)
	v_mul_f64 v[210:211], v[200:201], v[74:75]
	v_fmac_f64_e32 v[210:211], v[202:203], v[72:73]
	v_add_f64 v[212:213], v[208:209], v[210:211]
	s_waitcnt vmcnt(13) lgkmcnt(0)
	v_mul_f64 v[214:215], v[204:205], v[78:79]
	ds_read_b128 v[208:211], v2 offset:864
	v_fmac_f64_e32 v[214:215], v[206:207], v[76:77]
	v_add_f64 v[216:217], v[212:213], v[214:215]
	ds_read_b128 v[212:215], v2 offset:880
	v_fma_f64 v[244:245], v[132:133], v[16:17], -v[18:19]
	s_waitcnt vmcnt(12) lgkmcnt(1)
	v_mul_f64 v[218:219], v[208:209], v[82:83]
	v_fmac_f64_e32 v[218:219], v[210:211], v[80:81]
	v_add_f64 v[220:221], v[216:217], v[218:219]
	s_waitcnt vmcnt(11) lgkmcnt(0)
	v_mul_f64 v[222:223], v[212:213], v[86:87]
	ds_read_b128 v[216:219], v2 offset:896
	v_fmac_f64_e32 v[222:223], v[214:215], v[84:85]
	v_add_f64 v[224:225], v[220:221], v[222:223]
	ds_read_b128 v[220:223], v2 offset:912
	ds_read_b128 v[16:19], v2 offset:992
	s_waitcnt vmcnt(10) lgkmcnt(2)
	v_mul_f64 v[226:227], v[216:217], v[90:91]
	v_fmac_f64_e32 v[226:227], v[218:219], v[88:89]
	v_add_f64 v[228:229], v[224:225], v[226:227]
	s_waitcnt vmcnt(9) lgkmcnt(1)
	v_mul_f64 v[230:231], v[220:221], v[94:95]
	ds_read_b128 v[224:227], v2 offset:928
	v_fmac_f64_e32 v[230:231], v[222:223], v[92:93]
	v_add_f64 v[232:233], v[228:229], v[230:231]
	ds_read_b128 v[228:231], v2 offset:944
	v_mul_f64 v[14:15], v[138:139], v[14:15]
	s_waitcnt vmcnt(8) lgkmcnt(1)
	v_mul_f64 v[234:235], v[224:225], v[98:99]
	v_fmac_f64_e32 v[234:235], v[226:227], v[96:97]
	v_add_f64 v[236:237], v[232:233], v[234:235]
	s_waitcnt vmcnt(7) lgkmcnt(0)
	v_mul_f64 v[238:239], v[228:229], v[102:103]
	ds_read_b128 v[232:235], v2 offset:960
	v_fmac_f64_e32 v[238:239], v[230:231], v[100:101]
	v_add_f64 v[242:243], v[236:237], v[238:239]
	ds_read_b128 v[236:239], v2 offset:976
	v_fma_f64 v[136:137], v[136:137], v[12:13], -v[14:15]
	s_waitcnt vmcnt(6) lgkmcnt(1)
	v_mul_f64 v[132:133], v[232:233], v[106:107]
	v_fmac_f64_e32 v[132:133], v[234:235], v[104:105]
	v_add_f64 v[132:133], v[242:243], v[132:133]
	s_waitcnt vmcnt(5) lgkmcnt(0)
	v_mul_f64 v[134:135], v[236:237], v[110:111]
	v_fmac_f64_e32 v[134:135], v[238:239], v[108:109]
	v_add_f64 v[132:133], v[132:133], v[134:135]
	ds_read_b128 v[12:15], v2 offset:1008
	s_waitcnt vmcnt(4)
	v_mul_f64 v[134:135], v[16:17], v[114:115]
	v_fmac_f64_e32 v[134:135], v[18:19], v[112:113]
	v_add_f64 v[138:139], v[132:133], v[134:135]
	ds_read_b128 v[132:135], v2 offset:1024
	v_mul_f64 v[10:11], v[142:143], v[10:11]
	v_fma_f64 v[140:141], v[140:141], v[8:9], -v[10:11]
	ds_read_b128 v[8:11], v2 offset:1040
	s_waitcnt vmcnt(3) lgkmcnt(2)
	v_mul_f64 v[142:143], v[12:13], v[118:119]
	v_fmac_f64_e32 v[142:143], v[14:15], v[116:117]
	v_add_f64 v[138:139], v[138:139], v[142:143]
	s_waitcnt vmcnt(2) lgkmcnt(1)
	v_mul_f64 v[142:143], v[132:133], v[122:123]
	v_fmac_f64_e32 v[142:143], v[134:135], v[120:121]
	v_add_f64 v[138:139], v[138:139], v[142:143]
	;; [unrolled: 4-line block ×3, first 2 shown]
	v_add_f64 v[142:143], v[244:245], 0
	v_add_f64 v[136:137], v[142:143], v[136:137]
	v_mul_f64 v[6:7], v[146:147], v[6:7]
	v_add_f64 v[136:137], v[136:137], v[140:141]
	v_fma_f64 v[4:5], v[144:145], v[4:5], -v[6:7]
	v_mul_f64 v[6:7], v[150:151], v[22:23]
	v_add_f64 v[4:5], v[136:137], v[4:5]
	v_fma_f64 v[6:7], v[148:149], v[20:21], -v[6:7]
	v_add_f64 v[4:5], v[4:5], v[6:7]
	v_mul_f64 v[6:7], v[154:155], v[26:27]
	v_fma_f64 v[6:7], v[152:153], v[24:25], -v[6:7]
	v_add_f64 v[4:5], v[4:5], v[6:7]
	v_mul_f64 v[6:7], v[158:159], v[30:31]
	;; [unrolled: 3-line block ×26, first 2 shown]
	v_fma_f64 v[6:7], v[8:9], v[124:125], -v[6:7]
	v_add_f64 v[4:5], v[4:5], v[6:7]
	s_waitcnt vmcnt(0)
	v_add_f64 v[4:5], v[128:129], -v[4:5]
	v_add_f64 v[6:7], v[130:131], -v[138:139]
	scratch_store_dwordx4 off, v[4:7], off offset:32
	s_and_saveexec_b64 s[0:1], vcc
	s_cbranch_execz .LBB96_211
; %bb.210:
	scratch_load_dwordx4 v[6:9], off, off offset:16
	v_mov_b32_e32 v3, v2
	v_mov_b32_e32 v4, v2
	;; [unrolled: 1-line block ×3, first 2 shown]
	scratch_store_dwordx4 off, v[2:5], off offset:16
	s_waitcnt vmcnt(1)
	ds_write_b128 v1, v[6:9]
.LBB96_211:
	s_or_b64 exec, exec, s[0:1]
	s_waitcnt lgkmcnt(0)
	; wave barrier
	scratch_load_dwordx4 v[176:179], off, off offset:32
	scratch_load_dwordx4 v[180:183], off, off offset:48
	;; [unrolled: 1-line block ×16, first 2 shown]
	ds_read_b128 v[232:235], v2 offset:544
	ds_read_b128 v[228:231], v2 offset:560
	scratch_load_dwordx4 v[56:59], off, off offset:288
	ds_read_b128 v[236:239], v2 offset:576
	ds_read_b128 v[72:75], v2 offset:592
	ds_read_b128 v[68:71], v2 offset:608
	scratch_load_dwordx4 v[60:63], off, off offset:304
	ds_read_b128 v[88:91], v2 offset:624
	;; [unrolled: 4-line block ×5, first 2 shown]
	ds_read_b128 v[128:131], v2 offset:784
	ds_read_b128 v[124:127], v2 offset:800
	scratch_load_dwordx4 v[120:123], off, off offset:368
	scratch_load_dwordx4 v[136:139], off, off offset:384
	;; [unrolled: 1-line block ×11, first 2 shown]
	s_and_b64 vcc, exec, s[10:11]
	s_waitcnt vmcnt(31) lgkmcnt(14)
	v_mul_f64 v[0:1], v[232:233], v[178:179]
	s_waitcnt vmcnt(30)
	v_mul_f64 v[188:189], v[228:229], v[182:183]
	v_fmac_f64_e32 v[0:1], v[234:235], v[176:177]
	s_waitcnt vmcnt(29)
	v_mul_f64 v[190:191], v[236:237], v[186:187]
	v_fmac_f64_e32 v[188:189], v[230:231], v[180:181]
	v_add_f64 v[0:1], v[0:1], 0
	s_waitcnt vmcnt(28) lgkmcnt(13)
	v_mul_f64 v[192:193], v[72:73], v[6:7]
	v_fmac_f64_e32 v[190:191], v[238:239], v[184:185]
	v_add_f64 v[0:1], v[0:1], v[188:189]
	s_waitcnt vmcnt(27) lgkmcnt(12)
	;; [unrolled: 4-line block ×11, first 2 shown]
	v_mul_f64 v[212:213], v[108:109], v[46:47]
	v_fmac_f64_e32 v[210:211], v[114:115], v[40:41]
	v_add_f64 v[0:1], v[0:1], v[208:209]
	ds_read_b128 v[188:191], v2 offset:816
	s_waitcnt vmcnt(17) lgkmcnt(3)
	v_mul_f64 v[214:215], v[132:133], v[50:51]
	v_fmac_f64_e32 v[212:213], v[110:111], v[44:45]
	v_add_f64 v[0:1], v[0:1], v[210:211]
	s_waitcnt vmcnt(16) lgkmcnt(2)
	v_mul_f64 v[216:217], v[128:129], v[54:55]
	v_fmac_f64_e32 v[214:215], v[134:135], v[48:49]
	v_add_f64 v[0:1], v[0:1], v[212:213]
	v_add_f64 v[0:1], v[0:1], v[214:215]
	v_fmac_f64_e32 v[216:217], v[130:131], v[52:53]
	s_waitcnt vmcnt(15) lgkmcnt(1)
	v_mul_f64 v[192:193], v[124:125], v[58:59]
	v_add_f64 v[0:1], v[0:1], v[216:217]
	v_fmac_f64_e32 v[192:193], v[126:127], v[56:57]
	v_add_f64 v[0:1], v[0:1], v[192:193]
	ds_read_b128 v[192:195], v2 offset:832
	s_waitcnt vmcnt(14) lgkmcnt(1)
	v_mul_f64 v[196:197], v[188:189], v[62:63]
	v_fmac_f64_e32 v[196:197], v[190:191], v[60:61]
	v_add_f64 v[0:1], v[0:1], v[196:197]
	ds_read_b128 v[196:199], v2 offset:848
	s_waitcnt vmcnt(13) lgkmcnt(1)
	v_mul_f64 v[200:201], v[192:193], v[66:67]
	;; [unrolled: 5-line block ×9, first 2 shown]
	v_fmac_f64_e32 v[242:243], v[222:223], v[148:149]
	v_add_f64 v[0:1], v[0:1], v[242:243]
	scratch_load_dwordx4 v[242:245], off, off offset:16
	v_mul_f64 v[178:179], v[234:235], v[178:179]
	v_fma_f64 v[234:235], v[232:233], v[176:177], -v[178:179]
	ds_read_b128 v[176:179], v2 offset:976
	v_mul_f64 v[182:183], v[230:231], v[182:183]
	v_fma_f64 v[250:251], v[228:229], v[180:181], -v[182:183]
	ds_read_b128 v[180:183], v2 offset:992
	s_waitcnt vmcnt(6) lgkmcnt(2)
	v_mul_f64 v[232:233], v[224:225], v[154:155]
	v_fmac_f64_e32 v[232:233], v[226:227], v[152:153]
	s_waitcnt vmcnt(5) lgkmcnt(1)
	v_mul_f64 v[228:229], v[176:177], v[158:159]
	v_add_f64 v[0:1], v[0:1], v[232:233]
	v_fmac_f64_e32 v[228:229], v[178:179], v[156:157]
	s_waitcnt vmcnt(4) lgkmcnt(0)
	v_mul_f64 v[232:233], v[180:181], v[162:163]
	v_add_f64 v[0:1], v[0:1], v[228:229]
	v_fmac_f64_e32 v[232:233], v[182:183], v[160:161]
	v_add_f64 v[232:233], v[0:1], v[232:233]
	v_mul_f64 v[0:1], v[238:239], v[186:187]
	v_add_f64 v[234:235], v[234:235], 0
	v_fma_f64 v[236:237], v[236:237], v[184:185], -v[0:1]
	v_add_f64 v[234:235], v[234:235], v[250:251]
	v_mul_f64 v[6:7], v[74:75], v[6:7]
	v_add_f64 v[234:235], v[234:235], v[236:237]
	v_fma_f64 v[4:5], v[72:73], v[4:5], -v[6:7]
	v_mul_f64 v[6:7], v[70:71], v[10:11]
	v_add_f64 v[4:5], v[234:235], v[4:5]
	v_fma_f64 v[6:7], v[68:69], v[8:9], -v[6:7]
	v_add_f64 v[4:5], v[4:5], v[6:7]
	v_mul_f64 v[6:7], v[90:91], v[14:15]
	v_fma_f64 v[6:7], v[88:89], v[12:13], -v[6:7]
	v_add_f64 v[4:5], v[4:5], v[6:7]
	v_mul_f64 v[6:7], v[86:87], v[18:19]
	;; [unrolled: 3-line block ×21, first 2 shown]
	ds_read_b128 v[228:231], v2 offset:1008
	ds_read_b128 v[184:187], v2 offset:1024
	v_fma_f64 v[6:7], v[220:221], v[148:149], -v[6:7]
	v_add_f64 v[4:5], v[4:5], v[6:7]
	v_mul_f64 v[6:7], v[226:227], v[154:155]
	v_fma_f64 v[6:7], v[224:225], v[152:153], -v[6:7]
	v_add_f64 v[4:5], v[4:5], v[6:7]
	v_mul_f64 v[6:7], v[178:179], v[158:159]
	ds_read_b128 v[0:3], v2 offset:1040
	v_fma_f64 v[6:7], v[176:177], v[156:157], -v[6:7]
	s_waitcnt vmcnt(3) lgkmcnt(2)
	v_mul_f64 v[238:239], v[228:229], v[166:167]
	v_add_f64 v[4:5], v[4:5], v[6:7]
	v_mul_f64 v[6:7], v[182:183], v[162:163]
	v_fmac_f64_e32 v[238:239], v[230:231], v[164:165]
	v_fma_f64 v[6:7], v[180:181], v[160:161], -v[6:7]
	v_add_f64 v[232:233], v[232:233], v[238:239]
	s_waitcnt vmcnt(2) lgkmcnt(1)
	v_mul_f64 v[238:239], v[184:185], v[170:171]
	v_add_f64 v[4:5], v[4:5], v[6:7]
	v_mul_f64 v[6:7], v[230:231], v[166:167]
	v_fmac_f64_e32 v[238:239], v[186:187], v[168:169]
	v_fma_f64 v[6:7], v[228:229], v[164:165], -v[6:7]
	v_add_f64 v[232:233], v[232:233], v[238:239]
	s_waitcnt vmcnt(1) lgkmcnt(0)
	v_mul_f64 v[238:239], v[0:1], v[174:175]
	v_add_f64 v[4:5], v[4:5], v[6:7]
	v_mul_f64 v[6:7], v[186:187], v[170:171]
	v_fmac_f64_e32 v[238:239], v[2:3], v[172:173]
	v_fma_f64 v[6:7], v[184:185], v[168:169], -v[6:7]
	v_mul_f64 v[2:3], v[2:3], v[174:175]
	v_add_f64 v[4:5], v[4:5], v[6:7]
	v_fma_f64 v[0:1], v[0:1], v[172:173], -v[2:3]
	v_add_f64 v[232:233], v[232:233], v[238:239]
	v_add_f64 v[0:1], v[4:5], v[0:1]
	s_waitcnt vmcnt(0)
	v_add_f64 v[0:1], v[242:243], -v[0:1]
	v_add_f64 v[2:3], v[244:245], -v[232:233]
	scratch_store_dwordx4 off, v[0:3], off offset:16
	s_cbranch_vccz .LBB96_276
; %bb.212:
	s_nop 0
	v_mov_b32_e32 v0, 0
	global_load_dword v1, v0, s[8:9] offset:124
	s_waitcnt vmcnt(0)
	v_readfirstlane_b32 s0, v1
	s_add_i32 s0, s0, -1
	s_cmp_lg_u32 s0, 31
	s_cbranch_scc0 .LBB96_214
; %bb.213:
	s_lshl_b32 s0, s0, 4
	s_add_i32 s0, s0, 16
	scratch_load_dwordx4 v[2:5], off, s0
	scratch_load_dwordx4 v[6:9], off, s17
	s_waitcnt vmcnt(1)
	scratch_store_dwordx4 off, v[2:5], s17
	s_waitcnt vmcnt(1)
	scratch_store_dwordx4 off, v[6:9], s0
.LBB96_214:
	global_load_dword v0, v0, s[8:9] offset:120
	s_waitcnt vmcnt(0)
	v_readfirstlane_b32 s0, v0
	s_add_i32 s0, s0, -1
	s_cmp_eq_u32 s0, 30
	s_cbranch_scc1 .LBB96_216
; %bb.215:
	s_lshl_b32 s0, s0, 4
	s_add_i32 s0, s0, 16
	scratch_load_dwordx4 v[0:3], off, s0
	scratch_load_dwordx4 v[4:7], off, s18
	s_waitcnt vmcnt(1)
	scratch_store_dwordx4 off, v[0:3], s18
	s_waitcnt vmcnt(1)
	scratch_store_dwordx4 off, v[4:7], s0
.LBB96_216:
	v_mov_b32_e32 v0, 0
	global_load_dword v1, v0, s[8:9] offset:116
	s_waitcnt vmcnt(0)
	v_readfirstlane_b32 s0, v1
	s_add_i32 s0, s0, -1
	s_cmp_eq_u32 s0, 29
	s_cbranch_scc1 .LBB96_218
; %bb.217:
	s_lshl_b32 s0, s0, 4
	s_add_i32 s0, s0, 16
	scratch_load_dwordx4 v[2:5], off, s0
	scratch_load_dwordx4 v[6:9], off, s19
	s_waitcnt vmcnt(1)
	scratch_store_dwordx4 off, v[2:5], s19
	s_waitcnt vmcnt(1)
	scratch_store_dwordx4 off, v[6:9], s0
.LBB96_218:
	global_load_dword v0, v0, s[8:9] offset:112
	s_waitcnt vmcnt(0)
	v_readfirstlane_b32 s0, v0
	s_add_i32 s0, s0, -1
	s_cmp_eq_u32 s0, 28
	s_cbranch_scc1 .LBB96_220
; %bb.219:
	s_lshl_b32 s0, s0, 4
	s_add_i32 s0, s0, 16
	scratch_load_dwordx4 v[0:3], off, s0
	scratch_load_dwordx4 v[4:7], off, s20
	s_waitcnt vmcnt(1)
	scratch_store_dwordx4 off, v[0:3], s20
	s_waitcnt vmcnt(1)
	scratch_store_dwordx4 off, v[4:7], s0
.LBB96_220:
	v_mov_b32_e32 v0, 0
	global_load_dword v1, v0, s[8:9] offset:108
	s_waitcnt vmcnt(0)
	v_readfirstlane_b32 s0, v1
	s_add_i32 s0, s0, -1
	s_cmp_eq_u32 s0, 27
	s_cbranch_scc1 .LBB96_222
; %bb.221:
	s_lshl_b32 s0, s0, 4
	s_add_i32 s0, s0, 16
	scratch_load_dwordx4 v[2:5], off, s0
	scratch_load_dwordx4 v[6:9], off, s21
	s_waitcnt vmcnt(1)
	scratch_store_dwordx4 off, v[2:5], s21
	s_waitcnt vmcnt(1)
	scratch_store_dwordx4 off, v[6:9], s0
.LBB96_222:
	;; [unrolled: 33-line block ×15, first 2 shown]
	global_load_dword v0, v0, s[8:9]
	s_waitcnt vmcnt(0)
	v_readfirstlane_b32 s0, v0
	s_add_i32 s0, s0, -1
	s_cmp_eq_u32 s0, 0
	s_cbranch_scc1 .LBB96_276
; %bb.275:
	s_lshl_b32 s0, s0, 4
	s_add_i32 s0, s0, 16
	scratch_load_dwordx4 v[0:3], off, s0
	scratch_load_dwordx4 v[4:7], off, off offset:16
	s_waitcnt vmcnt(1)
	scratch_store_dwordx4 off, v[0:3], off offset:16
	s_waitcnt vmcnt(1)
	scratch_store_dwordx4 off, v[4:7], s0
.LBB96_276:
	scratch_load_dwordx4 v[0:3], off, off offset:16
	s_nop 0
	v_accvgpr_read_b32 v5, a1
	v_accvgpr_read_b32 v4, a0
	s_waitcnt vmcnt(0)
	flat_store_dwordx4 v[240:241], v[0:3]
	scratch_load_dwordx4 v[0:3], off, s48
	s_waitcnt vmcnt(0)
	flat_store_dwordx4 v[4:5], v[0:3]
	scratch_load_dwordx4 v[0:3], off, s47
	v_accvgpr_read_b32 v5, a3
	v_accvgpr_read_b32 v4, a2
	s_waitcnt vmcnt(0)
	flat_store_dwordx4 v[4:5], v[0:3]
	scratch_load_dwordx4 v[0:3], off, s46
	v_accvgpr_read_b32 v4, a4
	v_accvgpr_read_b32 v5, a5
	;; [unrolled: 5-line block ×28, first 2 shown]
	s_waitcnt vmcnt(0)
	flat_store_dwordx4 v[254:255], v[0:3]
	scratch_load_dwordx4 v[0:3], off, s18
	s_waitcnt vmcnt(0)
	flat_store_dwordx4 v[4:5], v[0:3]
	scratch_load_dwordx4 v[0:3], off, s17
	;; [unrolled: 3-line block ×3, first 2 shown]
	s_waitcnt vmcnt(0)
	flat_store_dwordx4 v[248:249], v[0:3]
	s_endpgm
	.section	.rodata,"a",@progbits
	.p2align	6, 0x0
	.amdhsa_kernel _ZN9rocsolver6v33100L18getri_kernel_smallILi33E19rocblas_complex_numIdEPKPS3_EEvT1_iilPiilS8_bb
		.amdhsa_group_segment_fixed_size 1064
		.amdhsa_private_segment_fixed_size 560
		.amdhsa_kernarg_size 60
		.amdhsa_user_sgpr_count 2
		.amdhsa_user_sgpr_dispatch_ptr 0
		.amdhsa_user_sgpr_queue_ptr 0
		.amdhsa_user_sgpr_kernarg_segment_ptr 1
		.amdhsa_user_sgpr_dispatch_id 0
		.amdhsa_user_sgpr_kernarg_preload_length 0
		.amdhsa_user_sgpr_kernarg_preload_offset 0
		.amdhsa_user_sgpr_private_segment_size 0
		.amdhsa_uses_dynamic_stack 0
		.amdhsa_enable_private_segment 1
		.amdhsa_system_sgpr_workgroup_id_x 1
		.amdhsa_system_sgpr_workgroup_id_y 0
		.amdhsa_system_sgpr_workgroup_id_z 0
		.amdhsa_system_sgpr_workgroup_info 0
		.amdhsa_system_vgpr_workitem_id 0
		.amdhsa_next_free_vgpr 314
		.amdhsa_next_free_sgpr 59
		.amdhsa_accum_offset 256
		.amdhsa_reserve_vcc 1
		.amdhsa_float_round_mode_32 0
		.amdhsa_float_round_mode_16_64 0
		.amdhsa_float_denorm_mode_32 3
		.amdhsa_float_denorm_mode_16_64 3
		.amdhsa_dx10_clamp 1
		.amdhsa_ieee_mode 1
		.amdhsa_fp16_overflow 0
		.amdhsa_tg_split 0
		.amdhsa_exception_fp_ieee_invalid_op 0
		.amdhsa_exception_fp_denorm_src 0
		.amdhsa_exception_fp_ieee_div_zero 0
		.amdhsa_exception_fp_ieee_overflow 0
		.amdhsa_exception_fp_ieee_underflow 0
		.amdhsa_exception_fp_ieee_inexact 0
		.amdhsa_exception_int_div_zero 0
	.end_amdhsa_kernel
	.section	.text._ZN9rocsolver6v33100L18getri_kernel_smallILi33E19rocblas_complex_numIdEPKPS3_EEvT1_iilPiilS8_bb,"axG",@progbits,_ZN9rocsolver6v33100L18getri_kernel_smallILi33E19rocblas_complex_numIdEPKPS3_EEvT1_iilPiilS8_bb,comdat
.Lfunc_end96:
	.size	_ZN9rocsolver6v33100L18getri_kernel_smallILi33E19rocblas_complex_numIdEPKPS3_EEvT1_iilPiilS8_bb, .Lfunc_end96-_ZN9rocsolver6v33100L18getri_kernel_smallILi33E19rocblas_complex_numIdEPKPS3_EEvT1_iilPiilS8_bb
                                        ; -- End function
	.set _ZN9rocsolver6v33100L18getri_kernel_smallILi33E19rocblas_complex_numIdEPKPS3_EEvT1_iilPiilS8_bb.num_vgpr, 256
	.set _ZN9rocsolver6v33100L18getri_kernel_smallILi33E19rocblas_complex_numIdEPKPS3_EEvT1_iilPiilS8_bb.num_agpr, 58
	.set _ZN9rocsolver6v33100L18getri_kernel_smallILi33E19rocblas_complex_numIdEPKPS3_EEvT1_iilPiilS8_bb.numbered_sgpr, 59
	.set _ZN9rocsolver6v33100L18getri_kernel_smallILi33E19rocblas_complex_numIdEPKPS3_EEvT1_iilPiilS8_bb.num_named_barrier, 0
	.set _ZN9rocsolver6v33100L18getri_kernel_smallILi33E19rocblas_complex_numIdEPKPS3_EEvT1_iilPiilS8_bb.private_seg_size, 560
	.set _ZN9rocsolver6v33100L18getri_kernel_smallILi33E19rocblas_complex_numIdEPKPS3_EEvT1_iilPiilS8_bb.uses_vcc, 1
	.set _ZN9rocsolver6v33100L18getri_kernel_smallILi33E19rocblas_complex_numIdEPKPS3_EEvT1_iilPiilS8_bb.uses_flat_scratch, 0
	.set _ZN9rocsolver6v33100L18getri_kernel_smallILi33E19rocblas_complex_numIdEPKPS3_EEvT1_iilPiilS8_bb.has_dyn_sized_stack, 0
	.set _ZN9rocsolver6v33100L18getri_kernel_smallILi33E19rocblas_complex_numIdEPKPS3_EEvT1_iilPiilS8_bb.has_recursion, 0
	.set _ZN9rocsolver6v33100L18getri_kernel_smallILi33E19rocblas_complex_numIdEPKPS3_EEvT1_iilPiilS8_bb.has_indirect_call, 0
	.section	.AMDGPU.csdata,"",@progbits
; Kernel info:
; codeLenInByte = 50360
; TotalNumSgprs: 65
; NumVgprs: 256
; NumAgprs: 58
; TotalNumVgprs: 314
; ScratchSize: 560
; MemoryBound: 0
; FloatMode: 240
; IeeeMode: 1
; LDSByteSize: 1064 bytes/workgroup (compile time only)
; SGPRBlocks: 8
; VGPRBlocks: 39
; NumSGPRsForWavesPerEU: 65
; NumVGPRsForWavesPerEU: 314
; AccumOffset: 256
; Occupancy: 1
; WaveLimiterHint : 1
; COMPUTE_PGM_RSRC2:SCRATCH_EN: 1
; COMPUTE_PGM_RSRC2:USER_SGPR: 2
; COMPUTE_PGM_RSRC2:TRAP_HANDLER: 0
; COMPUTE_PGM_RSRC2:TGID_X_EN: 1
; COMPUTE_PGM_RSRC2:TGID_Y_EN: 0
; COMPUTE_PGM_RSRC2:TGID_Z_EN: 0
; COMPUTE_PGM_RSRC2:TIDIG_COMP_CNT: 0
; COMPUTE_PGM_RSRC3_GFX90A:ACCUM_OFFSET: 63
; COMPUTE_PGM_RSRC3_GFX90A:TG_SPLIT: 0
	.section	.text._ZN9rocsolver6v33100L18getri_kernel_smallILi34E19rocblas_complex_numIdEPKPS3_EEvT1_iilPiilS8_bb,"axG",@progbits,_ZN9rocsolver6v33100L18getri_kernel_smallILi34E19rocblas_complex_numIdEPKPS3_EEvT1_iilPiilS8_bb,comdat
	.globl	_ZN9rocsolver6v33100L18getri_kernel_smallILi34E19rocblas_complex_numIdEPKPS3_EEvT1_iilPiilS8_bb ; -- Begin function _ZN9rocsolver6v33100L18getri_kernel_smallILi34E19rocblas_complex_numIdEPKPS3_EEvT1_iilPiilS8_bb
	.p2align	8
	.type	_ZN9rocsolver6v33100L18getri_kernel_smallILi34E19rocblas_complex_numIdEPKPS3_EEvT1_iilPiilS8_bb,@function
_ZN9rocsolver6v33100L18getri_kernel_smallILi34E19rocblas_complex_numIdEPKPS3_EEvT1_iilPiilS8_bb: ; @_ZN9rocsolver6v33100L18getri_kernel_smallILi34E19rocblas_complex_numIdEPKPS3_EEvT1_iilPiilS8_bb
; %bb.0:
	v_cmp_gt_u32_e32 vcc, 34, v0
	s_and_saveexec_b64 s[4:5], vcc
	s_cbranch_execz .LBB97_150
; %bb.1:
	s_load_dword s14, s[0:1], 0x38
	s_load_dwordx2 s[8:9], s[0:1], 0x0
	s_load_dwordx4 s[4:7], s[0:1], 0x28
	s_waitcnt lgkmcnt(0)
	s_bitcmp1_b32 s14, 8
	s_cselect_b64 s[10:11], -1, 0
	s_ashr_i32 s3, s2, 31
	s_lshl_b64 s[12:13], s[2:3], 3
	s_add_u32 s8, s8, s12
	s_addc_u32 s9, s9, s13
	s_load_dwordx2 s[12:13], s[8:9], 0x0
	s_bfe_u32 s8, s14, 0x10008
	s_cmp_eq_u32 s8, 0
                                        ; implicit-def: $sgpr8_sgpr9
	s_cbranch_scc1 .LBB97_3
; %bb.2:
	s_load_dword s8, s[0:1], 0x20
	s_load_dwordx2 s[14:15], s[0:1], 0x18
	s_mul_i32 s9, s4, s3
	s_mul_hi_u32 s16, s4, s2
	s_add_i32 s16, s16, s9
	s_mul_i32 s5, s5, s2
	s_add_i32 s5, s16, s5
	s_mul_i32 s4, s4, s2
	s_waitcnt lgkmcnt(0)
	s_ashr_i32 s9, s8, 31
	s_lshl_b64 s[4:5], s[4:5], 2
	s_add_u32 s14, s14, s4
	s_addc_u32 s15, s15, s5
	s_lshl_b64 s[4:5], s[8:9], 2
	s_add_u32 s8, s14, s4
	s_addc_u32 s9, s15, s5
.LBB97_3:
	s_load_dwordx2 s[4:5], s[0:1], 0x8
	s_load_dword s14, s[0:1], 0x38
	v_lshlrev_b32_e32 v14, 4, v0
	v_mov_b32_e32 v15, 0
	s_movk_i32 s15, 0xb0
	s_waitcnt lgkmcnt(0)
	s_ashr_i32 s1, s4, 31
	s_mov_b32 s0, s4
	s_lshl_b64 s[0:1], s[0:1], 4
	s_add_u32 s0, s12, s0
	s_addc_u32 s1, s13, s1
	v_lshl_add_u64 v[240:241], s[0:1], 0, v[14:15]
	flat_load_dwordx4 v[2:5], v[240:241]
	s_mov_b32 s12, s5
	s_ashr_i32 s13, s5, 31
	v_lshl_add_u64 v[6:7], s[12:13], 4, v[240:241]
	v_accvgpr_write_b32 a0, v6
	s_add_i32 s4, s5, s5
	v_accvgpr_write_b32 a1, v7
	s_movk_i32 s12, 0x90
	s_movk_i32 s13, 0xa0
	;; [unrolled: 1-line block ×24, first 2 shown]
	s_add_i32 s41, s12, 16
	s_add_i32 s40, s13, 16
	;; [unrolled: 1-line block ×25, first 2 shown]
	s_mov_b32 s49, 32
	s_mov_b32 s48, 48
	s_mov_b32 s47, 64
	s_movk_i32 s46, 0x50
	s_waitcnt vmcnt(0) lgkmcnt(0)
	scratch_store_dwordx4 off, v[2:5], off offset:16
	flat_load_dwordx4 v[2:5], v[6:7]
	v_add_u32_e32 v6, s4, v0
	v_ashrrev_i32_e32 v7, 31, v6
	v_lshl_add_u64 v[8:9], v[6:7], 4, s[0:1]
	v_add_u32_e32 v6, s5, v6
	v_accvgpr_write_b32 a2, v8
	v_ashrrev_i32_e32 v7, 31, v6
	v_accvgpr_write_b32 a3, v9
	s_movk_i32 s4, 0x70
	s_add_i32 s43, s4, 16
	s_waitcnt vmcnt(0) lgkmcnt(0)
	scratch_store_dwordx4 off, v[2:5], off offset:32
	flat_load_dwordx4 v[2:5], v[8:9]
	v_lshl_add_u64 v[8:9], v[6:7], 4, s[0:1]
	v_add_u32_e32 v6, s5, v6
	v_accvgpr_write_b32 a4, v8
	v_ashrrev_i32_e32 v7, 31, v6
	v_accvgpr_write_b32 a5, v9
	s_waitcnt vmcnt(0) lgkmcnt(0)
	scratch_store_dwordx4 off, v[2:5], off offset:48
	flat_load_dwordx4 v[2:5], v[8:9]
	v_lshl_add_u64 v[8:9], v[6:7], 4, s[0:1]
	v_add_u32_e32 v6, s5, v6
	v_accvgpr_write_b32 a6, v8
	v_ashrrev_i32_e32 v7, 31, v6
	v_accvgpr_write_b32 a7, v9
	;; [unrolled: 8-line block ×27, first 2 shown]
	s_waitcnt vmcnt(0) lgkmcnt(0)
	scratch_store_dwordx4 off, v[2:5], off offset:464
	flat_load_dwordx4 v[2:5], v[8:9]
	v_lshl_add_u64 v[8:9], v[6:7], 4, s[0:1]
	v_add_u32_e32 v6, s5, v6
	v_ashrrev_i32_e32 v7, 31, v6
	v_lshl_add_u64 v[246:247], v[6:7], 4, s[0:1]
	v_add_u32_e32 v6, s5, v6
	v_ashrrev_i32_e32 v7, 31, v6
	;; [unrolled: 3-line block ×3, first 2 shown]
	v_lshl_add_u64 v[250:251], v[6:7], 4, s[0:1]
	s_movk_i32 s0, 0x50
	s_movk_i32 s1, 0x60
	;; [unrolled: 1-line block ×3, first 2 shown]
	v_accvgpr_write_b32 a59, v9
	s_add_i32 s45, s0, 16
	s_add_i32 s44, s1, 16
	;; [unrolled: 1-line block ×3, first 2 shown]
	v_accvgpr_write_b32 a58, v8
	s_bitcmp0_b32 s14, 0
	s_mov_b64 s[4:5], -1
	s_waitcnt vmcnt(0) lgkmcnt(0)
	scratch_store_dwordx4 off, v[2:5], off offset:480
	flat_load_dwordx4 v[2:5], v[8:9]
	s_waitcnt vmcnt(0) lgkmcnt(0)
	scratch_store_dwordx4 off, v[2:5], off offset:496
	flat_load_dwordx4 v[2:5], v[246:247]
	;; [unrolled: 3-line block ×4, first 2 shown]
	s_waitcnt vmcnt(0) lgkmcnt(0)
	scratch_store_dwordx4 off, v[2:5], off offset:544
	s_cbranch_scc1 .LBB97_148
; %bb.4:
	v_cmp_eq_u32_e64 s[0:1], 0, v0
	s_and_saveexec_b64 s[4:5], s[0:1]
; %bb.5:
	v_mov_b32_e32 v1, 0
	ds_write_b32 v1, v1 offset:1088
; %bb.6:
	s_or_b64 exec, exec, s[4:5]
	s_waitcnt lgkmcnt(0)
	; wave barrier
	scratch_load_dwordx4 v[2:5], v14, off offset:16
	s_waitcnt vmcnt(0)
	v_cmp_eq_f64_e32 vcc, 0, v[2:3]
	v_cmp_eq_f64_e64 s[4:5], 0, v[4:5]
	s_and_b64 s[4:5], vcc, s[4:5]
	s_and_saveexec_b64 s[12:13], s[4:5]
	s_cbranch_execz .LBB97_10
; %bb.7:
	v_mov_b32_e32 v1, 0
	ds_read_b32 v3, v1 offset:1088
	v_add_u32_e32 v2, 1, v0
	s_waitcnt lgkmcnt(0)
	v_readfirstlane_b32 s4, v3
	s_cmp_eq_u32 s4, 0
	s_cselect_b64 s[14:15], -1, 0
	v_cmp_gt_i32_e32 vcc, s4, v2
	s_or_b64 s[14:15], s[14:15], vcc
	s_and_b64 exec, exec, s[14:15]
	s_cbranch_execz .LBB97_10
; %bb.8:
	s_mov_b64 s[14:15], 0
	v_mov_b32_e32 v3, s4
.LBB97_9:                               ; =>This Inner Loop Header: Depth=1
	ds_cmpst_rtn_b32 v3, v1, v3, v2 offset:1088
	s_waitcnt lgkmcnt(0)
	v_cmp_ne_u32_e32 vcc, 0, v3
	v_cmp_le_i32_e64 s[4:5], v3, v2
	s_and_b64 s[4:5], vcc, s[4:5]
	s_and_b64 s[4:5], exec, s[4:5]
	s_or_b64 s[14:15], s[4:5], s[14:15]
	s_andn2_b64 exec, exec, s[14:15]
	s_cbranch_execnz .LBB97_9
.LBB97_10:
	s_or_b64 exec, exec, s[12:13]
	v_mov_b32_e32 v2, 0
	; wave barrier
	ds_read_b32 v1, v2 offset:1088
	s_and_saveexec_b64 s[4:5], s[0:1]
	s_cbranch_execz .LBB97_12
; %bb.11:
	s_lshl_b64 s[12:13], s[2:3], 2
	s_add_u32 s12, s6, s12
	s_addc_u32 s13, s7, s13
	s_waitcnt lgkmcnt(0)
	global_store_dword v2, v1, s[12:13]
.LBB97_12:
	s_or_b64 exec, exec, s[4:5]
	s_waitcnt lgkmcnt(0)
	v_cmp_ne_u32_e32 vcc, 0, v1
	s_mov_b64 s[4:5], 0
	s_cbranch_vccnz .LBB97_148
; %bb.13:
	v_add_u32_e32 v15, 16, v14
	scratch_load_dwordx4 v[2:5], v15, off
                                        ; implicit-def: $vgpr6_vgpr7
                                        ; implicit-def: $vgpr10_vgpr11
	s_waitcnt vmcnt(0)
	v_cmp_ngt_f64_e64 s[4:5], |v[2:3]|, |v[4:5]|
	s_and_saveexec_b64 s[12:13], s[4:5]
	s_xor_b64 s[4:5], exec, s[12:13]
	s_cbranch_execz .LBB97_15
; %bb.14:
	v_div_scale_f64 v[6:7], s[12:13], v[4:5], v[4:5], v[2:3]
	v_rcp_f64_e32 v[8:9], v[6:7]
	v_div_scale_f64 v[10:11], vcc, v[2:3], v[4:5], v[2:3]
	v_fma_f64 v[12:13], -v[6:7], v[8:9], 1.0
	v_fmac_f64_e32 v[8:9], v[8:9], v[12:13]
	v_fma_f64 v[12:13], -v[6:7], v[8:9], 1.0
	v_fmac_f64_e32 v[8:9], v[8:9], v[12:13]
	v_mul_f64 v[12:13], v[10:11], v[8:9]
	v_fma_f64 v[6:7], -v[6:7], v[12:13], v[10:11]
	v_div_fmas_f64 v[6:7], v[6:7], v[8:9], v[12:13]
	v_div_fixup_f64 v[6:7], v[6:7], v[4:5], v[2:3]
	v_fmac_f64_e32 v[4:5], v[2:3], v[6:7]
	v_div_scale_f64 v[2:3], s[12:13], v[4:5], v[4:5], 1.0
	v_rcp_f64_e32 v[8:9], v[2:3]
	s_nop 0
	v_fma_f64 v[10:11], -v[2:3], v[8:9], 1.0
	v_fmac_f64_e32 v[8:9], v[8:9], v[10:11]
	v_fma_f64 v[10:11], -v[2:3], v[8:9], 1.0
	v_fmac_f64_e32 v[8:9], v[8:9], v[10:11]
	v_div_scale_f64 v[10:11], vcc, 1.0, v[4:5], 1.0
	v_mul_f64 v[12:13], v[10:11], v[8:9]
	v_fma_f64 v[2:3], -v[2:3], v[12:13], v[10:11]
	s_nop 1
	v_div_fmas_f64 v[2:3], v[2:3], v[8:9], v[12:13]
	v_div_fixup_f64 v[8:9], v[2:3], v[4:5], 1.0
	v_mul_f64 v[6:7], v[6:7], v[8:9]
	v_xor_b32_e32 v9, 0x80000000, v9
	v_xor_b32_e32 v11, 0x80000000, v7
	v_mov_b32_e32 v10, v6
                                        ; implicit-def: $vgpr2_vgpr3
.LBB97_15:
	s_andn2_saveexec_b64 s[4:5], s[4:5]
	s_cbranch_execz .LBB97_17
; %bb.16:
	v_div_scale_f64 v[6:7], s[12:13], v[2:3], v[2:3], v[4:5]
	v_rcp_f64_e32 v[8:9], v[6:7]
	v_div_scale_f64 v[10:11], vcc, v[4:5], v[2:3], v[4:5]
	v_fma_f64 v[12:13], -v[6:7], v[8:9], 1.0
	v_fmac_f64_e32 v[8:9], v[8:9], v[12:13]
	v_fma_f64 v[12:13], -v[6:7], v[8:9], 1.0
	v_fmac_f64_e32 v[8:9], v[8:9], v[12:13]
	v_mul_f64 v[12:13], v[10:11], v[8:9]
	v_fma_f64 v[6:7], -v[6:7], v[12:13], v[10:11]
	v_div_fmas_f64 v[6:7], v[6:7], v[8:9], v[12:13]
	v_div_fixup_f64 v[8:9], v[6:7], v[2:3], v[4:5]
	v_fmac_f64_e32 v[2:3], v[4:5], v[8:9]
	v_div_scale_f64 v[4:5], s[12:13], v[2:3], v[2:3], 1.0
	v_rcp_f64_e32 v[6:7], v[4:5]
	s_nop 0
	v_fma_f64 v[10:11], -v[4:5], v[6:7], 1.0
	v_fmac_f64_e32 v[6:7], v[6:7], v[10:11]
	v_fma_f64 v[10:11], -v[4:5], v[6:7], 1.0
	v_fmac_f64_e32 v[6:7], v[6:7], v[10:11]
	v_div_scale_f64 v[10:11], vcc, 1.0, v[2:3], 1.0
	v_mul_f64 v[12:13], v[10:11], v[6:7]
	v_fma_f64 v[4:5], -v[4:5], v[12:13], v[10:11]
	s_nop 1
	v_div_fmas_f64 v[4:5], v[4:5], v[6:7], v[12:13]
	v_div_fixup_f64 v[6:7], v[4:5], v[2:3], 1.0
	v_xor_b32_e32 v11, 0x80000000, v7
	v_mov_b32_e32 v10, v6
	v_mul_f64 v[8:9], v[8:9], -v[6:7]
.LBB97_17:
	s_or_b64 exec, exec, s[4:5]
	scratch_store_dwordx4 v15, v[6:9], off
	scratch_load_dwordx4 v[2:5], off, s49
	v_xor_b32_e32 v13, 0x80000000, v9
	v_mov_b32_e32 v12, v8
	v_add_u32_e32 v1, 0x220, v14
	ds_write_b128 v14, v[10:13]
	s_waitcnt vmcnt(0)
	ds_write_b128 v14, v[2:5] offset:544
	s_waitcnt lgkmcnt(0)
	; wave barrier
	s_and_saveexec_b64 s[4:5], s[0:1]
	s_cbranch_execz .LBB97_19
; %bb.18:
	scratch_load_dwordx4 v[2:5], v15, off
	ds_read_b128 v[6:9], v1
	v_mov_b32_e32 v10, 0
	ds_read_b128 v[10:13], v10 offset:16
	s_waitcnt vmcnt(0) lgkmcnt(1)
	v_mul_f64 v[16:17], v[8:9], v[4:5]
	v_mul_f64 v[4:5], v[6:7], v[4:5]
	v_fma_f64 v[6:7], v[6:7], v[2:3], -v[16:17]
	v_fmac_f64_e32 v[4:5], v[8:9], v[2:3]
	v_add_f64 v[2:3], v[6:7], 0
	v_add_f64 v[6:7], v[4:5], 0
	s_waitcnt lgkmcnt(0)
	v_mul_f64 v[8:9], v[6:7], v[12:13]
	v_mul_f64 v[4:5], v[2:3], v[12:13]
	v_fma_f64 v[2:3], v[2:3], v[10:11], -v[8:9]
	v_fmac_f64_e32 v[4:5], v[6:7], v[10:11]
	scratch_store_dwordx4 off, v[2:5], off offset:32
.LBB97_19:
	s_or_b64 exec, exec, s[4:5]
	; wave barrier
	scratch_load_dwordx4 v[2:5], off, s48
	v_cmp_gt_u32_e32 vcc, 2, v0
	s_waitcnt vmcnt(0)
	ds_write_b128 v1, v[2:5]
	s_waitcnt lgkmcnt(0)
	; wave barrier
	s_and_saveexec_b64 s[4:5], vcc
	s_cbranch_execz .LBB97_23
; %bb.20:
	scratch_load_dwordx4 v[2:5], v15, off
	ds_read_b128 v[6:9], v1
	s_waitcnt vmcnt(0) lgkmcnt(0)
	v_mul_f64 v[10:11], v[8:9], v[4:5]
	v_mul_f64 v[12:13], v[6:7], v[4:5]
	v_fma_f64 v[4:5], v[6:7], v[2:3], -v[10:11]
	v_fmac_f64_e32 v[12:13], v[8:9], v[2:3]
	v_add_f64 v[4:5], v[4:5], 0
	v_add_f64 v[2:3], v[12:13], 0
	s_and_saveexec_b64 s[12:13], s[0:1]
	s_cbranch_execz .LBB97_22
; %bb.21:
	scratch_load_dwordx4 v[6:9], off, off offset:32
	v_mov_b32_e32 v10, 0
	ds_read_b128 v[10:13], v10 offset:560
	s_waitcnt vmcnt(0) lgkmcnt(0)
	v_mul_f64 v[16:17], v[10:11], v[8:9]
	v_mul_f64 v[8:9], v[12:13], v[8:9]
	v_fmac_f64_e32 v[16:17], v[12:13], v[6:7]
	v_fma_f64 v[6:7], v[10:11], v[6:7], -v[8:9]
	v_add_f64 v[2:3], v[2:3], v[16:17]
	v_add_f64 v[4:5], v[4:5], v[6:7]
.LBB97_22:
	s_or_b64 exec, exec, s[12:13]
	v_mov_b32_e32 v6, 0
	ds_read_b128 v[6:9], v6 offset:32
	s_waitcnt lgkmcnt(0)
	v_mul_f64 v[12:13], v[2:3], v[8:9]
	v_mul_f64 v[10:11], v[4:5], v[8:9]
	v_fma_f64 v[8:9], v[4:5], v[6:7], -v[12:13]
	v_fmac_f64_e32 v[10:11], v[2:3], v[6:7]
	scratch_store_dwordx4 off, v[8:11], off offset:48
.LBB97_23:
	s_or_b64 exec, exec, s[4:5]
	; wave barrier
	scratch_load_dwordx4 v[2:5], off, s47
	v_cmp_gt_u32_e32 vcc, 3, v0
	v_add_u32_e32 v6, -1, v0
	s_waitcnt vmcnt(0)
	ds_write_b128 v1, v[2:5]
	s_waitcnt lgkmcnt(0)
	; wave barrier
	s_and_saveexec_b64 s[0:1], vcc
	s_cbranch_execz .LBB97_27
; %bb.24:
	v_add_u32_e32 v7, -1, v0
	v_add_u32_e32 v8, 0x220, v14
	v_add_u32_e32 v9, 16, v14
	v_mov_b64_e32 v[2:3], 0
	s_mov_b64 s[4:5], 0
	v_mov_b64_e32 v[4:5], 0
.LBB97_25:                              ; =>This Inner Loop Header: Depth=1
	scratch_load_dwordx4 v[10:13], v9, off
	ds_read_b128 v[16:19], v8
	v_add_u32_e32 v7, 1, v7
	v_cmp_lt_u32_e32 vcc, 1, v7
	v_add_u32_e32 v8, 16, v8
	v_add_u32_e32 v9, 16, v9
	s_or_b64 s[4:5], vcc, s[4:5]
	s_waitcnt vmcnt(0) lgkmcnt(0)
	v_mul_f64 v[20:21], v[18:19], v[12:13]
	v_mul_f64 v[12:13], v[16:17], v[12:13]
	v_fma_f64 v[16:17], v[16:17], v[10:11], -v[20:21]
	v_fmac_f64_e32 v[12:13], v[18:19], v[10:11]
	v_add_f64 v[4:5], v[4:5], v[16:17]
	v_add_f64 v[2:3], v[2:3], v[12:13]
	s_andn2_b64 exec, exec, s[4:5]
	s_cbranch_execnz .LBB97_25
; %bb.26:
	s_or_b64 exec, exec, s[4:5]
	v_mov_b32_e32 v7, 0
	ds_read_b128 v[8:11], v7 offset:48
	s_waitcnt lgkmcnt(0)
	v_mul_f64 v[16:17], v[2:3], v[10:11]
	v_mul_f64 v[12:13], v[4:5], v[10:11]
	v_fma_f64 v[10:11], v[4:5], v[8:9], -v[16:17]
	v_fmac_f64_e32 v[12:13], v[2:3], v[8:9]
	scratch_store_dwordx4 off, v[10:13], off offset:64
.LBB97_27:
	s_or_b64 exec, exec, s[0:1]
	; wave barrier
	scratch_load_dwordx4 v[2:5], off, s46
	v_cmp_gt_u32_e32 vcc, 4, v0
	s_waitcnt vmcnt(0)
	ds_write_b128 v1, v[2:5]
	s_waitcnt lgkmcnt(0)
	; wave barrier
	s_and_saveexec_b64 s[0:1], vcc
	s_cbranch_execz .LBB97_31
; %bb.28:
	v_add_u32_e32 v7, -1, v0
	v_add_u32_e32 v8, 0x220, v14
	v_add_u32_e32 v9, 16, v14
	v_mov_b64_e32 v[2:3], 0
	s_mov_b64 s[4:5], 0
	v_mov_b64_e32 v[4:5], 0
.LBB97_29:                              ; =>This Inner Loop Header: Depth=1
	scratch_load_dwordx4 v[10:13], v9, off
	ds_read_b128 v[16:19], v8
	v_add_u32_e32 v7, 1, v7
	v_cmp_lt_u32_e32 vcc, 2, v7
	v_add_u32_e32 v8, 16, v8
	v_add_u32_e32 v9, 16, v9
	s_or_b64 s[4:5], vcc, s[4:5]
	s_waitcnt vmcnt(0) lgkmcnt(0)
	v_mul_f64 v[20:21], v[18:19], v[12:13]
	v_mul_f64 v[12:13], v[16:17], v[12:13]
	v_fma_f64 v[16:17], v[16:17], v[10:11], -v[20:21]
	v_fmac_f64_e32 v[12:13], v[18:19], v[10:11]
	v_add_f64 v[4:5], v[4:5], v[16:17]
	v_add_f64 v[2:3], v[2:3], v[12:13]
	s_andn2_b64 exec, exec, s[4:5]
	s_cbranch_execnz .LBB97_29
; %bb.30:
	s_or_b64 exec, exec, s[4:5]
	v_mov_b32_e32 v7, 0
	ds_read_b128 v[8:11], v7 offset:64
	s_waitcnt lgkmcnt(0)
	v_mul_f64 v[16:17], v[2:3], v[10:11]
	v_mul_f64 v[12:13], v[4:5], v[10:11]
	v_fma_f64 v[10:11], v[4:5], v[8:9], -v[16:17]
	v_fmac_f64_e32 v[12:13], v[2:3], v[8:9]
	scratch_store_dwordx4 off, v[10:13], off offset:80
.LBB97_31:
	s_or_b64 exec, exec, s[0:1]
	; wave barrier
	scratch_load_dwordx4 v[2:5], off, s45
	v_cmp_gt_u32_e32 vcc, 5, v0
	;; [unrolled: 45-line block ×19, first 2 shown]
	s_waitcnt vmcnt(0)
	ds_write_b128 v1, v[2:5]
	s_waitcnt lgkmcnt(0)
	; wave barrier
	s_and_saveexec_b64 s[0:1], vcc
	s_cbranch_execz .LBB97_103
; %bb.100:
	v_add_u32_e32 v7, -1, v0
	v_add_u32_e32 v8, 0x220, v14
	v_add_u32_e32 v9, 16, v14
	v_mov_b64_e32 v[2:3], 0
	s_mov_b64 s[4:5], 0
	v_mov_b64_e32 v[4:5], 0
.LBB97_101:                             ; =>This Inner Loop Header: Depth=1
	scratch_load_dwordx4 v[10:13], v9, off
	ds_read_b128 v[16:19], v8
	v_add_u32_e32 v7, 1, v7
	v_cmp_lt_u32_e32 vcc, 20, v7
	v_add_u32_e32 v8, 16, v8
	v_add_u32_e32 v9, 16, v9
	s_or_b64 s[4:5], vcc, s[4:5]
	s_waitcnt vmcnt(0) lgkmcnt(0)
	v_mul_f64 v[20:21], v[18:19], v[12:13]
	v_mul_f64 v[12:13], v[16:17], v[12:13]
	v_fma_f64 v[16:17], v[16:17], v[10:11], -v[20:21]
	v_fmac_f64_e32 v[12:13], v[18:19], v[10:11]
	v_add_f64 v[4:5], v[4:5], v[16:17]
	v_add_f64 v[2:3], v[2:3], v[12:13]
	s_andn2_b64 exec, exec, s[4:5]
	s_cbranch_execnz .LBB97_101
; %bb.102:
	s_or_b64 exec, exec, s[4:5]
	v_mov_b32_e32 v7, 0
	ds_read_b128 v[8:11], v7 offset:352
	s_waitcnt lgkmcnt(0)
	v_mul_f64 v[16:17], v[2:3], v[10:11]
	v_mul_f64 v[12:13], v[4:5], v[10:11]
	v_fma_f64 v[10:11], v[4:5], v[8:9], -v[16:17]
	v_fmac_f64_e32 v[12:13], v[2:3], v[8:9]
	scratch_store_dwordx4 off, v[10:13], off offset:368
.LBB97_103:
	s_or_b64 exec, exec, s[0:1]
	; wave barrier
	scratch_load_dwordx4 v[2:5], off, s26
	v_cmp_gt_u32_e32 vcc, 23, v0
	s_waitcnt vmcnt(0)
	ds_write_b128 v1, v[2:5]
	s_waitcnt lgkmcnt(0)
	; wave barrier
	s_and_saveexec_b64 s[0:1], vcc
	s_cbranch_execz .LBB97_107
; %bb.104:
	v_add_u32_e32 v7, -1, v0
	v_add_u32_e32 v8, 0x220, v14
	v_add_u32_e32 v9, 16, v14
	v_mov_b64_e32 v[2:3], 0
	s_mov_b64 s[4:5], 0
	v_mov_b64_e32 v[4:5], 0
.LBB97_105:                             ; =>This Inner Loop Header: Depth=1
	scratch_load_dwordx4 v[10:13], v9, off
	ds_read_b128 v[16:19], v8
	v_add_u32_e32 v7, 1, v7
	v_cmp_lt_u32_e32 vcc, 21, v7
	v_add_u32_e32 v8, 16, v8
	v_add_u32_e32 v9, 16, v9
	s_or_b64 s[4:5], vcc, s[4:5]
	s_waitcnt vmcnt(0) lgkmcnt(0)
	v_mul_f64 v[20:21], v[18:19], v[12:13]
	v_mul_f64 v[12:13], v[16:17], v[12:13]
	v_fma_f64 v[16:17], v[16:17], v[10:11], -v[20:21]
	v_fmac_f64_e32 v[12:13], v[18:19], v[10:11]
	v_add_f64 v[4:5], v[4:5], v[16:17]
	v_add_f64 v[2:3], v[2:3], v[12:13]
	s_andn2_b64 exec, exec, s[4:5]
	s_cbranch_execnz .LBB97_105
; %bb.106:
	s_or_b64 exec, exec, s[4:5]
	v_mov_b32_e32 v7, 0
	ds_read_b128 v[8:11], v7 offset:368
	s_waitcnt lgkmcnt(0)
	v_mul_f64 v[16:17], v[2:3], v[10:11]
	v_mul_f64 v[12:13], v[4:5], v[10:11]
	v_fma_f64 v[10:11], v[4:5], v[8:9], -v[16:17]
	v_fmac_f64_e32 v[12:13], v[2:3], v[8:9]
	scratch_store_dwordx4 off, v[10:13], off offset:384
.LBB97_107:
	s_or_b64 exec, exec, s[0:1]
	; wave barrier
	scratch_load_dwordx4 v[2:5], off, s25
	v_cmp_gt_u32_e32 vcc, 24, v0
	;; [unrolled: 45-line block ×10, first 2 shown]
	s_waitcnt vmcnt(0)
	ds_write_b128 v1, v[2:5]
	s_waitcnt lgkmcnt(0)
	; wave barrier
	s_and_saveexec_b64 s[0:1], vcc
	s_cbranch_execz .LBB97_143
; %bb.140:
	v_add_u32_e32 v7, -1, v0
	v_add_u32_e32 v8, 0x220, v14
	v_add_u32_e32 v9, 16, v14
	v_mov_b64_e32 v[2:3], 0
	s_mov_b64 s[4:5], 0
	v_mov_b64_e32 v[4:5], 0
.LBB97_141:                             ; =>This Inner Loop Header: Depth=1
	scratch_load_dwordx4 v[10:13], v9, off
	ds_read_b128 v[16:19], v8
	v_add_u32_e32 v7, 1, v7
	v_cmp_lt_u32_e32 vcc, 30, v7
	v_add_u32_e32 v8, 16, v8
	v_add_u32_e32 v9, 16, v9
	s_or_b64 s[4:5], vcc, s[4:5]
	s_waitcnt vmcnt(0) lgkmcnt(0)
	v_mul_f64 v[20:21], v[18:19], v[12:13]
	v_mul_f64 v[12:13], v[16:17], v[12:13]
	v_fma_f64 v[16:17], v[16:17], v[10:11], -v[20:21]
	v_fmac_f64_e32 v[12:13], v[18:19], v[10:11]
	v_add_f64 v[4:5], v[4:5], v[16:17]
	v_add_f64 v[2:3], v[2:3], v[12:13]
	s_andn2_b64 exec, exec, s[4:5]
	s_cbranch_execnz .LBB97_141
; %bb.142:
	s_or_b64 exec, exec, s[4:5]
	v_mov_b32_e32 v7, 0
	ds_read_b128 v[8:11], v7 offset:512
	s_waitcnt lgkmcnt(0)
	v_mul_f64 v[16:17], v[2:3], v[10:11]
	v_mul_f64 v[12:13], v[4:5], v[10:11]
	v_fma_f64 v[10:11], v[4:5], v[8:9], -v[16:17]
	v_fmac_f64_e32 v[12:13], v[2:3], v[8:9]
	scratch_store_dwordx4 off, v[10:13], off offset:528
.LBB97_143:
	s_or_b64 exec, exec, s[0:1]
	; wave barrier
	scratch_load_dwordx4 v[2:5], off, s16
	v_cmp_ne_u32_e32 vcc, 33, v0
	s_waitcnt vmcnt(0)
	ds_write_b128 v1, v[2:5]
	s_waitcnt lgkmcnt(0)
	; wave barrier
	s_and_saveexec_b64 s[0:1], vcc
	s_cbranch_execz .LBB97_147
; %bb.144:
	v_add_u32_e32 v1, 0x220, v14
	v_add_u32_e32 v7, 16, v14
	v_mov_b64_e32 v[2:3], 0
	s_mov_b64 s[4:5], 0
	v_mov_b64_e32 v[4:5], 0
.LBB97_145:                             ; =>This Inner Loop Header: Depth=1
	scratch_load_dwordx4 v[8:11], v7, off
	ds_read_b128 v[12:15], v1
	v_add_u32_e32 v6, 1, v6
	v_cmp_lt_u32_e32 vcc, 31, v6
	v_add_u32_e32 v1, 16, v1
	v_add_u32_e32 v7, 16, v7
	s_or_b64 s[4:5], vcc, s[4:5]
	s_waitcnt vmcnt(0) lgkmcnt(0)
	v_mul_f64 v[16:17], v[14:15], v[10:11]
	v_mul_f64 v[10:11], v[12:13], v[10:11]
	v_fma_f64 v[12:13], v[12:13], v[8:9], -v[16:17]
	v_fmac_f64_e32 v[10:11], v[14:15], v[8:9]
	v_add_f64 v[4:5], v[4:5], v[12:13]
	v_add_f64 v[2:3], v[2:3], v[10:11]
	s_andn2_b64 exec, exec, s[4:5]
	s_cbranch_execnz .LBB97_145
; %bb.146:
	s_or_b64 exec, exec, s[4:5]
	v_mov_b32_e32 v1, 0
	ds_read_b128 v[6:9], v1 offset:528
	s_waitcnt lgkmcnt(0)
	v_mul_f64 v[12:13], v[2:3], v[8:9]
	v_mul_f64 v[10:11], v[4:5], v[8:9]
	v_fma_f64 v[8:9], v[4:5], v[6:7], -v[12:13]
	v_fmac_f64_e32 v[10:11], v[2:3], v[6:7]
	scratch_store_dwordx4 off, v[8:11], off offset:544
.LBB97_147:
	s_or_b64 exec, exec, s[0:1]
	s_mov_b64 s[4:5], -1
	; wave barrier
.LBB97_148:
	s_and_b64 vcc, exec, s[4:5]
	s_cbranch_vccz .LBB97_150
; %bb.149:
	s_lshl_b64 s[0:1], s[2:3], 2
	s_add_u32 s0, s6, s0
	s_addc_u32 s1, s7, s1
	v_mov_b32_e32 v1, 0
	global_load_dword v1, v1, s[0:1]
	s_waitcnt vmcnt(0)
	v_cmp_ne_u32_e32 vcc, 0, v1
	s_cbranch_vccz .LBB97_151
.LBB97_150:
	s_endpgm
.LBB97_151:
	v_mov_b32_e32 v1, 0x220
	v_lshl_add_u32 v1, v0, 4, v1
	v_cmp_eq_u32_e32 vcc, 33, v0
	s_and_saveexec_b64 s[0:1], vcc
	s_cbranch_execz .LBB97_153
; %bb.152:
	scratch_load_dwordx4 v[2:5], off, s17
	v_mov_b32_e32 v6, 0
	v_mov_b32_e32 v7, v6
	;; [unrolled: 1-line block ×4, first 2 shown]
	scratch_store_dwordx4 off, v[6:9], off offset:528
	s_waitcnt vmcnt(1)
	ds_write_b128 v1, v[2:5]
.LBB97_153:
	s_or_b64 exec, exec, s[0:1]
	s_waitcnt lgkmcnt(0)
	; wave barrier
	scratch_load_dwordx4 v[4:7], off, off offset:544
	scratch_load_dwordx4 v[8:11], off, off offset:528
	v_mov_b32_e32 v2, 0
	ds_read_b128 v[12:15], v2 offset:1072
	v_cmp_lt_u32_e32 vcc, 31, v0
	s_waitcnt vmcnt(1) lgkmcnt(0)
	v_mul_f64 v[16:17], v[12:13], v[6:7]
	v_mul_f64 v[6:7], v[14:15], v[6:7]
	v_fmac_f64_e32 v[16:17], v[14:15], v[4:5]
	v_fma_f64 v[4:5], v[12:13], v[4:5], -v[6:7]
	v_add_f64 v[6:7], v[16:17], 0
	v_add_f64 v[4:5], v[4:5], 0
	s_waitcnt vmcnt(0)
	v_add_f64 v[4:5], v[8:9], -v[4:5]
	v_add_f64 v[6:7], v[10:11], -v[6:7]
	scratch_store_dwordx4 off, v[4:7], off offset:528
	s_and_saveexec_b64 s[0:1], vcc
	s_cbranch_execz .LBB97_155
; %bb.154:
	scratch_load_dwordx4 v[6:9], off, s18
	v_mov_b32_e32 v3, v2
	v_mov_b32_e32 v4, v2
	;; [unrolled: 1-line block ×3, first 2 shown]
	scratch_store_dwordx4 off, v[2:5], off offset:512
	s_waitcnt vmcnt(1)
	ds_write_b128 v1, v[6:9]
.LBB97_155:
	s_or_b64 exec, exec, s[0:1]
	s_waitcnt lgkmcnt(0)
	; wave barrier
	scratch_load_dwordx4 v[4:7], off, off offset:528
	scratch_load_dwordx4 v[8:11], off, off offset:544
	;; [unrolled: 1-line block ×3, first 2 shown]
	ds_read_b128 v[16:19], v2 offset:1056
	ds_read_b128 v[20:23], v2 offset:1072
	v_cmp_lt_u32_e32 vcc, 30, v0
	s_waitcnt vmcnt(2) lgkmcnt(1)
	v_mul_f64 v[2:3], v[16:17], v[6:7]
	v_mul_f64 v[6:7], v[18:19], v[6:7]
	s_waitcnt vmcnt(1) lgkmcnt(0)
	v_mul_f64 v[24:25], v[20:21], v[10:11]
	v_mul_f64 v[10:11], v[22:23], v[10:11]
	v_fmac_f64_e32 v[2:3], v[18:19], v[4:5]
	v_fma_f64 v[4:5], v[16:17], v[4:5], -v[6:7]
	v_fmac_f64_e32 v[24:25], v[22:23], v[8:9]
	v_fma_f64 v[6:7], v[20:21], v[8:9], -v[10:11]
	v_add_f64 v[2:3], v[2:3], 0
	v_add_f64 v[4:5], v[4:5], 0
	;; [unrolled: 1-line block ×4, first 2 shown]
	s_waitcnt vmcnt(0)
	v_add_f64 v[2:3], v[12:13], -v[2:3]
	v_add_f64 v[4:5], v[14:15], -v[8:9]
	scratch_store_dwordx4 off, v[2:5], off offset:512
	s_and_saveexec_b64 s[0:1], vcc
	s_cbranch_execz .LBB97_157
; %bb.156:
	scratch_load_dwordx4 v[2:5], off, s19
	v_mov_b32_e32 v6, 0
	v_mov_b32_e32 v7, v6
	;; [unrolled: 1-line block ×4, first 2 shown]
	scratch_store_dwordx4 off, v[6:9], off offset:496
	s_waitcnt vmcnt(1)
	ds_write_b128 v1, v[2:5]
.LBB97_157:
	s_or_b64 exec, exec, s[0:1]
	s_waitcnt lgkmcnt(0)
	; wave barrier
	scratch_load_dwordx4 v[4:7], off, off offset:512
	scratch_load_dwordx4 v[8:11], off, off offset:528
	;; [unrolled: 1-line block ×4, first 2 shown]
	v_mov_b32_e32 v2, 0
	ds_read_b128 v[20:23], v2 offset:1040
	ds_read_b128 v[24:27], v2 offset:1056
	;; [unrolled: 1-line block ×3, first 2 shown]
	v_cmp_lt_u32_e32 vcc, 29, v0
	s_waitcnt vmcnt(3) lgkmcnt(2)
	v_mul_f64 v[32:33], v[20:21], v[6:7]
	v_mul_f64 v[6:7], v[22:23], v[6:7]
	s_waitcnt vmcnt(2) lgkmcnt(1)
	v_mul_f64 v[34:35], v[24:25], v[10:11]
	v_mul_f64 v[10:11], v[26:27], v[10:11]
	v_fmac_f64_e32 v[32:33], v[22:23], v[4:5]
	v_fma_f64 v[4:5], v[20:21], v[4:5], -v[6:7]
	s_waitcnt vmcnt(1) lgkmcnt(0)
	v_mul_f64 v[36:37], v[28:29], v[14:15]
	v_mul_f64 v[14:15], v[30:31], v[14:15]
	v_fmac_f64_e32 v[34:35], v[26:27], v[8:9]
	v_fma_f64 v[6:7], v[24:25], v[8:9], -v[10:11]
	v_add_f64 v[10:11], v[32:33], 0
	v_add_f64 v[4:5], v[4:5], 0
	v_fmac_f64_e32 v[36:37], v[30:31], v[12:13]
	v_fma_f64 v[8:9], v[28:29], v[12:13], -v[14:15]
	v_add_f64 v[10:11], v[10:11], v[34:35]
	v_add_f64 v[4:5], v[4:5], v[6:7]
	;; [unrolled: 1-line block ×4, first 2 shown]
	s_waitcnt vmcnt(0)
	v_add_f64 v[4:5], v[16:17], -v[4:5]
	v_add_f64 v[6:7], v[18:19], -v[6:7]
	scratch_store_dwordx4 off, v[4:7], off offset:496
	s_and_saveexec_b64 s[0:1], vcc
	s_cbranch_execz .LBB97_159
; %bb.158:
	scratch_load_dwordx4 v[6:9], off, s20
	v_mov_b32_e32 v3, v2
	v_mov_b32_e32 v4, v2
	;; [unrolled: 1-line block ×3, first 2 shown]
	scratch_store_dwordx4 off, v[2:5], off offset:480
	s_waitcnt vmcnt(1)
	ds_write_b128 v1, v[6:9]
.LBB97_159:
	s_or_b64 exec, exec, s[0:1]
	s_waitcnt lgkmcnt(0)
	; wave barrier
	scratch_load_dwordx4 v[4:7], off, off offset:496
	scratch_load_dwordx4 v[8:11], off, off offset:512
	scratch_load_dwordx4 v[12:15], off, off offset:528
	scratch_load_dwordx4 v[16:19], off, off offset:544
	scratch_load_dwordx4 v[20:23], off, off offset:480
	ds_read_b128 v[24:27], v2 offset:1024
	ds_read_b128 v[28:31], v2 offset:1040
	;; [unrolled: 1-line block ×4, first 2 shown]
	v_cmp_lt_u32_e32 vcc, 28, v0
	s_waitcnt vmcnt(4) lgkmcnt(3)
	v_mul_f64 v[2:3], v[24:25], v[6:7]
	v_mul_f64 v[6:7], v[26:27], v[6:7]
	s_waitcnt vmcnt(3) lgkmcnt(2)
	v_mul_f64 v[40:41], v[28:29], v[10:11]
	v_mul_f64 v[10:11], v[30:31], v[10:11]
	v_fmac_f64_e32 v[2:3], v[26:27], v[4:5]
	v_fma_f64 v[4:5], v[24:25], v[4:5], -v[6:7]
	s_waitcnt vmcnt(2) lgkmcnt(1)
	v_mul_f64 v[42:43], v[32:33], v[14:15]
	v_mul_f64 v[14:15], v[34:35], v[14:15]
	v_fmac_f64_e32 v[40:41], v[30:31], v[8:9]
	v_fma_f64 v[6:7], v[28:29], v[8:9], -v[10:11]
	v_add_f64 v[2:3], v[2:3], 0
	v_add_f64 v[4:5], v[4:5], 0
	s_waitcnt vmcnt(1) lgkmcnt(0)
	v_mul_f64 v[44:45], v[36:37], v[18:19]
	v_mul_f64 v[18:19], v[38:39], v[18:19]
	v_fmac_f64_e32 v[42:43], v[34:35], v[12:13]
	v_fma_f64 v[8:9], v[32:33], v[12:13], -v[14:15]
	v_add_f64 v[2:3], v[2:3], v[40:41]
	v_add_f64 v[4:5], v[4:5], v[6:7]
	v_fmac_f64_e32 v[44:45], v[38:39], v[16:17]
	v_fma_f64 v[10:11], v[36:37], v[16:17], -v[18:19]
	v_add_f64 v[2:3], v[2:3], v[42:43]
	v_add_f64 v[4:5], v[4:5], v[8:9]
	;; [unrolled: 1-line block ×4, first 2 shown]
	s_waitcnt vmcnt(0)
	v_add_f64 v[2:3], v[20:21], -v[2:3]
	v_add_f64 v[4:5], v[22:23], -v[6:7]
	scratch_store_dwordx4 off, v[2:5], off offset:480
	s_and_saveexec_b64 s[0:1], vcc
	s_cbranch_execz .LBB97_161
; %bb.160:
	scratch_load_dwordx4 v[2:5], off, s21
	v_mov_b32_e32 v6, 0
	v_mov_b32_e32 v7, v6
	;; [unrolled: 1-line block ×4, first 2 shown]
	scratch_store_dwordx4 off, v[6:9], off offset:464
	s_waitcnt vmcnt(1)
	ds_write_b128 v1, v[2:5]
.LBB97_161:
	s_or_b64 exec, exec, s[0:1]
	s_waitcnt lgkmcnt(0)
	; wave barrier
	scratch_load_dwordx4 v[4:7], off, off offset:480
	scratch_load_dwordx4 v[8:11], off, off offset:496
	;; [unrolled: 1-line block ×6, first 2 shown]
	v_mov_b32_e32 v2, 0
	ds_read_b128 v[28:31], v2 offset:1008
	ds_read_b128 v[32:35], v2 offset:1024
	;; [unrolled: 1-line block ×5, first 2 shown]
	v_cmp_lt_u32_e32 vcc, 27, v0
	s_waitcnt vmcnt(5) lgkmcnt(4)
	v_mul_f64 v[48:49], v[28:29], v[6:7]
	v_mul_f64 v[6:7], v[30:31], v[6:7]
	s_waitcnt vmcnt(4) lgkmcnt(3)
	v_mul_f64 v[50:51], v[32:33], v[10:11]
	s_waitcnt vmcnt(3) lgkmcnt(2)
	v_mul_f64 v[52:53], v[36:37], v[14:15]
	v_mul_f64 v[10:11], v[34:35], v[10:11]
	;; [unrolled: 1-line block ×3, first 2 shown]
	v_fmac_f64_e32 v[48:49], v[30:31], v[4:5]
	v_fma_f64 v[4:5], v[28:29], v[4:5], -v[6:7]
	v_fmac_f64_e32 v[50:51], v[34:35], v[8:9]
	v_fma_f64 v[6:7], v[32:33], v[8:9], -v[10:11]
	v_fma_f64 v[8:9], v[36:37], v[12:13], -v[14:15]
	v_add_f64 v[14:15], v[48:49], 0
	v_add_f64 v[4:5], v[4:5], 0
	s_waitcnt vmcnt(2) lgkmcnt(1)
	v_mul_f64 v[54:55], v[40:41], v[18:19]
	v_mul_f64 v[18:19], v[42:43], v[18:19]
	v_fmac_f64_e32 v[52:53], v[38:39], v[12:13]
	v_add_f64 v[14:15], v[14:15], v[50:51]
	v_add_f64 v[4:5], v[4:5], v[6:7]
	s_waitcnt vmcnt(1) lgkmcnt(0)
	v_mul_f64 v[56:57], v[44:45], v[22:23]
	v_mul_f64 v[22:23], v[46:47], v[22:23]
	v_fmac_f64_e32 v[54:55], v[42:43], v[16:17]
	v_fma_f64 v[10:11], v[40:41], v[16:17], -v[18:19]
	v_add_f64 v[6:7], v[14:15], v[52:53]
	v_add_f64 v[4:5], v[4:5], v[8:9]
	v_fmac_f64_e32 v[56:57], v[46:47], v[20:21]
	v_fma_f64 v[12:13], v[44:45], v[20:21], -v[22:23]
	v_add_f64 v[6:7], v[6:7], v[54:55]
	v_add_f64 v[4:5], v[4:5], v[10:11]
	;; [unrolled: 1-line block ×4, first 2 shown]
	s_waitcnt vmcnt(0)
	v_add_f64 v[4:5], v[24:25], -v[4:5]
	v_add_f64 v[6:7], v[26:27], -v[6:7]
	scratch_store_dwordx4 off, v[4:7], off offset:464
	s_and_saveexec_b64 s[0:1], vcc
	s_cbranch_execz .LBB97_163
; %bb.162:
	scratch_load_dwordx4 v[6:9], off, s22
	v_mov_b32_e32 v3, v2
	v_mov_b32_e32 v4, v2
	;; [unrolled: 1-line block ×3, first 2 shown]
	scratch_store_dwordx4 off, v[2:5], off offset:448
	s_waitcnt vmcnt(1)
	ds_write_b128 v1, v[6:9]
.LBB97_163:
	s_or_b64 exec, exec, s[0:1]
	s_waitcnt lgkmcnt(0)
	; wave barrier
	ds_read_b128 v[4:7], v2 offset:992
	ds_read_b128 v[8:11], v2 offset:1008
	;; [unrolled: 1-line block ×4, first 2 shown]
	scratch_load_dwordx4 v[20:23], off, off offset:464
	scratch_load_dwordx4 v[40:43], off, off offset:528
	v_cmp_lt_u32_e32 vcc, 26, v0
	scratch_load_dwordx4 v[48:51], off, off offset:544
	s_waitcnt vmcnt(2) lgkmcnt(3)
	v_mul_f64 v[24:25], v[4:5], v[22:23]
	v_fmac_f64_e32 v[24:25], v[6:7], v[20:21]
	v_add_f64 v[28:29], v[24:25], 0
	scratch_load_dwordx4 v[24:27], off, off offset:480
	s_waitcnt vmcnt(0) lgkmcnt(2)
	v_mul_f64 v[30:31], v[8:9], v[26:27]
	v_fmac_f64_e32 v[30:31], v[10:11], v[24:25]
	v_add_f64 v[32:33], v[28:29], v[30:31]
	;; [unrolled: 5-line block ×4, first 2 shown]
	ds_read_b128 v[36:39], v2 offset:1056
	s_waitcnt lgkmcnt(0)
	v_mul_f64 v[46:47], v[36:37], v[42:43]
	v_fmac_f64_e32 v[46:47], v[38:39], v[40:41]
	v_add_f64 v[52:53], v[44:45], v[46:47]
	ds_read_b128 v[44:47], v2 offset:1072
	s_waitcnt lgkmcnt(0)
	v_mul_f64 v[2:3], v[44:45], v[50:51]
	v_fmac_f64_e32 v[2:3], v[46:47], v[48:49]
	v_add_f64 v[52:53], v[52:53], v[2:3]
	v_mul_f64 v[2:3], v[6:7], v[22:23]
	v_fma_f64 v[2:3], v[4:5], v[20:21], -v[2:3]
	v_mul_f64 v[4:5], v[10:11], v[26:27]
	v_add_f64 v[2:3], v[2:3], 0
	v_fma_f64 v[4:5], v[8:9], v[24:25], -v[4:5]
	v_add_f64 v[2:3], v[2:3], v[4:5]
	v_mul_f64 v[4:5], v[14:15], v[30:31]
	v_fma_f64 v[4:5], v[12:13], v[28:29], -v[4:5]
	v_add_f64 v[2:3], v[2:3], v[4:5]
	v_mul_f64 v[4:5], v[18:19], v[34:35]
	;; [unrolled: 3-line block ×4, first 2 shown]
	v_fma_f64 v[4:5], v[44:45], v[48:49], -v[4:5]
	v_add_f64 v[6:7], v[2:3], v[4:5]
	scratch_load_dwordx4 v[2:5], off, off offset:448
	s_waitcnt vmcnt(0)
	v_add_f64 v[2:3], v[2:3], -v[6:7]
	v_add_f64 v[4:5], v[4:5], -v[52:53]
	scratch_store_dwordx4 off, v[2:5], off offset:448
	s_and_saveexec_b64 s[0:1], vcc
	s_cbranch_execz .LBB97_165
; %bb.164:
	scratch_load_dwordx4 v[2:5], off, s23
	v_mov_b32_e32 v6, 0
	v_mov_b32_e32 v7, v6
	;; [unrolled: 1-line block ×4, first 2 shown]
	scratch_store_dwordx4 off, v[6:9], off offset:432
	s_waitcnt vmcnt(1)
	ds_write_b128 v1, v[2:5]
.LBB97_165:
	s_or_b64 exec, exec, s[0:1]
	s_waitcnt lgkmcnt(0)
	; wave barrier
	scratch_load_dwordx4 v[4:7], off, off offset:448
	scratch_load_dwordx4 v[8:11], off, off offset:464
	;; [unrolled: 1-line block ×8, first 2 shown]
	v_mov_b32_e32 v2, 0
	ds_read_b128 v[36:39], v2 offset:976
	ds_read_b128 v[40:43], v2 offset:992
	;; [unrolled: 1-line block ×7, first 2 shown]
	v_cmp_lt_u32_e32 vcc, 25, v0
	s_waitcnt vmcnt(7) lgkmcnt(6)
	v_mul_f64 v[64:65], v[36:37], v[6:7]
	v_mul_f64 v[6:7], v[38:39], v[6:7]
	s_waitcnt vmcnt(6) lgkmcnt(5)
	v_mul_f64 v[66:67], v[40:41], v[10:11]
	s_waitcnt vmcnt(4) lgkmcnt(3)
	v_mul_f64 v[70:71], v[48:49], v[18:19]
	v_mul_f64 v[10:11], v[42:43], v[10:11]
	;; [unrolled: 1-line block ×3, first 2 shown]
	v_fmac_f64_e32 v[64:65], v[38:39], v[4:5]
	v_fma_f64 v[4:5], v[36:37], v[4:5], -v[6:7]
	v_mul_f64 v[68:69], v[44:45], v[14:15]
	v_mul_f64 v[14:15], v[46:47], v[14:15]
	v_fmac_f64_e32 v[66:67], v[42:43], v[8:9]
	v_fma_f64 v[6:7], v[40:41], v[8:9], -v[10:11]
	v_fma_f64 v[10:11], v[48:49], v[16:17], -v[18:19]
	v_add_f64 v[18:19], v[64:65], 0
	v_add_f64 v[4:5], v[4:5], 0
	v_fmac_f64_e32 v[68:69], v[46:47], v[12:13]
	v_fma_f64 v[8:9], v[44:45], v[12:13], -v[14:15]
	v_add_f64 v[18:19], v[18:19], v[66:67]
	v_add_f64 v[4:5], v[4:5], v[6:7]
	s_waitcnt vmcnt(3) lgkmcnt(2)
	v_mul_f64 v[72:73], v[52:53], v[22:23]
	v_mul_f64 v[22:23], v[54:55], v[22:23]
	v_fmac_f64_e32 v[70:71], v[50:51], v[16:17]
	v_add_f64 v[6:7], v[18:19], v[68:69]
	v_add_f64 v[4:5], v[4:5], v[8:9]
	s_waitcnt vmcnt(2) lgkmcnt(1)
	v_mul_f64 v[74:75], v[56:57], v[26:27]
	v_mul_f64 v[26:27], v[58:59], v[26:27]
	v_fmac_f64_e32 v[72:73], v[54:55], v[20:21]
	v_fma_f64 v[12:13], v[52:53], v[20:21], -v[22:23]
	v_add_f64 v[6:7], v[6:7], v[70:71]
	v_add_f64 v[4:5], v[4:5], v[10:11]
	s_waitcnt vmcnt(1) lgkmcnt(0)
	v_mul_f64 v[76:77], v[60:61], v[30:31]
	v_mul_f64 v[30:31], v[62:63], v[30:31]
	v_fmac_f64_e32 v[74:75], v[58:59], v[24:25]
	v_fma_f64 v[14:15], v[56:57], v[24:25], -v[26:27]
	v_add_f64 v[6:7], v[6:7], v[72:73]
	v_add_f64 v[4:5], v[4:5], v[12:13]
	v_fmac_f64_e32 v[76:77], v[62:63], v[28:29]
	v_fma_f64 v[16:17], v[60:61], v[28:29], -v[30:31]
	v_add_f64 v[6:7], v[6:7], v[74:75]
	v_add_f64 v[4:5], v[4:5], v[14:15]
	;; [unrolled: 1-line block ×4, first 2 shown]
	s_waitcnt vmcnt(0)
	v_add_f64 v[4:5], v[32:33], -v[4:5]
	v_add_f64 v[6:7], v[34:35], -v[6:7]
	scratch_store_dwordx4 off, v[4:7], off offset:432
	s_and_saveexec_b64 s[0:1], vcc
	s_cbranch_execz .LBB97_167
; %bb.166:
	scratch_load_dwordx4 v[6:9], off, s24
	v_mov_b32_e32 v3, v2
	v_mov_b32_e32 v4, v2
	;; [unrolled: 1-line block ×3, first 2 shown]
	scratch_store_dwordx4 off, v[2:5], off offset:416
	s_waitcnt vmcnt(1)
	ds_write_b128 v1, v[6:9]
.LBB97_167:
	s_or_b64 exec, exec, s[0:1]
	s_waitcnt lgkmcnt(0)
	; wave barrier
	scratch_load_dwordx4 v[4:7], off, off offset:432
	scratch_load_dwordx4 v[8:11], off, off offset:448
	;; [unrolled: 1-line block ×9, first 2 shown]
	ds_read_b128 v[40:43], v2 offset:960
	ds_read_b128 v[44:47], v2 offset:976
	;; [unrolled: 1-line block ×8, first 2 shown]
	v_cmp_lt_u32_e32 vcc, 24, v0
	s_waitcnt vmcnt(8) lgkmcnt(7)
	v_mul_f64 v[2:3], v[40:41], v[6:7]
	v_mul_f64 v[6:7], v[42:43], v[6:7]
	s_waitcnt vmcnt(7) lgkmcnt(6)
	v_mul_f64 v[72:73], v[44:45], v[10:11]
	v_mul_f64 v[10:11], v[46:47], v[10:11]
	v_fmac_f64_e32 v[2:3], v[42:43], v[4:5]
	v_fma_f64 v[4:5], v[40:41], v[4:5], -v[6:7]
	s_waitcnt vmcnt(6) lgkmcnt(5)
	v_mul_f64 v[74:75], v[48:49], v[14:15]
	v_mul_f64 v[14:15], v[50:51], v[14:15]
	v_fmac_f64_e32 v[72:73], v[46:47], v[8:9]
	v_fma_f64 v[6:7], v[44:45], v[8:9], -v[10:11]
	v_add_f64 v[2:3], v[2:3], 0
	v_add_f64 v[4:5], v[4:5], 0
	s_waitcnt vmcnt(5) lgkmcnt(4)
	v_mul_f64 v[76:77], v[52:53], v[18:19]
	v_mul_f64 v[18:19], v[54:55], v[18:19]
	v_fmac_f64_e32 v[74:75], v[50:51], v[12:13]
	v_fma_f64 v[8:9], v[48:49], v[12:13], -v[14:15]
	v_add_f64 v[2:3], v[2:3], v[72:73]
	v_add_f64 v[4:5], v[4:5], v[6:7]
	;; [unrolled: 7-line block ×6, first 2 shown]
	v_fmac_f64_e32 v[84:85], v[70:71], v[32:33]
	v_fma_f64 v[18:19], v[68:69], v[32:33], -v[34:35]
	v_add_f64 v[2:3], v[2:3], v[82:83]
	v_add_f64 v[4:5], v[4:5], v[16:17]
	;; [unrolled: 1-line block ×4, first 2 shown]
	s_waitcnt vmcnt(0)
	v_add_f64 v[2:3], v[36:37], -v[2:3]
	v_add_f64 v[4:5], v[38:39], -v[6:7]
	scratch_store_dwordx4 off, v[2:5], off offset:416
	s_and_saveexec_b64 s[0:1], vcc
	s_cbranch_execz .LBB97_169
; %bb.168:
	scratch_load_dwordx4 v[2:5], off, s25
	v_mov_b32_e32 v6, 0
	v_mov_b32_e32 v7, v6
	;; [unrolled: 1-line block ×4, first 2 shown]
	scratch_store_dwordx4 off, v[6:9], off offset:400
	s_waitcnt vmcnt(1)
	ds_write_b128 v1, v[2:5]
.LBB97_169:
	s_or_b64 exec, exec, s[0:1]
	s_waitcnt lgkmcnt(0)
	; wave barrier
	scratch_load_dwordx4 v[4:7], off, off offset:416
	scratch_load_dwordx4 v[8:11], off, off offset:432
	;; [unrolled: 1-line block ×10, first 2 shown]
	v_mov_b32_e32 v2, 0
	ds_read_b128 v[44:47], v2 offset:944
	ds_read_b128 v[48:51], v2 offset:960
	;; [unrolled: 1-line block ×9, first 2 shown]
	v_cmp_lt_u32_e32 vcc, 23, v0
	s_waitcnt vmcnt(9) lgkmcnt(8)
	v_mul_f64 v[80:81], v[44:45], v[6:7]
	v_mul_f64 v[6:7], v[46:47], v[6:7]
	s_waitcnt vmcnt(8) lgkmcnt(7)
	v_mul_f64 v[82:83], v[48:49], v[10:11]
	s_waitcnt vmcnt(7) lgkmcnt(6)
	;; [unrolled: 2-line block ×3, first 2 shown]
	v_mul_f64 v[88:89], v[60:61], v[22:23]
	v_mul_f64 v[10:11], v[50:51], v[10:11]
	;; [unrolled: 1-line block ×4, first 2 shown]
	v_fmac_f64_e32 v[80:81], v[46:47], v[4:5]
	v_fma_f64 v[4:5], v[44:45], v[4:5], -v[6:7]
	v_fmac_f64_e32 v[82:83], v[50:51], v[8:9]
	v_fmac_f64_e32 v[84:85], v[54:55], v[12:13]
	v_fma_f64 v[6:7], v[48:49], v[8:9], -v[10:11]
	v_fma_f64 v[8:9], v[52:53], v[12:13], -v[14:15]
	;; [unrolled: 1-line block ×3, first 2 shown]
	v_add_f64 v[22:23], v[80:81], 0
	v_add_f64 v[4:5], v[4:5], 0
	v_mul_f64 v[86:87], v[56:57], v[18:19]
	v_mul_f64 v[18:19], v[58:59], v[18:19]
	v_add_f64 v[22:23], v[22:23], v[82:83]
	v_add_f64 v[4:5], v[4:5], v[6:7]
	v_fmac_f64_e32 v[86:87], v[58:59], v[16:17]
	v_fma_f64 v[10:11], v[56:57], v[16:17], -v[18:19]
	v_add_f64 v[6:7], v[22:23], v[84:85]
	v_add_f64 v[4:5], v[4:5], v[8:9]
	s_waitcnt vmcnt(4) lgkmcnt(3)
	v_mul_f64 v[90:91], v[64:65], v[26:27]
	v_mul_f64 v[26:27], v[66:67], v[26:27]
	v_fmac_f64_e32 v[88:89], v[62:63], v[20:21]
	v_add_f64 v[6:7], v[6:7], v[86:87]
	v_add_f64 v[4:5], v[4:5], v[10:11]
	s_waitcnt vmcnt(3) lgkmcnt(2)
	v_mul_f64 v[92:93], v[68:69], v[30:31]
	v_mul_f64 v[30:31], v[70:71], v[30:31]
	v_fmac_f64_e32 v[90:91], v[66:67], v[24:25]
	v_fma_f64 v[14:15], v[64:65], v[24:25], -v[26:27]
	v_add_f64 v[6:7], v[6:7], v[88:89]
	v_add_f64 v[4:5], v[4:5], v[12:13]
	s_waitcnt vmcnt(2) lgkmcnt(1)
	v_mul_f64 v[94:95], v[72:73], v[34:35]
	v_mul_f64 v[34:35], v[74:75], v[34:35]
	v_fmac_f64_e32 v[92:93], v[70:71], v[28:29]
	v_fma_f64 v[16:17], v[68:69], v[28:29], -v[30:31]
	;; [unrolled: 7-line block ×3, first 2 shown]
	v_add_f64 v[6:7], v[6:7], v[92:93]
	v_add_f64 v[4:5], v[4:5], v[16:17]
	v_fmac_f64_e32 v[96:97], v[78:79], v[36:37]
	v_fma_f64 v[20:21], v[76:77], v[36:37], -v[38:39]
	v_add_f64 v[6:7], v[6:7], v[94:95]
	v_add_f64 v[4:5], v[4:5], v[18:19]
	;; [unrolled: 1-line block ×4, first 2 shown]
	s_waitcnt vmcnt(0)
	v_add_f64 v[4:5], v[40:41], -v[4:5]
	v_add_f64 v[6:7], v[42:43], -v[6:7]
	scratch_store_dwordx4 off, v[4:7], off offset:400
	s_and_saveexec_b64 s[0:1], vcc
	s_cbranch_execz .LBB97_171
; %bb.170:
	scratch_load_dwordx4 v[6:9], off, s26
	v_mov_b32_e32 v3, v2
	v_mov_b32_e32 v4, v2
	;; [unrolled: 1-line block ×3, first 2 shown]
	scratch_store_dwordx4 off, v[2:5], off offset:384
	s_waitcnt vmcnt(1)
	ds_write_b128 v1, v[6:9]
.LBB97_171:
	s_or_b64 exec, exec, s[0:1]
	s_waitcnt lgkmcnt(0)
	; wave barrier
	ds_read_b128 v[4:7], v2 offset:928
	ds_read_b128 v[8:11], v2 offset:944
	;; [unrolled: 1-line block ×4, first 2 shown]
	scratch_load_dwordx4 v[20:23], off, off offset:400
	scratch_load_dwordx4 v[40:43], off, off offset:464
	;; [unrolled: 1-line block ×4, first 2 shown]
	v_cmp_lt_u32_e32 vcc, 22, v0
	scratch_load_dwordx4 v[48:51], off, off offset:480
	scratch_load_dwordx4 v[56:59], off, off offset:496
	;; [unrolled: 1-line block ×3, first 2 shown]
	s_waitcnt vmcnt(6) lgkmcnt(3)
	v_mul_f64 v[24:25], v[4:5], v[22:23]
	v_fmac_f64_e32 v[24:25], v[6:7], v[20:21]
	v_add_f64 v[28:29], v[24:25], 0
	scratch_load_dwordx4 v[24:27], off, off offset:416
	s_waitcnt vmcnt(0) lgkmcnt(2)
	v_mul_f64 v[30:31], v[8:9], v[26:27]
	v_fmac_f64_e32 v[30:31], v[10:11], v[24:25]
	v_add_f64 v[32:33], v[28:29], v[30:31]
	scratch_load_dwordx4 v[28:31], off, off offset:432
	;; [unrolled: 5-line block ×3, first 2 shown]
	s_waitcnt vmcnt(0) lgkmcnt(0)
	v_mul_f64 v[38:39], v[16:17], v[34:35]
	v_fmac_f64_e32 v[38:39], v[18:19], v[32:33]
	v_add_f64 v[44:45], v[36:37], v[38:39]
	ds_read_b128 v[36:39], v2 offset:992
	s_waitcnt lgkmcnt(0)
	v_mul_f64 v[46:47], v[36:37], v[42:43]
	v_fmac_f64_e32 v[46:47], v[38:39], v[40:41]
	v_add_f64 v[52:53], v[44:45], v[46:47]
	ds_read_b128 v[44:47], v2 offset:1008
	s_waitcnt lgkmcnt(0)
	;; [unrolled: 5-line block ×6, first 2 shown]
	v_mul_f64 v[2:3], v[76:77], v[82:83]
	v_fmac_f64_e32 v[2:3], v[78:79], v[80:81]
	v_add_f64 v[84:85], v[84:85], v[2:3]
	v_mul_f64 v[2:3], v[6:7], v[22:23]
	v_fma_f64 v[2:3], v[4:5], v[20:21], -v[2:3]
	v_mul_f64 v[4:5], v[10:11], v[26:27]
	v_add_f64 v[2:3], v[2:3], 0
	v_fma_f64 v[4:5], v[8:9], v[24:25], -v[4:5]
	v_add_f64 v[2:3], v[2:3], v[4:5]
	v_mul_f64 v[4:5], v[14:15], v[30:31]
	v_fma_f64 v[4:5], v[12:13], v[28:29], -v[4:5]
	v_add_f64 v[2:3], v[2:3], v[4:5]
	v_mul_f64 v[4:5], v[18:19], v[34:35]
	;; [unrolled: 3-line block ×8, first 2 shown]
	v_fma_f64 v[4:5], v[76:77], v[80:81], -v[4:5]
	v_add_f64 v[6:7], v[2:3], v[4:5]
	scratch_load_dwordx4 v[2:5], off, off offset:384
	s_waitcnt vmcnt(0)
	v_add_f64 v[2:3], v[2:3], -v[6:7]
	v_add_f64 v[4:5], v[4:5], -v[84:85]
	scratch_store_dwordx4 off, v[2:5], off offset:384
	s_and_saveexec_b64 s[0:1], vcc
	s_cbranch_execz .LBB97_173
; %bb.172:
	scratch_load_dwordx4 v[2:5], off, s27
	v_mov_b32_e32 v6, 0
	v_mov_b32_e32 v7, v6
	;; [unrolled: 1-line block ×4, first 2 shown]
	scratch_store_dwordx4 off, v[6:9], off offset:368
	s_waitcnt vmcnt(1)
	ds_write_b128 v1, v[2:5]
.LBB97_173:
	s_or_b64 exec, exec, s[0:1]
	v_mov_b32_e32 v2, 0
	s_waitcnt lgkmcnt(0)
	; wave barrier
	ds_read_b128 v[4:7], v2 offset:912
	ds_read_b128 v[8:11], v2 offset:928
	;; [unrolled: 1-line block ×4, first 2 shown]
	scratch_load_dwordx4 v[20:23], off, off offset:384
	scratch_load_dwordx4 v[40:43], off, off offset:448
	scratch_load_dwordx4 v[72:75], off, off offset:512
	scratch_load_dwordx4 v[80:83], off, off offset:528
	scratch_load_dwordx4 v[88:91], off, off offset:544
	v_cmp_lt_u32_e32 vcc, 21, v0
	scratch_load_dwordx4 v[48:51], off, off offset:464
	scratch_load_dwordx4 v[56:59], off, off offset:480
	scratch_load_dwordx4 v[64:67], off, off offset:496
	s_waitcnt vmcnt(7) lgkmcnt(3)
	v_mul_f64 v[24:25], v[4:5], v[22:23]
	v_fmac_f64_e32 v[24:25], v[6:7], v[20:21]
	v_add_f64 v[28:29], v[24:25], 0
	scratch_load_dwordx4 v[24:27], off, off offset:400
	v_mul_f64 v[6:7], v[6:7], v[22:23]
	v_fma_f64 v[4:5], v[4:5], v[20:21], -v[6:7]
	v_add_f64 v[4:5], v[4:5], 0
	s_waitcnt vmcnt(0) lgkmcnt(2)
	v_mul_f64 v[30:31], v[8:9], v[26:27]
	v_fmac_f64_e32 v[30:31], v[10:11], v[24:25]
	v_add_f64 v[32:33], v[28:29], v[30:31]
	scratch_load_dwordx4 v[28:31], off, off offset:416
	v_mul_f64 v[6:7], v[10:11], v[26:27]
	v_fma_f64 v[6:7], v[8:9], v[24:25], -v[6:7]
	v_add_f64 v[4:5], v[4:5], v[6:7]
	;; [unrolled: 8-line block ×3, first 2 shown]
	s_waitcnt vmcnt(0) lgkmcnt(0)
	v_mul_f64 v[38:39], v[16:17], v[34:35]
	v_fmac_f64_e32 v[38:39], v[18:19], v[32:33]
	v_add_f64 v[44:45], v[36:37], v[38:39]
	ds_read_b128 v[36:39], v2 offset:976
	v_mul_f64 v[6:7], v[18:19], v[34:35]
	v_fma_f64 v[6:7], v[16:17], v[32:33], -v[6:7]
	v_add_f64 v[4:5], v[4:5], v[6:7]
	s_waitcnt lgkmcnt(0)
	v_mul_f64 v[46:47], v[36:37], v[42:43]
	v_fmac_f64_e32 v[46:47], v[38:39], v[40:41]
	v_add_f64 v[52:53], v[44:45], v[46:47]
	ds_read_b128 v[44:47], v2 offset:992
	v_mul_f64 v[6:7], v[38:39], v[42:43]
	v_fma_f64 v[6:7], v[36:37], v[40:41], -v[6:7]
	v_add_f64 v[4:5], v[4:5], v[6:7]
	s_waitcnt lgkmcnt(0)
	v_mul_f64 v[54:55], v[44:45], v[50:51]
	v_fmac_f64_e32 v[54:55], v[46:47], v[48:49]
	v_add_f64 v[60:61], v[52:53], v[54:55]
	ds_read_b128 v[52:55], v2 offset:1008
	v_mul_f64 v[6:7], v[46:47], v[50:51]
	v_fma_f64 v[6:7], v[44:45], v[48:49], -v[6:7]
	v_add_f64 v[4:5], v[4:5], v[6:7]
	s_waitcnt lgkmcnt(0)
	v_mul_f64 v[62:63], v[52:53], v[58:59]
	v_fmac_f64_e32 v[62:63], v[54:55], v[56:57]
	v_add_f64 v[68:69], v[60:61], v[62:63]
	ds_read_b128 v[60:63], v2 offset:1024
	v_mul_f64 v[6:7], v[54:55], v[58:59]
	v_fma_f64 v[6:7], v[52:53], v[56:57], -v[6:7]
	v_add_f64 v[4:5], v[4:5], v[6:7]
	s_waitcnt lgkmcnt(0)
	v_mul_f64 v[70:71], v[60:61], v[66:67]
	v_fmac_f64_e32 v[70:71], v[62:63], v[64:65]
	v_add_f64 v[76:77], v[68:69], v[70:71]
	ds_read_b128 v[68:71], v2 offset:1040
	v_mul_f64 v[6:7], v[62:63], v[66:67]
	v_fma_f64 v[6:7], v[60:61], v[64:65], -v[6:7]
	v_add_f64 v[4:5], v[4:5], v[6:7]
	s_waitcnt lgkmcnt(0)
	v_mul_f64 v[78:79], v[68:69], v[74:75]
	v_fmac_f64_e32 v[78:79], v[70:71], v[72:73]
	v_add_f64 v[84:85], v[76:77], v[78:79]
	ds_read_b128 v[76:79], v2 offset:1056
	v_mul_f64 v[6:7], v[70:71], v[74:75]
	v_fma_f64 v[6:7], v[68:69], v[72:73], -v[6:7]
	v_add_f64 v[4:5], v[4:5], v[6:7]
	s_waitcnt lgkmcnt(0)
	v_mul_f64 v[86:87], v[76:77], v[82:83]
	v_fmac_f64_e32 v[86:87], v[78:79], v[80:81]
	v_add_f64 v[92:93], v[84:85], v[86:87]
	ds_read_b128 v[84:87], v2 offset:1072
	v_mul_f64 v[6:7], v[78:79], v[82:83]
	v_fma_f64 v[6:7], v[76:77], v[80:81], -v[6:7]
	v_add_f64 v[4:5], v[4:5], v[6:7]
	s_waitcnt lgkmcnt(0)
	v_mul_f64 v[6:7], v[86:87], v[90:91]
	v_fma_f64 v[6:7], v[84:85], v[88:89], -v[6:7]
	v_add_f64 v[8:9], v[4:5], v[6:7]
	scratch_load_dwordx4 v[4:7], off, off offset:368
	v_mul_f64 v[94:95], v[84:85], v[90:91]
	v_fmac_f64_e32 v[94:95], v[86:87], v[88:89]
	v_add_f64 v[92:93], v[92:93], v[94:95]
	s_waitcnt vmcnt(0)
	v_add_f64 v[4:5], v[4:5], -v[8:9]
	v_add_f64 v[6:7], v[6:7], -v[92:93]
	scratch_store_dwordx4 off, v[4:7], off offset:368
	s_and_saveexec_b64 s[0:1], vcc
	s_cbranch_execz .LBB97_175
; %bb.174:
	scratch_load_dwordx4 v[6:9], off, s28
	v_mov_b32_e32 v3, v2
	v_mov_b32_e32 v4, v2
	;; [unrolled: 1-line block ×3, first 2 shown]
	scratch_store_dwordx4 off, v[2:5], off offset:352
	s_waitcnt vmcnt(1)
	ds_write_b128 v1, v[6:9]
.LBB97_175:
	s_or_b64 exec, exec, s[0:1]
	s_waitcnt lgkmcnt(0)
	; wave barrier
	scratch_load_dwordx4 v[4:7], off, off offset:368
	scratch_load_dwordx4 v[8:11], off, off offset:384
	;; [unrolled: 1-line block ×12, first 2 shown]
	ds_read_b128 v[52:55], v2 offset:896
	ds_read_b128 v[56:59], v2 offset:912
	;; [unrolled: 1-line block ×4, first 2 shown]
	scratch_load_dwordx4 v[68:71], off, off offset:352
	ds_read_b128 v[72:75], v2 offset:960
	ds_read_b128 v[76:79], v2 offset:976
	;; [unrolled: 1-line block ×8, first 2 shown]
	v_cmp_lt_u32_e32 vcc, 20, v0
	s_waitcnt vmcnt(12) lgkmcnt(11)
	v_mul_f64 v[2:3], v[52:53], v[6:7]
	s_waitcnt vmcnt(11) lgkmcnt(10)
	v_mul_f64 v[104:105], v[56:57], v[10:11]
	v_fmac_f64_e32 v[2:3], v[54:55], v[4:5]
	s_waitcnt vmcnt(10) lgkmcnt(9)
	v_mul_f64 v[106:107], v[60:61], v[14:15]
	v_mul_f64 v[6:7], v[54:55], v[6:7]
	v_fmac_f64_e32 v[104:105], v[58:59], v[8:9]
	v_add_f64 v[2:3], v[2:3], 0
	s_waitcnt vmcnt(9) lgkmcnt(8)
	v_mul_f64 v[108:109], v[64:65], v[18:19]
	v_mul_f64 v[10:11], v[58:59], v[10:11]
	v_fmac_f64_e32 v[106:107], v[62:63], v[12:13]
	v_fma_f64 v[4:5], v[52:53], v[4:5], -v[6:7]
	v_add_f64 v[2:3], v[2:3], v[104:105]
	s_waitcnt vmcnt(8) lgkmcnt(7)
	v_mul_f64 v[110:111], v[72:73], v[22:23]
	v_mul_f64 v[14:15], v[62:63], v[14:15]
	v_fmac_f64_e32 v[108:109], v[66:67], v[16:17]
	v_fma_f64 v[6:7], v[56:57], v[8:9], -v[10:11]
	v_add_f64 v[4:5], v[4:5], 0
	v_add_f64 v[2:3], v[2:3], v[106:107]
	s_waitcnt vmcnt(7) lgkmcnt(6)
	v_mul_f64 v[112:113], v[76:77], v[26:27]
	v_mul_f64 v[18:19], v[66:67], v[18:19]
	v_fmac_f64_e32 v[110:111], v[74:75], v[20:21]
	v_fma_f64 v[8:9], v[60:61], v[12:13], -v[14:15]
	v_add_f64 v[4:5], v[4:5], v[6:7]
	;; [unrolled: 7-line block ×8, first 2 shown]
	v_add_f64 v[2:3], v[2:3], v[120:121]
	v_mul_f64 v[46:47], v[98:99], v[46:47]
	v_fmac_f64_e32 v[124:125], v[102:103], v[48:49]
	v_fma_f64 v[22:23], v[92:93], v[40:41], -v[42:43]
	v_add_f64 v[4:5], v[4:5], v[20:21]
	v_add_f64 v[2:3], v[2:3], v[122:123]
	;; [unrolled: 1-line block ×4, first 2 shown]
	v_fma_f64 v[2:3], v[96:97], v[44:45], -v[46:47]
	v_add_f64 v[2:3], v[4:5], v[2:3]
	v_mul_f64 v[4:5], v[102:103], v[50:51]
	v_fma_f64 v[4:5], v[100:101], v[48:49], -v[4:5]
	v_add_f64 v[2:3], v[2:3], v[4:5]
	s_waitcnt vmcnt(0)
	v_add_f64 v[2:3], v[68:69], -v[2:3]
	v_add_f64 v[4:5], v[70:71], -v[6:7]
	scratch_store_dwordx4 off, v[2:5], off offset:352
	s_and_saveexec_b64 s[0:1], vcc
	s_cbranch_execz .LBB97_177
; %bb.176:
	scratch_load_dwordx4 v[2:5], off, s29
	v_mov_b32_e32 v6, 0
	v_mov_b32_e32 v7, v6
	;; [unrolled: 1-line block ×4, first 2 shown]
	scratch_store_dwordx4 off, v[6:9], off offset:336
	s_waitcnt vmcnt(1)
	ds_write_b128 v1, v[2:5]
.LBB97_177:
	s_or_b64 exec, exec, s[0:1]
	s_waitcnt lgkmcnt(0)
	; wave barrier
	scratch_load_dwordx4 v[4:7], off, off offset:352
	scratch_load_dwordx4 v[8:11], off, off offset:368
	;; [unrolled: 1-line block ×14, first 2 shown]
	v_mov_b32_e32 v2, 0
	ds_read_b128 v[60:63], v2 offset:880
	ds_read_b128 v[64:67], v2 offset:896
	;; [unrolled: 1-line block ×13, first 2 shown]
	v_cmp_lt_u32_e32 vcc, 19, v0
	s_waitcnt vmcnt(13) lgkmcnt(12)
	v_mul_f64 v[112:113], v[60:61], v[6:7]
	v_mul_f64 v[6:7], v[62:63], v[6:7]
	s_waitcnt vmcnt(12) lgkmcnt(11)
	v_mul_f64 v[114:115], v[64:65], v[10:11]
	v_mul_f64 v[10:11], v[66:67], v[10:11]
	v_fmac_f64_e32 v[112:113], v[62:63], v[4:5]
	v_fma_f64 v[4:5], v[60:61], v[4:5], -v[6:7]
	s_waitcnt vmcnt(11) lgkmcnt(10)
	v_mul_f64 v[116:117], v[68:69], v[14:15]
	v_mul_f64 v[14:15], v[70:71], v[14:15]
	v_fma_f64 v[6:7], v[64:65], v[8:9], -v[10:11]
	v_add_f64 v[4:5], v[4:5], 0
	s_waitcnt vmcnt(10) lgkmcnt(9)
	v_mul_f64 v[118:119], v[72:73], v[18:19]
	v_mul_f64 v[18:19], v[74:75], v[18:19]
	v_fmac_f64_e32 v[114:115], v[66:67], v[8:9]
	v_fma_f64 v[8:9], v[68:69], v[12:13], -v[14:15]
	v_add_f64 v[4:5], v[4:5], v[6:7]
	s_waitcnt vmcnt(9) lgkmcnt(8)
	v_mul_f64 v[120:121], v[76:77], v[22:23]
	v_mul_f64 v[22:23], v[78:79], v[22:23]
	v_fma_f64 v[10:11], v[72:73], v[16:17], -v[18:19]
	v_add_f64 v[4:5], v[4:5], v[8:9]
	s_waitcnt vmcnt(8) lgkmcnt(7)
	v_mul_f64 v[122:123], v[80:81], v[26:27]
	v_mul_f64 v[26:27], v[82:83], v[26:27]
	v_fmac_f64_e32 v[116:117], v[70:71], v[12:13]
	v_fma_f64 v[12:13], v[76:77], v[20:21], -v[22:23]
	v_add_f64 v[22:23], v[112:113], 0
	v_add_f64 v[4:5], v[4:5], v[10:11]
	s_waitcnt vmcnt(7) lgkmcnt(6)
	v_mul_f64 v[124:125], v[84:85], v[30:31]
	v_mul_f64 v[30:31], v[86:87], v[30:31]
	v_fma_f64 v[14:15], v[80:81], v[24:25], -v[26:27]
	v_add_f64 v[22:23], v[22:23], v[114:115]
	v_add_f64 v[4:5], v[4:5], v[12:13]
	s_waitcnt vmcnt(6) lgkmcnt(5)
	v_mul_f64 v[126:127], v[88:89], v[34:35]
	v_mul_f64 v[34:35], v[90:91], v[34:35]
	v_fmac_f64_e32 v[118:119], v[74:75], v[16:17]
	v_fma_f64 v[16:17], v[84:85], v[28:29], -v[30:31]
	v_add_f64 v[6:7], v[22:23], v[116:117]
	v_add_f64 v[4:5], v[4:5], v[14:15]
	s_waitcnt vmcnt(5) lgkmcnt(4)
	v_mul_f64 v[128:129], v[92:93], v[38:39]
	v_mul_f64 v[38:39], v[94:95], v[38:39]
	v_fmac_f64_e32 v[120:121], v[78:79], v[20:21]
	v_fma_f64 v[18:19], v[88:89], v[32:33], -v[34:35]
	v_add_f64 v[6:7], v[6:7], v[118:119]
	v_add_f64 v[4:5], v[4:5], v[16:17]
	v_fmac_f64_e32 v[122:123], v[82:83], v[24:25]
	v_fma_f64 v[20:21], v[92:93], v[36:37], -v[38:39]
	v_add_f64 v[6:7], v[6:7], v[120:121]
	v_add_f64 v[4:5], v[4:5], v[18:19]
	s_waitcnt vmcnt(4) lgkmcnt(3)
	v_mul_f64 v[8:9], v[98:99], v[42:43]
	v_fmac_f64_e32 v[124:125], v[86:87], v[28:29]
	v_add_f64 v[6:7], v[6:7], v[122:123]
	v_add_f64 v[4:5], v[4:5], v[20:21]
	v_fma_f64 v[8:9], v[96:97], v[40:41], -v[8:9]
	v_fmac_f64_e32 v[126:127], v[90:91], v[32:33]
	v_add_f64 v[6:7], v[6:7], v[124:125]
	v_add_f64 v[4:5], v[4:5], v[8:9]
	s_waitcnt vmcnt(3) lgkmcnt(2)
	v_mul_f64 v[8:9], v[102:103], v[46:47]
	v_mul_f64 v[130:131], v[96:97], v[42:43]
	v_fmac_f64_e32 v[128:129], v[94:95], v[36:37]
	v_add_f64 v[6:7], v[6:7], v[126:127]
	v_fma_f64 v[8:9], v[100:101], v[44:45], -v[8:9]
	v_mul_f64 v[132:133], v[100:101], v[46:47]
	v_fmac_f64_e32 v[130:131], v[98:99], v[40:41]
	v_add_f64 v[6:7], v[6:7], v[128:129]
	v_add_f64 v[4:5], v[4:5], v[8:9]
	s_waitcnt vmcnt(2) lgkmcnt(1)
	v_mul_f64 v[8:9], v[106:107], v[50:51]
	v_mul_f64 v[134:135], v[104:105], v[50:51]
	v_fmac_f64_e32 v[132:133], v[102:103], v[44:45]
	v_add_f64 v[6:7], v[6:7], v[130:131]
	v_fma_f64 v[8:9], v[104:105], v[48:49], -v[8:9]
	s_waitcnt vmcnt(1) lgkmcnt(0)
	v_mul_f64 v[136:137], v[108:109], v[54:55]
	v_fmac_f64_e32 v[134:135], v[106:107], v[48:49]
	v_add_f64 v[6:7], v[6:7], v[132:133]
	v_add_f64 v[4:5], v[4:5], v[8:9]
	v_mul_f64 v[8:9], v[110:111], v[54:55]
	v_fmac_f64_e32 v[136:137], v[110:111], v[52:53]
	v_add_f64 v[6:7], v[6:7], v[134:135]
	v_fma_f64 v[8:9], v[108:109], v[52:53], -v[8:9]
	v_add_f64 v[6:7], v[6:7], v[136:137]
	v_add_f64 v[4:5], v[4:5], v[8:9]
	s_waitcnt vmcnt(0)
	v_add_f64 v[4:5], v[56:57], -v[4:5]
	v_add_f64 v[6:7], v[58:59], -v[6:7]
	scratch_store_dwordx4 off, v[4:7], off offset:336
	s_and_saveexec_b64 s[0:1], vcc
	s_cbranch_execz .LBB97_179
; %bb.178:
	scratch_load_dwordx4 v[6:9], off, s30
	v_mov_b32_e32 v3, v2
	v_mov_b32_e32 v4, v2
	;; [unrolled: 1-line block ×3, first 2 shown]
	scratch_store_dwordx4 off, v[2:5], off offset:320
	s_waitcnt vmcnt(1)
	ds_write_b128 v1, v[6:9]
.LBB97_179:
	s_or_b64 exec, exec, s[0:1]
	s_waitcnt lgkmcnt(0)
	; wave barrier
	scratch_load_dwordx4 v[4:7], off, off offset:336
	scratch_load_dwordx4 v[8:11], off, off offset:352
	;; [unrolled: 1-line block ×14, first 2 shown]
	ds_read_b128 v[60:63], v2 offset:864
	ds_read_b128 v[64:67], v2 offset:880
	;; [unrolled: 1-line block ×14, first 2 shown]
	scratch_load_dwordx4 v[116:119], off, off offset:320
	v_cmp_lt_u32_e32 vcc, 18, v0
	s_waitcnt vmcnt(14) lgkmcnt(13)
	v_mul_f64 v[2:3], v[60:61], v[6:7]
	s_waitcnt vmcnt(13) lgkmcnt(12)
	v_mul_f64 v[120:121], v[64:65], v[10:11]
	v_fmac_f64_e32 v[2:3], v[62:63], v[4:5]
	s_waitcnt vmcnt(12) lgkmcnt(11)
	v_mul_f64 v[122:123], v[68:69], v[14:15]
	v_fmac_f64_e32 v[120:121], v[66:67], v[8:9]
	v_add_f64 v[2:3], v[2:3], 0
	s_waitcnt vmcnt(11) lgkmcnt(10)
	v_mul_f64 v[124:125], v[72:73], v[18:19]
	v_fmac_f64_e32 v[122:123], v[70:71], v[12:13]
	v_add_f64 v[2:3], v[2:3], v[120:121]
	;; [unrolled: 4-line block ×4, first 2 shown]
	s_waitcnt vmcnt(8) lgkmcnt(7)
	v_mul_f64 v[130:131], v[84:85], v[30:31]
	v_mul_f64 v[6:7], v[62:63], v[6:7]
	v_fmac_f64_e32 v[128:129], v[82:83], v[24:25]
	v_add_f64 v[2:3], v[2:3], v[126:127]
	s_waitcnt vmcnt(7) lgkmcnt(6)
	v_mul_f64 v[132:133], v[88:89], v[34:35]
	v_mul_f64 v[10:11], v[66:67], v[10:11]
	v_fmac_f64_e32 v[130:131], v[86:87], v[28:29]
	v_fma_f64 v[4:5], v[60:61], v[4:5], -v[6:7]
	v_add_f64 v[2:3], v[2:3], v[128:129]
	s_waitcnt vmcnt(6) lgkmcnt(5)
	v_mul_f64 v[134:135], v[92:93], v[38:39]
	v_mul_f64 v[14:15], v[70:71], v[14:15]
	v_fmac_f64_e32 v[132:133], v[90:91], v[32:33]
	v_fma_f64 v[6:7], v[64:65], v[8:9], -v[10:11]
	v_add_f64 v[4:5], v[4:5], 0
	v_add_f64 v[2:3], v[2:3], v[130:131]
	s_waitcnt vmcnt(5) lgkmcnt(4)
	v_mul_f64 v[136:137], v[96:97], v[42:43]
	v_mul_f64 v[18:19], v[74:75], v[18:19]
	v_fmac_f64_e32 v[134:135], v[94:95], v[36:37]
	v_fma_f64 v[8:9], v[68:69], v[12:13], -v[14:15]
	v_add_f64 v[4:5], v[4:5], v[6:7]
	;; [unrolled: 7-line block ×6, first 2 shown]
	v_add_f64 v[2:3], v[2:3], v[140:141]
	v_fmac_f64_e32 v[144:145], v[114:115], v[56:57]
	v_fma_f64 v[18:19], v[88:89], v[32:33], -v[34:35]
	v_add_f64 v[4:5], v[4:5], v[16:17]
	v_add_f64 v[2:3], v[2:3], v[142:143]
	;; [unrolled: 1-line block ×4, first 2 shown]
	v_mul_f64 v[4:5], v[94:95], v[38:39]
	v_fma_f64 v[4:5], v[92:93], v[36:37], -v[4:5]
	v_add_f64 v[2:3], v[2:3], v[4:5]
	v_mul_f64 v[4:5], v[98:99], v[42:43]
	v_fma_f64 v[4:5], v[96:97], v[40:41], -v[4:5]
	v_add_f64 v[2:3], v[2:3], v[4:5]
	;; [unrolled: 3-line block ×6, first 2 shown]
	s_waitcnt vmcnt(0)
	v_add_f64 v[2:3], v[116:117], -v[2:3]
	v_add_f64 v[4:5], v[118:119], -v[6:7]
	scratch_store_dwordx4 off, v[2:5], off offset:320
	s_and_saveexec_b64 s[0:1], vcc
	s_cbranch_execz .LBB97_181
; %bb.180:
	scratch_load_dwordx4 v[2:5], off, s31
	v_mov_b32_e32 v6, 0
	v_mov_b32_e32 v7, v6
	;; [unrolled: 1-line block ×4, first 2 shown]
	scratch_store_dwordx4 off, v[6:9], off offset:304
	s_waitcnt vmcnt(1)
	ds_write_b128 v1, v[2:5]
.LBB97_181:
	s_or_b64 exec, exec, s[0:1]
	s_waitcnt lgkmcnt(0)
	; wave barrier
	scratch_load_dwordx4 v[4:7], off, off offset:320
	scratch_load_dwordx4 v[8:11], off, off offset:336
	;; [unrolled: 1-line block ×16, first 2 shown]
	v_mov_b32_e32 v2, 0
	ds_read_b128 v[68:71], v2 offset:848
	ds_read_b128 v[72:75], v2 offset:864
	ds_read_b128 v[76:79], v2 offset:880
	ds_read_b128 v[80:83], v2 offset:896
	ds_read_b128 v[84:87], v2 offset:912
	ds_read_b128 v[88:91], v2 offset:928
	ds_read_b128 v[92:95], v2 offset:944
	ds_read_b128 v[96:99], v2 offset:960
	ds_read_b128 v[100:103], v2 offset:976
	ds_read_b128 v[104:107], v2 offset:992
	ds_read_b128 v[108:111], v2 offset:1008
	ds_read_b128 v[112:115], v2 offset:1024
	ds_read_b128 v[116:119], v2 offset:1040
	ds_read_b128 v[120:123], v2 offset:1056
	ds_read_b128 v[124:127], v2 offset:1072
	v_cmp_lt_u32_e32 vcc, 17, v0
	s_waitcnt vmcnt(15) lgkmcnt(14)
	v_mul_f64 v[128:129], v[68:69], v[6:7]
	v_mul_f64 v[6:7], v[70:71], v[6:7]
	s_waitcnt vmcnt(14) lgkmcnt(13)
	v_mul_f64 v[130:131], v[72:73], v[10:11]
	v_mul_f64 v[10:11], v[74:75], v[10:11]
	v_fmac_f64_e32 v[128:129], v[70:71], v[4:5]
	v_fma_f64 v[4:5], v[68:69], v[4:5], -v[6:7]
	s_waitcnt vmcnt(13) lgkmcnt(12)
	v_mul_f64 v[132:133], v[76:77], v[14:15]
	v_mul_f64 v[14:15], v[78:79], v[14:15]
	v_fma_f64 v[6:7], v[72:73], v[8:9], -v[10:11]
	v_add_f64 v[4:5], v[4:5], 0
	s_waitcnt vmcnt(12) lgkmcnt(11)
	v_mul_f64 v[134:135], v[80:81], v[18:19]
	v_mul_f64 v[18:19], v[82:83], v[18:19]
	v_fmac_f64_e32 v[130:131], v[74:75], v[8:9]
	v_fma_f64 v[8:9], v[76:77], v[12:13], -v[14:15]
	v_add_f64 v[4:5], v[4:5], v[6:7]
	s_waitcnt vmcnt(11) lgkmcnt(10)
	v_mul_f64 v[136:137], v[84:85], v[22:23]
	v_mul_f64 v[22:23], v[86:87], v[22:23]
	v_fma_f64 v[10:11], v[80:81], v[16:17], -v[18:19]
	v_add_f64 v[4:5], v[4:5], v[8:9]
	s_waitcnt vmcnt(10) lgkmcnt(9)
	v_mul_f64 v[138:139], v[88:89], v[26:27]
	v_mul_f64 v[26:27], v[90:91], v[26:27]
	v_fmac_f64_e32 v[132:133], v[78:79], v[12:13]
	v_fma_f64 v[12:13], v[84:85], v[20:21], -v[22:23]
	v_add_f64 v[4:5], v[4:5], v[10:11]
	v_fma_f64 v[14:15], v[88:89], v[24:25], -v[26:27]
	v_add_f64 v[4:5], v[4:5], v[12:13]
	s_waitcnt vmcnt(9) lgkmcnt(8)
	v_mul_f64 v[8:9], v[94:95], v[30:31]
	v_add_f64 v[4:5], v[4:5], v[14:15]
	v_fma_f64 v[8:9], v[92:93], v[28:29], -v[8:9]
	v_add_f64 v[4:5], v[4:5], v[8:9]
	s_waitcnt vmcnt(8) lgkmcnt(7)
	v_mul_f64 v[8:9], v[98:99], v[34:35]
	v_fma_f64 v[8:9], v[96:97], v[32:33], -v[8:9]
	v_fmac_f64_e32 v[134:135], v[82:83], v[16:17]
	v_add_f64 v[16:17], v[128:129], 0
	v_add_f64 v[4:5], v[4:5], v[8:9]
	s_waitcnt vmcnt(7) lgkmcnt(6)
	v_mul_f64 v[8:9], v[102:103], v[38:39]
	v_add_f64 v[16:17], v[16:17], v[130:131]
	v_fma_f64 v[8:9], v[100:101], v[36:37], -v[8:9]
	v_add_f64 v[6:7], v[16:17], v[132:133]
	v_add_f64 v[4:5], v[4:5], v[8:9]
	s_waitcnt vmcnt(6) lgkmcnt(5)
	v_mul_f64 v[8:9], v[106:107], v[42:43]
	v_fmac_f64_e32 v[136:137], v[86:87], v[20:21]
	v_add_f64 v[6:7], v[6:7], v[134:135]
	v_fma_f64 v[8:9], v[104:105], v[40:41], -v[8:9]
	v_mul_f64 v[140:141], v[92:93], v[30:31]
	v_fmac_f64_e32 v[138:139], v[90:91], v[24:25]
	v_add_f64 v[6:7], v[6:7], v[136:137]
	v_add_f64 v[4:5], v[4:5], v[8:9]
	s_waitcnt vmcnt(5) lgkmcnt(4)
	v_mul_f64 v[8:9], v[110:111], v[46:47]
	v_mul_f64 v[142:143], v[96:97], v[34:35]
	v_fmac_f64_e32 v[140:141], v[94:95], v[28:29]
	v_add_f64 v[6:7], v[6:7], v[138:139]
	v_fma_f64 v[8:9], v[108:109], v[44:45], -v[8:9]
	v_mul_f64 v[144:145], v[100:101], v[38:39]
	v_fmac_f64_e32 v[142:143], v[98:99], v[32:33]
	v_add_f64 v[6:7], v[6:7], v[140:141]
	v_add_f64 v[4:5], v[4:5], v[8:9]
	s_waitcnt vmcnt(4) lgkmcnt(3)
	v_mul_f64 v[8:9], v[114:115], v[50:51]
	;; [unrolled: 10-line block ×4, first 2 shown]
	v_mul_f64 v[154:155], v[120:121], v[58:59]
	v_fmac_f64_e32 v[152:153], v[118:119], v[52:53]
	v_add_f64 v[6:7], v[6:7], v[150:151]
	v_fma_f64 v[8:9], v[120:121], v[56:57], -v[8:9]
	s_waitcnt vmcnt(1) lgkmcnt(0)
	v_mul_f64 v[156:157], v[124:125], v[62:63]
	v_fmac_f64_e32 v[154:155], v[122:123], v[56:57]
	v_add_f64 v[6:7], v[6:7], v[152:153]
	v_add_f64 v[4:5], v[4:5], v[8:9]
	v_mul_f64 v[8:9], v[126:127], v[62:63]
	v_fmac_f64_e32 v[156:157], v[126:127], v[60:61]
	v_add_f64 v[6:7], v[6:7], v[154:155]
	v_fma_f64 v[8:9], v[124:125], v[60:61], -v[8:9]
	v_add_f64 v[6:7], v[6:7], v[156:157]
	v_add_f64 v[4:5], v[4:5], v[8:9]
	s_waitcnt vmcnt(0)
	v_add_f64 v[4:5], v[64:65], -v[4:5]
	v_add_f64 v[6:7], v[66:67], -v[6:7]
	scratch_store_dwordx4 off, v[4:7], off offset:304
	s_and_saveexec_b64 s[0:1], vcc
	s_cbranch_execz .LBB97_183
; %bb.182:
	scratch_load_dwordx4 v[6:9], off, s33
	v_mov_b32_e32 v3, v2
	v_mov_b32_e32 v4, v2
	;; [unrolled: 1-line block ×3, first 2 shown]
	scratch_store_dwordx4 off, v[2:5], off offset:288
	s_waitcnt vmcnt(1)
	ds_write_b128 v1, v[6:9]
.LBB97_183:
	s_or_b64 exec, exec, s[0:1]
	s_waitcnt lgkmcnt(0)
	; wave barrier
	scratch_load_dwordx4 v[4:7], off, off offset:304
	scratch_load_dwordx4 v[8:11], off, off offset:320
	;; [unrolled: 1-line block ×16, first 2 shown]
	ds_read_b128 v[68:71], v2 offset:832
	ds_read_b128 v[72:75], v2 offset:848
	;; [unrolled: 1-line block ×16, first 2 shown]
	scratch_load_dwordx4 v[132:135], off, off offset:288
	v_cmp_lt_u32_e32 vcc, 16, v0
	s_waitcnt vmcnt(16) lgkmcnt(14)
	v_mul_f64 v[2:3], v[68:69], v[6:7]
	s_waitcnt vmcnt(15)
	v_mul_f64 v[136:137], v[72:73], v[10:11]
	v_fmac_f64_e32 v[2:3], v[70:71], v[4:5]
	s_waitcnt vmcnt(14) lgkmcnt(13)
	v_mul_f64 v[138:139], v[76:77], v[14:15]
	v_fmac_f64_e32 v[136:137], v[74:75], v[8:9]
	v_add_f64 v[2:3], v[2:3], 0
	s_waitcnt vmcnt(13) lgkmcnt(12)
	v_mul_f64 v[140:141], v[80:81], v[18:19]
	v_fmac_f64_e32 v[138:139], v[78:79], v[12:13]
	v_add_f64 v[2:3], v[2:3], v[136:137]
	;; [unrolled: 4-line block ×10, first 2 shown]
	s_waitcnt vmcnt(4) lgkmcnt(3)
	v_mul_f64 v[158:159], v[116:117], v[54:55]
	v_mul_f64 v[6:7], v[70:71], v[6:7]
	v_fmac_f64_e32 v[156:157], v[114:115], v[48:49]
	v_add_f64 v[2:3], v[2:3], v[154:155]
	s_waitcnt vmcnt(3) lgkmcnt(2)
	v_mul_f64 v[160:161], v[120:121], v[58:59]
	v_mul_f64 v[10:11], v[74:75], v[10:11]
	v_fmac_f64_e32 v[158:159], v[118:119], v[52:53]
	v_fma_f64 v[4:5], v[68:69], v[4:5], -v[6:7]
	v_add_f64 v[2:3], v[2:3], v[156:157]
	s_waitcnt vmcnt(2) lgkmcnt(1)
	v_mul_f64 v[162:163], v[124:125], v[62:63]
	v_mul_f64 v[14:15], v[78:79], v[14:15]
	v_fmac_f64_e32 v[160:161], v[122:123], v[56:57]
	v_fma_f64 v[6:7], v[72:73], v[8:9], -v[10:11]
	v_add_f64 v[4:5], v[4:5], 0
	v_add_f64 v[2:3], v[2:3], v[158:159]
	s_waitcnt vmcnt(1) lgkmcnt(0)
	v_mul_f64 v[164:165], v[128:129], v[66:67]
	v_mul_f64 v[18:19], v[82:83], v[18:19]
	v_fmac_f64_e32 v[162:163], v[126:127], v[60:61]
	v_fma_f64 v[8:9], v[76:77], v[12:13], -v[14:15]
	v_add_f64 v[4:5], v[4:5], v[6:7]
	v_add_f64 v[2:3], v[2:3], v[160:161]
	v_mul_f64 v[26:27], v[86:87], v[26:27]
	v_fmac_f64_e32 v[164:165], v[130:131], v[64:65]
	v_fma_f64 v[10:11], v[80:81], v[16:17], -v[18:19]
	v_add_f64 v[4:5], v[4:5], v[8:9]
	v_add_f64 v[2:3], v[2:3], v[162:163]
	v_fma_f64 v[12:13], v[84:85], v[24:25], -v[26:27]
	v_add_f64 v[4:5], v[4:5], v[10:11]
	v_add_f64 v[6:7], v[2:3], v[164:165]
	v_mul_f64 v[2:3], v[90:91], v[22:23]
	v_add_f64 v[4:5], v[4:5], v[12:13]
	v_fma_f64 v[2:3], v[88:89], v[20:21], -v[2:3]
	v_add_f64 v[2:3], v[4:5], v[2:3]
	v_mul_f64 v[4:5], v[94:95], v[30:31]
	v_fma_f64 v[4:5], v[92:93], v[28:29], -v[4:5]
	v_add_f64 v[2:3], v[2:3], v[4:5]
	v_mul_f64 v[4:5], v[98:99], v[34:35]
	;; [unrolled: 3-line block ×10, first 2 shown]
	v_fma_f64 v[4:5], v[128:129], v[64:65], -v[4:5]
	v_add_f64 v[2:3], v[2:3], v[4:5]
	s_waitcnt vmcnt(0)
	v_add_f64 v[2:3], v[132:133], -v[2:3]
	v_add_f64 v[4:5], v[134:135], -v[6:7]
	scratch_store_dwordx4 off, v[2:5], off offset:288
	s_and_saveexec_b64 s[0:1], vcc
	s_cbranch_execz .LBB97_185
; %bb.184:
	scratch_load_dwordx4 v[2:5], off, s34
	v_mov_b32_e32 v6, 0
	v_mov_b32_e32 v7, v6
	v_mov_b32_e32 v8, v6
	v_mov_b32_e32 v9, v6
	scratch_store_dwordx4 off, v[6:9], off offset:272
	s_waitcnt vmcnt(1)
	ds_write_b128 v1, v[2:5]
.LBB97_185:
	s_or_b64 exec, exec, s[0:1]
	s_waitcnt lgkmcnt(0)
	; wave barrier
	scratch_load_dwordx4 v[4:7], off, off offset:288
	scratch_load_dwordx4 v[8:11], off, off offset:304
	;; [unrolled: 1-line block ×18, first 2 shown]
	v_mov_b32_e32 v2, 0
	ds_read_b128 v[76:79], v2 offset:816
	ds_read_b128 v[80:83], v2 offset:832
	;; [unrolled: 1-line block ×17, first 2 shown]
	v_cmp_lt_u32_e32 vcc, 15, v0
	s_waitcnt vmcnt(17) lgkmcnt(14)
	v_mul_f64 v[144:145], v[76:77], v[6:7]
	v_mul_f64 v[6:7], v[78:79], v[6:7]
	s_waitcnt vmcnt(16)
	v_mul_f64 v[146:147], v[80:81], v[10:11]
	v_mul_f64 v[10:11], v[82:83], v[10:11]
	v_fmac_f64_e32 v[144:145], v[78:79], v[4:5]
	v_fma_f64 v[4:5], v[76:77], v[4:5], -v[6:7]
	s_waitcnt vmcnt(15)
	v_mul_f64 v[148:149], v[84:85], v[18:19]
	v_mul_f64 v[18:19], v[86:87], v[18:19]
	v_fma_f64 v[6:7], v[80:81], v[8:9], -v[10:11]
	v_add_f64 v[4:5], v[4:5], 0
	s_waitcnt vmcnt(14) lgkmcnt(13)
	v_mul_f64 v[150:151], v[88:89], v[14:15]
	v_mul_f64 v[14:15], v[90:91], v[14:15]
	v_fmac_f64_e32 v[146:147], v[82:83], v[8:9]
	v_fma_f64 v[8:9], v[84:85], v[16:17], -v[18:19]
	v_add_f64 v[4:5], v[4:5], v[6:7]
	v_add_f64 v[4:5], v[4:5], v[8:9]
	v_fma_f64 v[8:9], v[88:89], v[12:13], -v[14:15]
	v_add_f64 v[4:5], v[4:5], v[8:9]
	s_waitcnt vmcnt(13) lgkmcnt(12)
	v_mul_f64 v[8:9], v[94:95], v[22:23]
	v_fma_f64 v[8:9], v[92:93], v[20:21], -v[8:9]
	v_add_f64 v[4:5], v[4:5], v[8:9]
	s_waitcnt vmcnt(12) lgkmcnt(11)
	v_mul_f64 v[8:9], v[98:99], v[26:27]
	;; [unrolled: 4-line block ×5, first 2 shown]
	v_fma_f64 v[8:9], v[108:109], v[36:37], -v[8:9]
	v_add_f64 v[10:11], v[144:145], 0
	v_add_f64 v[4:5], v[4:5], v[8:9]
	s_waitcnt vmcnt(8) lgkmcnt(7)
	v_mul_f64 v[8:9], v[114:115], v[42:43]
	v_fmac_f64_e32 v[148:149], v[86:87], v[16:17]
	v_add_f64 v[10:11], v[10:11], v[146:147]
	v_fma_f64 v[8:9], v[112:113], v[40:41], -v[8:9]
	v_mul_f64 v[152:153], v[92:93], v[22:23]
	v_fmac_f64_e32 v[150:151], v[90:91], v[12:13]
	v_add_f64 v[6:7], v[10:11], v[148:149]
	v_add_f64 v[4:5], v[4:5], v[8:9]
	s_waitcnt vmcnt(7) lgkmcnt(6)
	v_mul_f64 v[8:9], v[118:119], v[46:47]
	v_mul_f64 v[154:155], v[96:97], v[26:27]
	v_fmac_f64_e32 v[152:153], v[94:95], v[20:21]
	v_add_f64 v[6:7], v[6:7], v[150:151]
	v_fma_f64 v[8:9], v[116:117], v[44:45], -v[8:9]
	v_mul_f64 v[156:157], v[100:101], v[30:31]
	v_fmac_f64_e32 v[154:155], v[98:99], v[24:25]
	v_add_f64 v[6:7], v[6:7], v[152:153]
	v_add_f64 v[4:5], v[4:5], v[8:9]
	s_waitcnt vmcnt(6) lgkmcnt(5)
	v_mul_f64 v[8:9], v[122:123], v[50:51]
	;; [unrolled: 10-line block ×6, first 2 shown]
	v_mul_f64 v[174:175], v[136:137], v[66:67]
	v_fmac_f64_e32 v[172:173], v[134:135], v[60:61]
	v_add_f64 v[6:7], v[6:7], v[170:171]
	v_fma_f64 v[8:9], v[136:137], v[64:65], -v[8:9]
	s_waitcnt vmcnt(1) lgkmcnt(0)
	v_mul_f64 v[176:177], v[140:141], v[70:71]
	v_fmac_f64_e32 v[174:175], v[138:139], v[64:65]
	v_add_f64 v[6:7], v[6:7], v[172:173]
	v_add_f64 v[4:5], v[4:5], v[8:9]
	v_mul_f64 v[8:9], v[142:143], v[70:71]
	v_fmac_f64_e32 v[176:177], v[142:143], v[68:69]
	v_add_f64 v[6:7], v[6:7], v[174:175]
	v_fma_f64 v[8:9], v[140:141], v[68:69], -v[8:9]
	v_add_f64 v[6:7], v[6:7], v[176:177]
	v_add_f64 v[4:5], v[4:5], v[8:9]
	s_waitcnt vmcnt(0)
	v_add_f64 v[4:5], v[72:73], -v[4:5]
	v_add_f64 v[6:7], v[74:75], -v[6:7]
	scratch_store_dwordx4 off, v[4:7], off offset:272
	s_and_saveexec_b64 s[0:1], vcc
	s_cbranch_execz .LBB97_187
; %bb.186:
	scratch_load_dwordx4 v[6:9], off, s35
	v_mov_b32_e32 v3, v2
	v_mov_b32_e32 v4, v2
	;; [unrolled: 1-line block ×3, first 2 shown]
	scratch_store_dwordx4 off, v[2:5], off offset:256
	s_waitcnt vmcnt(1)
	ds_write_b128 v1, v[6:9]
.LBB97_187:
	s_or_b64 exec, exec, s[0:1]
	s_waitcnt lgkmcnt(0)
	; wave barrier
	scratch_load_dwordx4 v[4:7], off, off offset:272
	scratch_load_dwordx4 v[12:15], off, off offset:288
	;; [unrolled: 1-line block ×18, first 2 shown]
	ds_read_b128 v[76:79], v2 offset:800
	ds_read_b128 v[80:83], v2 offset:816
	;; [unrolled: 1-line block ×18, first 2 shown]
	scratch_load_dwordx4 v[148:151], off, off offset:256
	v_cmp_lt_u32_e32 vcc, 14, v0
	s_waitcnt vmcnt(18) lgkmcnt(14)
	v_mul_f64 v[2:3], v[76:77], v[6:7]
	s_waitcnt vmcnt(17)
	v_mul_f64 v[152:153], v[80:81], v[14:15]
	v_fmac_f64_e32 v[2:3], v[78:79], v[4:5]
	s_waitcnt vmcnt(16)
	v_mul_f64 v[154:155], v[84:85], v[10:11]
	v_fmac_f64_e32 v[152:153], v[82:83], v[12:13]
	v_add_f64 v[2:3], v[2:3], 0
	s_waitcnt vmcnt(15)
	v_mul_f64 v[156:157], v[88:89], v[18:19]
	v_fmac_f64_e32 v[154:155], v[86:87], v[8:9]
	v_add_f64 v[2:3], v[2:3], v[152:153]
	s_waitcnt vmcnt(14) lgkmcnt(13)
	v_mul_f64 v[158:159], v[92:93], v[22:23]
	v_fmac_f64_e32 v[156:157], v[90:91], v[16:17]
	v_add_f64 v[2:3], v[2:3], v[154:155]
	s_waitcnt vmcnt(13) lgkmcnt(12)
	;; [unrolled: 4-line block ×13, first 2 shown]
	v_mul_f64 v[182:183], v[140:141], v[70:71]
	v_mul_f64 v[6:7], v[78:79], v[6:7]
	v_fmac_f64_e32 v[180:181], v[138:139], v[64:65]
	v_add_f64 v[2:3], v[2:3], v[178:179]
	s_waitcnt vmcnt(1) lgkmcnt(0)
	v_mul_f64 v[184:185], v[144:145], v[74:75]
	v_mul_f64 v[14:15], v[82:83], v[14:15]
	v_fmac_f64_e32 v[182:183], v[142:143], v[68:69]
	v_fma_f64 v[4:5], v[76:77], v[4:5], -v[6:7]
	v_add_f64 v[2:3], v[2:3], v[180:181]
	v_mul_f64 v[10:11], v[86:87], v[10:11]
	v_fmac_f64_e32 v[184:185], v[146:147], v[72:73]
	v_fma_f64 v[6:7], v[80:81], v[12:13], -v[14:15]
	v_add_f64 v[4:5], v[4:5], 0
	v_add_f64 v[2:3], v[2:3], v[182:183]
	v_add_f64 v[4:5], v[4:5], v[6:7]
	v_add_f64 v[6:7], v[2:3], v[184:185]
	v_fma_f64 v[2:3], v[84:85], v[8:9], -v[10:11]
	v_add_f64 v[2:3], v[4:5], v[2:3]
	v_mul_f64 v[4:5], v[90:91], v[18:19]
	v_fma_f64 v[4:5], v[88:89], v[16:17], -v[4:5]
	v_add_f64 v[2:3], v[2:3], v[4:5]
	v_mul_f64 v[4:5], v[94:95], v[22:23]
	;; [unrolled: 3-line block ×15, first 2 shown]
	v_fma_f64 v[4:5], v[144:145], v[72:73], -v[4:5]
	v_add_f64 v[2:3], v[2:3], v[4:5]
	s_waitcnt vmcnt(0)
	v_add_f64 v[2:3], v[148:149], -v[2:3]
	v_add_f64 v[4:5], v[150:151], -v[6:7]
	scratch_store_dwordx4 off, v[2:5], off offset:256
	s_and_saveexec_b64 s[0:1], vcc
	s_cbranch_execz .LBB97_189
; %bb.188:
	scratch_load_dwordx4 v[2:5], off, s36
	v_mov_b32_e32 v6, 0
	v_mov_b32_e32 v7, v6
	;; [unrolled: 1-line block ×4, first 2 shown]
	scratch_store_dwordx4 off, v[6:9], off offset:240
	s_waitcnt vmcnt(1)
	ds_write_b128 v1, v[2:5]
.LBB97_189:
	s_or_b64 exec, exec, s[0:1]
	v_mov_b32_e32 v2, 0
	s_waitcnt lgkmcnt(0)
	; wave barrier
	ds_read_b128 v[16:19], v2 offset:784
	ds_read_b128 v[12:15], v2 offset:800
	;; [unrolled: 1-line block ×4, first 2 shown]
	scratch_load_dwordx4 v[20:23], off, off offset:256
	scratch_load_dwordx4 v[40:43], off, off offset:320
	;; [unrolled: 1-line block ×13, first 2 shown]
	v_cmp_lt_u32_e32 vcc, 13, v0
	scratch_load_dwordx4 v[48:51], off, off offset:336
	scratch_load_dwordx4 v[56:59], off, off offset:352
	scratch_load_dwordx4 v[64:67], off, off offset:368
	s_waitcnt vmcnt(15) lgkmcnt(3)
	v_mul_f64 v[24:25], v[16:17], v[22:23]
	v_fmac_f64_e32 v[24:25], v[18:19], v[20:21]
	v_add_f64 v[28:29], v[24:25], 0
	scratch_load_dwordx4 v[24:27], off, off offset:272
	v_mul_f64 v[18:19], v[18:19], v[22:23]
	v_fma_f64 v[16:17], v[16:17], v[20:21], -v[18:19]
	v_add_f64 v[16:17], v[16:17], 0
	s_waitcnt vmcnt(0) lgkmcnt(2)
	v_mul_f64 v[30:31], v[12:13], v[26:27]
	v_fmac_f64_e32 v[30:31], v[14:15], v[24:25]
	v_add_f64 v[32:33], v[28:29], v[30:31]
	scratch_load_dwordx4 v[28:31], off, off offset:288
	v_mul_f64 v[14:15], v[14:15], v[26:27]
	v_fma_f64 v[12:13], v[12:13], v[24:25], -v[14:15]
	v_add_f64 v[12:13], v[16:17], v[12:13]
	;; [unrolled: 8-line block ×3, first 2 shown]
	s_waitcnt vmcnt(0) lgkmcnt(0)
	v_mul_f64 v[38:39], v[4:5], v[34:35]
	v_fmac_f64_e32 v[38:39], v[6:7], v[32:33]
	v_add_f64 v[44:45], v[36:37], v[38:39]
	ds_read_b128 v[36:39], v2 offset:848
	v_mul_f64 v[6:7], v[6:7], v[34:35]
	v_fma_f64 v[4:5], v[4:5], v[32:33], -v[6:7]
	v_add_f64 v[4:5], v[8:9], v[4:5]
	s_waitcnt lgkmcnt(0)
	v_mul_f64 v[46:47], v[36:37], v[42:43]
	v_fmac_f64_e32 v[46:47], v[38:39], v[40:41]
	v_add_f64 v[52:53], v[44:45], v[46:47]
	ds_read_b128 v[44:47], v2 offset:864
	v_mul_f64 v[6:7], v[38:39], v[42:43]
	v_fma_f64 v[6:7], v[36:37], v[40:41], -v[6:7]
	v_add_f64 v[4:5], v[4:5], v[6:7]
	s_waitcnt lgkmcnt(0)
	;; [unrolled: 8-line block ×15, first 2 shown]
	v_mul_f64 v[6:7], v[152:153], v[156:157]
	v_fma_f64 v[6:7], v[150:151], v[154:155], -v[6:7]
	v_add_f64 v[8:9], v[4:5], v[6:7]
	scratch_load_dwordx4 v[4:7], off, off offset:240
	v_mul_f64 v[158:159], v[150:151], v[156:157]
	v_fmac_f64_e32 v[158:159], v[152:153], v[154:155]
	v_add_f64 v[88:89], v[88:89], v[158:159]
	s_waitcnt vmcnt(0)
	v_add_f64 v[4:5], v[4:5], -v[8:9]
	v_add_f64 v[6:7], v[6:7], -v[88:89]
	scratch_store_dwordx4 off, v[4:7], off offset:240
	s_and_saveexec_b64 s[0:1], vcc
	s_cbranch_execz .LBB97_191
; %bb.190:
	scratch_load_dwordx4 v[6:9], off, s37
	v_mov_b32_e32 v3, v2
	v_mov_b32_e32 v4, v2
	;; [unrolled: 1-line block ×3, first 2 shown]
	scratch_store_dwordx4 off, v[2:5], off offset:224
	s_waitcnt vmcnt(1)
	ds_write_b128 v1, v[6:9]
.LBB97_191:
	s_or_b64 exec, exec, s[0:1]
	s_waitcnt lgkmcnt(0)
	; wave barrier
	ds_read_b128 v[16:19], v2 offset:768
	ds_read_b128 v[12:15], v2 offset:784
	;; [unrolled: 1-line block ×4, first 2 shown]
	scratch_load_dwordx4 v[20:23], off, off offset:240
	scratch_load_dwordx4 v[40:43], off, off offset:304
	;; [unrolled: 1-line block ×14, first 2 shown]
	v_cmp_lt_u32_e32 vcc, 12, v0
	scratch_load_dwordx4 v[48:51], off, off offset:320
	scratch_load_dwordx4 v[56:59], off, off offset:336
	;; [unrolled: 1-line block ×3, first 2 shown]
	s_waitcnt vmcnt(16) lgkmcnt(3)
	v_mul_f64 v[24:25], v[16:17], v[22:23]
	v_fmac_f64_e32 v[24:25], v[18:19], v[20:21]
	v_add_f64 v[28:29], v[24:25], 0
	scratch_load_dwordx4 v[24:27], off, off offset:256
	s_waitcnt vmcnt(0) lgkmcnt(2)
	v_mul_f64 v[30:31], v[12:13], v[26:27]
	v_fmac_f64_e32 v[30:31], v[14:15], v[24:25]
	v_add_f64 v[32:33], v[28:29], v[30:31]
	scratch_load_dwordx4 v[28:31], off, off offset:272
	v_mul_f64 v[14:15], v[14:15], v[26:27]
	v_fma_f64 v[12:13], v[12:13], v[24:25], -v[14:15]
	s_waitcnt vmcnt(0) lgkmcnt(1)
	v_mul_f64 v[34:35], v[8:9], v[30:31]
	v_fmac_f64_e32 v[34:35], v[10:11], v[28:29]
	v_add_f64 v[36:37], v[32:33], v[34:35]
	scratch_load_dwordx4 v[32:35], off, off offset:288
	v_mul_f64 v[10:11], v[10:11], v[30:31]
	v_fma_f64 v[8:9], v[8:9], v[28:29], -v[10:11]
	s_waitcnt vmcnt(0) lgkmcnt(0)
	v_mul_f64 v[38:39], v[4:5], v[34:35]
	v_fmac_f64_e32 v[38:39], v[6:7], v[32:33]
	v_add_f64 v[44:45], v[36:37], v[38:39]
	ds_read_b128 v[36:39], v2 offset:832
	v_mul_f64 v[6:7], v[6:7], v[34:35]
	v_fma_f64 v[4:5], v[4:5], v[32:33], -v[6:7]
	s_waitcnt lgkmcnt(0)
	v_mul_f64 v[46:47], v[36:37], v[42:43]
	v_fmac_f64_e32 v[46:47], v[38:39], v[40:41]
	v_add_f64 v[52:53], v[44:45], v[46:47]
	ds_read_b128 v[44:47], v2 offset:848
	s_waitcnt lgkmcnt(0)
	v_mul_f64 v[54:55], v[44:45], v[50:51]
	v_fmac_f64_e32 v[54:55], v[46:47], v[48:49]
	v_add_f64 v[60:61], v[52:53], v[54:55]
	ds_read_b128 v[52:55], v2 offset:864
	;; [unrolled: 5-line block ×15, first 2 shown]
	s_waitcnt lgkmcnt(0)
	v_mul_f64 v[2:3], v[158:159], v[164:165]
	v_fmac_f64_e32 v[2:3], v[160:161], v[162:163]
	v_add_f64 v[96:97], v[96:97], v[2:3]
	v_mul_f64 v[2:3], v[18:19], v[22:23]
	v_fma_f64 v[2:3], v[16:17], v[20:21], -v[2:3]
	v_add_f64 v[2:3], v[2:3], 0
	v_add_f64 v[2:3], v[2:3], v[12:13]
	v_add_f64 v[2:3], v[2:3], v[8:9]
	v_add_f64 v[2:3], v[2:3], v[4:5]
	v_mul_f64 v[4:5], v[38:39], v[42:43]
	v_fma_f64 v[4:5], v[36:37], v[40:41], -v[4:5]
	v_add_f64 v[2:3], v[2:3], v[4:5]
	v_mul_f64 v[4:5], v[46:47], v[50:51]
	v_fma_f64 v[4:5], v[44:45], v[48:49], -v[4:5]
	v_add_f64 v[2:3], v[2:3], v[4:5]
	;; [unrolled: 3-line block ×16, first 2 shown]
	scratch_load_dwordx4 v[2:5], off, off offset:224
	s_waitcnt vmcnt(0)
	v_add_f64 v[2:3], v[2:3], -v[6:7]
	v_add_f64 v[4:5], v[4:5], -v[96:97]
	scratch_store_dwordx4 off, v[2:5], off offset:224
	s_and_saveexec_b64 s[0:1], vcc
	s_cbranch_execz .LBB97_193
; %bb.192:
	scratch_load_dwordx4 v[2:5], off, s38
	v_mov_b32_e32 v6, 0
	v_mov_b32_e32 v7, v6
	;; [unrolled: 1-line block ×4, first 2 shown]
	scratch_store_dwordx4 off, v[6:9], off offset:208
	s_waitcnt vmcnt(1)
	ds_write_b128 v1, v[2:5]
.LBB97_193:
	s_or_b64 exec, exec, s[0:1]
	v_mov_b32_e32 v2, 0
	s_waitcnt lgkmcnt(0)
	; wave barrier
	ds_read_b128 v[16:19], v2 offset:752
	ds_read_b128 v[12:15], v2 offset:768
	;; [unrolled: 1-line block ×4, first 2 shown]
	scratch_load_dwordx4 v[20:23], off, off offset:224
	scratch_load_dwordx4 v[40:43], off, off offset:288
	;; [unrolled: 1-line block ×15, first 2 shown]
	v_cmp_lt_u32_e32 vcc, 11, v0
	scratch_load_dwordx4 v[48:51], off, off offset:304
	scratch_load_dwordx4 v[56:59], off, off offset:320
	;; [unrolled: 1-line block ×3, first 2 shown]
	s_waitcnt vmcnt(17) lgkmcnt(3)
	v_mul_f64 v[24:25], v[16:17], v[22:23]
	v_fmac_f64_e32 v[24:25], v[18:19], v[20:21]
	v_add_f64 v[28:29], v[24:25], 0
	scratch_load_dwordx4 v[24:27], off, off offset:240
	v_mul_f64 v[18:19], v[18:19], v[22:23]
	v_fma_f64 v[16:17], v[16:17], v[20:21], -v[18:19]
	v_add_f64 v[16:17], v[16:17], 0
	s_waitcnt vmcnt(0) lgkmcnt(2)
	v_mul_f64 v[30:31], v[12:13], v[26:27]
	v_fmac_f64_e32 v[30:31], v[14:15], v[24:25]
	v_add_f64 v[32:33], v[28:29], v[30:31]
	scratch_load_dwordx4 v[28:31], off, off offset:256
	v_mul_f64 v[14:15], v[14:15], v[26:27]
	v_fma_f64 v[12:13], v[12:13], v[24:25], -v[14:15]
	v_add_f64 v[12:13], v[16:17], v[12:13]
	;; [unrolled: 8-line block ×3, first 2 shown]
	s_waitcnt vmcnt(0) lgkmcnt(0)
	v_mul_f64 v[38:39], v[4:5], v[34:35]
	v_fmac_f64_e32 v[38:39], v[6:7], v[32:33]
	v_add_f64 v[44:45], v[36:37], v[38:39]
	ds_read_b128 v[36:39], v2 offset:816
	v_mul_f64 v[6:7], v[6:7], v[34:35]
	v_fma_f64 v[4:5], v[4:5], v[32:33], -v[6:7]
	v_add_f64 v[4:5], v[8:9], v[4:5]
	s_waitcnt lgkmcnt(0)
	v_mul_f64 v[46:47], v[36:37], v[42:43]
	v_fmac_f64_e32 v[46:47], v[38:39], v[40:41]
	v_add_f64 v[52:53], v[44:45], v[46:47]
	ds_read_b128 v[44:47], v2 offset:832
	v_mul_f64 v[6:7], v[38:39], v[42:43]
	v_fma_f64 v[6:7], v[36:37], v[40:41], -v[6:7]
	v_add_f64 v[4:5], v[4:5], v[6:7]
	s_waitcnt lgkmcnt(0)
	;; [unrolled: 8-line block ×17, first 2 shown]
	v_mul_f64 v[6:7], v[168:169], v[172:173]
	v_fma_f64 v[6:7], v[166:167], v[170:171], -v[6:7]
	v_add_f64 v[8:9], v[4:5], v[6:7]
	scratch_load_dwordx4 v[4:7], off, off offset:208
	v_mul_f64 v[174:175], v[166:167], v[172:173]
	v_fmac_f64_e32 v[174:175], v[168:169], v[170:171]
	v_add_f64 v[104:105], v[104:105], v[174:175]
	s_waitcnt vmcnt(0)
	v_add_f64 v[4:5], v[4:5], -v[8:9]
	v_add_f64 v[6:7], v[6:7], -v[104:105]
	scratch_store_dwordx4 off, v[4:7], off offset:208
	s_and_saveexec_b64 s[0:1], vcc
	s_cbranch_execz .LBB97_195
; %bb.194:
	scratch_load_dwordx4 v[6:9], off, s39
	v_mov_b32_e32 v3, v2
	v_mov_b32_e32 v4, v2
	;; [unrolled: 1-line block ×3, first 2 shown]
	scratch_store_dwordx4 off, v[2:5], off offset:192
	s_waitcnt vmcnt(1)
	ds_write_b128 v1, v[6:9]
.LBB97_195:
	s_or_b64 exec, exec, s[0:1]
	s_waitcnt lgkmcnt(0)
	; wave barrier
	ds_read_b128 v[16:19], v2 offset:736
	ds_read_b128 v[12:15], v2 offset:752
	;; [unrolled: 1-line block ×4, first 2 shown]
	scratch_load_dwordx4 v[20:23], off, off offset:208
	scratch_load_dwordx4 v[40:43], off, off offset:272
	;; [unrolled: 1-line block ×16, first 2 shown]
	v_cmp_lt_u32_e32 vcc, 10, v0
	scratch_load_dwordx4 v[48:51], off, off offset:288
	scratch_load_dwordx4 v[56:59], off, off offset:304
	;; [unrolled: 1-line block ×3, first 2 shown]
	s_waitcnt vmcnt(18) lgkmcnt(3)
	v_mul_f64 v[24:25], v[16:17], v[22:23]
	v_fmac_f64_e32 v[24:25], v[18:19], v[20:21]
	v_add_f64 v[28:29], v[24:25], 0
	scratch_load_dwordx4 v[24:27], off, off offset:224
	s_waitcnt vmcnt(0) lgkmcnt(2)
	v_mul_f64 v[30:31], v[12:13], v[26:27]
	v_fmac_f64_e32 v[30:31], v[14:15], v[24:25]
	v_add_f64 v[32:33], v[28:29], v[30:31]
	scratch_load_dwordx4 v[28:31], off, off offset:240
	v_mul_f64 v[14:15], v[14:15], v[26:27]
	v_fma_f64 v[12:13], v[12:13], v[24:25], -v[14:15]
	s_waitcnt vmcnt(0) lgkmcnt(1)
	v_mul_f64 v[34:35], v[8:9], v[30:31]
	v_fmac_f64_e32 v[34:35], v[10:11], v[28:29]
	v_add_f64 v[36:37], v[32:33], v[34:35]
	scratch_load_dwordx4 v[32:35], off, off offset:256
	v_mul_f64 v[10:11], v[10:11], v[30:31]
	v_fma_f64 v[8:9], v[8:9], v[28:29], -v[10:11]
	s_waitcnt vmcnt(0) lgkmcnt(0)
	v_mul_f64 v[38:39], v[4:5], v[34:35]
	v_fmac_f64_e32 v[38:39], v[6:7], v[32:33]
	v_add_f64 v[44:45], v[36:37], v[38:39]
	ds_read_b128 v[36:39], v2 offset:800
	v_mul_f64 v[6:7], v[6:7], v[34:35]
	v_fma_f64 v[4:5], v[4:5], v[32:33], -v[6:7]
	s_waitcnt lgkmcnt(0)
	v_mul_f64 v[46:47], v[36:37], v[42:43]
	v_fmac_f64_e32 v[46:47], v[38:39], v[40:41]
	v_add_f64 v[52:53], v[44:45], v[46:47]
	ds_read_b128 v[44:47], v2 offset:816
	s_waitcnt lgkmcnt(0)
	v_mul_f64 v[54:55], v[44:45], v[50:51]
	v_fmac_f64_e32 v[54:55], v[46:47], v[48:49]
	v_add_f64 v[60:61], v[52:53], v[54:55]
	ds_read_b128 v[52:55], v2 offset:832
	;; [unrolled: 5-line block ×17, first 2 shown]
	s_waitcnt lgkmcnt(0)
	v_mul_f64 v[2:3], v[174:175], v[180:181]
	v_fmac_f64_e32 v[2:3], v[176:177], v[178:179]
	v_add_f64 v[120:121], v[120:121], v[2:3]
	v_mul_f64 v[2:3], v[18:19], v[22:23]
	v_fma_f64 v[2:3], v[16:17], v[20:21], -v[2:3]
	v_add_f64 v[2:3], v[2:3], 0
	v_add_f64 v[2:3], v[2:3], v[12:13]
	;; [unrolled: 1-line block ×4, first 2 shown]
	v_mul_f64 v[4:5], v[38:39], v[42:43]
	v_fma_f64 v[4:5], v[36:37], v[40:41], -v[4:5]
	v_add_f64 v[2:3], v[2:3], v[4:5]
	v_mul_f64 v[4:5], v[46:47], v[50:51]
	v_fma_f64 v[4:5], v[44:45], v[48:49], -v[4:5]
	v_add_f64 v[2:3], v[2:3], v[4:5]
	;; [unrolled: 3-line block ×18, first 2 shown]
	scratch_load_dwordx4 v[2:5], off, off offset:192
	s_waitcnt vmcnt(0)
	v_add_f64 v[2:3], v[2:3], -v[6:7]
	v_add_f64 v[4:5], v[4:5], -v[120:121]
	scratch_store_dwordx4 off, v[2:5], off offset:192
	s_and_saveexec_b64 s[0:1], vcc
	s_cbranch_execz .LBB97_197
; %bb.196:
	scratch_load_dwordx4 v[2:5], off, s40
	v_mov_b32_e32 v6, 0
	v_mov_b32_e32 v7, v6
	;; [unrolled: 1-line block ×4, first 2 shown]
	scratch_store_dwordx4 off, v[6:9], off offset:176
	s_waitcnt vmcnt(1)
	ds_write_b128 v1, v[2:5]
.LBB97_197:
	s_or_b64 exec, exec, s[0:1]
	v_mov_b32_e32 v2, 0
	s_waitcnt lgkmcnt(0)
	; wave barrier
	ds_read_b128 v[16:19], v2 offset:720
	ds_read_b128 v[12:15], v2 offset:736
	;; [unrolled: 1-line block ×4, first 2 shown]
	scratch_load_dwordx4 v[20:23], off, off offset:192
	scratch_load_dwordx4 v[40:43], off, off offset:256
	;; [unrolled: 1-line block ×17, first 2 shown]
	v_cmp_lt_u32_e32 vcc, 9, v0
	scratch_load_dwordx4 v[48:51], off, off offset:272
	scratch_load_dwordx4 v[56:59], off, off offset:288
	;; [unrolled: 1-line block ×3, first 2 shown]
	s_waitcnt vmcnt(19) lgkmcnt(3)
	v_mul_f64 v[24:25], v[16:17], v[22:23]
	v_fmac_f64_e32 v[24:25], v[18:19], v[20:21]
	v_add_f64 v[28:29], v[24:25], 0
	scratch_load_dwordx4 v[24:27], off, off offset:208
	v_mul_f64 v[18:19], v[18:19], v[22:23]
	v_fma_f64 v[16:17], v[16:17], v[20:21], -v[18:19]
	v_add_f64 v[16:17], v[16:17], 0
	s_waitcnt vmcnt(0) lgkmcnt(2)
	v_mul_f64 v[30:31], v[12:13], v[26:27]
	v_fmac_f64_e32 v[30:31], v[14:15], v[24:25]
	v_add_f64 v[32:33], v[28:29], v[30:31]
	scratch_load_dwordx4 v[28:31], off, off offset:224
	v_mul_f64 v[14:15], v[14:15], v[26:27]
	v_fma_f64 v[12:13], v[12:13], v[24:25], -v[14:15]
	v_add_f64 v[12:13], v[16:17], v[12:13]
	;; [unrolled: 8-line block ×3, first 2 shown]
	s_waitcnt vmcnt(0) lgkmcnt(0)
	v_mul_f64 v[38:39], v[4:5], v[34:35]
	v_fmac_f64_e32 v[38:39], v[6:7], v[32:33]
	v_add_f64 v[44:45], v[36:37], v[38:39]
	ds_read_b128 v[36:39], v2 offset:784
	v_mul_f64 v[6:7], v[6:7], v[34:35]
	v_fma_f64 v[4:5], v[4:5], v[32:33], -v[6:7]
	v_add_f64 v[4:5], v[8:9], v[4:5]
	s_waitcnt lgkmcnt(0)
	v_mul_f64 v[46:47], v[36:37], v[42:43]
	v_fmac_f64_e32 v[46:47], v[38:39], v[40:41]
	v_add_f64 v[52:53], v[44:45], v[46:47]
	ds_read_b128 v[44:47], v2 offset:800
	v_mul_f64 v[6:7], v[38:39], v[42:43]
	v_fma_f64 v[6:7], v[36:37], v[40:41], -v[6:7]
	v_add_f64 v[4:5], v[4:5], v[6:7]
	s_waitcnt lgkmcnt(0)
	;; [unrolled: 8-line block ×19, first 2 shown]
	v_mul_f64 v[6:7], v[184:185], v[188:189]
	v_fma_f64 v[6:7], v[182:183], v[186:187], -v[6:7]
	v_add_f64 v[8:9], v[4:5], v[6:7]
	scratch_load_dwordx4 v[4:7], off, off offset:176
	v_mul_f64 v[190:191], v[182:183], v[188:189]
	v_fmac_f64_e32 v[190:191], v[184:185], v[186:187]
	v_add_f64 v[128:129], v[128:129], v[190:191]
	s_waitcnt vmcnt(0)
	v_add_f64 v[4:5], v[4:5], -v[8:9]
	v_add_f64 v[6:7], v[6:7], -v[128:129]
	scratch_store_dwordx4 off, v[4:7], off offset:176
	s_and_saveexec_b64 s[0:1], vcc
	s_cbranch_execz .LBB97_199
; %bb.198:
	scratch_load_dwordx4 v[6:9], off, s41
	v_mov_b32_e32 v3, v2
	v_mov_b32_e32 v4, v2
	;; [unrolled: 1-line block ×3, first 2 shown]
	scratch_store_dwordx4 off, v[2:5], off offset:160
	s_waitcnt vmcnt(1)
	ds_write_b128 v1, v[6:9]
.LBB97_199:
	s_or_b64 exec, exec, s[0:1]
	s_waitcnt lgkmcnt(0)
	; wave barrier
	ds_read_b128 v[16:19], v2 offset:704
	ds_read_b128 v[12:15], v2 offset:720
	;; [unrolled: 1-line block ×4, first 2 shown]
	scratch_load_dwordx4 v[20:23], off, off offset:176
	scratch_load_dwordx4 v[40:43], off, off offset:240
	;; [unrolled: 1-line block ×18, first 2 shown]
	v_cmp_lt_u32_e32 vcc, 8, v0
	scratch_load_dwordx4 v[48:51], off, off offset:256
	scratch_load_dwordx4 v[56:59], off, off offset:272
	;; [unrolled: 1-line block ×3, first 2 shown]
	s_waitcnt vmcnt(20) lgkmcnt(3)
	v_mul_f64 v[24:25], v[16:17], v[22:23]
	v_fmac_f64_e32 v[24:25], v[18:19], v[20:21]
	v_add_f64 v[28:29], v[24:25], 0
	scratch_load_dwordx4 v[24:27], off, off offset:192
	s_waitcnt vmcnt(0) lgkmcnt(2)
	v_mul_f64 v[30:31], v[12:13], v[26:27]
	v_fmac_f64_e32 v[30:31], v[14:15], v[24:25]
	v_add_f64 v[32:33], v[28:29], v[30:31]
	scratch_load_dwordx4 v[28:31], off, off offset:208
	v_mul_f64 v[14:15], v[14:15], v[26:27]
	v_fma_f64 v[12:13], v[12:13], v[24:25], -v[14:15]
	s_waitcnt vmcnt(0) lgkmcnt(1)
	v_mul_f64 v[34:35], v[8:9], v[30:31]
	v_fmac_f64_e32 v[34:35], v[10:11], v[28:29]
	v_add_f64 v[36:37], v[32:33], v[34:35]
	scratch_load_dwordx4 v[32:35], off, off offset:224
	v_mul_f64 v[10:11], v[10:11], v[30:31]
	v_fma_f64 v[8:9], v[8:9], v[28:29], -v[10:11]
	s_waitcnt vmcnt(0) lgkmcnt(0)
	v_mul_f64 v[38:39], v[4:5], v[34:35]
	v_fmac_f64_e32 v[38:39], v[6:7], v[32:33]
	v_add_f64 v[44:45], v[36:37], v[38:39]
	ds_read_b128 v[36:39], v2 offset:768
	v_mul_f64 v[6:7], v[6:7], v[34:35]
	v_fma_f64 v[4:5], v[4:5], v[32:33], -v[6:7]
	s_waitcnt lgkmcnt(0)
	v_mul_f64 v[46:47], v[36:37], v[42:43]
	v_fmac_f64_e32 v[46:47], v[38:39], v[40:41]
	v_add_f64 v[52:53], v[44:45], v[46:47]
	ds_read_b128 v[44:47], v2 offset:784
	s_waitcnt lgkmcnt(0)
	v_mul_f64 v[54:55], v[44:45], v[50:51]
	v_fmac_f64_e32 v[54:55], v[46:47], v[48:49]
	v_add_f64 v[60:61], v[52:53], v[54:55]
	ds_read_b128 v[52:55], v2 offset:800
	;; [unrolled: 5-line block ×19, first 2 shown]
	s_waitcnt lgkmcnt(0)
	v_mul_f64 v[2:3], v[190:191], v[196:197]
	v_fmac_f64_e32 v[2:3], v[192:193], v[194:195]
	v_add_f64 v[148:149], v[148:149], v[2:3]
	v_mul_f64 v[2:3], v[18:19], v[22:23]
	v_fma_f64 v[2:3], v[16:17], v[20:21], -v[2:3]
	v_add_f64 v[2:3], v[2:3], 0
	v_add_f64 v[2:3], v[2:3], v[12:13]
	;; [unrolled: 1-line block ×4, first 2 shown]
	v_mul_f64 v[4:5], v[38:39], v[42:43]
	v_fma_f64 v[4:5], v[36:37], v[40:41], -v[4:5]
	v_add_f64 v[2:3], v[2:3], v[4:5]
	v_mul_f64 v[4:5], v[46:47], v[50:51]
	v_fma_f64 v[4:5], v[44:45], v[48:49], -v[4:5]
	v_add_f64 v[2:3], v[2:3], v[4:5]
	;; [unrolled: 3-line block ×20, first 2 shown]
	scratch_load_dwordx4 v[2:5], off, off offset:160
	s_waitcnt vmcnt(0)
	v_add_f64 v[2:3], v[2:3], -v[6:7]
	v_add_f64 v[4:5], v[4:5], -v[148:149]
	scratch_store_dwordx4 off, v[2:5], off offset:160
	s_and_saveexec_b64 s[0:1], vcc
	s_cbranch_execz .LBB97_201
; %bb.200:
	scratch_load_dwordx4 v[2:5], off, s42
	v_mov_b32_e32 v6, 0
	v_mov_b32_e32 v7, v6
	;; [unrolled: 1-line block ×4, first 2 shown]
	scratch_store_dwordx4 off, v[6:9], off offset:144
	s_waitcnt vmcnt(1)
	ds_write_b128 v1, v[2:5]
.LBB97_201:
	s_or_b64 exec, exec, s[0:1]
	v_mov_b32_e32 v2, 0
	s_waitcnt lgkmcnt(0)
	; wave barrier
	ds_read_b128 v[16:19], v2 offset:688
	ds_read_b128 v[12:15], v2 offset:704
	;; [unrolled: 1-line block ×4, first 2 shown]
	scratch_load_dwordx4 v[20:23], off, off offset:160
	scratch_load_dwordx4 v[40:43], off, off offset:224
	;; [unrolled: 1-line block ×19, first 2 shown]
	v_cmp_lt_u32_e32 vcc, 7, v0
	scratch_load_dwordx4 v[48:51], off, off offset:240
	scratch_load_dwordx4 v[56:59], off, off offset:256
	;; [unrolled: 1-line block ×3, first 2 shown]
	s_waitcnt vmcnt(21) lgkmcnt(3)
	v_mul_f64 v[24:25], v[16:17], v[22:23]
	v_fmac_f64_e32 v[24:25], v[18:19], v[20:21]
	v_add_f64 v[28:29], v[24:25], 0
	scratch_load_dwordx4 v[24:27], off, off offset:176
	v_mul_f64 v[18:19], v[18:19], v[22:23]
	v_fma_f64 v[16:17], v[16:17], v[20:21], -v[18:19]
	v_add_f64 v[16:17], v[16:17], 0
	s_waitcnt vmcnt(0) lgkmcnt(2)
	v_mul_f64 v[30:31], v[12:13], v[26:27]
	v_fmac_f64_e32 v[30:31], v[14:15], v[24:25]
	v_add_f64 v[32:33], v[28:29], v[30:31]
	scratch_load_dwordx4 v[28:31], off, off offset:192
	v_mul_f64 v[14:15], v[14:15], v[26:27]
	v_fma_f64 v[12:13], v[12:13], v[24:25], -v[14:15]
	v_add_f64 v[12:13], v[16:17], v[12:13]
	;; [unrolled: 8-line block ×3, first 2 shown]
	s_waitcnt vmcnt(0) lgkmcnt(0)
	v_mul_f64 v[38:39], v[4:5], v[34:35]
	v_fmac_f64_e32 v[38:39], v[6:7], v[32:33]
	v_add_f64 v[44:45], v[36:37], v[38:39]
	ds_read_b128 v[36:39], v2 offset:752
	v_mul_f64 v[6:7], v[6:7], v[34:35]
	v_fma_f64 v[4:5], v[4:5], v[32:33], -v[6:7]
	v_add_f64 v[4:5], v[8:9], v[4:5]
	s_waitcnt lgkmcnt(0)
	v_mul_f64 v[46:47], v[36:37], v[42:43]
	v_fmac_f64_e32 v[46:47], v[38:39], v[40:41]
	v_add_f64 v[52:53], v[44:45], v[46:47]
	ds_read_b128 v[44:47], v2 offset:768
	v_mul_f64 v[6:7], v[38:39], v[42:43]
	v_fma_f64 v[6:7], v[36:37], v[40:41], -v[6:7]
	v_add_f64 v[4:5], v[4:5], v[6:7]
	s_waitcnt lgkmcnt(0)
	;; [unrolled: 8-line block ×21, first 2 shown]
	v_mul_f64 v[6:7], v[200:201], v[204:205]
	v_fma_f64 v[6:7], v[198:199], v[202:203], -v[6:7]
	v_add_f64 v[8:9], v[4:5], v[6:7]
	scratch_load_dwordx4 v[4:7], off, off offset:144
	v_mul_f64 v[206:207], v[198:199], v[204:205]
	v_fmac_f64_e32 v[206:207], v[200:201], v[202:203]
	v_add_f64 v[144:145], v[144:145], v[206:207]
	s_waitcnt vmcnt(0)
	v_add_f64 v[4:5], v[4:5], -v[8:9]
	v_add_f64 v[6:7], v[6:7], -v[144:145]
	scratch_store_dwordx4 off, v[4:7], off offset:144
	s_and_saveexec_b64 s[0:1], vcc
	s_cbranch_execz .LBB97_203
; %bb.202:
	scratch_load_dwordx4 v[6:9], off, s43
	v_mov_b32_e32 v3, v2
	v_mov_b32_e32 v4, v2
	v_mov_b32_e32 v5, v2
	scratch_store_dwordx4 off, v[2:5], off offset:128
	s_waitcnt vmcnt(1)
	ds_write_b128 v1, v[6:9]
.LBB97_203:
	s_or_b64 exec, exec, s[0:1]
	s_waitcnt lgkmcnt(0)
	; wave barrier
	ds_read_b128 v[16:19], v2 offset:672
	ds_read_b128 v[12:15], v2 offset:688
	;; [unrolled: 1-line block ×4, first 2 shown]
	scratch_load_dwordx4 v[20:23], off, off offset:144
	scratch_load_dwordx4 v[40:43], off, off offset:208
	;; [unrolled: 1-line block ×20, first 2 shown]
	v_cmp_lt_u32_e32 vcc, 6, v0
	scratch_load_dwordx4 v[48:51], off, off offset:224
	scratch_load_dwordx4 v[56:59], off, off offset:240
	;; [unrolled: 1-line block ×3, first 2 shown]
	s_waitcnt vmcnt(22) lgkmcnt(3)
	v_mul_f64 v[24:25], v[16:17], v[22:23]
	v_fmac_f64_e32 v[24:25], v[18:19], v[20:21]
	v_add_f64 v[28:29], v[24:25], 0
	scratch_load_dwordx4 v[24:27], off, off offset:160
	s_waitcnt vmcnt(0) lgkmcnt(2)
	v_mul_f64 v[30:31], v[12:13], v[26:27]
	v_fmac_f64_e32 v[30:31], v[14:15], v[24:25]
	v_add_f64 v[32:33], v[28:29], v[30:31]
	scratch_load_dwordx4 v[28:31], off, off offset:176
	v_mul_f64 v[14:15], v[14:15], v[26:27]
	v_fma_f64 v[12:13], v[12:13], v[24:25], -v[14:15]
	s_waitcnt vmcnt(0) lgkmcnt(1)
	v_mul_f64 v[34:35], v[8:9], v[30:31]
	v_fmac_f64_e32 v[34:35], v[10:11], v[28:29]
	v_add_f64 v[36:37], v[32:33], v[34:35]
	scratch_load_dwordx4 v[32:35], off, off offset:192
	v_mul_f64 v[10:11], v[10:11], v[30:31]
	v_fma_f64 v[8:9], v[8:9], v[28:29], -v[10:11]
	s_waitcnt vmcnt(0) lgkmcnt(0)
	v_mul_f64 v[38:39], v[4:5], v[34:35]
	v_fmac_f64_e32 v[38:39], v[6:7], v[32:33]
	v_add_f64 v[44:45], v[36:37], v[38:39]
	ds_read_b128 v[36:39], v2 offset:736
	v_mul_f64 v[6:7], v[6:7], v[34:35]
	v_fma_f64 v[4:5], v[4:5], v[32:33], -v[6:7]
	s_waitcnt lgkmcnt(0)
	v_mul_f64 v[46:47], v[36:37], v[42:43]
	v_fmac_f64_e32 v[46:47], v[38:39], v[40:41]
	v_add_f64 v[52:53], v[44:45], v[46:47]
	ds_read_b128 v[44:47], v2 offset:752
	s_waitcnt lgkmcnt(0)
	v_mul_f64 v[54:55], v[44:45], v[50:51]
	v_fmac_f64_e32 v[54:55], v[46:47], v[48:49]
	v_add_f64 v[60:61], v[52:53], v[54:55]
	ds_read_b128 v[52:55], v2 offset:768
	;; [unrolled: 5-line block ×21, first 2 shown]
	s_waitcnt lgkmcnt(0)
	v_mul_f64 v[2:3], v[206:207], v[212:213]
	v_fmac_f64_e32 v[2:3], v[208:209], v[210:211]
	v_add_f64 v[168:169], v[168:169], v[2:3]
	v_mul_f64 v[2:3], v[18:19], v[22:23]
	v_fma_f64 v[2:3], v[16:17], v[20:21], -v[2:3]
	v_add_f64 v[2:3], v[2:3], 0
	v_add_f64 v[2:3], v[2:3], v[12:13]
	;; [unrolled: 1-line block ×4, first 2 shown]
	v_mul_f64 v[4:5], v[38:39], v[42:43]
	v_fma_f64 v[4:5], v[36:37], v[40:41], -v[4:5]
	v_add_f64 v[2:3], v[2:3], v[4:5]
	v_mul_f64 v[4:5], v[46:47], v[50:51]
	v_fma_f64 v[4:5], v[44:45], v[48:49], -v[4:5]
	v_add_f64 v[2:3], v[2:3], v[4:5]
	;; [unrolled: 3-line block ×22, first 2 shown]
	scratch_load_dwordx4 v[2:5], off, off offset:128
	s_waitcnt vmcnt(0)
	v_add_f64 v[2:3], v[2:3], -v[6:7]
	v_add_f64 v[4:5], v[4:5], -v[168:169]
	scratch_store_dwordx4 off, v[2:5], off offset:128
	s_and_saveexec_b64 s[0:1], vcc
	s_cbranch_execz .LBB97_205
; %bb.204:
	scratch_load_dwordx4 v[2:5], off, s44
	v_mov_b32_e32 v6, 0
	v_mov_b32_e32 v7, v6
	;; [unrolled: 1-line block ×4, first 2 shown]
	scratch_store_dwordx4 off, v[6:9], off offset:112
	s_waitcnt vmcnt(1)
	ds_write_b128 v1, v[2:5]
.LBB97_205:
	s_or_b64 exec, exec, s[0:1]
	v_mov_b32_e32 v2, 0
	s_waitcnt lgkmcnt(0)
	; wave barrier
	ds_read_b128 v[16:19], v2 offset:656
	ds_read_b128 v[12:15], v2 offset:672
	;; [unrolled: 1-line block ×4, first 2 shown]
	scratch_load_dwordx4 v[20:23], off, off offset:128
	scratch_load_dwordx4 v[40:43], off, off offset:192
	;; [unrolled: 1-line block ×21, first 2 shown]
	v_cmp_lt_u32_e32 vcc, 5, v0
	scratch_load_dwordx4 v[48:51], off, off offset:208
	scratch_load_dwordx4 v[56:59], off, off offset:224
	;; [unrolled: 1-line block ×3, first 2 shown]
	s_waitcnt vmcnt(23) lgkmcnt(3)
	v_mul_f64 v[24:25], v[16:17], v[22:23]
	v_fmac_f64_e32 v[24:25], v[18:19], v[20:21]
	v_add_f64 v[28:29], v[24:25], 0
	scratch_load_dwordx4 v[24:27], off, off offset:144
	v_mul_f64 v[18:19], v[18:19], v[22:23]
	v_fma_f64 v[16:17], v[16:17], v[20:21], -v[18:19]
	v_add_f64 v[16:17], v[16:17], 0
	s_waitcnt vmcnt(0) lgkmcnt(2)
	v_mul_f64 v[30:31], v[12:13], v[26:27]
	v_fmac_f64_e32 v[30:31], v[14:15], v[24:25]
	v_add_f64 v[32:33], v[28:29], v[30:31]
	scratch_load_dwordx4 v[28:31], off, off offset:160
	v_mul_f64 v[14:15], v[14:15], v[26:27]
	v_fma_f64 v[12:13], v[12:13], v[24:25], -v[14:15]
	v_add_f64 v[12:13], v[16:17], v[12:13]
	;; [unrolled: 8-line block ×3, first 2 shown]
	s_waitcnt vmcnt(0) lgkmcnt(0)
	v_mul_f64 v[38:39], v[4:5], v[34:35]
	v_fmac_f64_e32 v[38:39], v[6:7], v[32:33]
	v_add_f64 v[44:45], v[36:37], v[38:39]
	ds_read_b128 v[36:39], v2 offset:720
	v_mul_f64 v[6:7], v[6:7], v[34:35]
	v_fma_f64 v[4:5], v[4:5], v[32:33], -v[6:7]
	v_add_f64 v[4:5], v[8:9], v[4:5]
	s_waitcnt lgkmcnt(0)
	v_mul_f64 v[46:47], v[36:37], v[42:43]
	v_fmac_f64_e32 v[46:47], v[38:39], v[40:41]
	v_add_f64 v[52:53], v[44:45], v[46:47]
	ds_read_b128 v[44:47], v2 offset:736
	v_mul_f64 v[6:7], v[38:39], v[42:43]
	v_fma_f64 v[6:7], v[36:37], v[40:41], -v[6:7]
	v_add_f64 v[4:5], v[4:5], v[6:7]
	s_waitcnt lgkmcnt(0)
	v_mul_f64 v[54:55], v[44:45], v[50:51]
	v_fmac_f64_e32 v[54:55], v[46:47], v[48:49]
	v_add_f64 v[60:61], v[52:53], v[54:55]
	ds_read_b128 v[52:55], v2 offset:752
	v_mul_f64 v[6:7], v[46:47], v[50:51]
	v_fma_f64 v[6:7], v[44:45], v[48:49], -v[6:7]
	v_add_f64 v[4:5], v[4:5], v[6:7]
	s_waitcnt lgkmcnt(0)
	v_mul_f64 v[62:63], v[52:53], v[58:59]
	v_fmac_f64_e32 v[62:63], v[54:55], v[56:57]
	v_add_f64 v[68:69], v[60:61], v[62:63]
	ds_read_b128 v[60:63], v2 offset:768
	v_mul_f64 v[6:7], v[54:55], v[58:59]
	v_fma_f64 v[6:7], v[52:53], v[56:57], -v[6:7]
	v_add_f64 v[4:5], v[4:5], v[6:7]
	s_waitcnt lgkmcnt(0)
	v_mul_f64 v[70:71], v[60:61], v[66:67]
	v_fmac_f64_e32 v[70:71], v[62:63], v[64:65]
	v_add_f64 v[76:77], v[68:69], v[70:71]
	ds_read_b128 v[68:71], v2 offset:784
	v_mul_f64 v[6:7], v[62:63], v[66:67]
	v_fma_f64 v[6:7], v[60:61], v[64:65], -v[6:7]
	v_add_f64 v[4:5], v[4:5], v[6:7]
	s_waitcnt lgkmcnt(0)
	v_mul_f64 v[78:79], v[68:69], v[74:75]
	v_fmac_f64_e32 v[78:79], v[70:71], v[72:73]
	v_add_f64 v[84:85], v[76:77], v[78:79]
	ds_read_b128 v[76:79], v2 offset:800
	v_mul_f64 v[6:7], v[70:71], v[74:75]
	v_fma_f64 v[6:7], v[68:69], v[72:73], -v[6:7]
	v_add_f64 v[4:5], v[4:5], v[6:7]
	s_waitcnt lgkmcnt(0)
	v_mul_f64 v[86:87], v[76:77], v[82:83]
	v_fmac_f64_e32 v[86:87], v[78:79], v[80:81]
	v_add_f64 v[92:93], v[84:85], v[86:87]
	ds_read_b128 v[84:87], v2 offset:816
	v_mul_f64 v[6:7], v[78:79], v[82:83]
	v_fma_f64 v[6:7], v[76:77], v[80:81], -v[6:7]
	v_add_f64 v[4:5], v[4:5], v[6:7]
	s_waitcnt lgkmcnt(0)
	v_mul_f64 v[94:95], v[84:85], v[90:91]
	v_fmac_f64_e32 v[94:95], v[86:87], v[88:89]
	v_add_f64 v[100:101], v[92:93], v[94:95]
	ds_read_b128 v[92:95], v2 offset:832
	v_mul_f64 v[6:7], v[86:87], v[90:91]
	v_fma_f64 v[6:7], v[84:85], v[88:89], -v[6:7]
	v_add_f64 v[4:5], v[4:5], v[6:7]
	s_waitcnt lgkmcnt(0)
	v_mul_f64 v[102:103], v[92:93], v[98:99]
	v_fmac_f64_e32 v[102:103], v[94:95], v[96:97]
	v_add_f64 v[108:109], v[100:101], v[102:103]
	ds_read_b128 v[100:103], v2 offset:848
	v_mul_f64 v[6:7], v[94:95], v[98:99]
	v_fma_f64 v[6:7], v[92:93], v[96:97], -v[6:7]
	v_add_f64 v[4:5], v[4:5], v[6:7]
	s_waitcnt lgkmcnt(0)
	v_mul_f64 v[110:111], v[100:101], v[106:107]
	v_fmac_f64_e32 v[110:111], v[102:103], v[104:105]
	v_add_f64 v[116:117], v[108:109], v[110:111]
	ds_read_b128 v[108:111], v2 offset:864
	v_mul_f64 v[6:7], v[102:103], v[106:107]
	v_fma_f64 v[6:7], v[100:101], v[104:105], -v[6:7]
	v_add_f64 v[4:5], v[4:5], v[6:7]
	s_waitcnt lgkmcnt(0)
	v_mul_f64 v[118:119], v[108:109], v[114:115]
	v_fmac_f64_e32 v[118:119], v[110:111], v[112:113]
	v_add_f64 v[124:125], v[116:117], v[118:119]
	ds_read_b128 v[116:119], v2 offset:880
	v_mul_f64 v[6:7], v[110:111], v[114:115]
	v_fma_f64 v[6:7], v[108:109], v[112:113], -v[6:7]
	v_add_f64 v[4:5], v[4:5], v[6:7]
	s_waitcnt lgkmcnt(0)
	v_mul_f64 v[126:127], v[116:117], v[122:123]
	v_fmac_f64_e32 v[126:127], v[118:119], v[120:121]
	v_add_f64 v[132:133], v[124:125], v[126:127]
	ds_read_b128 v[124:127], v2 offset:896
	v_mul_f64 v[6:7], v[118:119], v[122:123]
	v_fma_f64 v[6:7], v[116:117], v[120:121], -v[6:7]
	v_add_f64 v[4:5], v[4:5], v[6:7]
	s_waitcnt lgkmcnt(0)
	v_mul_f64 v[134:135], v[124:125], v[130:131]
	v_fmac_f64_e32 v[134:135], v[126:127], v[128:129]
	v_add_f64 v[140:141], v[132:133], v[134:135]
	ds_read_b128 v[132:135], v2 offset:912
	v_mul_f64 v[6:7], v[126:127], v[130:131]
	v_fma_f64 v[6:7], v[124:125], v[128:129], -v[6:7]
	v_add_f64 v[4:5], v[4:5], v[6:7]
	s_waitcnt lgkmcnt(0)
	v_mul_f64 v[142:143], v[132:133], v[138:139]
	v_fmac_f64_e32 v[142:143], v[134:135], v[136:137]
	v_add_f64 v[148:149], v[140:141], v[142:143]
	ds_read_b128 v[140:143], v2 offset:928
	v_mul_f64 v[6:7], v[134:135], v[138:139]
	v_fma_f64 v[6:7], v[132:133], v[136:137], -v[6:7]
	v_add_f64 v[4:5], v[4:5], v[6:7]
	s_waitcnt lgkmcnt(0)
	v_mul_f64 v[150:151], v[140:141], v[146:147]
	v_fmac_f64_e32 v[150:151], v[142:143], v[144:145]
	v_add_f64 v[156:157], v[148:149], v[150:151]
	ds_read_b128 v[148:151], v2 offset:944
	v_mul_f64 v[6:7], v[142:143], v[146:147]
	v_fma_f64 v[6:7], v[140:141], v[144:145], -v[6:7]
	v_add_f64 v[4:5], v[4:5], v[6:7]
	s_waitcnt lgkmcnt(0)
	v_mul_f64 v[158:159], v[148:149], v[154:155]
	v_fmac_f64_e32 v[158:159], v[150:151], v[152:153]
	v_add_f64 v[160:161], v[156:157], v[158:159]
	ds_read_b128 v[156:159], v2 offset:960
	v_mul_f64 v[6:7], v[150:151], v[154:155]
	v_fma_f64 v[6:7], v[148:149], v[152:153], -v[6:7]
	v_add_f64 v[4:5], v[4:5], v[6:7]
	s_waitcnt lgkmcnt(0)
	v_mul_f64 v[166:167], v[156:157], v[164:165]
	v_fmac_f64_e32 v[166:167], v[158:159], v[162:163]
	v_add_f64 v[160:161], v[160:161], v[166:167]
	ds_read_b128 v[166:169], v2 offset:976
	v_mul_f64 v[6:7], v[158:159], v[164:165]
	v_fma_f64 v[6:7], v[156:157], v[162:163], -v[6:7]
	v_add_f64 v[4:5], v[4:5], v[6:7]
	s_waitcnt lgkmcnt(0)
	v_mul_f64 v[174:175], v[166:167], v[172:173]
	v_fmac_f64_e32 v[174:175], v[168:169], v[170:171]
	v_add_f64 v[160:161], v[160:161], v[174:175]
	ds_read_b128 v[174:177], v2 offset:992
	v_mul_f64 v[6:7], v[168:169], v[172:173]
	v_fma_f64 v[6:7], v[166:167], v[170:171], -v[6:7]
	v_add_f64 v[4:5], v[4:5], v[6:7]
	s_waitcnt lgkmcnt(0)
	v_mul_f64 v[182:183], v[174:175], v[180:181]
	v_fmac_f64_e32 v[182:183], v[176:177], v[178:179]
	v_add_f64 v[160:161], v[160:161], v[182:183]
	ds_read_b128 v[182:185], v2 offset:1008
	v_mul_f64 v[6:7], v[176:177], v[180:181]
	v_fma_f64 v[6:7], v[174:175], v[178:179], -v[6:7]
	v_add_f64 v[4:5], v[4:5], v[6:7]
	s_waitcnt lgkmcnt(0)
	v_mul_f64 v[190:191], v[182:183], v[188:189]
	v_fmac_f64_e32 v[190:191], v[184:185], v[186:187]
	v_add_f64 v[160:161], v[160:161], v[190:191]
	ds_read_b128 v[190:193], v2 offset:1024
	v_mul_f64 v[6:7], v[184:185], v[188:189]
	v_fma_f64 v[6:7], v[182:183], v[186:187], -v[6:7]
	v_add_f64 v[4:5], v[4:5], v[6:7]
	s_waitcnt lgkmcnt(0)
	v_mul_f64 v[198:199], v[190:191], v[196:197]
	v_fmac_f64_e32 v[198:199], v[192:193], v[194:195]
	v_add_f64 v[160:161], v[160:161], v[198:199]
	ds_read_b128 v[198:201], v2 offset:1040
	v_mul_f64 v[6:7], v[192:193], v[196:197]
	v_fma_f64 v[6:7], v[190:191], v[194:195], -v[6:7]
	v_add_f64 v[4:5], v[4:5], v[6:7]
	s_waitcnt lgkmcnt(0)
	v_mul_f64 v[206:207], v[198:199], v[204:205]
	v_fmac_f64_e32 v[206:207], v[200:201], v[202:203]
	v_add_f64 v[160:161], v[160:161], v[206:207]
	ds_read_b128 v[206:209], v2 offset:1056
	v_mul_f64 v[6:7], v[200:201], v[204:205]
	v_fma_f64 v[6:7], v[198:199], v[202:203], -v[6:7]
	v_add_f64 v[4:5], v[4:5], v[6:7]
	s_waitcnt lgkmcnt(0)
	v_mul_f64 v[214:215], v[206:207], v[212:213]
	v_fmac_f64_e32 v[214:215], v[208:209], v[210:211]
	v_add_f64 v[160:161], v[160:161], v[214:215]
	ds_read_b128 v[214:217], v2 offset:1072
	v_mul_f64 v[6:7], v[208:209], v[212:213]
	v_fma_f64 v[6:7], v[206:207], v[210:211], -v[6:7]
	v_add_f64 v[4:5], v[4:5], v[6:7]
	s_waitcnt lgkmcnt(0)
	v_mul_f64 v[6:7], v[216:217], v[220:221]
	v_fma_f64 v[6:7], v[214:215], v[218:219], -v[6:7]
	v_add_f64 v[8:9], v[4:5], v[6:7]
	scratch_load_dwordx4 v[4:7], off, off offset:112
	v_mul_f64 v[222:223], v[214:215], v[220:221]
	v_fmac_f64_e32 v[222:223], v[216:217], v[218:219]
	v_add_f64 v[160:161], v[160:161], v[222:223]
	s_waitcnt vmcnt(0)
	v_add_f64 v[4:5], v[4:5], -v[8:9]
	v_add_f64 v[6:7], v[6:7], -v[160:161]
	scratch_store_dwordx4 off, v[4:7], off offset:112
	s_and_saveexec_b64 s[0:1], vcc
	s_cbranch_execz .LBB97_207
; %bb.206:
	scratch_load_dwordx4 v[6:9], off, s45
	v_mov_b32_e32 v3, v2
	v_mov_b32_e32 v4, v2
	v_mov_b32_e32 v5, v2
	scratch_store_dwordx4 off, v[2:5], off offset:96
	s_waitcnt vmcnt(1)
	ds_write_b128 v1, v[6:9]
.LBB97_207:
	s_or_b64 exec, exec, s[0:1]
	s_waitcnt lgkmcnt(0)
	; wave barrier
	ds_read_b128 v[16:19], v2 offset:640
	ds_read_b128 v[12:15], v2 offset:656
	ds_read_b128 v[8:11], v2 offset:672
	ds_read_b128 v[4:7], v2 offset:688
	scratch_load_dwordx4 v[20:23], off, off offset:112
	scratch_load_dwordx4 v[40:43], off, off offset:176
	;; [unrolled: 1-line block ×22, first 2 shown]
	v_cmp_lt_u32_e32 vcc, 4, v0
	scratch_load_dwordx4 v[48:51], off, off offset:192
	scratch_load_dwordx4 v[56:59], off, off offset:208
	;; [unrolled: 1-line block ×3, first 2 shown]
	s_waitcnt vmcnt(24) lgkmcnt(3)
	v_mul_f64 v[24:25], v[16:17], v[22:23]
	v_fmac_f64_e32 v[24:25], v[18:19], v[20:21]
	v_add_f64 v[28:29], v[24:25], 0
	scratch_load_dwordx4 v[24:27], off, off offset:128
	s_waitcnt vmcnt(0) lgkmcnt(2)
	v_mul_f64 v[30:31], v[12:13], v[26:27]
	v_fmac_f64_e32 v[30:31], v[14:15], v[24:25]
	v_add_f64 v[32:33], v[28:29], v[30:31]
	scratch_load_dwordx4 v[28:31], off, off offset:144
	v_mul_f64 v[14:15], v[14:15], v[26:27]
	v_fma_f64 v[12:13], v[12:13], v[24:25], -v[14:15]
	s_waitcnt vmcnt(0) lgkmcnt(1)
	v_mul_f64 v[34:35], v[8:9], v[30:31]
	v_fmac_f64_e32 v[34:35], v[10:11], v[28:29]
	v_add_f64 v[36:37], v[32:33], v[34:35]
	scratch_load_dwordx4 v[32:35], off, off offset:160
	v_mul_f64 v[10:11], v[10:11], v[30:31]
	v_fma_f64 v[8:9], v[8:9], v[28:29], -v[10:11]
	s_waitcnt vmcnt(0) lgkmcnt(0)
	v_mul_f64 v[38:39], v[4:5], v[34:35]
	v_fmac_f64_e32 v[38:39], v[6:7], v[32:33]
	v_add_f64 v[44:45], v[36:37], v[38:39]
	ds_read_b128 v[36:39], v2 offset:704
	v_mul_f64 v[6:7], v[6:7], v[34:35]
	v_fma_f64 v[4:5], v[4:5], v[32:33], -v[6:7]
	s_waitcnt lgkmcnt(0)
	v_mul_f64 v[46:47], v[36:37], v[42:43]
	v_fmac_f64_e32 v[46:47], v[38:39], v[40:41]
	v_add_f64 v[52:53], v[44:45], v[46:47]
	ds_read_b128 v[44:47], v2 offset:720
	s_waitcnt lgkmcnt(0)
	v_mul_f64 v[54:55], v[44:45], v[50:51]
	v_fmac_f64_e32 v[54:55], v[46:47], v[48:49]
	v_add_f64 v[60:61], v[52:53], v[54:55]
	ds_read_b128 v[52:55], v2 offset:736
	;; [unrolled: 5-line block ×23, first 2 shown]
	s_waitcnt lgkmcnt(0)
	v_mul_f64 v[2:3], v[222:223], v[228:229]
	v_fmac_f64_e32 v[2:3], v[224:225], v[226:227]
	v_add_f64 v[176:177], v[176:177], v[2:3]
	v_mul_f64 v[2:3], v[18:19], v[22:23]
	v_fma_f64 v[2:3], v[16:17], v[20:21], -v[2:3]
	v_add_f64 v[2:3], v[2:3], 0
	v_add_f64 v[2:3], v[2:3], v[12:13]
	;; [unrolled: 1-line block ×4, first 2 shown]
	v_mul_f64 v[4:5], v[38:39], v[42:43]
	v_fma_f64 v[4:5], v[36:37], v[40:41], -v[4:5]
	v_add_f64 v[2:3], v[2:3], v[4:5]
	v_mul_f64 v[4:5], v[46:47], v[50:51]
	v_fma_f64 v[4:5], v[44:45], v[48:49], -v[4:5]
	v_add_f64 v[2:3], v[2:3], v[4:5]
	;; [unrolled: 3-line block ×24, first 2 shown]
	scratch_load_dwordx4 v[2:5], off, off offset:96
	s_waitcnt vmcnt(0)
	v_add_f64 v[2:3], v[2:3], -v[6:7]
	v_add_f64 v[4:5], v[4:5], -v[176:177]
	scratch_store_dwordx4 off, v[2:5], off offset:96
	s_and_saveexec_b64 s[0:1], vcc
	s_cbranch_execz .LBB97_209
; %bb.208:
	scratch_load_dwordx4 v[2:5], off, s46
	v_mov_b32_e32 v6, 0
	v_mov_b32_e32 v7, v6
	v_mov_b32_e32 v8, v6
	v_mov_b32_e32 v9, v6
	scratch_store_dwordx4 off, v[6:9], off offset:80
	s_waitcnt vmcnt(1)
	ds_write_b128 v1, v[2:5]
.LBB97_209:
	s_or_b64 exec, exec, s[0:1]
	v_mov_b32_e32 v2, 0
	s_waitcnt lgkmcnt(0)
	; wave barrier
	ds_read_b128 v[16:19], v2 offset:624
	ds_read_b128 v[12:15], v2 offset:640
	;; [unrolled: 1-line block ×4, first 2 shown]
	scratch_load_dwordx4 v[20:23], off, off offset:96
	scratch_load_dwordx4 v[40:43], off, off offset:160
	;; [unrolled: 1-line block ×23, first 2 shown]
	v_cmp_lt_u32_e32 vcc, 3, v0
	scratch_load_dwordx4 v[48:51], off, off offset:176
	scratch_load_dwordx4 v[56:59], off, off offset:192
	;; [unrolled: 1-line block ×3, first 2 shown]
	s_waitcnt vmcnt(25) lgkmcnt(3)
	v_mul_f64 v[24:25], v[16:17], v[22:23]
	v_fmac_f64_e32 v[24:25], v[18:19], v[20:21]
	v_add_f64 v[28:29], v[24:25], 0
	scratch_load_dwordx4 v[24:27], off, off offset:112
	v_mul_f64 v[18:19], v[18:19], v[22:23]
	v_fma_f64 v[16:17], v[16:17], v[20:21], -v[18:19]
	v_add_f64 v[16:17], v[16:17], 0
	s_waitcnt vmcnt(0) lgkmcnt(2)
	v_mul_f64 v[30:31], v[12:13], v[26:27]
	v_fmac_f64_e32 v[30:31], v[14:15], v[24:25]
	v_add_f64 v[32:33], v[28:29], v[30:31]
	scratch_load_dwordx4 v[28:31], off, off offset:128
	v_mul_f64 v[14:15], v[14:15], v[26:27]
	v_fma_f64 v[12:13], v[12:13], v[24:25], -v[14:15]
	v_add_f64 v[12:13], v[16:17], v[12:13]
	;; [unrolled: 8-line block ×3, first 2 shown]
	s_waitcnt vmcnt(0) lgkmcnt(0)
	v_mul_f64 v[38:39], v[4:5], v[34:35]
	v_fmac_f64_e32 v[38:39], v[6:7], v[32:33]
	v_add_f64 v[44:45], v[36:37], v[38:39]
	ds_read_b128 v[36:39], v2 offset:688
	v_mul_f64 v[6:7], v[6:7], v[34:35]
	v_fma_f64 v[4:5], v[4:5], v[32:33], -v[6:7]
	v_add_f64 v[4:5], v[8:9], v[4:5]
	s_waitcnt lgkmcnt(0)
	v_mul_f64 v[46:47], v[36:37], v[42:43]
	v_fmac_f64_e32 v[46:47], v[38:39], v[40:41]
	v_add_f64 v[52:53], v[44:45], v[46:47]
	ds_read_b128 v[44:47], v2 offset:704
	v_mul_f64 v[6:7], v[38:39], v[42:43]
	v_fma_f64 v[6:7], v[36:37], v[40:41], -v[6:7]
	v_add_f64 v[4:5], v[4:5], v[6:7]
	s_waitcnt lgkmcnt(0)
	;; [unrolled: 8-line block ×25, first 2 shown]
	v_mul_f64 v[6:7], v[232:233], v[236:237]
	v_fma_f64 v[6:7], v[230:231], v[234:235], -v[6:7]
	v_add_f64 v[8:9], v[4:5], v[6:7]
	scratch_load_dwordx4 v[4:7], off, off offset:80
	v_mul_f64 v[238:239], v[230:231], v[236:237]
	v_fmac_f64_e32 v[238:239], v[232:233], v[234:235]
	v_add_f64 v[176:177], v[176:177], v[238:239]
	s_waitcnt vmcnt(0)
	v_add_f64 v[4:5], v[4:5], -v[8:9]
	v_add_f64 v[6:7], v[6:7], -v[176:177]
	scratch_store_dwordx4 off, v[4:7], off offset:80
	s_and_saveexec_b64 s[0:1], vcc
	s_cbranch_execz .LBB97_211
; %bb.210:
	scratch_load_dwordx4 v[6:9], off, s47
	v_mov_b32_e32 v3, v2
	v_mov_b32_e32 v4, v2
	;; [unrolled: 1-line block ×3, first 2 shown]
	scratch_store_dwordx4 off, v[2:5], off offset:64
	s_waitcnt vmcnt(1)
	ds_write_b128 v1, v[6:9]
.LBB97_211:
	s_or_b64 exec, exec, s[0:1]
	s_waitcnt lgkmcnt(0)
	; wave barrier
	ds_read_b128 v[16:19], v2 offset:608
	ds_read_b128 v[12:15], v2 offset:624
	;; [unrolled: 1-line block ×4, first 2 shown]
	scratch_load_dwordx4 v[20:23], off, off offset:80
	scratch_load_dwordx4 v[40:43], off, off offset:144
	;; [unrolled: 1-line block ×24, first 2 shown]
	v_cmp_lt_u32_e32 vcc, 2, v0
	scratch_load_dwordx4 v[48:51], off, off offset:160
	scratch_load_dwordx4 v[56:59], off, off offset:176
	;; [unrolled: 1-line block ×3, first 2 shown]
	ds_read_b128 v[252:255], v2 offset:1072
	s_waitcnt vmcnt(26) lgkmcnt(4)
	v_mul_f64 v[24:25], v[16:17], v[22:23]
	v_fmac_f64_e32 v[24:25], v[18:19], v[20:21]
	v_add_f64 v[28:29], v[24:25], 0
	scratch_load_dwordx4 v[24:27], off, off offset:96
	s_waitcnt vmcnt(0) lgkmcnt(3)
	v_mul_f64 v[30:31], v[12:13], v[26:27]
	v_fmac_f64_e32 v[30:31], v[14:15], v[24:25]
	v_add_f64 v[32:33], v[28:29], v[30:31]
	scratch_load_dwordx4 v[28:31], off, off offset:112
	v_mul_f64 v[14:15], v[14:15], v[26:27]
	v_fma_f64 v[12:13], v[12:13], v[24:25], -v[14:15]
	s_waitcnt vmcnt(0) lgkmcnt(2)
	v_mul_f64 v[34:35], v[8:9], v[30:31]
	v_fmac_f64_e32 v[34:35], v[10:11], v[28:29]
	v_add_f64 v[36:37], v[32:33], v[34:35]
	scratch_load_dwordx4 v[32:35], off, off offset:128
	v_mul_f64 v[10:11], v[10:11], v[30:31]
	v_fma_f64 v[8:9], v[8:9], v[28:29], -v[10:11]
	s_waitcnt vmcnt(0) lgkmcnt(1)
	v_mul_f64 v[38:39], v[4:5], v[34:35]
	v_fmac_f64_e32 v[38:39], v[6:7], v[32:33]
	v_add_f64 v[44:45], v[36:37], v[38:39]
	ds_read_b128 v[36:39], v2 offset:672
	v_mul_f64 v[6:7], v[6:7], v[34:35]
	v_fma_f64 v[4:5], v[4:5], v[32:33], -v[6:7]
	s_waitcnt lgkmcnt(0)
	v_mul_f64 v[46:47], v[36:37], v[42:43]
	v_fmac_f64_e32 v[46:47], v[38:39], v[40:41]
	v_add_f64 v[52:53], v[44:45], v[46:47]
	ds_read_b128 v[44:47], v2 offset:688
	s_waitcnt lgkmcnt(0)
	v_mul_f64 v[54:55], v[44:45], v[50:51]
	v_fmac_f64_e32 v[54:55], v[46:47], v[48:49]
	v_add_f64 v[60:61], v[52:53], v[54:55]
	ds_read_b128 v[52:55], v2 offset:704
	;; [unrolled: 5-line block ×24, first 2 shown]
	v_mul_f64 v[2:3], v[252:253], v[244:245]
	v_fmac_f64_e32 v[2:3], v[254:255], v[242:243]
	s_waitcnt lgkmcnt(0)
	v_mul_f64 v[238:239], v[230:231], v[236:237]
	v_fmac_f64_e32 v[238:239], v[232:233], v[234:235]
	v_add_f64 v[184:185], v[184:185], v[238:239]
	v_add_f64 v[184:185], v[184:185], v[2:3]
	v_mul_f64 v[2:3], v[18:19], v[22:23]
	v_fma_f64 v[2:3], v[16:17], v[20:21], -v[2:3]
	v_add_f64 v[2:3], v[2:3], 0
	v_add_f64 v[2:3], v[2:3], v[12:13]
	;; [unrolled: 1-line block ×4, first 2 shown]
	v_mul_f64 v[4:5], v[38:39], v[42:43]
	v_fma_f64 v[4:5], v[36:37], v[40:41], -v[4:5]
	v_add_f64 v[2:3], v[2:3], v[4:5]
	v_mul_f64 v[4:5], v[46:47], v[50:51]
	v_fma_f64 v[4:5], v[44:45], v[48:49], -v[4:5]
	v_add_f64 v[2:3], v[2:3], v[4:5]
	;; [unrolled: 3-line block ×26, first 2 shown]
	scratch_load_dwordx4 v[2:5], off, off offset:64
	s_waitcnt vmcnt(0)
	v_add_f64 v[2:3], v[2:3], -v[6:7]
	v_add_f64 v[4:5], v[4:5], -v[184:185]
	scratch_store_dwordx4 off, v[2:5], off offset:64
	s_and_saveexec_b64 s[0:1], vcc
	s_cbranch_execz .LBB97_213
; %bb.212:
	scratch_load_dwordx4 v[2:5], off, s48
	v_mov_b32_e32 v6, 0
	v_mov_b32_e32 v7, v6
	v_mov_b32_e32 v8, v6
	v_mov_b32_e32 v9, v6
	scratch_store_dwordx4 off, v[6:9], off offset:48
	s_waitcnt vmcnt(1)
	ds_write_b128 v1, v[2:5]
.LBB97_213:
	s_or_b64 exec, exec, s[0:1]
	s_waitcnt lgkmcnt(0)
	; wave barrier
	scratch_load_dwordx4 v[16:19], off, off offset:64
	scratch_load_dwordx4 v[12:15], off, off offset:80
	scratch_load_dwordx4 v[8:11], off, off offset:96
	scratch_load_dwordx4 v[4:7], off, off offset:112
	scratch_load_dwordx4 v[20:23], off, off offset:128
	scratch_load_dwordx4 v[24:27], off, off offset:144
	scratch_load_dwordx4 v[28:31], off, off offset:160
	scratch_load_dwordx4 v[32:35], off, off offset:176
	scratch_load_dwordx4 v[36:39], off, off offset:192
	scratch_load_dwordx4 v[40:43], off, off offset:208
	scratch_load_dwordx4 v[44:47], off, off offset:224
	scratch_load_dwordx4 v[48:51], off, off offset:240
	scratch_load_dwordx4 v[52:55], off, off offset:256
	scratch_load_dwordx4 v[56:59], off, off offset:272
	scratch_load_dwordx4 v[60:63], off, off offset:288
	scratch_load_dwordx4 v[64:67], off, off offset:304
	scratch_load_dwordx4 v[68:71], off, off offset:320
	scratch_load_dwordx4 v[72:75], off, off offset:336
	scratch_load_dwordx4 v[76:79], off, off offset:352
	scratch_load_dwordx4 v[80:83], off, off offset:368
	scratch_load_dwordx4 v[84:87], off, off offset:384
	scratch_load_dwordx4 v[88:91], off, off offset:400
	scratch_load_dwordx4 v[92:95], off, off offset:416
	scratch_load_dwordx4 v[96:99], off, off offset:432
	scratch_load_dwordx4 v[100:103], off, off offset:448
	scratch_load_dwordx4 v[104:107], off, off offset:464
	scratch_load_dwordx4 v[108:111], off, off offset:480
	scratch_load_dwordx4 v[112:115], off, off offset:496
	scratch_load_dwordx4 v[116:119], off, off offset:512
	scratch_load_dwordx4 v[120:123], off, off offset:528
	scratch_load_dwordx4 v[124:127], off, off offset:544
	scratch_load_dwordx4 v[128:131], off, off offset:48
	v_mov_b32_e32 v2, 0
	ds_read_b128 v[132:135], v2 offset:592
	ds_read_b128 v[136:139], v2 offset:608
	;; [unrolled: 1-line block ×17, first 2 shown]
	v_cmp_lt_u32_e32 vcc, 1, v0
	s_waitcnt vmcnt(31) lgkmcnt(14)
	v_mul_f64 v[200:201], v[132:133], v[18:19]
	s_waitcnt vmcnt(30)
	v_mul_f64 v[202:203], v[136:137], v[14:15]
	v_fmac_f64_e32 v[200:201], v[134:135], v[16:17]
	s_waitcnt vmcnt(29)
	v_mul_f64 v[204:205], v[140:141], v[10:11]
	v_fmac_f64_e32 v[202:203], v[138:139], v[12:13]
	v_add_f64 v[200:201], v[200:201], 0
	s_waitcnt vmcnt(28) lgkmcnt(13)
	v_mul_f64 v[206:207], v[144:145], v[6:7]
	v_fmac_f64_e32 v[204:205], v[142:143], v[8:9]
	v_add_f64 v[200:201], v[200:201], v[202:203]
	s_waitcnt vmcnt(27) lgkmcnt(12)
	;; [unrolled: 4-line block ×12, first 2 shown]
	v_mul_f64 v[228:229], v[188:189], v[62:63]
	v_fmac_f64_e32 v[226:227], v[186:187], v[56:57]
	v_add_f64 v[200:201], v[200:201], v[224:225]
	v_fmac_f64_e32 v[228:229], v[190:191], v[60:61]
	v_add_f64 v[200:201], v[200:201], v[226:227]
	s_waitcnt vmcnt(16) lgkmcnt(1)
	v_mul_f64 v[202:203], v[192:193], v[66:67]
	v_add_f64 v[200:201], v[200:201], v[228:229]
	v_fmac_f64_e32 v[202:203], v[194:195], v[64:65]
	s_waitcnt vmcnt(15) lgkmcnt(0)
	v_mul_f64 v[206:207], v[196:197], v[70:71]
	v_add_f64 v[204:205], v[200:201], v[202:203]
	ds_read_b128 v[200:203], v2 offset:864
	v_fmac_f64_e32 v[206:207], v[198:199], v[68:69]
	v_add_f64 v[208:209], v[204:205], v[206:207]
	ds_read_b128 v[204:207], v2 offset:880
	v_mul_f64 v[18:19], v[134:135], v[18:19]
	s_waitcnt vmcnt(14) lgkmcnt(1)
	v_mul_f64 v[210:211], v[200:201], v[74:75]
	v_fmac_f64_e32 v[210:211], v[202:203], v[72:73]
	v_add_f64 v[212:213], v[208:209], v[210:211]
	s_waitcnt vmcnt(13) lgkmcnt(0)
	v_mul_f64 v[214:215], v[204:205], v[78:79]
	ds_read_b128 v[208:211], v2 offset:896
	v_fmac_f64_e32 v[214:215], v[206:207], v[76:77]
	v_add_f64 v[216:217], v[212:213], v[214:215]
	ds_read_b128 v[212:215], v2 offset:912
	v_fma_f64 v[244:245], v[132:133], v[16:17], -v[18:19]
	s_waitcnt vmcnt(12) lgkmcnt(1)
	v_mul_f64 v[218:219], v[208:209], v[82:83]
	v_fmac_f64_e32 v[218:219], v[210:211], v[80:81]
	v_add_f64 v[220:221], v[216:217], v[218:219]
	s_waitcnt vmcnt(11) lgkmcnt(0)
	v_mul_f64 v[222:223], v[212:213], v[86:87]
	ds_read_b128 v[216:219], v2 offset:928
	v_fmac_f64_e32 v[222:223], v[214:215], v[84:85]
	v_add_f64 v[224:225], v[220:221], v[222:223]
	ds_read_b128 v[220:223], v2 offset:944
	ds_read_b128 v[16:19], v2 offset:1024
	s_waitcnt vmcnt(10) lgkmcnt(2)
	v_mul_f64 v[226:227], v[216:217], v[90:91]
	v_fmac_f64_e32 v[226:227], v[218:219], v[88:89]
	v_add_f64 v[228:229], v[224:225], v[226:227]
	s_waitcnt vmcnt(9) lgkmcnt(1)
	v_mul_f64 v[230:231], v[220:221], v[94:95]
	ds_read_b128 v[224:227], v2 offset:960
	v_fmac_f64_e32 v[230:231], v[222:223], v[92:93]
	v_add_f64 v[232:233], v[228:229], v[230:231]
	ds_read_b128 v[228:231], v2 offset:976
	v_mul_f64 v[14:15], v[138:139], v[14:15]
	s_waitcnt vmcnt(8) lgkmcnt(1)
	v_mul_f64 v[234:235], v[224:225], v[98:99]
	v_fmac_f64_e32 v[234:235], v[226:227], v[96:97]
	v_add_f64 v[236:237], v[232:233], v[234:235]
	s_waitcnt vmcnt(7) lgkmcnt(0)
	v_mul_f64 v[238:239], v[228:229], v[102:103]
	ds_read_b128 v[232:235], v2 offset:992
	v_fmac_f64_e32 v[238:239], v[230:231], v[100:101]
	v_add_f64 v[242:243], v[236:237], v[238:239]
	ds_read_b128 v[236:239], v2 offset:1008
	v_fma_f64 v[136:137], v[136:137], v[12:13], -v[14:15]
	s_waitcnt vmcnt(6) lgkmcnt(1)
	v_mul_f64 v[132:133], v[232:233], v[106:107]
	v_fmac_f64_e32 v[132:133], v[234:235], v[104:105]
	v_add_f64 v[132:133], v[242:243], v[132:133]
	s_waitcnt vmcnt(5) lgkmcnt(0)
	v_mul_f64 v[134:135], v[236:237], v[110:111]
	v_fmac_f64_e32 v[134:135], v[238:239], v[108:109]
	v_add_f64 v[132:133], v[132:133], v[134:135]
	ds_read_b128 v[12:15], v2 offset:1040
	s_waitcnt vmcnt(4)
	v_mul_f64 v[134:135], v[16:17], v[114:115]
	v_fmac_f64_e32 v[134:135], v[18:19], v[112:113]
	v_add_f64 v[138:139], v[132:133], v[134:135]
	ds_read_b128 v[132:135], v2 offset:1056
	v_mul_f64 v[10:11], v[142:143], v[10:11]
	v_fma_f64 v[140:141], v[140:141], v[8:9], -v[10:11]
	ds_read_b128 v[8:11], v2 offset:1072
	s_waitcnt vmcnt(3) lgkmcnt(2)
	v_mul_f64 v[142:143], v[12:13], v[118:119]
	v_fmac_f64_e32 v[142:143], v[14:15], v[116:117]
	v_add_f64 v[138:139], v[138:139], v[142:143]
	s_waitcnt vmcnt(2) lgkmcnt(1)
	v_mul_f64 v[142:143], v[132:133], v[122:123]
	v_fmac_f64_e32 v[142:143], v[134:135], v[120:121]
	v_add_f64 v[138:139], v[138:139], v[142:143]
	;; [unrolled: 4-line block ×3, first 2 shown]
	v_add_f64 v[142:143], v[244:245], 0
	v_add_f64 v[136:137], v[142:143], v[136:137]
	v_mul_f64 v[6:7], v[146:147], v[6:7]
	v_add_f64 v[136:137], v[136:137], v[140:141]
	v_fma_f64 v[4:5], v[144:145], v[4:5], -v[6:7]
	v_mul_f64 v[6:7], v[150:151], v[22:23]
	v_add_f64 v[4:5], v[136:137], v[4:5]
	v_fma_f64 v[6:7], v[148:149], v[20:21], -v[6:7]
	v_add_f64 v[4:5], v[4:5], v[6:7]
	v_mul_f64 v[6:7], v[154:155], v[26:27]
	v_fma_f64 v[6:7], v[152:153], v[24:25], -v[6:7]
	v_add_f64 v[4:5], v[4:5], v[6:7]
	v_mul_f64 v[6:7], v[158:159], v[30:31]
	;; [unrolled: 3-line block ×26, first 2 shown]
	v_fma_f64 v[6:7], v[8:9], v[124:125], -v[6:7]
	v_add_f64 v[4:5], v[4:5], v[6:7]
	s_waitcnt vmcnt(0)
	v_add_f64 v[4:5], v[128:129], -v[4:5]
	v_add_f64 v[6:7], v[130:131], -v[138:139]
	scratch_store_dwordx4 off, v[4:7], off offset:48
	s_and_saveexec_b64 s[0:1], vcc
	s_cbranch_execz .LBB97_215
; %bb.214:
	scratch_load_dwordx4 v[6:9], off, s49
	v_mov_b32_e32 v3, v2
	v_mov_b32_e32 v4, v2
	;; [unrolled: 1-line block ×3, first 2 shown]
	scratch_store_dwordx4 off, v[2:5], off offset:32
	s_waitcnt vmcnt(1)
	ds_write_b128 v1, v[6:9]
.LBB97_215:
	s_or_b64 exec, exec, s[0:1]
	s_waitcnt lgkmcnt(0)
	; wave barrier
	scratch_load_dwordx4 v[140:143], off, off offset:48
	scratch_load_dwordx4 v[148:151], off, off offset:64
	;; [unrolled: 1-line block ×16, first 2 shown]
	ds_read_b128 v[188:191], v2 offset:576
	ds_read_b128 v[184:187], v2 offset:592
	scratch_load_dwordx4 v[56:59], off, off offset:304
	ds_read_b128 v[192:195], v2 offset:608
	ds_read_b128 v[68:71], v2 offset:624
	scratch_load_dwordx4 v[60:63], off, off offset:320
	ds_read_b128 v[88:91], v2 offset:640
	ds_read_b128 v[84:87], v2 offset:656
	;; [unrolled: 1-line block ×4, first 2 shown]
	scratch_load_dwordx4 v[64:67], off, off offset:336
	ds_read_b128 v[100:103], v2 offset:704
	ds_read_b128 v[96:99], v2 offset:720
	scratch_load_dwordx4 v[72:75], off, off offset:352
	ds_read_b128 v[116:119], v2 offset:736
	ds_read_b128 v[112:115], v2 offset:752
	;; [unrolled: 1-line block ×4, first 2 shown]
	scratch_load_dwordx4 v[92:95], off, off offset:368
	ds_read_b128 v[132:135], v2 offset:800
	ds_read_b128 v[128:131], v2 offset:816
	;; [unrolled: 1-line block ×3, first 2 shown]
	scratch_load_dwordx4 v[120:123], off, off offset:384
	scratch_load_dwordx4 v[136:139], off, off offset:400
	;; [unrolled: 1-line block ×11, first 2 shown]
	v_cmp_ne_u32_e32 vcc, 0, v0
	s_waitcnt vmcnt(31) lgkmcnt(14)
	v_mul_f64 v[200:201], v[188:189], v[142:143]
	s_waitcnt vmcnt(30)
	v_mul_f64 v[202:203], v[184:185], v[150:151]
	v_fmac_f64_e32 v[200:201], v[190:191], v[140:141]
	s_waitcnt vmcnt(29)
	v_mul_f64 v[204:205], v[192:193], v[154:155]
	v_fmac_f64_e32 v[202:203], v[186:187], v[148:149]
	v_add_f64 v[200:201], v[200:201], 0
	s_waitcnt vmcnt(28) lgkmcnt(13)
	v_mul_f64 v[206:207], v[68:69], v[6:7]
	v_fmac_f64_e32 v[204:205], v[194:195], v[152:153]
	v_add_f64 v[200:201], v[200:201], v[202:203]
	s_waitcnt vmcnt(27) lgkmcnt(12)
	;; [unrolled: 4-line block ×13, first 2 shown]
	v_mul_f64 v[230:231], v[128:129], v[54:55]
	v_fmac_f64_e32 v[228:229], v[134:135], v[48:49]
	v_add_f64 v[200:201], v[200:201], v[226:227]
	v_add_f64 v[200:201], v[200:201], v[228:229]
	v_fmac_f64_e32 v[230:231], v[130:131], v[52:53]
	s_waitcnt vmcnt(15) lgkmcnt(0)
	v_mul_f64 v[206:207], v[124:125], v[58:59]
	v_add_f64 v[204:205], v[200:201], v[230:231]
	ds_read_b128 v[200:203], v2 offset:848
	v_fmac_f64_e32 v[206:207], v[126:127], v[56:57]
	v_add_f64 v[208:209], v[204:205], v[206:207]
	ds_read_b128 v[204:207], v2 offset:864
	v_mul_f64 v[142:143], v[190:191], v[142:143]
	s_waitcnt vmcnt(14) lgkmcnt(1)
	v_mul_f64 v[210:211], v[200:201], v[62:63]
	v_fmac_f64_e32 v[210:211], v[202:203], v[60:61]
	v_add_f64 v[212:213], v[208:209], v[210:211]
	s_waitcnt vmcnt(13) lgkmcnt(0)
	v_mul_f64 v[214:215], v[204:205], v[66:67]
	ds_read_b128 v[208:211], v2 offset:880
	v_fmac_f64_e32 v[214:215], v[206:207], v[64:65]
	v_add_f64 v[216:217], v[212:213], v[214:215]
	ds_read_b128 v[212:215], v2 offset:896
	v_fma_f64 v[252:253], v[188:189], v[140:141], -v[142:143]
	s_waitcnt vmcnt(12) lgkmcnt(1)
	v_mul_f64 v[218:219], v[208:209], v[74:75]
	v_fmac_f64_e32 v[218:219], v[210:211], v[72:73]
	v_add_f64 v[220:221], v[216:217], v[218:219]
	s_waitcnt vmcnt(11) lgkmcnt(0)
	v_mul_f64 v[222:223], v[212:213], v[94:95]
	ds_read_b128 v[216:219], v2 offset:912
	v_fmac_f64_e32 v[222:223], v[214:215], v[92:93]
	v_add_f64 v[224:225], v[220:221], v[222:223]
	ds_read_b128 v[220:223], v2 offset:928
	ds_read_b128 v[140:143], v2 offset:1008
	s_waitcnt vmcnt(10) lgkmcnt(2)
	v_mul_f64 v[226:227], v[216:217], v[122:123]
	v_fmac_f64_e32 v[226:227], v[218:219], v[120:121]
	v_add_f64 v[228:229], v[224:225], v[226:227]
	s_waitcnt vmcnt(9) lgkmcnt(1)
	v_mul_f64 v[230:231], v[220:221], v[138:139]
	ds_read_b128 v[224:227], v2 offset:944
	v_fmac_f64_e32 v[230:231], v[222:223], v[136:137]
	v_add_f64 v[232:233], v[228:229], v[230:231]
	ds_read_b128 v[228:231], v2 offset:960
	v_mul_f64 v[150:151], v[186:187], v[150:151]
	s_waitcnt vmcnt(8) lgkmcnt(1)
	v_mul_f64 v[234:235], v[224:225], v[146:147]
	v_fmac_f64_e32 v[234:235], v[226:227], v[144:145]
	v_add_f64 v[236:237], v[232:233], v[234:235]
	s_waitcnt vmcnt(7) lgkmcnt(0)
	v_mul_f64 v[238:239], v[228:229], v[158:159]
	ds_read_b128 v[232:235], v2 offset:976
	v_fmac_f64_e32 v[238:239], v[230:231], v[156:157]
	v_add_f64 v[242:243], v[236:237], v[238:239]
	ds_read_b128 v[236:239], v2 offset:992
	v_fma_f64 v[254:255], v[184:185], v[148:149], -v[150:151]
	s_waitcnt vmcnt(6) lgkmcnt(1)
	v_mul_f64 v[244:245], v[232:233], v[162:163]
	v_fmac_f64_e32 v[244:245], v[234:235], v[160:161]
	ds_read_b128 v[148:151], v2 offset:1024
	s_waitcnt vmcnt(5) lgkmcnt(1)
	v_mul_f64 v[188:189], v[236:237], v[166:167]
	v_add_f64 v[242:243], v[242:243], v[244:245]
	v_fmac_f64_e32 v[188:189], v[238:239], v[164:165]
	s_waitcnt vmcnt(4)
	v_mul_f64 v[184:185], v[140:141], v[170:171]
	v_add_f64 v[188:189], v[242:243], v[188:189]
	v_fmac_f64_e32 v[184:185], v[142:143], v[168:169]
	v_add_f64 v[188:189], v[188:189], v[184:185]
	ds_read_b128 v[184:187], v2 offset:1040
	v_mul_f64 v[154:155], v[194:195], v[154:155]
	s_waitcnt vmcnt(3) lgkmcnt(1)
	v_mul_f64 v[190:191], v[148:149], v[174:175]
	v_fma_f64 v[244:245], v[192:193], v[152:153], -v[154:155]
	ds_read_b128 v[152:155], v2 offset:1056
	v_fmac_f64_e32 v[190:191], v[150:151], v[172:173]
	v_add_f64 v[242:243], v[188:189], v[190:191]
	ds_read_b128 v[188:191], v2 offset:1072
	s_waitcnt vmcnt(2) lgkmcnt(2)
	v_mul_f64 v[192:193], v[184:185], v[178:179]
	v_fmac_f64_e32 v[192:193], v[186:187], v[176:177]
	v_add_f64 v[2:3], v[242:243], v[192:193]
	s_waitcnt vmcnt(1) lgkmcnt(1)
	v_mul_f64 v[192:193], v[152:153], v[182:183]
	v_fmac_f64_e32 v[192:193], v[154:155], v[180:181]
	v_add_f64 v[2:3], v[2:3], v[192:193]
	;; [unrolled: 4-line block ×3, first 2 shown]
	scratch_load_dwordx4 v[192:195], off, off offset:32
	v_add_f64 v[242:243], v[252:253], 0
	v_add_f64 v[242:243], v[242:243], v[254:255]
	v_mul_f64 v[6:7], v[70:71], v[6:7]
	v_add_f64 v[242:243], v[242:243], v[244:245]
	v_fma_f64 v[4:5], v[68:69], v[4:5], -v[6:7]
	v_mul_f64 v[6:7], v[90:91], v[10:11]
	v_add_f64 v[4:5], v[242:243], v[4:5]
	v_fma_f64 v[6:7], v[88:89], v[8:9], -v[6:7]
	v_add_f64 v[4:5], v[4:5], v[6:7]
	v_mul_f64 v[6:7], v[86:87], v[14:15]
	v_fma_f64 v[6:7], v[84:85], v[12:13], -v[6:7]
	v_add_f64 v[4:5], v[4:5], v[6:7]
	v_mul_f64 v[6:7], v[82:83], v[18:19]
	;; [unrolled: 3-line block ×27, first 2 shown]
	v_fma_f64 v[6:7], v[188:189], v[196:197], -v[6:7]
	v_add_f64 v[4:5], v[4:5], v[6:7]
	s_waitcnt vmcnt(0)
	v_add_f64 v[4:5], v[192:193], -v[4:5]
	v_add_f64 v[6:7], v[194:195], -v[2:3]
	scratch_store_dwordx4 off, v[4:7], off offset:32
	s_and_saveexec_b64 s[0:1], vcc
	s_cbranch_execz .LBB97_217
; %bb.216:
	scratch_load_dwordx4 v[2:5], off, off offset:16
	v_mov_b32_e32 v6, 0
	v_mov_b32_e32 v7, v6
	;; [unrolled: 1-line block ×4, first 2 shown]
	scratch_store_dwordx4 off, v[6:9], off offset:16
	s_waitcnt vmcnt(1)
	ds_write_b128 v1, v[2:5]
.LBB97_217:
	s_or_b64 exec, exec, s[0:1]
	s_waitcnt lgkmcnt(0)
	; wave barrier
	scratch_load_dwordx4 v[108:111], off, off offset:32
	scratch_load_dwordx4 v[116:119], off, off offset:48
	;; [unrolled: 1-line block ×33, first 2 shown]
	v_mov_b32_e32 v252, 0
	ds_read_b128 v[224:227], v252 offset:560
	ds_read_b128 v[228:231], v252 offset:576
	;; [unrolled: 1-line block ×16, first 2 shown]
	s_and_b64 vcc, exec, s[10:11]
	ds_read_b128 v[216:219], v252 offset:960
	s_waitcnt vmcnt(32) lgkmcnt(14)
	v_mul_f64 v[180:181], v[224:225], v[110:111]
	s_waitcnt vmcnt(31)
	v_mul_f64 v[182:183], v[228:229], v[118:119]
	v_fmac_f64_e32 v[180:181], v[226:227], v[108:109]
	s_waitcnt vmcnt(30)
	v_mul_f64 v[184:185], v[232:233], v[122:123]
	v_fmac_f64_e32 v[182:183], v[230:231], v[116:117]
	v_add_f64 v[180:181], v[180:181], 0
	s_waitcnt vmcnt(29) lgkmcnt(13)
	v_mul_f64 v[186:187], v[236:237], v[126:127]
	v_fmac_f64_e32 v[184:185], v[234:235], v[120:121]
	v_add_f64 v[180:181], v[180:181], v[182:183]
	s_waitcnt vmcnt(28) lgkmcnt(12)
	;; [unrolled: 4-line block ×12, first 2 shown]
	v_mul_f64 v[208:209], v[136:137], v[42:43]
	v_fmac_f64_e32 v[206:207], v[142:143], v[36:37]
	v_add_f64 v[180:181], v[180:181], v[204:205]
	v_fmac_f64_e32 v[208:209], v[138:139], v[40:41]
	v_add_f64 v[180:181], v[180:181], v[206:207]
	v_add_f64 v[184:185], v[180:181], v[208:209]
	ds_read_b128 v[180:183], v252 offset:816
	s_waitcnt vmcnt(17) lgkmcnt(2)
	v_mul_f64 v[186:187], v[132:133], v[46:47]
	v_fmac_f64_e32 v[186:187], v[134:135], v[44:45]
	v_add_f64 v[188:189], v[184:185], v[186:187]
	ds_read_b128 v[184:187], v252 offset:832
	s_waitcnt vmcnt(16) lgkmcnt(1)
	v_mul_f64 v[190:191], v[180:181], v[50:51]
	v_fmac_f64_e32 v[190:191], v[182:183], v[48:49]
	;; [unrolled: 5-line block ×9, first 2 shown]
	v_add_f64 v[220:221], v[220:221], v[222:223]
	v_mul_f64 v[110:111], v[226:227], v[110:111]
	s_waitcnt vmcnt(8) lgkmcnt(0)
	v_mul_f64 v[222:223], v[212:213], v[82:83]
	v_fmac_f64_e32 v[222:223], v[214:215], v[80:81]
	v_add_f64 v[242:243], v[220:221], v[222:223]
	ds_read_b128 v[220:223], v252 offset:976
	v_fma_f64 v[244:245], v[224:225], v[108:109], -v[110:111]
	ds_read_b128 v[108:111], v252 offset:992
	s_waitcnt vmcnt(7)
	v_mul_f64 v[224:225], v[216:217], v[86:87]
	v_fmac_f64_e32 v[224:225], v[218:219], v[84:85]
	s_waitcnt vmcnt(6) lgkmcnt(1)
	v_mul_f64 v[226:227], v[220:221], v[90:91]
	v_add_f64 v[224:225], v[242:243], v[224:225]
	v_fmac_f64_e32 v[226:227], v[222:223], v[88:89]
	v_mul_f64 v[118:119], v[230:231], v[118:119]
	v_add_f64 v[224:225], v[224:225], v[226:227]
	v_fma_f64 v[242:243], v[228:229], v[116:117], -v[118:119]
	ds_read_b128 v[116:119], v252 offset:1008
	s_waitcnt vmcnt(5) lgkmcnt(1)
	v_mul_f64 v[226:227], v[108:109], v[94:95]
	v_fmac_f64_e32 v[226:227], v[110:111], v[92:93]
	v_add_f64 v[228:229], v[224:225], v[226:227]
	ds_read_b128 v[224:227], v252 offset:1024
	v_mul_f64 v[122:123], v[234:235], v[122:123]
	s_waitcnt vmcnt(4) lgkmcnt(1)
	v_mul_f64 v[230:231], v[116:117], v[98:99]
	v_fma_f64 v[234:235], v[232:233], v[120:121], -v[122:123]
	ds_read_b128 v[120:123], v252 offset:1040
	v_fmac_f64_e32 v[230:231], v[118:119], v[96:97]
	v_mul_f64 v[126:127], v[238:239], v[126:127]
	v_add_f64 v[228:229], v[228:229], v[230:231]
	s_waitcnt vmcnt(3) lgkmcnt(1)
	v_mul_f64 v[230:231], v[224:225], v[102:103]
	v_fma_f64 v[236:237], v[236:237], v[124:125], -v[126:127]
	ds_read_b128 v[124:127], v252 offset:1056
	v_fmac_f64_e32 v[230:231], v[226:227], v[100:101]
	v_add_f64 v[232:233], v[228:229], v[230:231]
	ds_read_b128 v[228:231], v252 offset:1072
	s_waitcnt vmcnt(2) lgkmcnt(2)
	v_mul_f64 v[238:239], v[120:121], v[106:107]
	v_fmac_f64_e32 v[238:239], v[122:123], v[104:105]
	v_add_f64 v[232:233], v[232:233], v[238:239]
	s_waitcnt vmcnt(1) lgkmcnt(1)
	v_mul_f64 v[238:239], v[124:125], v[114:115]
	v_fmac_f64_e32 v[238:239], v[126:127], v[112:113]
	v_add_f64 v[232:233], v[232:233], v[238:239]
	;; [unrolled: 4-line block ×3, first 2 shown]
	v_add_f64 v[238:239], v[244:245], 0
	v_add_f64 v[238:239], v[238:239], v[242:243]
	scratch_load_dwordx4 v[242:245], off, off offset:16
	v_add_f64 v[234:235], v[238:239], v[234:235]
	v_mul_f64 v[2:3], v[178:179], v[2:3]
	v_add_f64 v[234:235], v[234:235], v[236:237]
	v_fma_f64 v[0:1], v[176:177], v[0:1], -v[2:3]
	v_mul_f64 v[2:3], v[174:175], v[6:7]
	v_add_f64 v[0:1], v[234:235], v[0:1]
	v_fma_f64 v[2:3], v[172:173], v[4:5], -v[2:3]
	v_add_f64 v[0:1], v[0:1], v[2:3]
	v_mul_f64 v[2:3], v[170:171], v[10:11]
	v_fma_f64 v[2:3], v[168:169], v[8:9], -v[2:3]
	v_add_f64 v[0:1], v[0:1], v[2:3]
	v_mul_f64 v[2:3], v[166:167], v[14:15]
	;; [unrolled: 3-line block ×27, first 2 shown]
	v_fma_f64 v[2:3], v[228:229], v[128:129], -v[2:3]
	v_add_f64 v[0:1], v[0:1], v[2:3]
	s_waitcnt vmcnt(0)
	v_add_f64 v[0:1], v[242:243], -v[0:1]
	v_add_f64 v[2:3], v[244:245], -v[232:233]
	scratch_store_dwordx4 off, v[0:3], off offset:16
	s_cbranch_vccz .LBB97_284
; %bb.218:
	global_load_dword v0, v252, s[8:9] offset:128
	s_waitcnt vmcnt(0)
	v_readfirstlane_b32 s0, v0
	s_add_i32 s0, s0, -1
	s_cmp_lg_u32 s0, 32
	s_cbranch_scc0 .LBB97_220
; %bb.219:
	s_lshl_b32 s0, s0, 4
	s_add_i32 s0, s0, 16
	scratch_load_dwordx4 v[0:3], off, s0
	scratch_load_dwordx4 v[4:7], off, s17
	s_waitcnt vmcnt(1)
	scratch_store_dwordx4 off, v[0:3], s17
	s_waitcnt vmcnt(1)
	scratch_store_dwordx4 off, v[4:7], s0
.LBB97_220:
	v_mov_b32_e32 v0, 0
	global_load_dword v1, v0, s[8:9] offset:124
	s_waitcnt vmcnt(0)
	v_readfirstlane_b32 s0, v1
	s_add_i32 s0, s0, -1
	s_cmp_eq_u32 s0, 31
	s_cbranch_scc1 .LBB97_222
; %bb.221:
	s_lshl_b32 s0, s0, 4
	s_add_i32 s0, s0, 16
	scratch_load_dwordx4 v[2:5], off, s0
	scratch_load_dwordx4 v[6:9], off, s18
	s_waitcnt vmcnt(1)
	scratch_store_dwordx4 off, v[2:5], s18
	s_waitcnt vmcnt(1)
	scratch_store_dwordx4 off, v[6:9], s0
.LBB97_222:
	global_load_dword v0, v0, s[8:9] offset:120
	s_waitcnt vmcnt(0)
	v_readfirstlane_b32 s0, v0
	s_add_i32 s0, s0, -1
	s_cmp_eq_u32 s0, 30
	s_cbranch_scc1 .LBB97_224
; %bb.223:
	s_lshl_b32 s0, s0, 4
	s_add_i32 s0, s0, 16
	scratch_load_dwordx4 v[0:3], off, s0
	scratch_load_dwordx4 v[4:7], off, s19
	s_waitcnt vmcnt(1)
	scratch_store_dwordx4 off, v[0:3], s19
	s_waitcnt vmcnt(1)
	scratch_store_dwordx4 off, v[4:7], s0
.LBB97_224:
	v_mov_b32_e32 v0, 0
	global_load_dword v1, v0, s[8:9] offset:116
	s_waitcnt vmcnt(0)
	v_readfirstlane_b32 s0, v1
	s_add_i32 s0, s0, -1
	s_cmp_eq_u32 s0, 29
	s_cbranch_scc1 .LBB97_226
; %bb.225:
	s_lshl_b32 s0, s0, 4
	s_add_i32 s0, s0, 16
	scratch_load_dwordx4 v[2:5], off, s0
	scratch_load_dwordx4 v[6:9], off, s20
	s_waitcnt vmcnt(1)
	scratch_store_dwordx4 off, v[2:5], s20
	s_waitcnt vmcnt(1)
	scratch_store_dwordx4 off, v[6:9], s0
.LBB97_226:
	global_load_dword v0, v0, s[8:9] offset:112
	s_waitcnt vmcnt(0)
	v_readfirstlane_b32 s0, v0
	s_add_i32 s0, s0, -1
	s_cmp_eq_u32 s0, 28
	s_cbranch_scc1 .LBB97_228
; %bb.227:
	s_lshl_b32 s0, s0, 4
	s_add_i32 s0, s0, 16
	scratch_load_dwordx4 v[0:3], off, s0
	scratch_load_dwordx4 v[4:7], off, s21
	s_waitcnt vmcnt(1)
	scratch_store_dwordx4 off, v[0:3], s21
	s_waitcnt vmcnt(1)
	scratch_store_dwordx4 off, v[4:7], s0
.LBB97_228:
	v_mov_b32_e32 v0, 0
	global_load_dword v1, v0, s[8:9] offset:108
	s_waitcnt vmcnt(0)
	v_readfirstlane_b32 s0, v1
	s_add_i32 s0, s0, -1
	s_cmp_eq_u32 s0, 27
	s_cbranch_scc1 .LBB97_230
; %bb.229:
	s_lshl_b32 s0, s0, 4
	s_add_i32 s0, s0, 16
	scratch_load_dwordx4 v[2:5], off, s0
	scratch_load_dwordx4 v[6:9], off, s22
	s_waitcnt vmcnt(1)
	scratch_store_dwordx4 off, v[2:5], s22
	s_waitcnt vmcnt(1)
	scratch_store_dwordx4 off, v[6:9], s0
.LBB97_230:
	global_load_dword v0, v0, s[8:9] offset:104
	s_waitcnt vmcnt(0)
	v_readfirstlane_b32 s0, v0
	s_add_i32 s0, s0, -1
	s_cmp_eq_u32 s0, 26
	s_cbranch_scc1 .LBB97_232
; %bb.231:
	s_lshl_b32 s0, s0, 4
	s_add_i32 s0, s0, 16
	scratch_load_dwordx4 v[0:3], off, s0
	scratch_load_dwordx4 v[4:7], off, s23
	s_waitcnt vmcnt(1)
	scratch_store_dwordx4 off, v[0:3], s23
	s_waitcnt vmcnt(1)
	scratch_store_dwordx4 off, v[4:7], s0
.LBB97_232:
	v_mov_b32_e32 v0, 0
	global_load_dword v1, v0, s[8:9] offset:100
	s_waitcnt vmcnt(0)
	v_readfirstlane_b32 s0, v1
	s_add_i32 s0, s0, -1
	s_cmp_eq_u32 s0, 25
	s_cbranch_scc1 .LBB97_234
; %bb.233:
	s_lshl_b32 s0, s0, 4
	s_add_i32 s0, s0, 16
	scratch_load_dwordx4 v[2:5], off, s0
	scratch_load_dwordx4 v[6:9], off, s24
	s_waitcnt vmcnt(1)
	scratch_store_dwordx4 off, v[2:5], s24
	s_waitcnt vmcnt(1)
	scratch_store_dwordx4 off, v[6:9], s0
.LBB97_234:
	global_load_dword v0, v0, s[8:9] offset:96
	s_waitcnt vmcnt(0)
	v_readfirstlane_b32 s0, v0
	s_add_i32 s0, s0, -1
	s_cmp_eq_u32 s0, 24
	s_cbranch_scc1 .LBB97_236
; %bb.235:
	s_lshl_b32 s0, s0, 4
	s_add_i32 s0, s0, 16
	scratch_load_dwordx4 v[0:3], off, s0
	scratch_load_dwordx4 v[4:7], off, s25
	s_waitcnt vmcnt(1)
	scratch_store_dwordx4 off, v[0:3], s25
	s_waitcnt vmcnt(1)
	scratch_store_dwordx4 off, v[4:7], s0
.LBB97_236:
	v_mov_b32_e32 v0, 0
	global_load_dword v1, v0, s[8:9] offset:92
	s_waitcnt vmcnt(0)
	v_readfirstlane_b32 s0, v1
	s_add_i32 s0, s0, -1
	s_cmp_eq_u32 s0, 23
	s_cbranch_scc1 .LBB97_238
; %bb.237:
	s_lshl_b32 s0, s0, 4
	s_add_i32 s0, s0, 16
	scratch_load_dwordx4 v[2:5], off, s0
	scratch_load_dwordx4 v[6:9], off, s26
	s_waitcnt vmcnt(1)
	scratch_store_dwordx4 off, v[2:5], s26
	s_waitcnt vmcnt(1)
	scratch_store_dwordx4 off, v[6:9], s0
.LBB97_238:
	global_load_dword v0, v0, s[8:9] offset:88
	s_waitcnt vmcnt(0)
	v_readfirstlane_b32 s0, v0
	s_add_i32 s0, s0, -1
	s_cmp_eq_u32 s0, 22
	s_cbranch_scc1 .LBB97_240
; %bb.239:
	s_lshl_b32 s0, s0, 4
	s_add_i32 s0, s0, 16
	scratch_load_dwordx4 v[0:3], off, s0
	scratch_load_dwordx4 v[4:7], off, s27
	s_waitcnt vmcnt(1)
	scratch_store_dwordx4 off, v[0:3], s27
	s_waitcnt vmcnt(1)
	scratch_store_dwordx4 off, v[4:7], s0
.LBB97_240:
	v_mov_b32_e32 v0, 0
	global_load_dword v1, v0, s[8:9] offset:84
	s_waitcnt vmcnt(0)
	v_readfirstlane_b32 s0, v1
	s_add_i32 s0, s0, -1
	s_cmp_eq_u32 s0, 21
	s_cbranch_scc1 .LBB97_242
; %bb.241:
	s_lshl_b32 s0, s0, 4
	s_add_i32 s0, s0, 16
	scratch_load_dwordx4 v[2:5], off, s0
	scratch_load_dwordx4 v[6:9], off, s28
	s_waitcnt vmcnt(1)
	scratch_store_dwordx4 off, v[2:5], s28
	s_waitcnt vmcnt(1)
	scratch_store_dwordx4 off, v[6:9], s0
.LBB97_242:
	global_load_dword v0, v0, s[8:9] offset:80
	s_waitcnt vmcnt(0)
	v_readfirstlane_b32 s0, v0
	s_add_i32 s0, s0, -1
	s_cmp_eq_u32 s0, 20
	s_cbranch_scc1 .LBB97_244
; %bb.243:
	s_lshl_b32 s0, s0, 4
	s_add_i32 s0, s0, 16
	scratch_load_dwordx4 v[0:3], off, s0
	scratch_load_dwordx4 v[4:7], off, s29
	s_waitcnt vmcnt(1)
	scratch_store_dwordx4 off, v[0:3], s29
	s_waitcnt vmcnt(1)
	scratch_store_dwordx4 off, v[4:7], s0
.LBB97_244:
	v_mov_b32_e32 v0, 0
	global_load_dword v1, v0, s[8:9] offset:76
	s_waitcnt vmcnt(0)
	v_readfirstlane_b32 s0, v1
	s_add_i32 s0, s0, -1
	s_cmp_eq_u32 s0, 19
	s_cbranch_scc1 .LBB97_246
; %bb.245:
	s_lshl_b32 s0, s0, 4
	s_add_i32 s0, s0, 16
	scratch_load_dwordx4 v[2:5], off, s0
	scratch_load_dwordx4 v[6:9], off, s30
	s_waitcnt vmcnt(1)
	scratch_store_dwordx4 off, v[2:5], s30
	s_waitcnt vmcnt(1)
	scratch_store_dwordx4 off, v[6:9], s0
.LBB97_246:
	global_load_dword v0, v0, s[8:9] offset:72
	s_waitcnt vmcnt(0)
	v_readfirstlane_b32 s0, v0
	s_add_i32 s0, s0, -1
	s_cmp_eq_u32 s0, 18
	s_cbranch_scc1 .LBB97_248
; %bb.247:
	s_lshl_b32 s0, s0, 4
	s_add_i32 s0, s0, 16
	scratch_load_dwordx4 v[0:3], off, s0
	scratch_load_dwordx4 v[4:7], off, s31
	s_waitcnt vmcnt(1)
	scratch_store_dwordx4 off, v[0:3], s31
	s_waitcnt vmcnt(1)
	scratch_store_dwordx4 off, v[4:7], s0
.LBB97_248:
	v_mov_b32_e32 v0, 0
	global_load_dword v1, v0, s[8:9] offset:68
	s_waitcnt vmcnt(0)
	v_readfirstlane_b32 s0, v1
	s_add_i32 s0, s0, -1
	s_cmp_eq_u32 s0, 17
	s_cbranch_scc1 .LBB97_250
; %bb.249:
	s_lshl_b32 s0, s0, 4
	s_add_i32 s0, s0, 16
	scratch_load_dwordx4 v[2:5], off, s0
	scratch_load_dwordx4 v[6:9], off, s33
	s_waitcnt vmcnt(1)
	scratch_store_dwordx4 off, v[2:5], s33
	s_waitcnt vmcnt(1)
	scratch_store_dwordx4 off, v[6:9], s0
.LBB97_250:
	global_load_dword v0, v0, s[8:9] offset:64
	s_waitcnt vmcnt(0)
	v_readfirstlane_b32 s0, v0
	s_add_i32 s0, s0, -1
	s_cmp_eq_u32 s0, 16
	s_cbranch_scc1 .LBB97_252
; %bb.251:
	s_lshl_b32 s0, s0, 4
	s_add_i32 s0, s0, 16
	scratch_load_dwordx4 v[0:3], off, s0
	scratch_load_dwordx4 v[4:7], off, s34
	s_waitcnt vmcnt(1)
	scratch_store_dwordx4 off, v[0:3], s34
	s_waitcnt vmcnt(1)
	scratch_store_dwordx4 off, v[4:7], s0
.LBB97_252:
	v_mov_b32_e32 v0, 0
	global_load_dword v1, v0, s[8:9] offset:60
	s_waitcnt vmcnt(0)
	v_readfirstlane_b32 s0, v1
	s_add_i32 s0, s0, -1
	s_cmp_eq_u32 s0, 15
	s_cbranch_scc1 .LBB97_254
; %bb.253:
	s_lshl_b32 s0, s0, 4
	s_add_i32 s0, s0, 16
	scratch_load_dwordx4 v[2:5], off, s0
	scratch_load_dwordx4 v[6:9], off, s35
	s_waitcnt vmcnt(1)
	scratch_store_dwordx4 off, v[2:5], s35
	s_waitcnt vmcnt(1)
	scratch_store_dwordx4 off, v[6:9], s0
.LBB97_254:
	global_load_dword v0, v0, s[8:9] offset:56
	s_waitcnt vmcnt(0)
	v_readfirstlane_b32 s0, v0
	s_add_i32 s0, s0, -1
	s_cmp_eq_u32 s0, 14
	s_cbranch_scc1 .LBB97_256
; %bb.255:
	s_lshl_b32 s0, s0, 4
	s_add_i32 s0, s0, 16
	scratch_load_dwordx4 v[0:3], off, s0
	scratch_load_dwordx4 v[4:7], off, s36
	s_waitcnt vmcnt(1)
	scratch_store_dwordx4 off, v[0:3], s36
	s_waitcnt vmcnt(1)
	scratch_store_dwordx4 off, v[4:7], s0
.LBB97_256:
	v_mov_b32_e32 v0, 0
	global_load_dword v1, v0, s[8:9] offset:52
	s_waitcnt vmcnt(0)
	v_readfirstlane_b32 s0, v1
	s_add_i32 s0, s0, -1
	s_cmp_eq_u32 s0, 13
	s_cbranch_scc1 .LBB97_258
; %bb.257:
	s_lshl_b32 s0, s0, 4
	s_add_i32 s0, s0, 16
	scratch_load_dwordx4 v[2:5], off, s0
	scratch_load_dwordx4 v[6:9], off, s37
	s_waitcnt vmcnt(1)
	scratch_store_dwordx4 off, v[2:5], s37
	s_waitcnt vmcnt(1)
	scratch_store_dwordx4 off, v[6:9], s0
.LBB97_258:
	global_load_dword v0, v0, s[8:9] offset:48
	s_waitcnt vmcnt(0)
	v_readfirstlane_b32 s0, v0
	s_add_i32 s0, s0, -1
	s_cmp_eq_u32 s0, 12
	s_cbranch_scc1 .LBB97_260
; %bb.259:
	s_lshl_b32 s0, s0, 4
	s_add_i32 s0, s0, 16
	scratch_load_dwordx4 v[0:3], off, s0
	scratch_load_dwordx4 v[4:7], off, s38
	s_waitcnt vmcnt(1)
	scratch_store_dwordx4 off, v[0:3], s38
	s_waitcnt vmcnt(1)
	scratch_store_dwordx4 off, v[4:7], s0
.LBB97_260:
	v_mov_b32_e32 v0, 0
	global_load_dword v1, v0, s[8:9] offset:44
	s_waitcnt vmcnt(0)
	v_readfirstlane_b32 s0, v1
	s_add_i32 s0, s0, -1
	s_cmp_eq_u32 s0, 11
	s_cbranch_scc1 .LBB97_262
; %bb.261:
	s_lshl_b32 s0, s0, 4
	s_add_i32 s0, s0, 16
	scratch_load_dwordx4 v[2:5], off, s0
	scratch_load_dwordx4 v[6:9], off, s39
	s_waitcnt vmcnt(1)
	scratch_store_dwordx4 off, v[2:5], s39
	s_waitcnt vmcnt(1)
	scratch_store_dwordx4 off, v[6:9], s0
.LBB97_262:
	global_load_dword v0, v0, s[8:9] offset:40
	s_waitcnt vmcnt(0)
	v_readfirstlane_b32 s0, v0
	s_add_i32 s0, s0, -1
	s_cmp_eq_u32 s0, 10
	s_cbranch_scc1 .LBB97_264
; %bb.263:
	s_lshl_b32 s0, s0, 4
	s_add_i32 s0, s0, 16
	scratch_load_dwordx4 v[0:3], off, s0
	scratch_load_dwordx4 v[4:7], off, s40
	s_waitcnt vmcnt(1)
	scratch_store_dwordx4 off, v[0:3], s40
	s_waitcnt vmcnt(1)
	scratch_store_dwordx4 off, v[4:7], s0
.LBB97_264:
	v_mov_b32_e32 v0, 0
	global_load_dword v1, v0, s[8:9] offset:36
	s_waitcnt vmcnt(0)
	v_readfirstlane_b32 s0, v1
	s_add_i32 s0, s0, -1
	s_cmp_eq_u32 s0, 9
	s_cbranch_scc1 .LBB97_266
; %bb.265:
	s_lshl_b32 s0, s0, 4
	s_add_i32 s0, s0, 16
	scratch_load_dwordx4 v[2:5], off, s0
	scratch_load_dwordx4 v[6:9], off, s41
	s_waitcnt vmcnt(1)
	scratch_store_dwordx4 off, v[2:5], s41
	s_waitcnt vmcnt(1)
	scratch_store_dwordx4 off, v[6:9], s0
.LBB97_266:
	global_load_dword v0, v0, s[8:9] offset:32
	s_waitcnt vmcnt(0)
	v_readfirstlane_b32 s0, v0
	s_add_i32 s0, s0, -1
	s_cmp_eq_u32 s0, 8
	s_cbranch_scc1 .LBB97_268
; %bb.267:
	s_lshl_b32 s0, s0, 4
	s_add_i32 s0, s0, 16
	scratch_load_dwordx4 v[0:3], off, s0
	scratch_load_dwordx4 v[4:7], off, s42
	s_waitcnt vmcnt(1)
	scratch_store_dwordx4 off, v[0:3], s42
	s_waitcnt vmcnt(1)
	scratch_store_dwordx4 off, v[4:7], s0
.LBB97_268:
	v_mov_b32_e32 v0, 0
	global_load_dword v1, v0, s[8:9] offset:28
	s_waitcnt vmcnt(0)
	v_readfirstlane_b32 s0, v1
	s_add_i32 s0, s0, -1
	s_cmp_eq_u32 s0, 7
	s_cbranch_scc1 .LBB97_270
; %bb.269:
	s_lshl_b32 s0, s0, 4
	s_add_i32 s0, s0, 16
	scratch_load_dwordx4 v[2:5], off, s0
	scratch_load_dwordx4 v[6:9], off, s43
	s_waitcnt vmcnt(1)
	scratch_store_dwordx4 off, v[2:5], s43
	s_waitcnt vmcnt(1)
	scratch_store_dwordx4 off, v[6:9], s0
.LBB97_270:
	global_load_dword v0, v0, s[8:9] offset:24
	s_waitcnt vmcnt(0)
	v_readfirstlane_b32 s0, v0
	s_add_i32 s0, s0, -1
	s_cmp_eq_u32 s0, 6
	s_cbranch_scc1 .LBB97_272
; %bb.271:
	s_lshl_b32 s0, s0, 4
	s_add_i32 s0, s0, 16
	scratch_load_dwordx4 v[0:3], off, s0
	scratch_load_dwordx4 v[4:7], off, s44
	s_waitcnt vmcnt(1)
	scratch_store_dwordx4 off, v[0:3], s44
	s_waitcnt vmcnt(1)
	scratch_store_dwordx4 off, v[4:7], s0
.LBB97_272:
	v_mov_b32_e32 v0, 0
	global_load_dword v1, v0, s[8:9] offset:20
	s_waitcnt vmcnt(0)
	v_readfirstlane_b32 s0, v1
	s_add_i32 s0, s0, -1
	s_cmp_eq_u32 s0, 5
	s_cbranch_scc1 .LBB97_274
; %bb.273:
	s_lshl_b32 s0, s0, 4
	s_add_i32 s0, s0, 16
	scratch_load_dwordx4 v[2:5], off, s0
	scratch_load_dwordx4 v[6:9], off, s45
	s_waitcnt vmcnt(1)
	scratch_store_dwordx4 off, v[2:5], s45
	s_waitcnt vmcnt(1)
	scratch_store_dwordx4 off, v[6:9], s0
.LBB97_274:
	global_load_dword v0, v0, s[8:9] offset:16
	s_waitcnt vmcnt(0)
	v_readfirstlane_b32 s0, v0
	s_add_i32 s0, s0, -1
	s_cmp_eq_u32 s0, 4
	s_cbranch_scc1 .LBB97_276
; %bb.275:
	s_lshl_b32 s0, s0, 4
	s_add_i32 s0, s0, 16
	scratch_load_dwordx4 v[0:3], off, s0
	scratch_load_dwordx4 v[4:7], off, s46
	s_waitcnt vmcnt(1)
	scratch_store_dwordx4 off, v[0:3], s46
	s_waitcnt vmcnt(1)
	scratch_store_dwordx4 off, v[4:7], s0
.LBB97_276:
	v_mov_b32_e32 v0, 0
	global_load_dword v1, v0, s[8:9] offset:12
	s_waitcnt vmcnt(0)
	v_readfirstlane_b32 s0, v1
	s_add_i32 s0, s0, -1
	s_cmp_eq_u32 s0, 3
	s_cbranch_scc1 .LBB97_278
; %bb.277:
	s_lshl_b32 s0, s0, 4
	s_add_i32 s0, s0, 16
	scratch_load_dwordx4 v[2:5], off, s0
	scratch_load_dwordx4 v[6:9], off, s47
	s_waitcnt vmcnt(1)
	scratch_store_dwordx4 off, v[2:5], s47
	s_waitcnt vmcnt(1)
	scratch_store_dwordx4 off, v[6:9], s0
.LBB97_278:
	global_load_dword v0, v0, s[8:9] offset:8
	s_waitcnt vmcnt(0)
	v_readfirstlane_b32 s0, v0
	s_add_i32 s0, s0, -1
	s_cmp_eq_u32 s0, 2
	s_cbranch_scc1 .LBB97_280
; %bb.279:
	s_lshl_b32 s0, s0, 4
	s_add_i32 s0, s0, 16
	scratch_load_dwordx4 v[0:3], off, s0
	scratch_load_dwordx4 v[4:7], off, s48
	s_waitcnt vmcnt(1)
	scratch_store_dwordx4 off, v[0:3], s48
	s_waitcnt vmcnt(1)
	scratch_store_dwordx4 off, v[4:7], s0
.LBB97_280:
	v_mov_b32_e32 v0, 0
	global_load_dword v1, v0, s[8:9] offset:4
	s_waitcnt vmcnt(0)
	v_readfirstlane_b32 s0, v1
	s_add_i32 s0, s0, -1
	s_cmp_eq_u32 s0, 1
	s_cbranch_scc1 .LBB97_282
; %bb.281:
	s_lshl_b32 s0, s0, 4
	s_add_i32 s0, s0, 16
	scratch_load_dwordx4 v[2:5], off, s0
	scratch_load_dwordx4 v[6:9], off, s49
	s_waitcnt vmcnt(1)
	scratch_store_dwordx4 off, v[2:5], s49
	s_waitcnt vmcnt(1)
	scratch_store_dwordx4 off, v[6:9], s0
.LBB97_282:
	global_load_dword v0, v0, s[8:9]
	s_waitcnt vmcnt(0)
	v_readfirstlane_b32 s0, v0
	s_add_i32 s0, s0, -1
	s_cmp_eq_u32 s0, 0
	s_cbranch_scc1 .LBB97_284
; %bb.283:
	s_lshl_b32 s0, s0, 4
	s_add_i32 s0, s0, 16
	scratch_load_dwordx4 v[0:3], off, s0
	scratch_load_dwordx4 v[4:7], off, off offset:16
	s_waitcnt vmcnt(1)
	scratch_store_dwordx4 off, v[0:3], off offset:16
	s_waitcnt vmcnt(1)
	scratch_store_dwordx4 off, v[4:7], s0
.LBB97_284:
	scratch_load_dwordx4 v[0:3], off, off offset:16
	s_nop 0
	v_accvgpr_read_b32 v5, a1
	v_accvgpr_read_b32 v4, a0
	s_waitcnt vmcnt(0)
	flat_store_dwordx4 v[240:241], v[0:3]
	scratch_load_dwordx4 v[0:3], off, s49
	s_waitcnt vmcnt(0)
	flat_store_dwordx4 v[4:5], v[0:3]
	scratch_load_dwordx4 v[0:3], off, s48
	v_accvgpr_read_b32 v5, a3
	v_accvgpr_read_b32 v4, a2
	s_waitcnt vmcnt(0)
	flat_store_dwordx4 v[4:5], v[0:3]
	scratch_load_dwordx4 v[0:3], off, s47
	v_accvgpr_read_b32 v4, a4
	v_accvgpr_read_b32 v5, a5
	;; [unrolled: 5-line block ×29, first 2 shown]
	s_waitcnt vmcnt(0)
	flat_store_dwordx4 v[4:5], v[0:3]
	scratch_load_dwordx4 v[0:3], off, s18
	s_waitcnt vmcnt(0)
	flat_store_dwordx4 v[246:247], v[0:3]
	scratch_load_dwordx4 v[0:3], off, s17
	;; [unrolled: 3-line block ×3, first 2 shown]
	s_waitcnt vmcnt(0)
	flat_store_dwordx4 v[250:251], v[0:3]
	s_endpgm
	.section	.rodata,"a",@progbits
	.p2align	6, 0x0
	.amdhsa_kernel _ZN9rocsolver6v33100L18getri_kernel_smallILi34E19rocblas_complex_numIdEPKPS3_EEvT1_iilPiilS8_bb
		.amdhsa_group_segment_fixed_size 1096
		.amdhsa_private_segment_fixed_size 576
		.amdhsa_kernarg_size 60
		.amdhsa_user_sgpr_count 2
		.amdhsa_user_sgpr_dispatch_ptr 0
		.amdhsa_user_sgpr_queue_ptr 0
		.amdhsa_user_sgpr_kernarg_segment_ptr 1
		.amdhsa_user_sgpr_dispatch_id 0
		.amdhsa_user_sgpr_kernarg_preload_length 0
		.amdhsa_user_sgpr_kernarg_preload_offset 0
		.amdhsa_user_sgpr_private_segment_size 0
		.amdhsa_uses_dynamic_stack 0
		.amdhsa_enable_private_segment 1
		.amdhsa_system_sgpr_workgroup_id_x 1
		.amdhsa_system_sgpr_workgroup_id_y 0
		.amdhsa_system_sgpr_workgroup_id_z 0
		.amdhsa_system_sgpr_workgroup_info 0
		.amdhsa_system_vgpr_workitem_id 0
		.amdhsa_next_free_vgpr 316
		.amdhsa_next_free_sgpr 61
		.amdhsa_accum_offset 256
		.amdhsa_reserve_vcc 1
		.amdhsa_float_round_mode_32 0
		.amdhsa_float_round_mode_16_64 0
		.amdhsa_float_denorm_mode_32 3
		.amdhsa_float_denorm_mode_16_64 3
		.amdhsa_dx10_clamp 1
		.amdhsa_ieee_mode 1
		.amdhsa_fp16_overflow 0
		.amdhsa_tg_split 0
		.amdhsa_exception_fp_ieee_invalid_op 0
		.amdhsa_exception_fp_denorm_src 0
		.amdhsa_exception_fp_ieee_div_zero 0
		.amdhsa_exception_fp_ieee_overflow 0
		.amdhsa_exception_fp_ieee_underflow 0
		.amdhsa_exception_fp_ieee_inexact 0
		.amdhsa_exception_int_div_zero 0
	.end_amdhsa_kernel
	.section	.text._ZN9rocsolver6v33100L18getri_kernel_smallILi34E19rocblas_complex_numIdEPKPS3_EEvT1_iilPiilS8_bb,"axG",@progbits,_ZN9rocsolver6v33100L18getri_kernel_smallILi34E19rocblas_complex_numIdEPKPS3_EEvT1_iilPiilS8_bb,comdat
.Lfunc_end97:
	.size	_ZN9rocsolver6v33100L18getri_kernel_smallILi34E19rocblas_complex_numIdEPKPS3_EEvT1_iilPiilS8_bb, .Lfunc_end97-_ZN9rocsolver6v33100L18getri_kernel_smallILi34E19rocblas_complex_numIdEPKPS3_EEvT1_iilPiilS8_bb
                                        ; -- End function
	.set _ZN9rocsolver6v33100L18getri_kernel_smallILi34E19rocblas_complex_numIdEPKPS3_EEvT1_iilPiilS8_bb.num_vgpr, 256
	.set _ZN9rocsolver6v33100L18getri_kernel_smallILi34E19rocblas_complex_numIdEPKPS3_EEvT1_iilPiilS8_bb.num_agpr, 60
	.set _ZN9rocsolver6v33100L18getri_kernel_smallILi34E19rocblas_complex_numIdEPKPS3_EEvT1_iilPiilS8_bb.numbered_sgpr, 61
	.set _ZN9rocsolver6v33100L18getri_kernel_smallILi34E19rocblas_complex_numIdEPKPS3_EEvT1_iilPiilS8_bb.num_named_barrier, 0
	.set _ZN9rocsolver6v33100L18getri_kernel_smallILi34E19rocblas_complex_numIdEPKPS3_EEvT1_iilPiilS8_bb.private_seg_size, 576
	.set _ZN9rocsolver6v33100L18getri_kernel_smallILi34E19rocblas_complex_numIdEPKPS3_EEvT1_iilPiilS8_bb.uses_vcc, 1
	.set _ZN9rocsolver6v33100L18getri_kernel_smallILi34E19rocblas_complex_numIdEPKPS3_EEvT1_iilPiilS8_bb.uses_flat_scratch, 0
	.set _ZN9rocsolver6v33100L18getri_kernel_smallILi34E19rocblas_complex_numIdEPKPS3_EEvT1_iilPiilS8_bb.has_dyn_sized_stack, 0
	.set _ZN9rocsolver6v33100L18getri_kernel_smallILi34E19rocblas_complex_numIdEPKPS3_EEvT1_iilPiilS8_bb.has_recursion, 0
	.set _ZN9rocsolver6v33100L18getri_kernel_smallILi34E19rocblas_complex_numIdEPKPS3_EEvT1_iilPiilS8_bb.has_indirect_call, 0
	.section	.AMDGPU.csdata,"",@progbits
; Kernel info:
; codeLenInByte = 52960
; TotalNumSgprs: 67
; NumVgprs: 256
; NumAgprs: 60
; TotalNumVgprs: 316
; ScratchSize: 576
; MemoryBound: 0
; FloatMode: 240
; IeeeMode: 1
; LDSByteSize: 1096 bytes/workgroup (compile time only)
; SGPRBlocks: 8
; VGPRBlocks: 39
; NumSGPRsForWavesPerEU: 67
; NumVGPRsForWavesPerEU: 316
; AccumOffset: 256
; Occupancy: 1
; WaveLimiterHint : 1
; COMPUTE_PGM_RSRC2:SCRATCH_EN: 1
; COMPUTE_PGM_RSRC2:USER_SGPR: 2
; COMPUTE_PGM_RSRC2:TRAP_HANDLER: 0
; COMPUTE_PGM_RSRC2:TGID_X_EN: 1
; COMPUTE_PGM_RSRC2:TGID_Y_EN: 0
; COMPUTE_PGM_RSRC2:TGID_Z_EN: 0
; COMPUTE_PGM_RSRC2:TIDIG_COMP_CNT: 0
; COMPUTE_PGM_RSRC3_GFX90A:ACCUM_OFFSET: 63
; COMPUTE_PGM_RSRC3_GFX90A:TG_SPLIT: 0
	.section	.text._ZN9rocsolver6v33100L18getri_kernel_smallILi35E19rocblas_complex_numIdEPKPS3_EEvT1_iilPiilS8_bb,"axG",@progbits,_ZN9rocsolver6v33100L18getri_kernel_smallILi35E19rocblas_complex_numIdEPKPS3_EEvT1_iilPiilS8_bb,comdat
	.globl	_ZN9rocsolver6v33100L18getri_kernel_smallILi35E19rocblas_complex_numIdEPKPS3_EEvT1_iilPiilS8_bb ; -- Begin function _ZN9rocsolver6v33100L18getri_kernel_smallILi35E19rocblas_complex_numIdEPKPS3_EEvT1_iilPiilS8_bb
	.p2align	8
	.type	_ZN9rocsolver6v33100L18getri_kernel_smallILi35E19rocblas_complex_numIdEPKPS3_EEvT1_iilPiilS8_bb,@function
_ZN9rocsolver6v33100L18getri_kernel_smallILi35E19rocblas_complex_numIdEPKPS3_EEvT1_iilPiilS8_bb: ; @_ZN9rocsolver6v33100L18getri_kernel_smallILi35E19rocblas_complex_numIdEPKPS3_EEvT1_iilPiilS8_bb
; %bb.0:
	v_cmp_gt_u32_e32 vcc, 35, v0
	s_and_saveexec_b64 s[4:5], vcc
	s_cbranch_execz .LBB98_154
; %bb.1:
	s_load_dword s14, s[0:1], 0x38
	s_load_dwordx2 s[8:9], s[0:1], 0x0
	s_load_dwordx4 s[4:7], s[0:1], 0x28
	s_waitcnt lgkmcnt(0)
	s_bitcmp1_b32 s14, 8
	s_cselect_b64 s[10:11], -1, 0
	s_ashr_i32 s3, s2, 31
	s_lshl_b64 s[12:13], s[2:3], 3
	s_add_u32 s8, s8, s12
	s_addc_u32 s9, s9, s13
	s_load_dwordx2 s[12:13], s[8:9], 0x0
	s_bfe_u32 s8, s14, 0x10008
	s_cmp_eq_u32 s8, 0
                                        ; implicit-def: $sgpr8_sgpr9
	s_cbranch_scc1 .LBB98_3
; %bb.2:
	s_load_dword s8, s[0:1], 0x20
	s_load_dwordx2 s[14:15], s[0:1], 0x18
	s_mul_i32 s9, s4, s3
	s_mul_hi_u32 s16, s4, s2
	s_add_i32 s16, s16, s9
	s_mul_i32 s5, s5, s2
	s_add_i32 s5, s16, s5
	s_mul_i32 s4, s4, s2
	s_waitcnt lgkmcnt(0)
	s_ashr_i32 s9, s8, 31
	s_lshl_b64 s[4:5], s[4:5], 2
	s_add_u32 s14, s14, s4
	s_addc_u32 s15, s15, s5
	s_lshl_b64 s[4:5], s[8:9], 2
	s_add_u32 s8, s14, s4
	s_addc_u32 s9, s15, s5
.LBB98_3:
	s_load_dwordx2 s[4:5], s[0:1], 0x8
	s_load_dword s14, s[0:1], 0x38
	v_lshlrev_b32_e32 v14, 4, v0
	v_mov_b32_e32 v15, 0
	s_movk_i32 s15, 0xb0
	s_waitcnt lgkmcnt(0)
	s_ashr_i32 s1, s4, 31
	s_mov_b32 s0, s4
	s_lshl_b64 s[0:1], s[0:1], 4
	s_add_u32 s0, s12, s0
	s_addc_u32 s1, s13, s1
	v_lshl_add_u64 v[240:241], s[0:1], 0, v[14:15]
	flat_load_dwordx4 v[2:5], v[240:241]
	s_mov_b32 s12, s5
	s_ashr_i32 s13, s5, 31
	v_lshl_add_u64 v[6:7], s[12:13], 4, v[240:241]
	v_accvgpr_write_b32 a0, v6
	s_add_i32 s4, s5, s5
	v_accvgpr_write_b32 a1, v7
	s_movk_i32 s12, 0x90
	s_movk_i32 s13, 0xa0
	s_movk_i32 s16, 0xc0
	s_movk_i32 s17, 0xd0
	s_movk_i32 s18, 0xe0
	s_movk_i32 s19, 0xf0
	s_movk_i32 s20, 0x100
	s_movk_i32 s21, 0x110
	s_movk_i32 s22, 0x120
	s_movk_i32 s23, 0x130
	s_movk_i32 s24, 0x140
	s_movk_i32 s25, 0x150
	s_movk_i32 s26, 0x160
	s_movk_i32 s27, 0x170
	s_movk_i32 s51, 0x180
	s_movk_i32 s52, 0x190
	s_movk_i32 s53, 0x1a0
	s_movk_i32 s54, 0x1b0
	s_movk_i32 s55, 0x1c0
	s_movk_i32 s56, 0x1d0
	s_movk_i32 s57, 0x1e0
	s_movk_i32 s58, 0x1f0
	s_movk_i32 s59, 0x200
	s_movk_i32 s60, 0x210
	s_movk_i32 s61, 0x220
	s_add_i32 s42, s12, 16
	s_add_i32 s41, s13, 16
	s_add_i32 s40, s15, 16
	s_add_i32 s39, s16, 16
	s_add_i32 s38, s17, 16
	s_add_i32 s37, s18, 16
	s_add_i32 s36, s19, 16
	s_add_i32 s35, s20, 16
	s_add_i32 s34, s21, 16
	s_add_i32 s33, s22, 16
	s_add_i32 s31, s23, 16
	s_add_i32 s30, s24, 16
	s_add_i32 s29, s25, 16
	s_add_i32 s28, s26, 16
	s_add_i32 s27, s27, 16
	s_add_i32 s26, s51, 16
	s_add_i32 s25, s52, 16
	s_add_i32 s24, s53, 16
	s_add_i32 s23, s54, 16
	s_add_i32 s22, s55, 16
	s_add_i32 s21, s56, 16
	s_add_i32 s20, s57, 16
	s_add_i32 s19, s58, 16
	s_add_i32 s18, s59, 16
	s_add_i32 s17, s60, 16
	s_add_i32 s16, s61, 16
	s_mov_b32 s50, 32
	s_mov_b32 s49, 48
	;; [unrolled: 1-line block ×3, first 2 shown]
	s_movk_i32 s47, 0x50
	s_waitcnt vmcnt(0) lgkmcnt(0)
	scratch_store_dwordx4 off, v[2:5], off offset:16
	flat_load_dwordx4 v[2:5], v[6:7]
	v_add_u32_e32 v6, s4, v0
	v_ashrrev_i32_e32 v7, 31, v6
	v_lshl_add_u64 v[8:9], v[6:7], 4, s[0:1]
	v_add_u32_e32 v6, s5, v6
	v_accvgpr_write_b32 a2, v8
	v_ashrrev_i32_e32 v7, 31, v6
	v_accvgpr_write_b32 a3, v9
	s_movk_i32 s4, 0x70
	s_add_i32 s44, s4, 16
	s_waitcnt vmcnt(0) lgkmcnt(0)
	scratch_store_dwordx4 off, v[2:5], off offset:32
	flat_load_dwordx4 v[2:5], v[8:9]
	v_lshl_add_u64 v[8:9], v[6:7], 4, s[0:1]
	v_add_u32_e32 v6, s5, v6
	v_accvgpr_write_b32 a4, v8
	v_ashrrev_i32_e32 v7, 31, v6
	v_accvgpr_write_b32 a5, v9
	s_waitcnt vmcnt(0) lgkmcnt(0)
	scratch_store_dwordx4 off, v[2:5], off offset:48
	flat_load_dwordx4 v[2:5], v[8:9]
	v_lshl_add_u64 v[8:9], v[6:7], 4, s[0:1]
	v_add_u32_e32 v6, s5, v6
	v_accvgpr_write_b32 a6, v8
	v_ashrrev_i32_e32 v7, 31, v6
	v_accvgpr_write_b32 a7, v9
	;; [unrolled: 8-line block ×29, first 2 shown]
	s_waitcnt vmcnt(0) lgkmcnt(0)
	scratch_store_dwordx4 off, v[2:5], off offset:496
	flat_load_dwordx4 v[2:5], v[8:9]
	v_lshl_add_u64 v[8:9], v[6:7], 4, s[0:1]
	v_add_u32_e32 v6, s5, v6
	v_ashrrev_i32_e32 v7, 31, v6
	v_lshl_add_u64 v[250:251], v[6:7], 4, s[0:1]
	v_add_u32_e32 v6, s5, v6
	v_ashrrev_i32_e32 v7, 31, v6
	v_lshl_add_u64 v[252:253], v[6:7], 4, s[0:1]
	s_movk_i32 s0, 0x50
	s_movk_i32 s1, 0x60
	;; [unrolled: 1-line block ×3, first 2 shown]
	v_accvgpr_write_b32 a63, v9
	s_add_i32 s46, s0, 16
	s_add_i32 s45, s1, 16
	;; [unrolled: 1-line block ×3, first 2 shown]
	v_accvgpr_write_b32 a62, v8
	s_bitcmp0_b32 s14, 0
	s_mov_b64 s[4:5], -1
	s_waitcnt vmcnt(0) lgkmcnt(0)
	scratch_store_dwordx4 off, v[2:5], off offset:512
	flat_load_dwordx4 v[2:5], v[8:9]
	s_waitcnt vmcnt(0) lgkmcnt(0)
	scratch_store_dwordx4 off, v[2:5], off offset:528
	flat_load_dwordx4 v[2:5], v[250:251]
	s_waitcnt vmcnt(0) lgkmcnt(0)
	scratch_store_dwordx4 off, v[2:5], off offset:544
	flat_load_dwordx4 v[2:5], v[252:253]
	s_waitcnt vmcnt(0) lgkmcnt(0)
	scratch_store_dwordx4 off, v[2:5], off offset:560
	s_cbranch_scc1 .LBB98_152
; %bb.4:
	v_cmp_eq_u32_e64 s[0:1], 0, v0
	s_and_saveexec_b64 s[4:5], s[0:1]
; %bb.5:
	v_mov_b32_e32 v1, 0
	ds_write_b32 v1, v1 offset:1120
; %bb.6:
	s_or_b64 exec, exec, s[4:5]
	s_waitcnt lgkmcnt(0)
	; wave barrier
	scratch_load_dwordx4 v[2:5], v14, off offset:16
	s_waitcnt vmcnt(0)
	v_cmp_eq_f64_e32 vcc, 0, v[2:3]
	v_cmp_eq_f64_e64 s[4:5], 0, v[4:5]
	s_and_b64 s[4:5], vcc, s[4:5]
	s_and_saveexec_b64 s[12:13], s[4:5]
	s_cbranch_execz .LBB98_10
; %bb.7:
	v_mov_b32_e32 v1, 0
	ds_read_b32 v3, v1 offset:1120
	v_add_u32_e32 v2, 1, v0
	s_waitcnt lgkmcnt(0)
	v_readfirstlane_b32 s4, v3
	s_cmp_eq_u32 s4, 0
	s_cselect_b64 s[14:15], -1, 0
	v_cmp_gt_i32_e32 vcc, s4, v2
	s_or_b64 s[14:15], s[14:15], vcc
	s_and_b64 exec, exec, s[14:15]
	s_cbranch_execz .LBB98_10
; %bb.8:
	s_mov_b64 s[14:15], 0
	v_mov_b32_e32 v3, s4
.LBB98_9:                               ; =>This Inner Loop Header: Depth=1
	ds_cmpst_rtn_b32 v3, v1, v3, v2 offset:1120
	s_waitcnt lgkmcnt(0)
	v_cmp_ne_u32_e32 vcc, 0, v3
	v_cmp_le_i32_e64 s[4:5], v3, v2
	s_and_b64 s[4:5], vcc, s[4:5]
	s_and_b64 s[4:5], exec, s[4:5]
	s_or_b64 s[14:15], s[4:5], s[14:15]
	s_andn2_b64 exec, exec, s[14:15]
	s_cbranch_execnz .LBB98_9
.LBB98_10:
	s_or_b64 exec, exec, s[12:13]
	v_mov_b32_e32 v2, 0
	; wave barrier
	ds_read_b32 v1, v2 offset:1120
	s_and_saveexec_b64 s[4:5], s[0:1]
	s_cbranch_execz .LBB98_12
; %bb.11:
	s_lshl_b64 s[12:13], s[2:3], 2
	s_add_u32 s12, s6, s12
	s_addc_u32 s13, s7, s13
	s_waitcnt lgkmcnt(0)
	global_store_dword v2, v1, s[12:13]
.LBB98_12:
	s_or_b64 exec, exec, s[4:5]
	s_waitcnt lgkmcnt(0)
	v_cmp_ne_u32_e32 vcc, 0, v1
	s_mov_b64 s[4:5], 0
	s_cbranch_vccnz .LBB98_152
; %bb.13:
	v_add_u32_e32 v15, 16, v14
	scratch_load_dwordx4 v[2:5], v15, off
                                        ; implicit-def: $vgpr6_vgpr7
                                        ; implicit-def: $vgpr10_vgpr11
	s_waitcnt vmcnt(0)
	v_cmp_ngt_f64_e64 s[4:5], |v[2:3]|, |v[4:5]|
	s_and_saveexec_b64 s[12:13], s[4:5]
	s_xor_b64 s[4:5], exec, s[12:13]
	s_cbranch_execz .LBB98_15
; %bb.14:
	v_div_scale_f64 v[6:7], s[12:13], v[4:5], v[4:5], v[2:3]
	v_rcp_f64_e32 v[8:9], v[6:7]
	v_div_scale_f64 v[10:11], vcc, v[2:3], v[4:5], v[2:3]
	v_fma_f64 v[12:13], -v[6:7], v[8:9], 1.0
	v_fmac_f64_e32 v[8:9], v[8:9], v[12:13]
	v_fma_f64 v[12:13], -v[6:7], v[8:9], 1.0
	v_fmac_f64_e32 v[8:9], v[8:9], v[12:13]
	v_mul_f64 v[12:13], v[10:11], v[8:9]
	v_fma_f64 v[6:7], -v[6:7], v[12:13], v[10:11]
	v_div_fmas_f64 v[6:7], v[6:7], v[8:9], v[12:13]
	v_div_fixup_f64 v[6:7], v[6:7], v[4:5], v[2:3]
	v_fmac_f64_e32 v[4:5], v[2:3], v[6:7]
	v_div_scale_f64 v[2:3], s[12:13], v[4:5], v[4:5], 1.0
	v_rcp_f64_e32 v[8:9], v[2:3]
	s_nop 0
	v_fma_f64 v[10:11], -v[2:3], v[8:9], 1.0
	v_fmac_f64_e32 v[8:9], v[8:9], v[10:11]
	v_fma_f64 v[10:11], -v[2:3], v[8:9], 1.0
	v_fmac_f64_e32 v[8:9], v[8:9], v[10:11]
	v_div_scale_f64 v[10:11], vcc, 1.0, v[4:5], 1.0
	v_mul_f64 v[12:13], v[10:11], v[8:9]
	v_fma_f64 v[2:3], -v[2:3], v[12:13], v[10:11]
	s_nop 1
	v_div_fmas_f64 v[2:3], v[2:3], v[8:9], v[12:13]
	v_div_fixup_f64 v[8:9], v[2:3], v[4:5], 1.0
	v_mul_f64 v[6:7], v[6:7], v[8:9]
	v_xor_b32_e32 v9, 0x80000000, v9
	v_xor_b32_e32 v11, 0x80000000, v7
	v_mov_b32_e32 v10, v6
                                        ; implicit-def: $vgpr2_vgpr3
.LBB98_15:
	s_andn2_saveexec_b64 s[4:5], s[4:5]
	s_cbranch_execz .LBB98_17
; %bb.16:
	v_div_scale_f64 v[6:7], s[12:13], v[2:3], v[2:3], v[4:5]
	v_rcp_f64_e32 v[8:9], v[6:7]
	v_div_scale_f64 v[10:11], vcc, v[4:5], v[2:3], v[4:5]
	v_fma_f64 v[12:13], -v[6:7], v[8:9], 1.0
	v_fmac_f64_e32 v[8:9], v[8:9], v[12:13]
	v_fma_f64 v[12:13], -v[6:7], v[8:9], 1.0
	v_fmac_f64_e32 v[8:9], v[8:9], v[12:13]
	v_mul_f64 v[12:13], v[10:11], v[8:9]
	v_fma_f64 v[6:7], -v[6:7], v[12:13], v[10:11]
	v_div_fmas_f64 v[6:7], v[6:7], v[8:9], v[12:13]
	v_div_fixup_f64 v[8:9], v[6:7], v[2:3], v[4:5]
	v_fmac_f64_e32 v[2:3], v[4:5], v[8:9]
	v_div_scale_f64 v[4:5], s[12:13], v[2:3], v[2:3], 1.0
	v_rcp_f64_e32 v[6:7], v[4:5]
	s_nop 0
	v_fma_f64 v[10:11], -v[4:5], v[6:7], 1.0
	v_fmac_f64_e32 v[6:7], v[6:7], v[10:11]
	v_fma_f64 v[10:11], -v[4:5], v[6:7], 1.0
	v_fmac_f64_e32 v[6:7], v[6:7], v[10:11]
	v_div_scale_f64 v[10:11], vcc, 1.0, v[2:3], 1.0
	v_mul_f64 v[12:13], v[10:11], v[6:7]
	v_fma_f64 v[4:5], -v[4:5], v[12:13], v[10:11]
	s_nop 1
	v_div_fmas_f64 v[4:5], v[4:5], v[6:7], v[12:13]
	v_div_fixup_f64 v[6:7], v[4:5], v[2:3], 1.0
	v_xor_b32_e32 v11, 0x80000000, v7
	v_mov_b32_e32 v10, v6
	v_mul_f64 v[8:9], v[8:9], -v[6:7]
.LBB98_17:
	s_or_b64 exec, exec, s[4:5]
	scratch_store_dwordx4 v15, v[6:9], off
	scratch_load_dwordx4 v[2:5], off, s50
	v_xor_b32_e32 v13, 0x80000000, v9
	v_mov_b32_e32 v12, v8
	v_add_u32_e32 v1, 0x230, v14
	ds_write_b128 v14, v[10:13]
	s_waitcnt vmcnt(0)
	ds_write_b128 v14, v[2:5] offset:560
	s_waitcnt lgkmcnt(0)
	; wave barrier
	s_and_saveexec_b64 s[4:5], s[0:1]
	s_cbranch_execz .LBB98_19
; %bb.18:
	scratch_load_dwordx4 v[2:5], v15, off
	ds_read_b128 v[6:9], v1
	v_mov_b32_e32 v10, 0
	ds_read_b128 v[10:13], v10 offset:16
	s_waitcnt vmcnt(0) lgkmcnt(1)
	v_mul_f64 v[16:17], v[8:9], v[4:5]
	v_mul_f64 v[4:5], v[6:7], v[4:5]
	v_fma_f64 v[6:7], v[6:7], v[2:3], -v[16:17]
	v_fmac_f64_e32 v[4:5], v[8:9], v[2:3]
	v_add_f64 v[2:3], v[6:7], 0
	v_add_f64 v[6:7], v[4:5], 0
	s_waitcnt lgkmcnt(0)
	v_mul_f64 v[8:9], v[6:7], v[12:13]
	v_mul_f64 v[4:5], v[2:3], v[12:13]
	v_fma_f64 v[2:3], v[2:3], v[10:11], -v[8:9]
	v_fmac_f64_e32 v[4:5], v[6:7], v[10:11]
	scratch_store_dwordx4 off, v[2:5], off offset:32
.LBB98_19:
	s_or_b64 exec, exec, s[4:5]
	; wave barrier
	scratch_load_dwordx4 v[2:5], off, s49
	v_cmp_gt_u32_e32 vcc, 2, v0
	s_waitcnt vmcnt(0)
	ds_write_b128 v1, v[2:5]
	s_waitcnt lgkmcnt(0)
	; wave barrier
	s_and_saveexec_b64 s[4:5], vcc
	s_cbranch_execz .LBB98_23
; %bb.20:
	scratch_load_dwordx4 v[2:5], v15, off
	ds_read_b128 v[6:9], v1
	s_waitcnt vmcnt(0) lgkmcnt(0)
	v_mul_f64 v[10:11], v[8:9], v[4:5]
	v_mul_f64 v[12:13], v[6:7], v[4:5]
	v_fma_f64 v[4:5], v[6:7], v[2:3], -v[10:11]
	v_fmac_f64_e32 v[12:13], v[8:9], v[2:3]
	v_add_f64 v[4:5], v[4:5], 0
	v_add_f64 v[2:3], v[12:13], 0
	s_and_saveexec_b64 s[12:13], s[0:1]
	s_cbranch_execz .LBB98_22
; %bb.21:
	scratch_load_dwordx4 v[6:9], off, off offset:32
	v_mov_b32_e32 v10, 0
	ds_read_b128 v[10:13], v10 offset:576
	s_waitcnt vmcnt(0) lgkmcnt(0)
	v_mul_f64 v[16:17], v[10:11], v[8:9]
	v_mul_f64 v[8:9], v[12:13], v[8:9]
	v_fmac_f64_e32 v[16:17], v[12:13], v[6:7]
	v_fma_f64 v[6:7], v[10:11], v[6:7], -v[8:9]
	v_add_f64 v[2:3], v[2:3], v[16:17]
	v_add_f64 v[4:5], v[4:5], v[6:7]
.LBB98_22:
	s_or_b64 exec, exec, s[12:13]
	v_mov_b32_e32 v6, 0
	ds_read_b128 v[6:9], v6 offset:32
	s_waitcnt lgkmcnt(0)
	v_mul_f64 v[12:13], v[2:3], v[8:9]
	v_mul_f64 v[10:11], v[4:5], v[8:9]
	v_fma_f64 v[8:9], v[4:5], v[6:7], -v[12:13]
	v_fmac_f64_e32 v[10:11], v[2:3], v[6:7]
	scratch_store_dwordx4 off, v[8:11], off offset:48
.LBB98_23:
	s_or_b64 exec, exec, s[4:5]
	; wave barrier
	scratch_load_dwordx4 v[2:5], off, s48
	v_cmp_gt_u32_e32 vcc, 3, v0
	v_add_u32_e32 v6, -1, v0
	s_waitcnt vmcnt(0)
	ds_write_b128 v1, v[2:5]
	s_waitcnt lgkmcnt(0)
	; wave barrier
	s_and_saveexec_b64 s[0:1], vcc
	s_cbranch_execz .LBB98_27
; %bb.24:
	v_add_u32_e32 v7, -1, v0
	v_add_u32_e32 v8, 0x230, v14
	v_add_u32_e32 v9, 16, v14
	v_mov_b64_e32 v[2:3], 0
	s_mov_b64 s[4:5], 0
	v_mov_b64_e32 v[4:5], 0
.LBB98_25:                              ; =>This Inner Loop Header: Depth=1
	scratch_load_dwordx4 v[10:13], v9, off
	ds_read_b128 v[16:19], v8
	v_add_u32_e32 v7, 1, v7
	v_cmp_lt_u32_e32 vcc, 1, v7
	v_add_u32_e32 v8, 16, v8
	v_add_u32_e32 v9, 16, v9
	s_or_b64 s[4:5], vcc, s[4:5]
	s_waitcnt vmcnt(0) lgkmcnt(0)
	v_mul_f64 v[20:21], v[18:19], v[12:13]
	v_mul_f64 v[12:13], v[16:17], v[12:13]
	v_fma_f64 v[16:17], v[16:17], v[10:11], -v[20:21]
	v_fmac_f64_e32 v[12:13], v[18:19], v[10:11]
	v_add_f64 v[4:5], v[4:5], v[16:17]
	v_add_f64 v[2:3], v[2:3], v[12:13]
	s_andn2_b64 exec, exec, s[4:5]
	s_cbranch_execnz .LBB98_25
; %bb.26:
	s_or_b64 exec, exec, s[4:5]
	v_mov_b32_e32 v7, 0
	ds_read_b128 v[8:11], v7 offset:48
	s_waitcnt lgkmcnt(0)
	v_mul_f64 v[16:17], v[2:3], v[10:11]
	v_mul_f64 v[12:13], v[4:5], v[10:11]
	v_fma_f64 v[10:11], v[4:5], v[8:9], -v[16:17]
	v_fmac_f64_e32 v[12:13], v[2:3], v[8:9]
	scratch_store_dwordx4 off, v[10:13], off offset:64
.LBB98_27:
	s_or_b64 exec, exec, s[0:1]
	; wave barrier
	scratch_load_dwordx4 v[2:5], off, s47
	v_cmp_gt_u32_e32 vcc, 4, v0
	s_waitcnt vmcnt(0)
	ds_write_b128 v1, v[2:5]
	s_waitcnt lgkmcnt(0)
	; wave barrier
	s_and_saveexec_b64 s[0:1], vcc
	s_cbranch_execz .LBB98_31
; %bb.28:
	v_add_u32_e32 v7, -1, v0
	v_add_u32_e32 v8, 0x230, v14
	v_add_u32_e32 v9, 16, v14
	v_mov_b64_e32 v[2:3], 0
	s_mov_b64 s[4:5], 0
	v_mov_b64_e32 v[4:5], 0
.LBB98_29:                              ; =>This Inner Loop Header: Depth=1
	scratch_load_dwordx4 v[10:13], v9, off
	ds_read_b128 v[16:19], v8
	v_add_u32_e32 v7, 1, v7
	v_cmp_lt_u32_e32 vcc, 2, v7
	v_add_u32_e32 v8, 16, v8
	v_add_u32_e32 v9, 16, v9
	s_or_b64 s[4:5], vcc, s[4:5]
	s_waitcnt vmcnt(0) lgkmcnt(0)
	v_mul_f64 v[20:21], v[18:19], v[12:13]
	v_mul_f64 v[12:13], v[16:17], v[12:13]
	v_fma_f64 v[16:17], v[16:17], v[10:11], -v[20:21]
	v_fmac_f64_e32 v[12:13], v[18:19], v[10:11]
	v_add_f64 v[4:5], v[4:5], v[16:17]
	v_add_f64 v[2:3], v[2:3], v[12:13]
	s_andn2_b64 exec, exec, s[4:5]
	s_cbranch_execnz .LBB98_29
; %bb.30:
	s_or_b64 exec, exec, s[4:5]
	v_mov_b32_e32 v7, 0
	ds_read_b128 v[8:11], v7 offset:64
	s_waitcnt lgkmcnt(0)
	v_mul_f64 v[16:17], v[2:3], v[10:11]
	v_mul_f64 v[12:13], v[4:5], v[10:11]
	v_fma_f64 v[10:11], v[4:5], v[8:9], -v[16:17]
	v_fmac_f64_e32 v[12:13], v[2:3], v[8:9]
	scratch_store_dwordx4 off, v[10:13], off offset:80
.LBB98_31:
	s_or_b64 exec, exec, s[0:1]
	; wave barrier
	scratch_load_dwordx4 v[2:5], off, s46
	v_cmp_gt_u32_e32 vcc, 5, v0
	;; [unrolled: 45-line block ×19, first 2 shown]
	s_waitcnt vmcnt(0)
	ds_write_b128 v1, v[2:5]
	s_waitcnt lgkmcnt(0)
	; wave barrier
	s_and_saveexec_b64 s[0:1], vcc
	s_cbranch_execz .LBB98_103
; %bb.100:
	v_add_u32_e32 v7, -1, v0
	v_add_u32_e32 v8, 0x230, v14
	v_add_u32_e32 v9, 16, v14
	v_mov_b64_e32 v[2:3], 0
	s_mov_b64 s[4:5], 0
	v_mov_b64_e32 v[4:5], 0
.LBB98_101:                             ; =>This Inner Loop Header: Depth=1
	scratch_load_dwordx4 v[10:13], v9, off
	ds_read_b128 v[16:19], v8
	v_add_u32_e32 v7, 1, v7
	v_cmp_lt_u32_e32 vcc, 20, v7
	v_add_u32_e32 v8, 16, v8
	v_add_u32_e32 v9, 16, v9
	s_or_b64 s[4:5], vcc, s[4:5]
	s_waitcnt vmcnt(0) lgkmcnt(0)
	v_mul_f64 v[20:21], v[18:19], v[12:13]
	v_mul_f64 v[12:13], v[16:17], v[12:13]
	v_fma_f64 v[16:17], v[16:17], v[10:11], -v[20:21]
	v_fmac_f64_e32 v[12:13], v[18:19], v[10:11]
	v_add_f64 v[4:5], v[4:5], v[16:17]
	v_add_f64 v[2:3], v[2:3], v[12:13]
	s_andn2_b64 exec, exec, s[4:5]
	s_cbranch_execnz .LBB98_101
; %bb.102:
	s_or_b64 exec, exec, s[4:5]
	v_mov_b32_e32 v7, 0
	ds_read_b128 v[8:11], v7 offset:352
	s_waitcnt lgkmcnt(0)
	v_mul_f64 v[16:17], v[2:3], v[10:11]
	v_mul_f64 v[12:13], v[4:5], v[10:11]
	v_fma_f64 v[10:11], v[4:5], v[8:9], -v[16:17]
	v_fmac_f64_e32 v[12:13], v[2:3], v[8:9]
	scratch_store_dwordx4 off, v[10:13], off offset:368
.LBB98_103:
	s_or_b64 exec, exec, s[0:1]
	; wave barrier
	scratch_load_dwordx4 v[2:5], off, s27
	v_cmp_gt_u32_e32 vcc, 23, v0
	s_waitcnt vmcnt(0)
	ds_write_b128 v1, v[2:5]
	s_waitcnt lgkmcnt(0)
	; wave barrier
	s_and_saveexec_b64 s[0:1], vcc
	s_cbranch_execz .LBB98_107
; %bb.104:
	v_add_u32_e32 v7, -1, v0
	v_add_u32_e32 v8, 0x230, v14
	v_add_u32_e32 v9, 16, v14
	v_mov_b64_e32 v[2:3], 0
	s_mov_b64 s[4:5], 0
	v_mov_b64_e32 v[4:5], 0
.LBB98_105:                             ; =>This Inner Loop Header: Depth=1
	scratch_load_dwordx4 v[10:13], v9, off
	ds_read_b128 v[16:19], v8
	v_add_u32_e32 v7, 1, v7
	v_cmp_lt_u32_e32 vcc, 21, v7
	v_add_u32_e32 v8, 16, v8
	v_add_u32_e32 v9, 16, v9
	s_or_b64 s[4:5], vcc, s[4:5]
	s_waitcnt vmcnt(0) lgkmcnt(0)
	v_mul_f64 v[20:21], v[18:19], v[12:13]
	v_mul_f64 v[12:13], v[16:17], v[12:13]
	v_fma_f64 v[16:17], v[16:17], v[10:11], -v[20:21]
	v_fmac_f64_e32 v[12:13], v[18:19], v[10:11]
	v_add_f64 v[4:5], v[4:5], v[16:17]
	v_add_f64 v[2:3], v[2:3], v[12:13]
	s_andn2_b64 exec, exec, s[4:5]
	s_cbranch_execnz .LBB98_105
; %bb.106:
	s_or_b64 exec, exec, s[4:5]
	v_mov_b32_e32 v7, 0
	ds_read_b128 v[8:11], v7 offset:368
	s_waitcnt lgkmcnt(0)
	v_mul_f64 v[16:17], v[2:3], v[10:11]
	v_mul_f64 v[12:13], v[4:5], v[10:11]
	v_fma_f64 v[10:11], v[4:5], v[8:9], -v[16:17]
	v_fmac_f64_e32 v[12:13], v[2:3], v[8:9]
	scratch_store_dwordx4 off, v[10:13], off offset:384
.LBB98_107:
	s_or_b64 exec, exec, s[0:1]
	; wave barrier
	scratch_load_dwordx4 v[2:5], off, s26
	v_cmp_gt_u32_e32 vcc, 24, v0
	;; [unrolled: 45-line block ×11, first 2 shown]
	s_waitcnt vmcnt(0)
	ds_write_b128 v1, v[2:5]
	s_waitcnt lgkmcnt(0)
	; wave barrier
	s_and_saveexec_b64 s[0:1], vcc
	s_cbranch_execz .LBB98_147
; %bb.144:
	v_add_u32_e32 v7, -1, v0
	v_add_u32_e32 v8, 0x230, v14
	v_add_u32_e32 v9, 16, v14
	v_mov_b64_e32 v[2:3], 0
	s_mov_b64 s[4:5], 0
	v_mov_b64_e32 v[4:5], 0
.LBB98_145:                             ; =>This Inner Loop Header: Depth=1
	scratch_load_dwordx4 v[10:13], v9, off
	ds_read_b128 v[16:19], v8
	v_add_u32_e32 v7, 1, v7
	v_cmp_lt_u32_e32 vcc, 31, v7
	v_add_u32_e32 v8, 16, v8
	v_add_u32_e32 v9, 16, v9
	s_or_b64 s[4:5], vcc, s[4:5]
	s_waitcnt vmcnt(0) lgkmcnt(0)
	v_mul_f64 v[20:21], v[18:19], v[12:13]
	v_mul_f64 v[12:13], v[16:17], v[12:13]
	v_fma_f64 v[16:17], v[16:17], v[10:11], -v[20:21]
	v_fmac_f64_e32 v[12:13], v[18:19], v[10:11]
	v_add_f64 v[4:5], v[4:5], v[16:17]
	v_add_f64 v[2:3], v[2:3], v[12:13]
	s_andn2_b64 exec, exec, s[4:5]
	s_cbranch_execnz .LBB98_145
; %bb.146:
	s_or_b64 exec, exec, s[4:5]
	v_mov_b32_e32 v7, 0
	ds_read_b128 v[8:11], v7 offset:528
	s_waitcnt lgkmcnt(0)
	v_mul_f64 v[16:17], v[2:3], v[10:11]
	v_mul_f64 v[12:13], v[4:5], v[10:11]
	v_fma_f64 v[10:11], v[4:5], v[8:9], -v[16:17]
	v_fmac_f64_e32 v[12:13], v[2:3], v[8:9]
	scratch_store_dwordx4 off, v[10:13], off offset:544
.LBB98_147:
	s_or_b64 exec, exec, s[0:1]
	; wave barrier
	scratch_load_dwordx4 v[2:5], off, s16
	v_cmp_ne_u32_e32 vcc, 34, v0
	s_waitcnt vmcnt(0)
	ds_write_b128 v1, v[2:5]
	s_waitcnt lgkmcnt(0)
	; wave barrier
	s_and_saveexec_b64 s[0:1], vcc
	s_cbranch_execz .LBB98_151
; %bb.148:
	v_add_u32_e32 v1, 0x230, v14
	v_add_u32_e32 v7, 16, v14
	v_mov_b64_e32 v[2:3], 0
	s_mov_b64 s[4:5], 0
	v_mov_b64_e32 v[4:5], 0
.LBB98_149:                             ; =>This Inner Loop Header: Depth=1
	scratch_load_dwordx4 v[8:11], v7, off
	ds_read_b128 v[12:15], v1
	v_add_u32_e32 v6, 1, v6
	v_cmp_lt_u32_e32 vcc, 32, v6
	v_add_u32_e32 v1, 16, v1
	v_add_u32_e32 v7, 16, v7
	s_or_b64 s[4:5], vcc, s[4:5]
	s_waitcnt vmcnt(0) lgkmcnt(0)
	v_mul_f64 v[16:17], v[14:15], v[10:11]
	v_mul_f64 v[10:11], v[12:13], v[10:11]
	v_fma_f64 v[12:13], v[12:13], v[8:9], -v[16:17]
	v_fmac_f64_e32 v[10:11], v[14:15], v[8:9]
	v_add_f64 v[4:5], v[4:5], v[12:13]
	v_add_f64 v[2:3], v[2:3], v[10:11]
	s_andn2_b64 exec, exec, s[4:5]
	s_cbranch_execnz .LBB98_149
; %bb.150:
	s_or_b64 exec, exec, s[4:5]
	v_mov_b32_e32 v1, 0
	ds_read_b128 v[6:9], v1 offset:544
	s_waitcnt lgkmcnt(0)
	v_mul_f64 v[12:13], v[2:3], v[8:9]
	v_mul_f64 v[10:11], v[4:5], v[8:9]
	v_fma_f64 v[8:9], v[4:5], v[6:7], -v[12:13]
	v_fmac_f64_e32 v[10:11], v[2:3], v[6:7]
	scratch_store_dwordx4 off, v[8:11], off offset:560
.LBB98_151:
	s_or_b64 exec, exec, s[0:1]
	s_mov_b64 s[4:5], -1
	; wave barrier
.LBB98_152:
	s_and_b64 vcc, exec, s[4:5]
	s_cbranch_vccz .LBB98_154
; %bb.153:
	s_lshl_b64 s[0:1], s[2:3], 2
	s_add_u32 s0, s6, s0
	s_addc_u32 s1, s7, s1
	v_mov_b32_e32 v1, 0
	global_load_dword v1, v1, s[0:1]
	s_waitcnt vmcnt(0)
	v_cmp_ne_u32_e32 vcc, 0, v1
	s_cbranch_vccz .LBB98_155
.LBB98_154:
	s_endpgm
.LBB98_155:
	v_mov_b32_e32 v1, 0x230
	v_lshl_add_u32 v1, v0, 4, v1
	v_cmp_eq_u32_e32 vcc, 34, v0
	s_and_saveexec_b64 s[0:1], vcc
	s_cbranch_execz .LBB98_157
; %bb.156:
	scratch_load_dwordx4 v[2:5], off, s17
	v_mov_b32_e32 v6, 0
	v_mov_b32_e32 v7, v6
	;; [unrolled: 1-line block ×4, first 2 shown]
	scratch_store_dwordx4 off, v[6:9], off offset:544
	s_waitcnt vmcnt(1)
	ds_write_b128 v1, v[2:5]
.LBB98_157:
	s_or_b64 exec, exec, s[0:1]
	s_waitcnt lgkmcnt(0)
	; wave barrier
	scratch_load_dwordx4 v[4:7], off, off offset:560
	scratch_load_dwordx4 v[8:11], off, off offset:544
	v_mov_b32_e32 v2, 0
	ds_read_b128 v[12:15], v2 offset:1104
	v_cmp_lt_u32_e32 vcc, 32, v0
	s_waitcnt vmcnt(1) lgkmcnt(0)
	v_mul_f64 v[16:17], v[12:13], v[6:7]
	v_mul_f64 v[6:7], v[14:15], v[6:7]
	v_fmac_f64_e32 v[16:17], v[14:15], v[4:5]
	v_fma_f64 v[4:5], v[12:13], v[4:5], -v[6:7]
	v_add_f64 v[6:7], v[16:17], 0
	v_add_f64 v[4:5], v[4:5], 0
	s_waitcnt vmcnt(0)
	v_add_f64 v[4:5], v[8:9], -v[4:5]
	v_add_f64 v[6:7], v[10:11], -v[6:7]
	scratch_store_dwordx4 off, v[4:7], off offset:544
	s_and_saveexec_b64 s[0:1], vcc
	s_cbranch_execz .LBB98_159
; %bb.158:
	scratch_load_dwordx4 v[6:9], off, s18
	v_mov_b32_e32 v3, v2
	v_mov_b32_e32 v4, v2
	;; [unrolled: 1-line block ×3, first 2 shown]
	scratch_store_dwordx4 off, v[2:5], off offset:528
	s_waitcnt vmcnt(1)
	ds_write_b128 v1, v[6:9]
.LBB98_159:
	s_or_b64 exec, exec, s[0:1]
	s_waitcnt lgkmcnt(0)
	; wave barrier
	scratch_load_dwordx4 v[4:7], off, off offset:544
	scratch_load_dwordx4 v[8:11], off, off offset:560
	;; [unrolled: 1-line block ×3, first 2 shown]
	ds_read_b128 v[16:19], v2 offset:1088
	ds_read_b128 v[20:23], v2 offset:1104
	v_cmp_lt_u32_e32 vcc, 31, v0
	s_waitcnt vmcnt(2) lgkmcnt(1)
	v_mul_f64 v[2:3], v[16:17], v[6:7]
	v_mul_f64 v[6:7], v[18:19], v[6:7]
	s_waitcnt vmcnt(1) lgkmcnt(0)
	v_mul_f64 v[24:25], v[20:21], v[10:11]
	v_mul_f64 v[10:11], v[22:23], v[10:11]
	v_fmac_f64_e32 v[2:3], v[18:19], v[4:5]
	v_fma_f64 v[4:5], v[16:17], v[4:5], -v[6:7]
	v_fmac_f64_e32 v[24:25], v[22:23], v[8:9]
	v_fma_f64 v[6:7], v[20:21], v[8:9], -v[10:11]
	v_add_f64 v[2:3], v[2:3], 0
	v_add_f64 v[4:5], v[4:5], 0
	;; [unrolled: 1-line block ×4, first 2 shown]
	s_waitcnt vmcnt(0)
	v_add_f64 v[2:3], v[12:13], -v[2:3]
	v_add_f64 v[4:5], v[14:15], -v[8:9]
	scratch_store_dwordx4 off, v[2:5], off offset:528
	s_and_saveexec_b64 s[0:1], vcc
	s_cbranch_execz .LBB98_161
; %bb.160:
	scratch_load_dwordx4 v[2:5], off, s19
	v_mov_b32_e32 v6, 0
	v_mov_b32_e32 v7, v6
	v_mov_b32_e32 v8, v6
	v_mov_b32_e32 v9, v6
	scratch_store_dwordx4 off, v[6:9], off offset:512
	s_waitcnt vmcnt(1)
	ds_write_b128 v1, v[2:5]
.LBB98_161:
	s_or_b64 exec, exec, s[0:1]
	s_waitcnt lgkmcnt(0)
	; wave barrier
	scratch_load_dwordx4 v[4:7], off, off offset:528
	scratch_load_dwordx4 v[8:11], off, off offset:544
	;; [unrolled: 1-line block ×4, first 2 shown]
	v_mov_b32_e32 v2, 0
	ds_read_b128 v[20:23], v2 offset:1072
	ds_read_b128 v[24:27], v2 offset:1088
	;; [unrolled: 1-line block ×3, first 2 shown]
	v_cmp_lt_u32_e32 vcc, 30, v0
	s_waitcnt vmcnt(3) lgkmcnt(2)
	v_mul_f64 v[32:33], v[20:21], v[6:7]
	v_mul_f64 v[6:7], v[22:23], v[6:7]
	s_waitcnt vmcnt(2) lgkmcnt(1)
	v_mul_f64 v[34:35], v[24:25], v[10:11]
	v_mul_f64 v[10:11], v[26:27], v[10:11]
	v_fmac_f64_e32 v[32:33], v[22:23], v[4:5]
	v_fma_f64 v[4:5], v[20:21], v[4:5], -v[6:7]
	s_waitcnt vmcnt(1) lgkmcnt(0)
	v_mul_f64 v[36:37], v[28:29], v[14:15]
	v_mul_f64 v[14:15], v[30:31], v[14:15]
	v_fmac_f64_e32 v[34:35], v[26:27], v[8:9]
	v_fma_f64 v[6:7], v[24:25], v[8:9], -v[10:11]
	v_add_f64 v[10:11], v[32:33], 0
	v_add_f64 v[4:5], v[4:5], 0
	v_fmac_f64_e32 v[36:37], v[30:31], v[12:13]
	v_fma_f64 v[8:9], v[28:29], v[12:13], -v[14:15]
	v_add_f64 v[10:11], v[10:11], v[34:35]
	v_add_f64 v[4:5], v[4:5], v[6:7]
	;; [unrolled: 1-line block ×4, first 2 shown]
	s_waitcnt vmcnt(0)
	v_add_f64 v[4:5], v[16:17], -v[4:5]
	v_add_f64 v[6:7], v[18:19], -v[6:7]
	scratch_store_dwordx4 off, v[4:7], off offset:512
	s_and_saveexec_b64 s[0:1], vcc
	s_cbranch_execz .LBB98_163
; %bb.162:
	scratch_load_dwordx4 v[6:9], off, s20
	v_mov_b32_e32 v3, v2
	v_mov_b32_e32 v4, v2
	;; [unrolled: 1-line block ×3, first 2 shown]
	scratch_store_dwordx4 off, v[2:5], off offset:496
	s_waitcnt vmcnt(1)
	ds_write_b128 v1, v[6:9]
.LBB98_163:
	s_or_b64 exec, exec, s[0:1]
	s_waitcnt lgkmcnt(0)
	; wave barrier
	scratch_load_dwordx4 v[4:7], off, off offset:512
	scratch_load_dwordx4 v[8:11], off, off offset:528
	scratch_load_dwordx4 v[12:15], off, off offset:544
	scratch_load_dwordx4 v[16:19], off, off offset:560
	scratch_load_dwordx4 v[20:23], off, off offset:496
	ds_read_b128 v[24:27], v2 offset:1056
	ds_read_b128 v[28:31], v2 offset:1072
	;; [unrolled: 1-line block ×4, first 2 shown]
	v_cmp_lt_u32_e32 vcc, 29, v0
	s_waitcnt vmcnt(4) lgkmcnt(3)
	v_mul_f64 v[2:3], v[24:25], v[6:7]
	v_mul_f64 v[6:7], v[26:27], v[6:7]
	s_waitcnt vmcnt(3) lgkmcnt(2)
	v_mul_f64 v[40:41], v[28:29], v[10:11]
	v_mul_f64 v[10:11], v[30:31], v[10:11]
	v_fmac_f64_e32 v[2:3], v[26:27], v[4:5]
	v_fma_f64 v[4:5], v[24:25], v[4:5], -v[6:7]
	s_waitcnt vmcnt(2) lgkmcnt(1)
	v_mul_f64 v[42:43], v[32:33], v[14:15]
	v_mul_f64 v[14:15], v[34:35], v[14:15]
	v_fmac_f64_e32 v[40:41], v[30:31], v[8:9]
	v_fma_f64 v[6:7], v[28:29], v[8:9], -v[10:11]
	v_add_f64 v[2:3], v[2:3], 0
	v_add_f64 v[4:5], v[4:5], 0
	s_waitcnt vmcnt(1) lgkmcnt(0)
	v_mul_f64 v[44:45], v[36:37], v[18:19]
	v_mul_f64 v[18:19], v[38:39], v[18:19]
	v_fmac_f64_e32 v[42:43], v[34:35], v[12:13]
	v_fma_f64 v[8:9], v[32:33], v[12:13], -v[14:15]
	v_add_f64 v[2:3], v[2:3], v[40:41]
	v_add_f64 v[4:5], v[4:5], v[6:7]
	v_fmac_f64_e32 v[44:45], v[38:39], v[16:17]
	v_fma_f64 v[10:11], v[36:37], v[16:17], -v[18:19]
	v_add_f64 v[2:3], v[2:3], v[42:43]
	v_add_f64 v[4:5], v[4:5], v[8:9]
	;; [unrolled: 1-line block ×4, first 2 shown]
	s_waitcnt vmcnt(0)
	v_add_f64 v[2:3], v[20:21], -v[2:3]
	v_add_f64 v[4:5], v[22:23], -v[6:7]
	scratch_store_dwordx4 off, v[2:5], off offset:496
	s_and_saveexec_b64 s[0:1], vcc
	s_cbranch_execz .LBB98_165
; %bb.164:
	scratch_load_dwordx4 v[2:5], off, s21
	v_mov_b32_e32 v6, 0
	v_mov_b32_e32 v7, v6
	;; [unrolled: 1-line block ×4, first 2 shown]
	scratch_store_dwordx4 off, v[6:9], off offset:480
	s_waitcnt vmcnt(1)
	ds_write_b128 v1, v[2:5]
.LBB98_165:
	s_or_b64 exec, exec, s[0:1]
	v_mov_b32_e32 v2, 0
	s_waitcnt lgkmcnt(0)
	; wave barrier
	ds_read_b128 v[4:7], v2 offset:1040
	ds_read_b128 v[8:11], v2 offset:1056
	;; [unrolled: 1-line block ×4, first 2 shown]
	scratch_load_dwordx4 v[20:23], off, off offset:496
	scratch_load_dwordx4 v[40:43], off, off offset:560
	v_cmp_lt_u32_e32 vcc, 28, v0
	s_waitcnt vmcnt(1) lgkmcnt(3)
	v_mul_f64 v[24:25], v[4:5], v[22:23]
	v_fmac_f64_e32 v[24:25], v[6:7], v[20:21]
	v_add_f64 v[28:29], v[24:25], 0
	scratch_load_dwordx4 v[24:27], off, off offset:512
	v_mul_f64 v[6:7], v[6:7], v[22:23]
	v_fma_f64 v[4:5], v[4:5], v[20:21], -v[6:7]
	v_add_f64 v[4:5], v[4:5], 0
	s_waitcnt vmcnt(0) lgkmcnt(2)
	v_mul_f64 v[30:31], v[8:9], v[26:27]
	v_fmac_f64_e32 v[30:31], v[10:11], v[24:25]
	v_add_f64 v[32:33], v[28:29], v[30:31]
	scratch_load_dwordx4 v[28:31], off, off offset:528
	v_mul_f64 v[6:7], v[10:11], v[26:27]
	v_fma_f64 v[6:7], v[8:9], v[24:25], -v[6:7]
	v_add_f64 v[4:5], v[4:5], v[6:7]
	;; [unrolled: 8-line block ×3, first 2 shown]
	s_waitcnt vmcnt(0) lgkmcnt(0)
	v_mul_f64 v[38:39], v[16:17], v[34:35]
	v_fmac_f64_e32 v[38:39], v[18:19], v[32:33]
	v_add_f64 v[44:45], v[36:37], v[38:39]
	ds_read_b128 v[36:39], v2 offset:1104
	v_mul_f64 v[6:7], v[18:19], v[34:35]
	v_fma_f64 v[6:7], v[16:17], v[32:33], -v[6:7]
	v_add_f64 v[4:5], v[4:5], v[6:7]
	s_waitcnt lgkmcnt(0)
	v_mul_f64 v[6:7], v[38:39], v[42:43]
	v_fma_f64 v[6:7], v[36:37], v[40:41], -v[6:7]
	v_add_f64 v[8:9], v[4:5], v[6:7]
	scratch_load_dwordx4 v[4:7], off, off offset:480
	v_mul_f64 v[46:47], v[36:37], v[42:43]
	v_fmac_f64_e32 v[46:47], v[38:39], v[40:41]
	v_add_f64 v[44:45], v[44:45], v[46:47]
	s_waitcnt vmcnt(0)
	v_add_f64 v[4:5], v[4:5], -v[8:9]
	v_add_f64 v[6:7], v[6:7], -v[44:45]
	scratch_store_dwordx4 off, v[4:7], off offset:480
	s_and_saveexec_b64 s[0:1], vcc
	s_cbranch_execz .LBB98_167
; %bb.166:
	scratch_load_dwordx4 v[6:9], off, s22
	v_mov_b32_e32 v3, v2
	v_mov_b32_e32 v4, v2
	;; [unrolled: 1-line block ×3, first 2 shown]
	scratch_store_dwordx4 off, v[2:5], off offset:464
	s_waitcnt vmcnt(1)
	ds_write_b128 v1, v[6:9]
.LBB98_167:
	s_or_b64 exec, exec, s[0:1]
	s_waitcnt lgkmcnt(0)
	; wave barrier
	ds_read_b128 v[4:7], v2 offset:1024
	ds_read_b128 v[8:11], v2 offset:1040
	;; [unrolled: 1-line block ×4, first 2 shown]
	scratch_load_dwordx4 v[20:23], off, off offset:480
	scratch_load_dwordx4 v[40:43], off, off offset:544
	v_cmp_lt_u32_e32 vcc, 27, v0
	scratch_load_dwordx4 v[48:51], off, off offset:560
	s_waitcnt vmcnt(2) lgkmcnt(3)
	v_mul_f64 v[24:25], v[4:5], v[22:23]
	v_fmac_f64_e32 v[24:25], v[6:7], v[20:21]
	v_add_f64 v[28:29], v[24:25], 0
	scratch_load_dwordx4 v[24:27], off, off offset:496
	s_waitcnt vmcnt(0) lgkmcnt(2)
	v_mul_f64 v[30:31], v[8:9], v[26:27]
	v_fmac_f64_e32 v[30:31], v[10:11], v[24:25]
	v_add_f64 v[32:33], v[28:29], v[30:31]
	scratch_load_dwordx4 v[28:31], off, off offset:512
	s_waitcnt vmcnt(0) lgkmcnt(1)
	v_mul_f64 v[34:35], v[12:13], v[30:31]
	v_fmac_f64_e32 v[34:35], v[14:15], v[28:29]
	v_add_f64 v[36:37], v[32:33], v[34:35]
	scratch_load_dwordx4 v[32:35], off, off offset:528
	s_waitcnt vmcnt(0) lgkmcnt(0)
	v_mul_f64 v[38:39], v[16:17], v[34:35]
	v_fmac_f64_e32 v[38:39], v[18:19], v[32:33]
	v_add_f64 v[44:45], v[36:37], v[38:39]
	ds_read_b128 v[36:39], v2 offset:1088
	s_waitcnt lgkmcnt(0)
	v_mul_f64 v[46:47], v[36:37], v[42:43]
	v_fmac_f64_e32 v[46:47], v[38:39], v[40:41]
	v_add_f64 v[52:53], v[44:45], v[46:47]
	ds_read_b128 v[44:47], v2 offset:1104
	s_waitcnt lgkmcnt(0)
	v_mul_f64 v[2:3], v[44:45], v[50:51]
	v_fmac_f64_e32 v[2:3], v[46:47], v[48:49]
	v_add_f64 v[52:53], v[52:53], v[2:3]
	v_mul_f64 v[2:3], v[6:7], v[22:23]
	v_fma_f64 v[2:3], v[4:5], v[20:21], -v[2:3]
	v_mul_f64 v[4:5], v[10:11], v[26:27]
	v_add_f64 v[2:3], v[2:3], 0
	v_fma_f64 v[4:5], v[8:9], v[24:25], -v[4:5]
	v_add_f64 v[2:3], v[2:3], v[4:5]
	v_mul_f64 v[4:5], v[14:15], v[30:31]
	v_fma_f64 v[4:5], v[12:13], v[28:29], -v[4:5]
	v_add_f64 v[2:3], v[2:3], v[4:5]
	v_mul_f64 v[4:5], v[18:19], v[34:35]
	;; [unrolled: 3-line block ×4, first 2 shown]
	v_fma_f64 v[4:5], v[44:45], v[48:49], -v[4:5]
	v_add_f64 v[6:7], v[2:3], v[4:5]
	scratch_load_dwordx4 v[2:5], off, off offset:464
	s_waitcnt vmcnt(0)
	v_add_f64 v[2:3], v[2:3], -v[6:7]
	v_add_f64 v[4:5], v[4:5], -v[52:53]
	scratch_store_dwordx4 off, v[2:5], off offset:464
	s_and_saveexec_b64 s[0:1], vcc
	s_cbranch_execz .LBB98_169
; %bb.168:
	scratch_load_dwordx4 v[2:5], off, s23
	v_mov_b32_e32 v6, 0
	v_mov_b32_e32 v7, v6
	;; [unrolled: 1-line block ×4, first 2 shown]
	scratch_store_dwordx4 off, v[6:9], off offset:448
	s_waitcnt vmcnt(1)
	ds_write_b128 v1, v[2:5]
.LBB98_169:
	s_or_b64 exec, exec, s[0:1]
	s_waitcnt lgkmcnt(0)
	; wave barrier
	scratch_load_dwordx4 v[4:7], off, off offset:464
	scratch_load_dwordx4 v[8:11], off, off offset:480
	;; [unrolled: 1-line block ×8, first 2 shown]
	v_mov_b32_e32 v2, 0
	ds_read_b128 v[36:39], v2 offset:1008
	ds_read_b128 v[40:43], v2 offset:1024
	;; [unrolled: 1-line block ×7, first 2 shown]
	v_cmp_lt_u32_e32 vcc, 26, v0
	s_waitcnt vmcnt(7) lgkmcnt(6)
	v_mul_f64 v[64:65], v[36:37], v[6:7]
	v_mul_f64 v[6:7], v[38:39], v[6:7]
	s_waitcnt vmcnt(6) lgkmcnt(5)
	v_mul_f64 v[66:67], v[40:41], v[10:11]
	s_waitcnt vmcnt(4) lgkmcnt(3)
	v_mul_f64 v[70:71], v[48:49], v[18:19]
	v_mul_f64 v[10:11], v[42:43], v[10:11]
	;; [unrolled: 1-line block ×3, first 2 shown]
	v_fmac_f64_e32 v[64:65], v[38:39], v[4:5]
	v_fma_f64 v[4:5], v[36:37], v[4:5], -v[6:7]
	v_mul_f64 v[68:69], v[44:45], v[14:15]
	v_mul_f64 v[14:15], v[46:47], v[14:15]
	v_fmac_f64_e32 v[66:67], v[42:43], v[8:9]
	v_fma_f64 v[6:7], v[40:41], v[8:9], -v[10:11]
	v_fma_f64 v[10:11], v[48:49], v[16:17], -v[18:19]
	v_add_f64 v[18:19], v[64:65], 0
	v_add_f64 v[4:5], v[4:5], 0
	v_fmac_f64_e32 v[68:69], v[46:47], v[12:13]
	v_fma_f64 v[8:9], v[44:45], v[12:13], -v[14:15]
	v_add_f64 v[18:19], v[18:19], v[66:67]
	v_add_f64 v[4:5], v[4:5], v[6:7]
	s_waitcnt vmcnt(3) lgkmcnt(2)
	v_mul_f64 v[72:73], v[52:53], v[22:23]
	v_mul_f64 v[22:23], v[54:55], v[22:23]
	v_fmac_f64_e32 v[70:71], v[50:51], v[16:17]
	v_add_f64 v[6:7], v[18:19], v[68:69]
	v_add_f64 v[4:5], v[4:5], v[8:9]
	s_waitcnt vmcnt(2) lgkmcnt(1)
	v_mul_f64 v[74:75], v[56:57], v[26:27]
	v_mul_f64 v[26:27], v[58:59], v[26:27]
	v_fmac_f64_e32 v[72:73], v[54:55], v[20:21]
	v_fma_f64 v[12:13], v[52:53], v[20:21], -v[22:23]
	v_add_f64 v[6:7], v[6:7], v[70:71]
	v_add_f64 v[4:5], v[4:5], v[10:11]
	s_waitcnt vmcnt(1) lgkmcnt(0)
	v_mul_f64 v[76:77], v[60:61], v[30:31]
	v_mul_f64 v[30:31], v[62:63], v[30:31]
	v_fmac_f64_e32 v[74:75], v[58:59], v[24:25]
	v_fma_f64 v[14:15], v[56:57], v[24:25], -v[26:27]
	v_add_f64 v[6:7], v[6:7], v[72:73]
	v_add_f64 v[4:5], v[4:5], v[12:13]
	v_fmac_f64_e32 v[76:77], v[62:63], v[28:29]
	v_fma_f64 v[16:17], v[60:61], v[28:29], -v[30:31]
	v_add_f64 v[6:7], v[6:7], v[74:75]
	v_add_f64 v[4:5], v[4:5], v[14:15]
	;; [unrolled: 1-line block ×4, first 2 shown]
	s_waitcnt vmcnt(0)
	v_add_f64 v[4:5], v[32:33], -v[4:5]
	v_add_f64 v[6:7], v[34:35], -v[6:7]
	scratch_store_dwordx4 off, v[4:7], off offset:448
	s_and_saveexec_b64 s[0:1], vcc
	s_cbranch_execz .LBB98_171
; %bb.170:
	scratch_load_dwordx4 v[6:9], off, s24
	v_mov_b32_e32 v3, v2
	v_mov_b32_e32 v4, v2
	;; [unrolled: 1-line block ×3, first 2 shown]
	scratch_store_dwordx4 off, v[2:5], off offset:432
	s_waitcnt vmcnt(1)
	ds_write_b128 v1, v[6:9]
.LBB98_171:
	s_or_b64 exec, exec, s[0:1]
	s_waitcnt lgkmcnt(0)
	; wave barrier
	scratch_load_dwordx4 v[4:7], off, off offset:448
	scratch_load_dwordx4 v[8:11], off, off offset:464
	;; [unrolled: 1-line block ×9, first 2 shown]
	ds_read_b128 v[40:43], v2 offset:992
	ds_read_b128 v[44:47], v2 offset:1008
	;; [unrolled: 1-line block ×8, first 2 shown]
	v_cmp_lt_u32_e32 vcc, 25, v0
	s_waitcnt vmcnt(8) lgkmcnt(7)
	v_mul_f64 v[2:3], v[40:41], v[6:7]
	v_mul_f64 v[6:7], v[42:43], v[6:7]
	s_waitcnt vmcnt(7) lgkmcnt(6)
	v_mul_f64 v[72:73], v[44:45], v[10:11]
	v_mul_f64 v[10:11], v[46:47], v[10:11]
	v_fmac_f64_e32 v[2:3], v[42:43], v[4:5]
	v_fma_f64 v[4:5], v[40:41], v[4:5], -v[6:7]
	s_waitcnt vmcnt(6) lgkmcnt(5)
	v_mul_f64 v[74:75], v[48:49], v[14:15]
	v_mul_f64 v[14:15], v[50:51], v[14:15]
	v_fmac_f64_e32 v[72:73], v[46:47], v[8:9]
	v_fma_f64 v[6:7], v[44:45], v[8:9], -v[10:11]
	v_add_f64 v[2:3], v[2:3], 0
	v_add_f64 v[4:5], v[4:5], 0
	s_waitcnt vmcnt(5) lgkmcnt(4)
	v_mul_f64 v[76:77], v[52:53], v[18:19]
	v_mul_f64 v[18:19], v[54:55], v[18:19]
	v_fmac_f64_e32 v[74:75], v[50:51], v[12:13]
	v_fma_f64 v[8:9], v[48:49], v[12:13], -v[14:15]
	v_add_f64 v[2:3], v[2:3], v[72:73]
	v_add_f64 v[4:5], v[4:5], v[6:7]
	;; [unrolled: 7-line block ×6, first 2 shown]
	v_fmac_f64_e32 v[84:85], v[70:71], v[32:33]
	v_fma_f64 v[18:19], v[68:69], v[32:33], -v[34:35]
	v_add_f64 v[2:3], v[2:3], v[82:83]
	v_add_f64 v[4:5], v[4:5], v[16:17]
	;; [unrolled: 1-line block ×4, first 2 shown]
	s_waitcnt vmcnt(0)
	v_add_f64 v[2:3], v[36:37], -v[2:3]
	v_add_f64 v[4:5], v[38:39], -v[6:7]
	scratch_store_dwordx4 off, v[2:5], off offset:432
	s_and_saveexec_b64 s[0:1], vcc
	s_cbranch_execz .LBB98_173
; %bb.172:
	scratch_load_dwordx4 v[2:5], off, s25
	v_mov_b32_e32 v6, 0
	v_mov_b32_e32 v7, v6
	;; [unrolled: 1-line block ×4, first 2 shown]
	scratch_store_dwordx4 off, v[6:9], off offset:416
	s_waitcnt vmcnt(1)
	ds_write_b128 v1, v[2:5]
.LBB98_173:
	s_or_b64 exec, exec, s[0:1]
	v_mov_b32_e32 v2, 0
	s_waitcnt lgkmcnt(0)
	; wave barrier
	ds_read_b128 v[4:7], v2 offset:976
	ds_read_b128 v[8:11], v2 offset:992
	;; [unrolled: 1-line block ×4, first 2 shown]
	scratch_load_dwordx4 v[20:23], off, off offset:432
	scratch_load_dwordx4 v[40:43], off, off offset:496
	;; [unrolled: 1-line block ×3, first 2 shown]
	v_cmp_lt_u32_e32 vcc, 24, v0
	scratch_load_dwordx4 v[48:51], off, off offset:512
	scratch_load_dwordx4 v[56:59], off, off offset:528
	;; [unrolled: 1-line block ×3, first 2 shown]
	s_waitcnt vmcnt(5) lgkmcnt(3)
	v_mul_f64 v[24:25], v[4:5], v[22:23]
	v_fmac_f64_e32 v[24:25], v[6:7], v[20:21]
	v_add_f64 v[28:29], v[24:25], 0
	scratch_load_dwordx4 v[24:27], off, off offset:448
	v_mul_f64 v[6:7], v[6:7], v[22:23]
	v_fma_f64 v[4:5], v[4:5], v[20:21], -v[6:7]
	v_add_f64 v[4:5], v[4:5], 0
	s_waitcnt vmcnt(0) lgkmcnt(2)
	v_mul_f64 v[30:31], v[8:9], v[26:27]
	v_fmac_f64_e32 v[30:31], v[10:11], v[24:25]
	v_add_f64 v[32:33], v[28:29], v[30:31]
	scratch_load_dwordx4 v[28:31], off, off offset:464
	v_mul_f64 v[6:7], v[10:11], v[26:27]
	v_fma_f64 v[6:7], v[8:9], v[24:25], -v[6:7]
	v_add_f64 v[4:5], v[4:5], v[6:7]
	;; [unrolled: 8-line block ×3, first 2 shown]
	s_waitcnt vmcnt(0) lgkmcnt(0)
	v_mul_f64 v[38:39], v[16:17], v[34:35]
	v_fmac_f64_e32 v[38:39], v[18:19], v[32:33]
	v_add_f64 v[44:45], v[36:37], v[38:39]
	ds_read_b128 v[36:39], v2 offset:1040
	v_mul_f64 v[6:7], v[18:19], v[34:35]
	v_fma_f64 v[6:7], v[16:17], v[32:33], -v[6:7]
	v_add_f64 v[4:5], v[4:5], v[6:7]
	s_waitcnt lgkmcnt(0)
	v_mul_f64 v[46:47], v[36:37], v[42:43]
	v_fmac_f64_e32 v[46:47], v[38:39], v[40:41]
	v_add_f64 v[52:53], v[44:45], v[46:47]
	ds_read_b128 v[44:47], v2 offset:1056
	v_mul_f64 v[6:7], v[38:39], v[42:43]
	v_fma_f64 v[6:7], v[36:37], v[40:41], -v[6:7]
	v_add_f64 v[4:5], v[4:5], v[6:7]
	s_waitcnt lgkmcnt(0)
	;; [unrolled: 8-line block ×5, first 2 shown]
	v_mul_f64 v[6:7], v[70:71], v[74:75]
	v_fma_f64 v[6:7], v[68:69], v[72:73], -v[6:7]
	v_add_f64 v[8:9], v[4:5], v[6:7]
	scratch_load_dwordx4 v[4:7], off, off offset:416
	v_mul_f64 v[78:79], v[68:69], v[74:75]
	v_fmac_f64_e32 v[78:79], v[70:71], v[72:73]
	v_add_f64 v[76:77], v[76:77], v[78:79]
	s_waitcnt vmcnt(0)
	v_add_f64 v[4:5], v[4:5], -v[8:9]
	v_add_f64 v[6:7], v[6:7], -v[76:77]
	scratch_store_dwordx4 off, v[4:7], off offset:416
	s_and_saveexec_b64 s[0:1], vcc
	s_cbranch_execz .LBB98_175
; %bb.174:
	scratch_load_dwordx4 v[6:9], off, s26
	v_mov_b32_e32 v3, v2
	v_mov_b32_e32 v4, v2
	;; [unrolled: 1-line block ×3, first 2 shown]
	scratch_store_dwordx4 off, v[2:5], off offset:400
	s_waitcnt vmcnt(1)
	ds_write_b128 v1, v[6:9]
.LBB98_175:
	s_or_b64 exec, exec, s[0:1]
	s_waitcnt lgkmcnt(0)
	; wave barrier
	ds_read_b128 v[4:7], v2 offset:960
	ds_read_b128 v[8:11], v2 offset:976
	;; [unrolled: 1-line block ×4, first 2 shown]
	scratch_load_dwordx4 v[20:23], off, off offset:416
	scratch_load_dwordx4 v[40:43], off, off offset:480
	;; [unrolled: 1-line block ×4, first 2 shown]
	v_cmp_lt_u32_e32 vcc, 23, v0
	scratch_load_dwordx4 v[48:51], off, off offset:496
	scratch_load_dwordx4 v[56:59], off, off offset:512
	;; [unrolled: 1-line block ×3, first 2 shown]
	s_waitcnt vmcnt(6) lgkmcnt(3)
	v_mul_f64 v[24:25], v[4:5], v[22:23]
	v_fmac_f64_e32 v[24:25], v[6:7], v[20:21]
	v_add_f64 v[28:29], v[24:25], 0
	scratch_load_dwordx4 v[24:27], off, off offset:432
	s_waitcnt vmcnt(0) lgkmcnt(2)
	v_mul_f64 v[30:31], v[8:9], v[26:27]
	v_fmac_f64_e32 v[30:31], v[10:11], v[24:25]
	v_add_f64 v[32:33], v[28:29], v[30:31]
	scratch_load_dwordx4 v[28:31], off, off offset:448
	;; [unrolled: 5-line block ×3, first 2 shown]
	s_waitcnt vmcnt(0) lgkmcnt(0)
	v_mul_f64 v[38:39], v[16:17], v[34:35]
	v_fmac_f64_e32 v[38:39], v[18:19], v[32:33]
	v_add_f64 v[44:45], v[36:37], v[38:39]
	ds_read_b128 v[36:39], v2 offset:1024
	s_waitcnt lgkmcnt(0)
	v_mul_f64 v[46:47], v[36:37], v[42:43]
	v_fmac_f64_e32 v[46:47], v[38:39], v[40:41]
	v_add_f64 v[52:53], v[44:45], v[46:47]
	ds_read_b128 v[44:47], v2 offset:1040
	s_waitcnt lgkmcnt(0)
	;; [unrolled: 5-line block ×6, first 2 shown]
	v_mul_f64 v[2:3], v[76:77], v[82:83]
	v_fmac_f64_e32 v[2:3], v[78:79], v[80:81]
	v_add_f64 v[84:85], v[84:85], v[2:3]
	v_mul_f64 v[2:3], v[6:7], v[22:23]
	v_fma_f64 v[2:3], v[4:5], v[20:21], -v[2:3]
	v_mul_f64 v[4:5], v[10:11], v[26:27]
	v_add_f64 v[2:3], v[2:3], 0
	v_fma_f64 v[4:5], v[8:9], v[24:25], -v[4:5]
	v_add_f64 v[2:3], v[2:3], v[4:5]
	v_mul_f64 v[4:5], v[14:15], v[30:31]
	v_fma_f64 v[4:5], v[12:13], v[28:29], -v[4:5]
	v_add_f64 v[2:3], v[2:3], v[4:5]
	v_mul_f64 v[4:5], v[18:19], v[34:35]
	;; [unrolled: 3-line block ×8, first 2 shown]
	v_fma_f64 v[4:5], v[76:77], v[80:81], -v[4:5]
	v_add_f64 v[6:7], v[2:3], v[4:5]
	scratch_load_dwordx4 v[2:5], off, off offset:400
	s_waitcnt vmcnt(0)
	v_add_f64 v[2:3], v[2:3], -v[6:7]
	v_add_f64 v[4:5], v[4:5], -v[84:85]
	scratch_store_dwordx4 off, v[2:5], off offset:400
	s_and_saveexec_b64 s[0:1], vcc
	s_cbranch_execz .LBB98_177
; %bb.176:
	scratch_load_dwordx4 v[2:5], off, s27
	v_mov_b32_e32 v6, 0
	v_mov_b32_e32 v7, v6
	;; [unrolled: 1-line block ×4, first 2 shown]
	scratch_store_dwordx4 off, v[6:9], off offset:384
	s_waitcnt vmcnt(1)
	ds_write_b128 v1, v[2:5]
.LBB98_177:
	s_or_b64 exec, exec, s[0:1]
	v_mov_b32_e32 v2, 0
	s_waitcnt lgkmcnt(0)
	; wave barrier
	ds_read_b128 v[4:7], v2 offset:944
	ds_read_b128 v[8:11], v2 offset:960
	;; [unrolled: 1-line block ×4, first 2 shown]
	scratch_load_dwordx4 v[20:23], off, off offset:400
	scratch_load_dwordx4 v[40:43], off, off offset:464
	;; [unrolled: 1-line block ×5, first 2 shown]
	v_cmp_lt_u32_e32 vcc, 22, v0
	scratch_load_dwordx4 v[48:51], off, off offset:480
	scratch_load_dwordx4 v[56:59], off, off offset:496
	;; [unrolled: 1-line block ×3, first 2 shown]
	s_waitcnt vmcnt(7) lgkmcnt(3)
	v_mul_f64 v[24:25], v[4:5], v[22:23]
	v_fmac_f64_e32 v[24:25], v[6:7], v[20:21]
	v_add_f64 v[28:29], v[24:25], 0
	scratch_load_dwordx4 v[24:27], off, off offset:416
	v_mul_f64 v[6:7], v[6:7], v[22:23]
	v_fma_f64 v[4:5], v[4:5], v[20:21], -v[6:7]
	v_add_f64 v[4:5], v[4:5], 0
	s_waitcnt vmcnt(0) lgkmcnt(2)
	v_mul_f64 v[30:31], v[8:9], v[26:27]
	v_fmac_f64_e32 v[30:31], v[10:11], v[24:25]
	v_add_f64 v[32:33], v[28:29], v[30:31]
	scratch_load_dwordx4 v[28:31], off, off offset:432
	v_mul_f64 v[6:7], v[10:11], v[26:27]
	v_fma_f64 v[6:7], v[8:9], v[24:25], -v[6:7]
	v_add_f64 v[4:5], v[4:5], v[6:7]
	;; [unrolled: 8-line block ×3, first 2 shown]
	s_waitcnt vmcnt(0) lgkmcnt(0)
	v_mul_f64 v[38:39], v[16:17], v[34:35]
	v_fmac_f64_e32 v[38:39], v[18:19], v[32:33]
	v_add_f64 v[44:45], v[36:37], v[38:39]
	ds_read_b128 v[36:39], v2 offset:1008
	v_mul_f64 v[6:7], v[18:19], v[34:35]
	v_fma_f64 v[6:7], v[16:17], v[32:33], -v[6:7]
	v_add_f64 v[4:5], v[4:5], v[6:7]
	s_waitcnt lgkmcnt(0)
	v_mul_f64 v[46:47], v[36:37], v[42:43]
	v_fmac_f64_e32 v[46:47], v[38:39], v[40:41]
	v_add_f64 v[52:53], v[44:45], v[46:47]
	ds_read_b128 v[44:47], v2 offset:1024
	v_mul_f64 v[6:7], v[38:39], v[42:43]
	v_fma_f64 v[6:7], v[36:37], v[40:41], -v[6:7]
	v_add_f64 v[4:5], v[4:5], v[6:7]
	s_waitcnt lgkmcnt(0)
	;; [unrolled: 8-line block ×7, first 2 shown]
	v_mul_f64 v[6:7], v[86:87], v[90:91]
	v_fma_f64 v[6:7], v[84:85], v[88:89], -v[6:7]
	v_add_f64 v[8:9], v[4:5], v[6:7]
	scratch_load_dwordx4 v[4:7], off, off offset:384
	v_mul_f64 v[94:95], v[84:85], v[90:91]
	v_fmac_f64_e32 v[94:95], v[86:87], v[88:89]
	v_add_f64 v[92:93], v[92:93], v[94:95]
	s_waitcnt vmcnt(0)
	v_add_f64 v[4:5], v[4:5], -v[8:9]
	v_add_f64 v[6:7], v[6:7], -v[92:93]
	scratch_store_dwordx4 off, v[4:7], off offset:384
	s_and_saveexec_b64 s[0:1], vcc
	s_cbranch_execz .LBB98_179
; %bb.178:
	scratch_load_dwordx4 v[6:9], off, s28
	v_mov_b32_e32 v3, v2
	v_mov_b32_e32 v4, v2
	;; [unrolled: 1-line block ×3, first 2 shown]
	scratch_store_dwordx4 off, v[2:5], off offset:368
	s_waitcnt vmcnt(1)
	ds_write_b128 v1, v[6:9]
.LBB98_179:
	s_or_b64 exec, exec, s[0:1]
	s_waitcnt lgkmcnt(0)
	; wave barrier
	scratch_load_dwordx4 v[4:7], off, off offset:384
	scratch_load_dwordx4 v[8:11], off, off offset:400
	;; [unrolled: 1-line block ×12, first 2 shown]
	ds_read_b128 v[52:55], v2 offset:928
	ds_read_b128 v[56:59], v2 offset:944
	;; [unrolled: 1-line block ×4, first 2 shown]
	scratch_load_dwordx4 v[68:71], off, off offset:368
	ds_read_b128 v[72:75], v2 offset:992
	ds_read_b128 v[76:79], v2 offset:1008
	;; [unrolled: 1-line block ×8, first 2 shown]
	v_cmp_lt_u32_e32 vcc, 21, v0
	s_waitcnt vmcnt(12) lgkmcnt(11)
	v_mul_f64 v[2:3], v[52:53], v[6:7]
	s_waitcnt vmcnt(11) lgkmcnt(10)
	v_mul_f64 v[104:105], v[56:57], v[10:11]
	v_fmac_f64_e32 v[2:3], v[54:55], v[4:5]
	s_waitcnt vmcnt(10) lgkmcnt(9)
	v_mul_f64 v[106:107], v[60:61], v[14:15]
	v_mul_f64 v[6:7], v[54:55], v[6:7]
	v_fmac_f64_e32 v[104:105], v[58:59], v[8:9]
	v_add_f64 v[2:3], v[2:3], 0
	s_waitcnt vmcnt(9) lgkmcnt(8)
	v_mul_f64 v[108:109], v[64:65], v[18:19]
	v_mul_f64 v[10:11], v[58:59], v[10:11]
	v_fmac_f64_e32 v[106:107], v[62:63], v[12:13]
	v_fma_f64 v[4:5], v[52:53], v[4:5], -v[6:7]
	v_add_f64 v[2:3], v[2:3], v[104:105]
	s_waitcnt vmcnt(8) lgkmcnt(7)
	v_mul_f64 v[110:111], v[72:73], v[22:23]
	v_mul_f64 v[14:15], v[62:63], v[14:15]
	v_fmac_f64_e32 v[108:109], v[66:67], v[16:17]
	v_fma_f64 v[6:7], v[56:57], v[8:9], -v[10:11]
	v_add_f64 v[4:5], v[4:5], 0
	v_add_f64 v[2:3], v[2:3], v[106:107]
	s_waitcnt vmcnt(7) lgkmcnt(6)
	v_mul_f64 v[112:113], v[76:77], v[26:27]
	v_mul_f64 v[18:19], v[66:67], v[18:19]
	v_fmac_f64_e32 v[110:111], v[74:75], v[20:21]
	v_fma_f64 v[8:9], v[60:61], v[12:13], -v[14:15]
	v_add_f64 v[4:5], v[4:5], v[6:7]
	;; [unrolled: 7-line block ×8, first 2 shown]
	v_add_f64 v[2:3], v[2:3], v[120:121]
	v_mul_f64 v[46:47], v[98:99], v[46:47]
	v_fmac_f64_e32 v[124:125], v[102:103], v[48:49]
	v_fma_f64 v[22:23], v[92:93], v[40:41], -v[42:43]
	v_add_f64 v[4:5], v[4:5], v[20:21]
	v_add_f64 v[2:3], v[2:3], v[122:123]
	;; [unrolled: 1-line block ×4, first 2 shown]
	v_fma_f64 v[2:3], v[96:97], v[44:45], -v[46:47]
	v_add_f64 v[2:3], v[4:5], v[2:3]
	v_mul_f64 v[4:5], v[102:103], v[50:51]
	v_fma_f64 v[4:5], v[100:101], v[48:49], -v[4:5]
	v_add_f64 v[2:3], v[2:3], v[4:5]
	s_waitcnt vmcnt(0)
	v_add_f64 v[2:3], v[68:69], -v[2:3]
	v_add_f64 v[4:5], v[70:71], -v[6:7]
	scratch_store_dwordx4 off, v[2:5], off offset:368
	s_and_saveexec_b64 s[0:1], vcc
	s_cbranch_execz .LBB98_181
; %bb.180:
	scratch_load_dwordx4 v[2:5], off, s29
	v_mov_b32_e32 v6, 0
	v_mov_b32_e32 v7, v6
	;; [unrolled: 1-line block ×4, first 2 shown]
	scratch_store_dwordx4 off, v[6:9], off offset:352
	s_waitcnt vmcnt(1)
	ds_write_b128 v1, v[2:5]
.LBB98_181:
	s_or_b64 exec, exec, s[0:1]
	s_waitcnt lgkmcnt(0)
	; wave barrier
	scratch_load_dwordx4 v[4:7], off, off offset:368
	scratch_load_dwordx4 v[8:11], off, off offset:384
	;; [unrolled: 1-line block ×14, first 2 shown]
	v_mov_b32_e32 v2, 0
	ds_read_b128 v[60:63], v2 offset:912
	ds_read_b128 v[64:67], v2 offset:928
	;; [unrolled: 1-line block ×13, first 2 shown]
	v_cmp_lt_u32_e32 vcc, 20, v0
	s_waitcnt vmcnt(13) lgkmcnt(12)
	v_mul_f64 v[112:113], v[60:61], v[6:7]
	v_mul_f64 v[6:7], v[62:63], v[6:7]
	s_waitcnt vmcnt(12) lgkmcnt(11)
	v_mul_f64 v[114:115], v[64:65], v[10:11]
	v_mul_f64 v[10:11], v[66:67], v[10:11]
	v_fmac_f64_e32 v[112:113], v[62:63], v[4:5]
	v_fma_f64 v[4:5], v[60:61], v[4:5], -v[6:7]
	s_waitcnt vmcnt(11) lgkmcnt(10)
	v_mul_f64 v[116:117], v[68:69], v[14:15]
	v_mul_f64 v[14:15], v[70:71], v[14:15]
	v_fma_f64 v[6:7], v[64:65], v[8:9], -v[10:11]
	v_add_f64 v[4:5], v[4:5], 0
	s_waitcnt vmcnt(10) lgkmcnt(9)
	v_mul_f64 v[118:119], v[72:73], v[18:19]
	v_mul_f64 v[18:19], v[74:75], v[18:19]
	v_fmac_f64_e32 v[114:115], v[66:67], v[8:9]
	v_fma_f64 v[8:9], v[68:69], v[12:13], -v[14:15]
	v_add_f64 v[4:5], v[4:5], v[6:7]
	s_waitcnt vmcnt(9) lgkmcnt(8)
	v_mul_f64 v[120:121], v[76:77], v[22:23]
	v_mul_f64 v[22:23], v[78:79], v[22:23]
	v_fma_f64 v[10:11], v[72:73], v[16:17], -v[18:19]
	v_add_f64 v[4:5], v[4:5], v[8:9]
	s_waitcnt vmcnt(8) lgkmcnt(7)
	v_mul_f64 v[122:123], v[80:81], v[26:27]
	v_mul_f64 v[26:27], v[82:83], v[26:27]
	v_fmac_f64_e32 v[116:117], v[70:71], v[12:13]
	v_fma_f64 v[12:13], v[76:77], v[20:21], -v[22:23]
	v_add_f64 v[22:23], v[112:113], 0
	v_add_f64 v[4:5], v[4:5], v[10:11]
	s_waitcnt vmcnt(7) lgkmcnt(6)
	v_mul_f64 v[124:125], v[84:85], v[30:31]
	v_mul_f64 v[30:31], v[86:87], v[30:31]
	v_fma_f64 v[14:15], v[80:81], v[24:25], -v[26:27]
	v_add_f64 v[22:23], v[22:23], v[114:115]
	v_add_f64 v[4:5], v[4:5], v[12:13]
	s_waitcnt vmcnt(6) lgkmcnt(5)
	v_mul_f64 v[126:127], v[88:89], v[34:35]
	v_mul_f64 v[34:35], v[90:91], v[34:35]
	v_fmac_f64_e32 v[118:119], v[74:75], v[16:17]
	v_fma_f64 v[16:17], v[84:85], v[28:29], -v[30:31]
	v_add_f64 v[6:7], v[22:23], v[116:117]
	v_add_f64 v[4:5], v[4:5], v[14:15]
	s_waitcnt vmcnt(5) lgkmcnt(4)
	v_mul_f64 v[128:129], v[92:93], v[38:39]
	v_mul_f64 v[38:39], v[94:95], v[38:39]
	v_fmac_f64_e32 v[120:121], v[78:79], v[20:21]
	v_fma_f64 v[18:19], v[88:89], v[32:33], -v[34:35]
	v_add_f64 v[6:7], v[6:7], v[118:119]
	v_add_f64 v[4:5], v[4:5], v[16:17]
	v_fmac_f64_e32 v[122:123], v[82:83], v[24:25]
	v_fma_f64 v[20:21], v[92:93], v[36:37], -v[38:39]
	v_add_f64 v[6:7], v[6:7], v[120:121]
	v_add_f64 v[4:5], v[4:5], v[18:19]
	s_waitcnt vmcnt(4) lgkmcnt(3)
	v_mul_f64 v[8:9], v[98:99], v[42:43]
	v_fmac_f64_e32 v[124:125], v[86:87], v[28:29]
	v_add_f64 v[6:7], v[6:7], v[122:123]
	v_add_f64 v[4:5], v[4:5], v[20:21]
	v_fma_f64 v[8:9], v[96:97], v[40:41], -v[8:9]
	v_fmac_f64_e32 v[126:127], v[90:91], v[32:33]
	v_add_f64 v[6:7], v[6:7], v[124:125]
	v_add_f64 v[4:5], v[4:5], v[8:9]
	s_waitcnt vmcnt(3) lgkmcnt(2)
	v_mul_f64 v[8:9], v[102:103], v[46:47]
	v_mul_f64 v[130:131], v[96:97], v[42:43]
	v_fmac_f64_e32 v[128:129], v[94:95], v[36:37]
	v_add_f64 v[6:7], v[6:7], v[126:127]
	v_fma_f64 v[8:9], v[100:101], v[44:45], -v[8:9]
	v_mul_f64 v[132:133], v[100:101], v[46:47]
	v_fmac_f64_e32 v[130:131], v[98:99], v[40:41]
	v_add_f64 v[6:7], v[6:7], v[128:129]
	v_add_f64 v[4:5], v[4:5], v[8:9]
	s_waitcnt vmcnt(2) lgkmcnt(1)
	v_mul_f64 v[8:9], v[106:107], v[50:51]
	v_mul_f64 v[134:135], v[104:105], v[50:51]
	v_fmac_f64_e32 v[132:133], v[102:103], v[44:45]
	v_add_f64 v[6:7], v[6:7], v[130:131]
	v_fma_f64 v[8:9], v[104:105], v[48:49], -v[8:9]
	s_waitcnt vmcnt(1) lgkmcnt(0)
	v_mul_f64 v[136:137], v[108:109], v[54:55]
	v_fmac_f64_e32 v[134:135], v[106:107], v[48:49]
	v_add_f64 v[6:7], v[6:7], v[132:133]
	v_add_f64 v[4:5], v[4:5], v[8:9]
	v_mul_f64 v[8:9], v[110:111], v[54:55]
	v_fmac_f64_e32 v[136:137], v[110:111], v[52:53]
	v_add_f64 v[6:7], v[6:7], v[134:135]
	v_fma_f64 v[8:9], v[108:109], v[52:53], -v[8:9]
	v_add_f64 v[6:7], v[6:7], v[136:137]
	v_add_f64 v[4:5], v[4:5], v[8:9]
	s_waitcnt vmcnt(0)
	v_add_f64 v[4:5], v[56:57], -v[4:5]
	v_add_f64 v[6:7], v[58:59], -v[6:7]
	scratch_store_dwordx4 off, v[4:7], off offset:352
	s_and_saveexec_b64 s[0:1], vcc
	s_cbranch_execz .LBB98_183
; %bb.182:
	scratch_load_dwordx4 v[6:9], off, s30
	v_mov_b32_e32 v3, v2
	v_mov_b32_e32 v4, v2
	;; [unrolled: 1-line block ×3, first 2 shown]
	scratch_store_dwordx4 off, v[2:5], off offset:336
	s_waitcnt vmcnt(1)
	ds_write_b128 v1, v[6:9]
.LBB98_183:
	s_or_b64 exec, exec, s[0:1]
	s_waitcnt lgkmcnt(0)
	; wave barrier
	scratch_load_dwordx4 v[4:7], off, off offset:352
	scratch_load_dwordx4 v[8:11], off, off offset:368
	;; [unrolled: 1-line block ×14, first 2 shown]
	ds_read_b128 v[60:63], v2 offset:896
	ds_read_b128 v[64:67], v2 offset:912
	;; [unrolled: 1-line block ×14, first 2 shown]
	scratch_load_dwordx4 v[116:119], off, off offset:336
	v_cmp_lt_u32_e32 vcc, 19, v0
	s_waitcnt vmcnt(14) lgkmcnt(13)
	v_mul_f64 v[2:3], v[60:61], v[6:7]
	s_waitcnt vmcnt(13) lgkmcnt(12)
	v_mul_f64 v[120:121], v[64:65], v[10:11]
	v_fmac_f64_e32 v[2:3], v[62:63], v[4:5]
	s_waitcnt vmcnt(12) lgkmcnt(11)
	v_mul_f64 v[122:123], v[68:69], v[14:15]
	v_fmac_f64_e32 v[120:121], v[66:67], v[8:9]
	v_add_f64 v[2:3], v[2:3], 0
	s_waitcnt vmcnt(11) lgkmcnt(10)
	v_mul_f64 v[124:125], v[72:73], v[18:19]
	v_fmac_f64_e32 v[122:123], v[70:71], v[12:13]
	v_add_f64 v[2:3], v[2:3], v[120:121]
	;; [unrolled: 4-line block ×4, first 2 shown]
	s_waitcnt vmcnt(8) lgkmcnt(7)
	v_mul_f64 v[130:131], v[84:85], v[30:31]
	v_mul_f64 v[6:7], v[62:63], v[6:7]
	v_fmac_f64_e32 v[128:129], v[82:83], v[24:25]
	v_add_f64 v[2:3], v[2:3], v[126:127]
	s_waitcnt vmcnt(7) lgkmcnt(6)
	v_mul_f64 v[132:133], v[88:89], v[34:35]
	v_mul_f64 v[10:11], v[66:67], v[10:11]
	v_fmac_f64_e32 v[130:131], v[86:87], v[28:29]
	v_fma_f64 v[4:5], v[60:61], v[4:5], -v[6:7]
	v_add_f64 v[2:3], v[2:3], v[128:129]
	s_waitcnt vmcnt(6) lgkmcnt(5)
	v_mul_f64 v[134:135], v[92:93], v[38:39]
	v_mul_f64 v[14:15], v[70:71], v[14:15]
	v_fmac_f64_e32 v[132:133], v[90:91], v[32:33]
	v_fma_f64 v[6:7], v[64:65], v[8:9], -v[10:11]
	v_add_f64 v[4:5], v[4:5], 0
	v_add_f64 v[2:3], v[2:3], v[130:131]
	s_waitcnt vmcnt(5) lgkmcnt(4)
	v_mul_f64 v[136:137], v[96:97], v[42:43]
	v_mul_f64 v[18:19], v[74:75], v[18:19]
	v_fmac_f64_e32 v[134:135], v[94:95], v[36:37]
	v_fma_f64 v[8:9], v[68:69], v[12:13], -v[14:15]
	v_add_f64 v[4:5], v[4:5], v[6:7]
	;; [unrolled: 7-line block ×6, first 2 shown]
	v_add_f64 v[2:3], v[2:3], v[140:141]
	v_fmac_f64_e32 v[144:145], v[114:115], v[56:57]
	v_fma_f64 v[18:19], v[88:89], v[32:33], -v[34:35]
	v_add_f64 v[4:5], v[4:5], v[16:17]
	v_add_f64 v[2:3], v[2:3], v[142:143]
	;; [unrolled: 1-line block ×4, first 2 shown]
	v_mul_f64 v[4:5], v[94:95], v[38:39]
	v_fma_f64 v[4:5], v[92:93], v[36:37], -v[4:5]
	v_add_f64 v[2:3], v[2:3], v[4:5]
	v_mul_f64 v[4:5], v[98:99], v[42:43]
	v_fma_f64 v[4:5], v[96:97], v[40:41], -v[4:5]
	v_add_f64 v[2:3], v[2:3], v[4:5]
	;; [unrolled: 3-line block ×6, first 2 shown]
	s_waitcnt vmcnt(0)
	v_add_f64 v[2:3], v[116:117], -v[2:3]
	v_add_f64 v[4:5], v[118:119], -v[6:7]
	scratch_store_dwordx4 off, v[2:5], off offset:336
	s_and_saveexec_b64 s[0:1], vcc
	s_cbranch_execz .LBB98_185
; %bb.184:
	scratch_load_dwordx4 v[2:5], off, s31
	v_mov_b32_e32 v6, 0
	v_mov_b32_e32 v7, v6
	v_mov_b32_e32 v8, v6
	v_mov_b32_e32 v9, v6
	scratch_store_dwordx4 off, v[6:9], off offset:320
	s_waitcnt vmcnt(1)
	ds_write_b128 v1, v[2:5]
.LBB98_185:
	s_or_b64 exec, exec, s[0:1]
	s_waitcnt lgkmcnt(0)
	; wave barrier
	scratch_load_dwordx4 v[4:7], off, off offset:336
	scratch_load_dwordx4 v[8:11], off, off offset:352
	;; [unrolled: 1-line block ×16, first 2 shown]
	v_mov_b32_e32 v2, 0
	ds_read_b128 v[68:71], v2 offset:880
	ds_read_b128 v[72:75], v2 offset:896
	;; [unrolled: 1-line block ×15, first 2 shown]
	v_cmp_lt_u32_e32 vcc, 18, v0
	s_waitcnt vmcnt(15) lgkmcnt(14)
	v_mul_f64 v[128:129], v[68:69], v[6:7]
	v_mul_f64 v[6:7], v[70:71], v[6:7]
	s_waitcnt vmcnt(14) lgkmcnt(13)
	v_mul_f64 v[130:131], v[72:73], v[10:11]
	v_mul_f64 v[10:11], v[74:75], v[10:11]
	v_fmac_f64_e32 v[128:129], v[70:71], v[4:5]
	v_fma_f64 v[4:5], v[68:69], v[4:5], -v[6:7]
	s_waitcnt vmcnt(13) lgkmcnt(12)
	v_mul_f64 v[132:133], v[76:77], v[14:15]
	v_mul_f64 v[14:15], v[78:79], v[14:15]
	v_fma_f64 v[6:7], v[72:73], v[8:9], -v[10:11]
	v_add_f64 v[4:5], v[4:5], 0
	s_waitcnt vmcnt(12) lgkmcnt(11)
	v_mul_f64 v[134:135], v[80:81], v[18:19]
	v_mul_f64 v[18:19], v[82:83], v[18:19]
	v_fmac_f64_e32 v[130:131], v[74:75], v[8:9]
	v_fma_f64 v[8:9], v[76:77], v[12:13], -v[14:15]
	v_add_f64 v[4:5], v[4:5], v[6:7]
	s_waitcnt vmcnt(11) lgkmcnt(10)
	v_mul_f64 v[136:137], v[84:85], v[22:23]
	v_mul_f64 v[22:23], v[86:87], v[22:23]
	v_fma_f64 v[10:11], v[80:81], v[16:17], -v[18:19]
	v_add_f64 v[4:5], v[4:5], v[8:9]
	s_waitcnt vmcnt(10) lgkmcnt(9)
	v_mul_f64 v[138:139], v[88:89], v[26:27]
	v_mul_f64 v[26:27], v[90:91], v[26:27]
	v_fmac_f64_e32 v[132:133], v[78:79], v[12:13]
	v_fma_f64 v[12:13], v[84:85], v[20:21], -v[22:23]
	v_add_f64 v[4:5], v[4:5], v[10:11]
	v_fma_f64 v[14:15], v[88:89], v[24:25], -v[26:27]
	v_add_f64 v[4:5], v[4:5], v[12:13]
	s_waitcnt vmcnt(9) lgkmcnt(8)
	v_mul_f64 v[8:9], v[94:95], v[30:31]
	v_add_f64 v[4:5], v[4:5], v[14:15]
	v_fma_f64 v[8:9], v[92:93], v[28:29], -v[8:9]
	v_add_f64 v[4:5], v[4:5], v[8:9]
	s_waitcnt vmcnt(8) lgkmcnt(7)
	v_mul_f64 v[8:9], v[98:99], v[34:35]
	v_fma_f64 v[8:9], v[96:97], v[32:33], -v[8:9]
	v_fmac_f64_e32 v[134:135], v[82:83], v[16:17]
	v_add_f64 v[16:17], v[128:129], 0
	v_add_f64 v[4:5], v[4:5], v[8:9]
	s_waitcnt vmcnt(7) lgkmcnt(6)
	v_mul_f64 v[8:9], v[102:103], v[38:39]
	v_add_f64 v[16:17], v[16:17], v[130:131]
	v_fma_f64 v[8:9], v[100:101], v[36:37], -v[8:9]
	v_add_f64 v[6:7], v[16:17], v[132:133]
	v_add_f64 v[4:5], v[4:5], v[8:9]
	s_waitcnt vmcnt(6) lgkmcnt(5)
	v_mul_f64 v[8:9], v[106:107], v[42:43]
	v_fmac_f64_e32 v[136:137], v[86:87], v[20:21]
	v_add_f64 v[6:7], v[6:7], v[134:135]
	v_fma_f64 v[8:9], v[104:105], v[40:41], -v[8:9]
	v_mul_f64 v[140:141], v[92:93], v[30:31]
	v_fmac_f64_e32 v[138:139], v[90:91], v[24:25]
	v_add_f64 v[6:7], v[6:7], v[136:137]
	v_add_f64 v[4:5], v[4:5], v[8:9]
	s_waitcnt vmcnt(5) lgkmcnt(4)
	v_mul_f64 v[8:9], v[110:111], v[46:47]
	v_mul_f64 v[142:143], v[96:97], v[34:35]
	v_fmac_f64_e32 v[140:141], v[94:95], v[28:29]
	v_add_f64 v[6:7], v[6:7], v[138:139]
	v_fma_f64 v[8:9], v[108:109], v[44:45], -v[8:9]
	v_mul_f64 v[144:145], v[100:101], v[38:39]
	v_fmac_f64_e32 v[142:143], v[98:99], v[32:33]
	v_add_f64 v[6:7], v[6:7], v[140:141]
	v_add_f64 v[4:5], v[4:5], v[8:9]
	s_waitcnt vmcnt(4) lgkmcnt(3)
	v_mul_f64 v[8:9], v[114:115], v[50:51]
	;; [unrolled: 10-line block ×4, first 2 shown]
	v_mul_f64 v[154:155], v[120:121], v[58:59]
	v_fmac_f64_e32 v[152:153], v[118:119], v[52:53]
	v_add_f64 v[6:7], v[6:7], v[150:151]
	v_fma_f64 v[8:9], v[120:121], v[56:57], -v[8:9]
	s_waitcnt vmcnt(1) lgkmcnt(0)
	v_mul_f64 v[156:157], v[124:125], v[62:63]
	v_fmac_f64_e32 v[154:155], v[122:123], v[56:57]
	v_add_f64 v[6:7], v[6:7], v[152:153]
	v_add_f64 v[4:5], v[4:5], v[8:9]
	v_mul_f64 v[8:9], v[126:127], v[62:63]
	v_fmac_f64_e32 v[156:157], v[126:127], v[60:61]
	v_add_f64 v[6:7], v[6:7], v[154:155]
	v_fma_f64 v[8:9], v[124:125], v[60:61], -v[8:9]
	v_add_f64 v[6:7], v[6:7], v[156:157]
	v_add_f64 v[4:5], v[4:5], v[8:9]
	s_waitcnt vmcnt(0)
	v_add_f64 v[4:5], v[64:65], -v[4:5]
	v_add_f64 v[6:7], v[66:67], -v[6:7]
	scratch_store_dwordx4 off, v[4:7], off offset:320
	s_and_saveexec_b64 s[0:1], vcc
	s_cbranch_execz .LBB98_187
; %bb.186:
	scratch_load_dwordx4 v[6:9], off, s33
	v_mov_b32_e32 v3, v2
	v_mov_b32_e32 v4, v2
	;; [unrolled: 1-line block ×3, first 2 shown]
	scratch_store_dwordx4 off, v[2:5], off offset:304
	s_waitcnt vmcnt(1)
	ds_write_b128 v1, v[6:9]
.LBB98_187:
	s_or_b64 exec, exec, s[0:1]
	s_waitcnt lgkmcnt(0)
	; wave barrier
	scratch_load_dwordx4 v[4:7], off, off offset:320
	scratch_load_dwordx4 v[8:11], off, off offset:336
	;; [unrolled: 1-line block ×16, first 2 shown]
	ds_read_b128 v[68:71], v2 offset:864
	ds_read_b128 v[72:75], v2 offset:880
	;; [unrolled: 1-line block ×16, first 2 shown]
	scratch_load_dwordx4 v[132:135], off, off offset:304
	v_cmp_lt_u32_e32 vcc, 17, v0
	s_waitcnt vmcnt(16) lgkmcnt(14)
	v_mul_f64 v[2:3], v[68:69], v[6:7]
	s_waitcnt vmcnt(15)
	v_mul_f64 v[136:137], v[72:73], v[10:11]
	v_fmac_f64_e32 v[2:3], v[70:71], v[4:5]
	s_waitcnt vmcnt(14) lgkmcnt(13)
	v_mul_f64 v[138:139], v[76:77], v[14:15]
	v_fmac_f64_e32 v[136:137], v[74:75], v[8:9]
	v_add_f64 v[2:3], v[2:3], 0
	s_waitcnt vmcnt(13) lgkmcnt(12)
	v_mul_f64 v[140:141], v[80:81], v[18:19]
	v_fmac_f64_e32 v[138:139], v[78:79], v[12:13]
	v_add_f64 v[2:3], v[2:3], v[136:137]
	;; [unrolled: 4-line block ×10, first 2 shown]
	s_waitcnt vmcnt(4) lgkmcnt(3)
	v_mul_f64 v[158:159], v[116:117], v[54:55]
	v_mul_f64 v[6:7], v[70:71], v[6:7]
	v_fmac_f64_e32 v[156:157], v[114:115], v[48:49]
	v_add_f64 v[2:3], v[2:3], v[154:155]
	s_waitcnt vmcnt(3) lgkmcnt(2)
	v_mul_f64 v[160:161], v[120:121], v[58:59]
	v_mul_f64 v[10:11], v[74:75], v[10:11]
	v_fmac_f64_e32 v[158:159], v[118:119], v[52:53]
	v_fma_f64 v[4:5], v[68:69], v[4:5], -v[6:7]
	v_add_f64 v[2:3], v[2:3], v[156:157]
	s_waitcnt vmcnt(2) lgkmcnt(1)
	v_mul_f64 v[162:163], v[124:125], v[62:63]
	v_mul_f64 v[14:15], v[78:79], v[14:15]
	v_fmac_f64_e32 v[160:161], v[122:123], v[56:57]
	v_fma_f64 v[6:7], v[72:73], v[8:9], -v[10:11]
	v_add_f64 v[4:5], v[4:5], 0
	v_add_f64 v[2:3], v[2:3], v[158:159]
	s_waitcnt vmcnt(1) lgkmcnt(0)
	v_mul_f64 v[164:165], v[128:129], v[66:67]
	v_mul_f64 v[18:19], v[82:83], v[18:19]
	v_fmac_f64_e32 v[162:163], v[126:127], v[60:61]
	v_fma_f64 v[8:9], v[76:77], v[12:13], -v[14:15]
	v_add_f64 v[4:5], v[4:5], v[6:7]
	v_add_f64 v[2:3], v[2:3], v[160:161]
	v_mul_f64 v[26:27], v[86:87], v[26:27]
	v_fmac_f64_e32 v[164:165], v[130:131], v[64:65]
	v_fma_f64 v[10:11], v[80:81], v[16:17], -v[18:19]
	v_add_f64 v[4:5], v[4:5], v[8:9]
	v_add_f64 v[2:3], v[2:3], v[162:163]
	v_fma_f64 v[12:13], v[84:85], v[24:25], -v[26:27]
	v_add_f64 v[4:5], v[4:5], v[10:11]
	v_add_f64 v[6:7], v[2:3], v[164:165]
	v_mul_f64 v[2:3], v[90:91], v[22:23]
	v_add_f64 v[4:5], v[4:5], v[12:13]
	v_fma_f64 v[2:3], v[88:89], v[20:21], -v[2:3]
	v_add_f64 v[2:3], v[4:5], v[2:3]
	v_mul_f64 v[4:5], v[94:95], v[30:31]
	v_fma_f64 v[4:5], v[92:93], v[28:29], -v[4:5]
	v_add_f64 v[2:3], v[2:3], v[4:5]
	v_mul_f64 v[4:5], v[98:99], v[34:35]
	;; [unrolled: 3-line block ×10, first 2 shown]
	v_fma_f64 v[4:5], v[128:129], v[64:65], -v[4:5]
	v_add_f64 v[2:3], v[2:3], v[4:5]
	s_waitcnt vmcnt(0)
	v_add_f64 v[2:3], v[132:133], -v[2:3]
	v_add_f64 v[4:5], v[134:135], -v[6:7]
	scratch_store_dwordx4 off, v[2:5], off offset:304
	s_and_saveexec_b64 s[0:1], vcc
	s_cbranch_execz .LBB98_189
; %bb.188:
	scratch_load_dwordx4 v[2:5], off, s34
	v_mov_b32_e32 v6, 0
	v_mov_b32_e32 v7, v6
	;; [unrolled: 1-line block ×4, first 2 shown]
	scratch_store_dwordx4 off, v[6:9], off offset:288
	s_waitcnt vmcnt(1)
	ds_write_b128 v1, v[2:5]
.LBB98_189:
	s_or_b64 exec, exec, s[0:1]
	s_waitcnt lgkmcnt(0)
	; wave barrier
	scratch_load_dwordx4 v[4:7], off, off offset:304
	scratch_load_dwordx4 v[8:11], off, off offset:320
	;; [unrolled: 1-line block ×18, first 2 shown]
	v_mov_b32_e32 v2, 0
	ds_read_b128 v[76:79], v2 offset:848
	ds_read_b128 v[80:83], v2 offset:864
	;; [unrolled: 1-line block ×17, first 2 shown]
	v_cmp_lt_u32_e32 vcc, 16, v0
	s_waitcnt vmcnt(17) lgkmcnt(14)
	v_mul_f64 v[144:145], v[76:77], v[6:7]
	v_mul_f64 v[6:7], v[78:79], v[6:7]
	s_waitcnt vmcnt(16)
	v_mul_f64 v[146:147], v[80:81], v[10:11]
	v_mul_f64 v[10:11], v[82:83], v[10:11]
	v_fmac_f64_e32 v[144:145], v[78:79], v[4:5]
	v_fma_f64 v[4:5], v[76:77], v[4:5], -v[6:7]
	s_waitcnt vmcnt(15)
	v_mul_f64 v[148:149], v[84:85], v[18:19]
	v_mul_f64 v[18:19], v[86:87], v[18:19]
	v_fma_f64 v[6:7], v[80:81], v[8:9], -v[10:11]
	v_add_f64 v[4:5], v[4:5], 0
	s_waitcnt vmcnt(14) lgkmcnt(13)
	v_mul_f64 v[150:151], v[88:89], v[14:15]
	v_mul_f64 v[14:15], v[90:91], v[14:15]
	v_fmac_f64_e32 v[146:147], v[82:83], v[8:9]
	v_fma_f64 v[8:9], v[84:85], v[16:17], -v[18:19]
	v_add_f64 v[4:5], v[4:5], v[6:7]
	v_add_f64 v[4:5], v[4:5], v[8:9]
	v_fma_f64 v[8:9], v[88:89], v[12:13], -v[14:15]
	v_add_f64 v[4:5], v[4:5], v[8:9]
	s_waitcnt vmcnt(13) lgkmcnt(12)
	v_mul_f64 v[8:9], v[94:95], v[22:23]
	v_fma_f64 v[8:9], v[92:93], v[20:21], -v[8:9]
	v_add_f64 v[4:5], v[4:5], v[8:9]
	s_waitcnt vmcnt(12) lgkmcnt(11)
	v_mul_f64 v[8:9], v[98:99], v[26:27]
	;; [unrolled: 4-line block ×5, first 2 shown]
	v_fma_f64 v[8:9], v[108:109], v[36:37], -v[8:9]
	v_add_f64 v[10:11], v[144:145], 0
	v_add_f64 v[4:5], v[4:5], v[8:9]
	s_waitcnt vmcnt(8) lgkmcnt(7)
	v_mul_f64 v[8:9], v[114:115], v[42:43]
	v_fmac_f64_e32 v[148:149], v[86:87], v[16:17]
	v_add_f64 v[10:11], v[10:11], v[146:147]
	v_fma_f64 v[8:9], v[112:113], v[40:41], -v[8:9]
	v_mul_f64 v[152:153], v[92:93], v[22:23]
	v_fmac_f64_e32 v[150:151], v[90:91], v[12:13]
	v_add_f64 v[6:7], v[10:11], v[148:149]
	v_add_f64 v[4:5], v[4:5], v[8:9]
	s_waitcnt vmcnt(7) lgkmcnt(6)
	v_mul_f64 v[8:9], v[118:119], v[46:47]
	v_mul_f64 v[154:155], v[96:97], v[26:27]
	v_fmac_f64_e32 v[152:153], v[94:95], v[20:21]
	v_add_f64 v[6:7], v[6:7], v[150:151]
	v_fma_f64 v[8:9], v[116:117], v[44:45], -v[8:9]
	v_mul_f64 v[156:157], v[100:101], v[30:31]
	v_fmac_f64_e32 v[154:155], v[98:99], v[24:25]
	v_add_f64 v[6:7], v[6:7], v[152:153]
	v_add_f64 v[4:5], v[4:5], v[8:9]
	s_waitcnt vmcnt(6) lgkmcnt(5)
	v_mul_f64 v[8:9], v[122:123], v[50:51]
	;; [unrolled: 10-line block ×6, first 2 shown]
	v_mul_f64 v[174:175], v[136:137], v[66:67]
	v_fmac_f64_e32 v[172:173], v[134:135], v[60:61]
	v_add_f64 v[6:7], v[6:7], v[170:171]
	v_fma_f64 v[8:9], v[136:137], v[64:65], -v[8:9]
	s_waitcnt vmcnt(1) lgkmcnt(0)
	v_mul_f64 v[176:177], v[140:141], v[70:71]
	v_fmac_f64_e32 v[174:175], v[138:139], v[64:65]
	v_add_f64 v[6:7], v[6:7], v[172:173]
	v_add_f64 v[4:5], v[4:5], v[8:9]
	v_mul_f64 v[8:9], v[142:143], v[70:71]
	v_fmac_f64_e32 v[176:177], v[142:143], v[68:69]
	v_add_f64 v[6:7], v[6:7], v[174:175]
	v_fma_f64 v[8:9], v[140:141], v[68:69], -v[8:9]
	v_add_f64 v[6:7], v[6:7], v[176:177]
	v_add_f64 v[4:5], v[4:5], v[8:9]
	s_waitcnt vmcnt(0)
	v_add_f64 v[4:5], v[72:73], -v[4:5]
	v_add_f64 v[6:7], v[74:75], -v[6:7]
	scratch_store_dwordx4 off, v[4:7], off offset:288
	s_and_saveexec_b64 s[0:1], vcc
	s_cbranch_execz .LBB98_191
; %bb.190:
	scratch_load_dwordx4 v[6:9], off, s35
	v_mov_b32_e32 v3, v2
	v_mov_b32_e32 v4, v2
	v_mov_b32_e32 v5, v2
	scratch_store_dwordx4 off, v[2:5], off offset:272
	s_waitcnt vmcnt(1)
	ds_write_b128 v1, v[6:9]
.LBB98_191:
	s_or_b64 exec, exec, s[0:1]
	s_waitcnt lgkmcnt(0)
	; wave barrier
	ds_read_b128 v[16:19], v2 offset:832
	ds_read_b128 v[12:15], v2 offset:848
	;; [unrolled: 1-line block ×4, first 2 shown]
	scratch_load_dwordx4 v[20:23], off, off offset:288
	scratch_load_dwordx4 v[40:43], off, off offset:352
	;; [unrolled: 1-line block ×12, first 2 shown]
	v_cmp_lt_u32_e32 vcc, 15, v0
	scratch_load_dwordx4 v[48:51], off, off offset:368
	scratch_load_dwordx4 v[56:59], off, off offset:384
	;; [unrolled: 1-line block ×3, first 2 shown]
	s_waitcnt vmcnt(14) lgkmcnt(3)
	v_mul_f64 v[24:25], v[16:17], v[22:23]
	v_fmac_f64_e32 v[24:25], v[18:19], v[20:21]
	v_add_f64 v[28:29], v[24:25], 0
	scratch_load_dwordx4 v[24:27], off, off offset:304
	s_waitcnt vmcnt(0) lgkmcnt(2)
	v_mul_f64 v[30:31], v[12:13], v[26:27]
	v_fmac_f64_e32 v[30:31], v[14:15], v[24:25]
	v_add_f64 v[32:33], v[28:29], v[30:31]
	scratch_load_dwordx4 v[28:31], off, off offset:320
	v_mul_f64 v[14:15], v[14:15], v[26:27]
	v_fma_f64 v[12:13], v[12:13], v[24:25], -v[14:15]
	s_waitcnt vmcnt(0) lgkmcnt(1)
	v_mul_f64 v[34:35], v[8:9], v[30:31]
	v_fmac_f64_e32 v[34:35], v[10:11], v[28:29]
	v_add_f64 v[36:37], v[32:33], v[34:35]
	scratch_load_dwordx4 v[32:35], off, off offset:336
	v_mul_f64 v[10:11], v[10:11], v[30:31]
	v_fma_f64 v[8:9], v[8:9], v[28:29], -v[10:11]
	s_waitcnt vmcnt(0) lgkmcnt(0)
	v_mul_f64 v[38:39], v[4:5], v[34:35]
	v_fmac_f64_e32 v[38:39], v[6:7], v[32:33]
	v_add_f64 v[44:45], v[36:37], v[38:39]
	ds_read_b128 v[36:39], v2 offset:896
	v_mul_f64 v[6:7], v[6:7], v[34:35]
	v_fma_f64 v[4:5], v[4:5], v[32:33], -v[6:7]
	s_waitcnt lgkmcnt(0)
	v_mul_f64 v[46:47], v[36:37], v[42:43]
	v_fmac_f64_e32 v[46:47], v[38:39], v[40:41]
	v_add_f64 v[52:53], v[44:45], v[46:47]
	ds_read_b128 v[44:47], v2 offset:912
	s_waitcnt lgkmcnt(0)
	v_mul_f64 v[54:55], v[44:45], v[50:51]
	v_fmac_f64_e32 v[54:55], v[46:47], v[48:49]
	v_add_f64 v[60:61], v[52:53], v[54:55]
	ds_read_b128 v[52:55], v2 offset:928
	;; [unrolled: 5-line block ×13, first 2 shown]
	s_waitcnt lgkmcnt(0)
	v_mul_f64 v[2:3], v[142:143], v[148:149]
	v_fmac_f64_e32 v[2:3], v[144:145], v[146:147]
	v_add_f64 v[80:81], v[80:81], v[2:3]
	v_mul_f64 v[2:3], v[18:19], v[22:23]
	v_fma_f64 v[2:3], v[16:17], v[20:21], -v[2:3]
	v_add_f64 v[2:3], v[2:3], 0
	v_add_f64 v[2:3], v[2:3], v[12:13]
	;; [unrolled: 1-line block ×4, first 2 shown]
	v_mul_f64 v[4:5], v[38:39], v[42:43]
	v_fma_f64 v[4:5], v[36:37], v[40:41], -v[4:5]
	v_add_f64 v[2:3], v[2:3], v[4:5]
	v_mul_f64 v[4:5], v[46:47], v[50:51]
	v_fma_f64 v[4:5], v[44:45], v[48:49], -v[4:5]
	v_add_f64 v[2:3], v[2:3], v[4:5]
	;; [unrolled: 3-line block ×14, first 2 shown]
	scratch_load_dwordx4 v[2:5], off, off offset:272
	s_waitcnt vmcnt(0)
	v_add_f64 v[2:3], v[2:3], -v[6:7]
	v_add_f64 v[4:5], v[4:5], -v[80:81]
	scratch_store_dwordx4 off, v[2:5], off offset:272
	s_and_saveexec_b64 s[0:1], vcc
	s_cbranch_execz .LBB98_193
; %bb.192:
	scratch_load_dwordx4 v[2:5], off, s36
	v_mov_b32_e32 v6, 0
	v_mov_b32_e32 v7, v6
	;; [unrolled: 1-line block ×4, first 2 shown]
	scratch_store_dwordx4 off, v[6:9], off offset:256
	s_waitcnt vmcnt(1)
	ds_write_b128 v1, v[2:5]
.LBB98_193:
	s_or_b64 exec, exec, s[0:1]
	v_mov_b32_e32 v2, 0
	s_waitcnt lgkmcnt(0)
	; wave barrier
	ds_read_b128 v[16:19], v2 offset:816
	ds_read_b128 v[12:15], v2 offset:832
	;; [unrolled: 1-line block ×4, first 2 shown]
	scratch_load_dwordx4 v[20:23], off, off offset:272
	scratch_load_dwordx4 v[40:43], off, off offset:336
	;; [unrolled: 1-line block ×13, first 2 shown]
	v_cmp_lt_u32_e32 vcc, 14, v0
	scratch_load_dwordx4 v[48:51], off, off offset:352
	scratch_load_dwordx4 v[56:59], off, off offset:368
	scratch_load_dwordx4 v[64:67], off, off offset:384
	s_waitcnt vmcnt(15) lgkmcnt(3)
	v_mul_f64 v[24:25], v[16:17], v[22:23]
	v_fmac_f64_e32 v[24:25], v[18:19], v[20:21]
	v_add_f64 v[28:29], v[24:25], 0
	scratch_load_dwordx4 v[24:27], off, off offset:288
	v_mul_f64 v[18:19], v[18:19], v[22:23]
	v_fma_f64 v[16:17], v[16:17], v[20:21], -v[18:19]
	v_add_f64 v[16:17], v[16:17], 0
	s_waitcnt vmcnt(0) lgkmcnt(2)
	v_mul_f64 v[30:31], v[12:13], v[26:27]
	v_fmac_f64_e32 v[30:31], v[14:15], v[24:25]
	v_add_f64 v[32:33], v[28:29], v[30:31]
	scratch_load_dwordx4 v[28:31], off, off offset:304
	v_mul_f64 v[14:15], v[14:15], v[26:27]
	v_fma_f64 v[12:13], v[12:13], v[24:25], -v[14:15]
	v_add_f64 v[12:13], v[16:17], v[12:13]
	;; [unrolled: 8-line block ×3, first 2 shown]
	s_waitcnt vmcnt(0) lgkmcnt(0)
	v_mul_f64 v[38:39], v[4:5], v[34:35]
	v_fmac_f64_e32 v[38:39], v[6:7], v[32:33]
	v_add_f64 v[44:45], v[36:37], v[38:39]
	ds_read_b128 v[36:39], v2 offset:880
	v_mul_f64 v[6:7], v[6:7], v[34:35]
	v_fma_f64 v[4:5], v[4:5], v[32:33], -v[6:7]
	v_add_f64 v[4:5], v[8:9], v[4:5]
	s_waitcnt lgkmcnt(0)
	v_mul_f64 v[46:47], v[36:37], v[42:43]
	v_fmac_f64_e32 v[46:47], v[38:39], v[40:41]
	v_add_f64 v[52:53], v[44:45], v[46:47]
	ds_read_b128 v[44:47], v2 offset:896
	v_mul_f64 v[6:7], v[38:39], v[42:43]
	v_fma_f64 v[6:7], v[36:37], v[40:41], -v[6:7]
	v_add_f64 v[4:5], v[4:5], v[6:7]
	s_waitcnt lgkmcnt(0)
	;; [unrolled: 8-line block ×15, first 2 shown]
	v_mul_f64 v[6:7], v[152:153], v[156:157]
	v_fma_f64 v[6:7], v[150:151], v[154:155], -v[6:7]
	v_add_f64 v[8:9], v[4:5], v[6:7]
	scratch_load_dwordx4 v[4:7], off, off offset:256
	v_mul_f64 v[158:159], v[150:151], v[156:157]
	v_fmac_f64_e32 v[158:159], v[152:153], v[154:155]
	v_add_f64 v[88:89], v[88:89], v[158:159]
	s_waitcnt vmcnt(0)
	v_add_f64 v[4:5], v[4:5], -v[8:9]
	v_add_f64 v[6:7], v[6:7], -v[88:89]
	scratch_store_dwordx4 off, v[4:7], off offset:256
	s_and_saveexec_b64 s[0:1], vcc
	s_cbranch_execz .LBB98_195
; %bb.194:
	scratch_load_dwordx4 v[6:9], off, s37
	v_mov_b32_e32 v3, v2
	v_mov_b32_e32 v4, v2
	;; [unrolled: 1-line block ×3, first 2 shown]
	scratch_store_dwordx4 off, v[2:5], off offset:240
	s_waitcnt vmcnt(1)
	ds_write_b128 v1, v[6:9]
.LBB98_195:
	s_or_b64 exec, exec, s[0:1]
	s_waitcnt lgkmcnt(0)
	; wave barrier
	ds_read_b128 v[16:19], v2 offset:800
	ds_read_b128 v[12:15], v2 offset:816
	;; [unrolled: 1-line block ×4, first 2 shown]
	scratch_load_dwordx4 v[20:23], off, off offset:256
	scratch_load_dwordx4 v[40:43], off, off offset:320
	;; [unrolled: 1-line block ×14, first 2 shown]
	v_cmp_lt_u32_e32 vcc, 13, v0
	scratch_load_dwordx4 v[48:51], off, off offset:336
	scratch_load_dwordx4 v[56:59], off, off offset:352
	;; [unrolled: 1-line block ×3, first 2 shown]
	s_waitcnt vmcnt(16) lgkmcnt(3)
	v_mul_f64 v[24:25], v[16:17], v[22:23]
	v_fmac_f64_e32 v[24:25], v[18:19], v[20:21]
	v_add_f64 v[28:29], v[24:25], 0
	scratch_load_dwordx4 v[24:27], off, off offset:272
	s_waitcnt vmcnt(0) lgkmcnt(2)
	v_mul_f64 v[30:31], v[12:13], v[26:27]
	v_fmac_f64_e32 v[30:31], v[14:15], v[24:25]
	v_add_f64 v[32:33], v[28:29], v[30:31]
	scratch_load_dwordx4 v[28:31], off, off offset:288
	v_mul_f64 v[14:15], v[14:15], v[26:27]
	v_fma_f64 v[12:13], v[12:13], v[24:25], -v[14:15]
	s_waitcnt vmcnt(0) lgkmcnt(1)
	v_mul_f64 v[34:35], v[8:9], v[30:31]
	v_fmac_f64_e32 v[34:35], v[10:11], v[28:29]
	v_add_f64 v[36:37], v[32:33], v[34:35]
	scratch_load_dwordx4 v[32:35], off, off offset:304
	v_mul_f64 v[10:11], v[10:11], v[30:31]
	v_fma_f64 v[8:9], v[8:9], v[28:29], -v[10:11]
	s_waitcnt vmcnt(0) lgkmcnt(0)
	v_mul_f64 v[38:39], v[4:5], v[34:35]
	v_fmac_f64_e32 v[38:39], v[6:7], v[32:33]
	v_add_f64 v[44:45], v[36:37], v[38:39]
	ds_read_b128 v[36:39], v2 offset:864
	v_mul_f64 v[6:7], v[6:7], v[34:35]
	v_fma_f64 v[4:5], v[4:5], v[32:33], -v[6:7]
	s_waitcnt lgkmcnt(0)
	v_mul_f64 v[46:47], v[36:37], v[42:43]
	v_fmac_f64_e32 v[46:47], v[38:39], v[40:41]
	v_add_f64 v[52:53], v[44:45], v[46:47]
	ds_read_b128 v[44:47], v2 offset:880
	s_waitcnt lgkmcnt(0)
	v_mul_f64 v[54:55], v[44:45], v[50:51]
	v_fmac_f64_e32 v[54:55], v[46:47], v[48:49]
	v_add_f64 v[60:61], v[52:53], v[54:55]
	ds_read_b128 v[52:55], v2 offset:896
	;; [unrolled: 5-line block ×15, first 2 shown]
	s_waitcnt lgkmcnt(0)
	v_mul_f64 v[2:3], v[158:159], v[164:165]
	v_fmac_f64_e32 v[2:3], v[160:161], v[162:163]
	v_add_f64 v[96:97], v[96:97], v[2:3]
	v_mul_f64 v[2:3], v[18:19], v[22:23]
	v_fma_f64 v[2:3], v[16:17], v[20:21], -v[2:3]
	v_add_f64 v[2:3], v[2:3], 0
	v_add_f64 v[2:3], v[2:3], v[12:13]
	;; [unrolled: 1-line block ×4, first 2 shown]
	v_mul_f64 v[4:5], v[38:39], v[42:43]
	v_fma_f64 v[4:5], v[36:37], v[40:41], -v[4:5]
	v_add_f64 v[2:3], v[2:3], v[4:5]
	v_mul_f64 v[4:5], v[46:47], v[50:51]
	v_fma_f64 v[4:5], v[44:45], v[48:49], -v[4:5]
	v_add_f64 v[2:3], v[2:3], v[4:5]
	;; [unrolled: 3-line block ×16, first 2 shown]
	scratch_load_dwordx4 v[2:5], off, off offset:240
	s_waitcnt vmcnt(0)
	v_add_f64 v[2:3], v[2:3], -v[6:7]
	v_add_f64 v[4:5], v[4:5], -v[96:97]
	scratch_store_dwordx4 off, v[2:5], off offset:240
	s_and_saveexec_b64 s[0:1], vcc
	s_cbranch_execz .LBB98_197
; %bb.196:
	scratch_load_dwordx4 v[2:5], off, s38
	v_mov_b32_e32 v6, 0
	v_mov_b32_e32 v7, v6
	;; [unrolled: 1-line block ×4, first 2 shown]
	scratch_store_dwordx4 off, v[6:9], off offset:224
	s_waitcnt vmcnt(1)
	ds_write_b128 v1, v[2:5]
.LBB98_197:
	s_or_b64 exec, exec, s[0:1]
	v_mov_b32_e32 v2, 0
	s_waitcnt lgkmcnt(0)
	; wave barrier
	ds_read_b128 v[16:19], v2 offset:784
	ds_read_b128 v[12:15], v2 offset:800
	;; [unrolled: 1-line block ×4, first 2 shown]
	scratch_load_dwordx4 v[20:23], off, off offset:240
	scratch_load_dwordx4 v[40:43], off, off offset:304
	;; [unrolled: 1-line block ×15, first 2 shown]
	v_cmp_lt_u32_e32 vcc, 12, v0
	scratch_load_dwordx4 v[48:51], off, off offset:320
	scratch_load_dwordx4 v[56:59], off, off offset:336
	;; [unrolled: 1-line block ×3, first 2 shown]
	s_waitcnt vmcnt(17) lgkmcnt(3)
	v_mul_f64 v[24:25], v[16:17], v[22:23]
	v_fmac_f64_e32 v[24:25], v[18:19], v[20:21]
	v_add_f64 v[28:29], v[24:25], 0
	scratch_load_dwordx4 v[24:27], off, off offset:256
	v_mul_f64 v[18:19], v[18:19], v[22:23]
	v_fma_f64 v[16:17], v[16:17], v[20:21], -v[18:19]
	v_add_f64 v[16:17], v[16:17], 0
	s_waitcnt vmcnt(0) lgkmcnt(2)
	v_mul_f64 v[30:31], v[12:13], v[26:27]
	v_fmac_f64_e32 v[30:31], v[14:15], v[24:25]
	v_add_f64 v[32:33], v[28:29], v[30:31]
	scratch_load_dwordx4 v[28:31], off, off offset:272
	v_mul_f64 v[14:15], v[14:15], v[26:27]
	v_fma_f64 v[12:13], v[12:13], v[24:25], -v[14:15]
	v_add_f64 v[12:13], v[16:17], v[12:13]
	s_waitcnt vmcnt(0) lgkmcnt(1)
	v_mul_f64 v[34:35], v[8:9], v[30:31]
	v_fmac_f64_e32 v[34:35], v[10:11], v[28:29]
	v_add_f64 v[36:37], v[32:33], v[34:35]
	scratch_load_dwordx4 v[32:35], off, off offset:288
	v_mul_f64 v[10:11], v[10:11], v[30:31]
	v_fma_f64 v[8:9], v[8:9], v[28:29], -v[10:11]
	v_add_f64 v[8:9], v[12:13], v[8:9]
	s_waitcnt vmcnt(0) lgkmcnt(0)
	v_mul_f64 v[38:39], v[4:5], v[34:35]
	v_fmac_f64_e32 v[38:39], v[6:7], v[32:33]
	v_add_f64 v[44:45], v[36:37], v[38:39]
	ds_read_b128 v[36:39], v2 offset:848
	v_mul_f64 v[6:7], v[6:7], v[34:35]
	v_fma_f64 v[4:5], v[4:5], v[32:33], -v[6:7]
	v_add_f64 v[4:5], v[8:9], v[4:5]
	s_waitcnt lgkmcnt(0)
	v_mul_f64 v[46:47], v[36:37], v[42:43]
	v_fmac_f64_e32 v[46:47], v[38:39], v[40:41]
	v_add_f64 v[52:53], v[44:45], v[46:47]
	ds_read_b128 v[44:47], v2 offset:864
	v_mul_f64 v[6:7], v[38:39], v[42:43]
	v_fma_f64 v[6:7], v[36:37], v[40:41], -v[6:7]
	v_add_f64 v[4:5], v[4:5], v[6:7]
	s_waitcnt lgkmcnt(0)
	;; [unrolled: 8-line block ×17, first 2 shown]
	v_mul_f64 v[6:7], v[168:169], v[172:173]
	v_fma_f64 v[6:7], v[166:167], v[170:171], -v[6:7]
	v_add_f64 v[8:9], v[4:5], v[6:7]
	scratch_load_dwordx4 v[4:7], off, off offset:224
	v_mul_f64 v[174:175], v[166:167], v[172:173]
	v_fmac_f64_e32 v[174:175], v[168:169], v[170:171]
	v_add_f64 v[104:105], v[104:105], v[174:175]
	s_waitcnt vmcnt(0)
	v_add_f64 v[4:5], v[4:5], -v[8:9]
	v_add_f64 v[6:7], v[6:7], -v[104:105]
	scratch_store_dwordx4 off, v[4:7], off offset:224
	s_and_saveexec_b64 s[0:1], vcc
	s_cbranch_execz .LBB98_199
; %bb.198:
	scratch_load_dwordx4 v[6:9], off, s39
	v_mov_b32_e32 v3, v2
	v_mov_b32_e32 v4, v2
	;; [unrolled: 1-line block ×3, first 2 shown]
	scratch_store_dwordx4 off, v[2:5], off offset:208
	s_waitcnt vmcnt(1)
	ds_write_b128 v1, v[6:9]
.LBB98_199:
	s_or_b64 exec, exec, s[0:1]
	s_waitcnt lgkmcnt(0)
	; wave barrier
	ds_read_b128 v[16:19], v2 offset:768
	ds_read_b128 v[12:15], v2 offset:784
	;; [unrolled: 1-line block ×4, first 2 shown]
	scratch_load_dwordx4 v[20:23], off, off offset:224
	scratch_load_dwordx4 v[40:43], off, off offset:288
	;; [unrolled: 1-line block ×16, first 2 shown]
	v_cmp_lt_u32_e32 vcc, 11, v0
	scratch_load_dwordx4 v[48:51], off, off offset:304
	scratch_load_dwordx4 v[56:59], off, off offset:320
	;; [unrolled: 1-line block ×3, first 2 shown]
	s_waitcnt vmcnt(18) lgkmcnt(3)
	v_mul_f64 v[24:25], v[16:17], v[22:23]
	v_fmac_f64_e32 v[24:25], v[18:19], v[20:21]
	v_add_f64 v[28:29], v[24:25], 0
	scratch_load_dwordx4 v[24:27], off, off offset:240
	s_waitcnt vmcnt(0) lgkmcnt(2)
	v_mul_f64 v[30:31], v[12:13], v[26:27]
	v_fmac_f64_e32 v[30:31], v[14:15], v[24:25]
	v_add_f64 v[32:33], v[28:29], v[30:31]
	scratch_load_dwordx4 v[28:31], off, off offset:256
	v_mul_f64 v[14:15], v[14:15], v[26:27]
	v_fma_f64 v[12:13], v[12:13], v[24:25], -v[14:15]
	s_waitcnt vmcnt(0) lgkmcnt(1)
	v_mul_f64 v[34:35], v[8:9], v[30:31]
	v_fmac_f64_e32 v[34:35], v[10:11], v[28:29]
	v_add_f64 v[36:37], v[32:33], v[34:35]
	scratch_load_dwordx4 v[32:35], off, off offset:272
	v_mul_f64 v[10:11], v[10:11], v[30:31]
	v_fma_f64 v[8:9], v[8:9], v[28:29], -v[10:11]
	s_waitcnt vmcnt(0) lgkmcnt(0)
	v_mul_f64 v[38:39], v[4:5], v[34:35]
	v_fmac_f64_e32 v[38:39], v[6:7], v[32:33]
	v_add_f64 v[44:45], v[36:37], v[38:39]
	ds_read_b128 v[36:39], v2 offset:832
	v_mul_f64 v[6:7], v[6:7], v[34:35]
	v_fma_f64 v[4:5], v[4:5], v[32:33], -v[6:7]
	s_waitcnt lgkmcnt(0)
	v_mul_f64 v[46:47], v[36:37], v[42:43]
	v_fmac_f64_e32 v[46:47], v[38:39], v[40:41]
	v_add_f64 v[52:53], v[44:45], v[46:47]
	ds_read_b128 v[44:47], v2 offset:848
	s_waitcnt lgkmcnt(0)
	v_mul_f64 v[54:55], v[44:45], v[50:51]
	v_fmac_f64_e32 v[54:55], v[46:47], v[48:49]
	v_add_f64 v[60:61], v[52:53], v[54:55]
	ds_read_b128 v[52:55], v2 offset:864
	;; [unrolled: 5-line block ×17, first 2 shown]
	s_waitcnt lgkmcnt(0)
	v_mul_f64 v[2:3], v[174:175], v[180:181]
	v_fmac_f64_e32 v[2:3], v[176:177], v[178:179]
	v_add_f64 v[120:121], v[120:121], v[2:3]
	v_mul_f64 v[2:3], v[18:19], v[22:23]
	v_fma_f64 v[2:3], v[16:17], v[20:21], -v[2:3]
	v_add_f64 v[2:3], v[2:3], 0
	v_add_f64 v[2:3], v[2:3], v[12:13]
	;; [unrolled: 1-line block ×4, first 2 shown]
	v_mul_f64 v[4:5], v[38:39], v[42:43]
	v_fma_f64 v[4:5], v[36:37], v[40:41], -v[4:5]
	v_add_f64 v[2:3], v[2:3], v[4:5]
	v_mul_f64 v[4:5], v[46:47], v[50:51]
	v_fma_f64 v[4:5], v[44:45], v[48:49], -v[4:5]
	v_add_f64 v[2:3], v[2:3], v[4:5]
	;; [unrolled: 3-line block ×18, first 2 shown]
	scratch_load_dwordx4 v[2:5], off, off offset:208
	s_waitcnt vmcnt(0)
	v_add_f64 v[2:3], v[2:3], -v[6:7]
	v_add_f64 v[4:5], v[4:5], -v[120:121]
	scratch_store_dwordx4 off, v[2:5], off offset:208
	s_and_saveexec_b64 s[0:1], vcc
	s_cbranch_execz .LBB98_201
; %bb.200:
	scratch_load_dwordx4 v[2:5], off, s40
	v_mov_b32_e32 v6, 0
	v_mov_b32_e32 v7, v6
	;; [unrolled: 1-line block ×4, first 2 shown]
	scratch_store_dwordx4 off, v[6:9], off offset:192
	s_waitcnt vmcnt(1)
	ds_write_b128 v1, v[2:5]
.LBB98_201:
	s_or_b64 exec, exec, s[0:1]
	v_mov_b32_e32 v2, 0
	s_waitcnt lgkmcnt(0)
	; wave barrier
	ds_read_b128 v[16:19], v2 offset:752
	ds_read_b128 v[12:15], v2 offset:768
	;; [unrolled: 1-line block ×4, first 2 shown]
	scratch_load_dwordx4 v[20:23], off, off offset:208
	scratch_load_dwordx4 v[40:43], off, off offset:272
	;; [unrolled: 1-line block ×17, first 2 shown]
	v_cmp_lt_u32_e32 vcc, 10, v0
	scratch_load_dwordx4 v[48:51], off, off offset:288
	scratch_load_dwordx4 v[56:59], off, off offset:304
	;; [unrolled: 1-line block ×3, first 2 shown]
	s_waitcnt vmcnt(19) lgkmcnt(3)
	v_mul_f64 v[24:25], v[16:17], v[22:23]
	v_fmac_f64_e32 v[24:25], v[18:19], v[20:21]
	v_add_f64 v[28:29], v[24:25], 0
	scratch_load_dwordx4 v[24:27], off, off offset:224
	v_mul_f64 v[18:19], v[18:19], v[22:23]
	v_fma_f64 v[16:17], v[16:17], v[20:21], -v[18:19]
	v_add_f64 v[16:17], v[16:17], 0
	s_waitcnt vmcnt(0) lgkmcnt(2)
	v_mul_f64 v[30:31], v[12:13], v[26:27]
	v_fmac_f64_e32 v[30:31], v[14:15], v[24:25]
	v_add_f64 v[32:33], v[28:29], v[30:31]
	scratch_load_dwordx4 v[28:31], off, off offset:240
	v_mul_f64 v[14:15], v[14:15], v[26:27]
	v_fma_f64 v[12:13], v[12:13], v[24:25], -v[14:15]
	v_add_f64 v[12:13], v[16:17], v[12:13]
	;; [unrolled: 8-line block ×3, first 2 shown]
	s_waitcnt vmcnt(0) lgkmcnt(0)
	v_mul_f64 v[38:39], v[4:5], v[34:35]
	v_fmac_f64_e32 v[38:39], v[6:7], v[32:33]
	v_add_f64 v[44:45], v[36:37], v[38:39]
	ds_read_b128 v[36:39], v2 offset:816
	v_mul_f64 v[6:7], v[6:7], v[34:35]
	v_fma_f64 v[4:5], v[4:5], v[32:33], -v[6:7]
	v_add_f64 v[4:5], v[8:9], v[4:5]
	s_waitcnt lgkmcnt(0)
	v_mul_f64 v[46:47], v[36:37], v[42:43]
	v_fmac_f64_e32 v[46:47], v[38:39], v[40:41]
	v_add_f64 v[52:53], v[44:45], v[46:47]
	ds_read_b128 v[44:47], v2 offset:832
	v_mul_f64 v[6:7], v[38:39], v[42:43]
	v_fma_f64 v[6:7], v[36:37], v[40:41], -v[6:7]
	v_add_f64 v[4:5], v[4:5], v[6:7]
	s_waitcnt lgkmcnt(0)
	;; [unrolled: 8-line block ×19, first 2 shown]
	v_mul_f64 v[6:7], v[184:185], v[188:189]
	v_fma_f64 v[6:7], v[182:183], v[186:187], -v[6:7]
	v_add_f64 v[8:9], v[4:5], v[6:7]
	scratch_load_dwordx4 v[4:7], off, off offset:192
	v_mul_f64 v[190:191], v[182:183], v[188:189]
	v_fmac_f64_e32 v[190:191], v[184:185], v[186:187]
	v_add_f64 v[128:129], v[128:129], v[190:191]
	s_waitcnt vmcnt(0)
	v_add_f64 v[4:5], v[4:5], -v[8:9]
	v_add_f64 v[6:7], v[6:7], -v[128:129]
	scratch_store_dwordx4 off, v[4:7], off offset:192
	s_and_saveexec_b64 s[0:1], vcc
	s_cbranch_execz .LBB98_203
; %bb.202:
	scratch_load_dwordx4 v[6:9], off, s41
	v_mov_b32_e32 v3, v2
	v_mov_b32_e32 v4, v2
	;; [unrolled: 1-line block ×3, first 2 shown]
	scratch_store_dwordx4 off, v[2:5], off offset:176
	s_waitcnt vmcnt(1)
	ds_write_b128 v1, v[6:9]
.LBB98_203:
	s_or_b64 exec, exec, s[0:1]
	s_waitcnt lgkmcnt(0)
	; wave barrier
	ds_read_b128 v[16:19], v2 offset:736
	ds_read_b128 v[12:15], v2 offset:752
	;; [unrolled: 1-line block ×4, first 2 shown]
	scratch_load_dwordx4 v[20:23], off, off offset:192
	scratch_load_dwordx4 v[40:43], off, off offset:256
	;; [unrolled: 1-line block ×18, first 2 shown]
	v_cmp_lt_u32_e32 vcc, 9, v0
	scratch_load_dwordx4 v[48:51], off, off offset:272
	scratch_load_dwordx4 v[56:59], off, off offset:288
	;; [unrolled: 1-line block ×3, first 2 shown]
	s_waitcnt vmcnt(20) lgkmcnt(3)
	v_mul_f64 v[24:25], v[16:17], v[22:23]
	v_fmac_f64_e32 v[24:25], v[18:19], v[20:21]
	v_add_f64 v[28:29], v[24:25], 0
	scratch_load_dwordx4 v[24:27], off, off offset:208
	s_waitcnt vmcnt(0) lgkmcnt(2)
	v_mul_f64 v[30:31], v[12:13], v[26:27]
	v_fmac_f64_e32 v[30:31], v[14:15], v[24:25]
	v_add_f64 v[32:33], v[28:29], v[30:31]
	scratch_load_dwordx4 v[28:31], off, off offset:224
	v_mul_f64 v[14:15], v[14:15], v[26:27]
	v_fma_f64 v[12:13], v[12:13], v[24:25], -v[14:15]
	s_waitcnt vmcnt(0) lgkmcnt(1)
	v_mul_f64 v[34:35], v[8:9], v[30:31]
	v_fmac_f64_e32 v[34:35], v[10:11], v[28:29]
	v_add_f64 v[36:37], v[32:33], v[34:35]
	scratch_load_dwordx4 v[32:35], off, off offset:240
	v_mul_f64 v[10:11], v[10:11], v[30:31]
	v_fma_f64 v[8:9], v[8:9], v[28:29], -v[10:11]
	s_waitcnt vmcnt(0) lgkmcnt(0)
	v_mul_f64 v[38:39], v[4:5], v[34:35]
	v_fmac_f64_e32 v[38:39], v[6:7], v[32:33]
	v_add_f64 v[44:45], v[36:37], v[38:39]
	ds_read_b128 v[36:39], v2 offset:800
	v_mul_f64 v[6:7], v[6:7], v[34:35]
	v_fma_f64 v[4:5], v[4:5], v[32:33], -v[6:7]
	s_waitcnt lgkmcnt(0)
	v_mul_f64 v[46:47], v[36:37], v[42:43]
	v_fmac_f64_e32 v[46:47], v[38:39], v[40:41]
	v_add_f64 v[52:53], v[44:45], v[46:47]
	ds_read_b128 v[44:47], v2 offset:816
	s_waitcnt lgkmcnt(0)
	v_mul_f64 v[54:55], v[44:45], v[50:51]
	v_fmac_f64_e32 v[54:55], v[46:47], v[48:49]
	v_add_f64 v[60:61], v[52:53], v[54:55]
	ds_read_b128 v[52:55], v2 offset:832
	;; [unrolled: 5-line block ×19, first 2 shown]
	s_waitcnt lgkmcnt(0)
	v_mul_f64 v[2:3], v[190:191], v[196:197]
	v_fmac_f64_e32 v[2:3], v[192:193], v[194:195]
	v_add_f64 v[148:149], v[148:149], v[2:3]
	v_mul_f64 v[2:3], v[18:19], v[22:23]
	v_fma_f64 v[2:3], v[16:17], v[20:21], -v[2:3]
	v_add_f64 v[2:3], v[2:3], 0
	v_add_f64 v[2:3], v[2:3], v[12:13]
	v_add_f64 v[2:3], v[2:3], v[8:9]
	v_add_f64 v[2:3], v[2:3], v[4:5]
	v_mul_f64 v[4:5], v[38:39], v[42:43]
	v_fma_f64 v[4:5], v[36:37], v[40:41], -v[4:5]
	v_add_f64 v[2:3], v[2:3], v[4:5]
	v_mul_f64 v[4:5], v[46:47], v[50:51]
	v_fma_f64 v[4:5], v[44:45], v[48:49], -v[4:5]
	v_add_f64 v[2:3], v[2:3], v[4:5]
	;; [unrolled: 3-line block ×20, first 2 shown]
	scratch_load_dwordx4 v[2:5], off, off offset:176
	s_waitcnt vmcnt(0)
	v_add_f64 v[2:3], v[2:3], -v[6:7]
	v_add_f64 v[4:5], v[4:5], -v[148:149]
	scratch_store_dwordx4 off, v[2:5], off offset:176
	s_and_saveexec_b64 s[0:1], vcc
	s_cbranch_execz .LBB98_205
; %bb.204:
	scratch_load_dwordx4 v[2:5], off, s42
	v_mov_b32_e32 v6, 0
	v_mov_b32_e32 v7, v6
	;; [unrolled: 1-line block ×4, first 2 shown]
	scratch_store_dwordx4 off, v[6:9], off offset:160
	s_waitcnt vmcnt(1)
	ds_write_b128 v1, v[2:5]
.LBB98_205:
	s_or_b64 exec, exec, s[0:1]
	v_mov_b32_e32 v2, 0
	s_waitcnt lgkmcnt(0)
	; wave barrier
	ds_read_b128 v[16:19], v2 offset:720
	ds_read_b128 v[12:15], v2 offset:736
	;; [unrolled: 1-line block ×4, first 2 shown]
	scratch_load_dwordx4 v[20:23], off, off offset:176
	scratch_load_dwordx4 v[40:43], off, off offset:240
	;; [unrolled: 1-line block ×19, first 2 shown]
	v_cmp_lt_u32_e32 vcc, 8, v0
	scratch_load_dwordx4 v[48:51], off, off offset:256
	scratch_load_dwordx4 v[56:59], off, off offset:272
	;; [unrolled: 1-line block ×3, first 2 shown]
	s_waitcnt vmcnt(21) lgkmcnt(3)
	v_mul_f64 v[24:25], v[16:17], v[22:23]
	v_fmac_f64_e32 v[24:25], v[18:19], v[20:21]
	v_add_f64 v[28:29], v[24:25], 0
	scratch_load_dwordx4 v[24:27], off, off offset:192
	v_mul_f64 v[18:19], v[18:19], v[22:23]
	v_fma_f64 v[16:17], v[16:17], v[20:21], -v[18:19]
	v_add_f64 v[16:17], v[16:17], 0
	s_waitcnt vmcnt(0) lgkmcnt(2)
	v_mul_f64 v[30:31], v[12:13], v[26:27]
	v_fmac_f64_e32 v[30:31], v[14:15], v[24:25]
	v_add_f64 v[32:33], v[28:29], v[30:31]
	scratch_load_dwordx4 v[28:31], off, off offset:208
	v_mul_f64 v[14:15], v[14:15], v[26:27]
	v_fma_f64 v[12:13], v[12:13], v[24:25], -v[14:15]
	v_add_f64 v[12:13], v[16:17], v[12:13]
	;; [unrolled: 8-line block ×3, first 2 shown]
	s_waitcnt vmcnt(0) lgkmcnt(0)
	v_mul_f64 v[38:39], v[4:5], v[34:35]
	v_fmac_f64_e32 v[38:39], v[6:7], v[32:33]
	v_add_f64 v[44:45], v[36:37], v[38:39]
	ds_read_b128 v[36:39], v2 offset:784
	v_mul_f64 v[6:7], v[6:7], v[34:35]
	v_fma_f64 v[4:5], v[4:5], v[32:33], -v[6:7]
	v_add_f64 v[4:5], v[8:9], v[4:5]
	s_waitcnt lgkmcnt(0)
	v_mul_f64 v[46:47], v[36:37], v[42:43]
	v_fmac_f64_e32 v[46:47], v[38:39], v[40:41]
	v_add_f64 v[52:53], v[44:45], v[46:47]
	ds_read_b128 v[44:47], v2 offset:800
	v_mul_f64 v[6:7], v[38:39], v[42:43]
	v_fma_f64 v[6:7], v[36:37], v[40:41], -v[6:7]
	v_add_f64 v[4:5], v[4:5], v[6:7]
	s_waitcnt lgkmcnt(0)
	;; [unrolled: 8-line block ×21, first 2 shown]
	v_mul_f64 v[6:7], v[200:201], v[204:205]
	v_fma_f64 v[6:7], v[198:199], v[202:203], -v[6:7]
	v_add_f64 v[8:9], v[4:5], v[6:7]
	scratch_load_dwordx4 v[4:7], off, off offset:160
	v_mul_f64 v[206:207], v[198:199], v[204:205]
	v_fmac_f64_e32 v[206:207], v[200:201], v[202:203]
	v_add_f64 v[144:145], v[144:145], v[206:207]
	s_waitcnt vmcnt(0)
	v_add_f64 v[4:5], v[4:5], -v[8:9]
	v_add_f64 v[6:7], v[6:7], -v[144:145]
	scratch_store_dwordx4 off, v[4:7], off offset:160
	s_and_saveexec_b64 s[0:1], vcc
	s_cbranch_execz .LBB98_207
; %bb.206:
	scratch_load_dwordx4 v[6:9], off, s43
	v_mov_b32_e32 v3, v2
	v_mov_b32_e32 v4, v2
	;; [unrolled: 1-line block ×3, first 2 shown]
	scratch_store_dwordx4 off, v[2:5], off offset:144
	s_waitcnt vmcnt(1)
	ds_write_b128 v1, v[6:9]
.LBB98_207:
	s_or_b64 exec, exec, s[0:1]
	s_waitcnt lgkmcnt(0)
	; wave barrier
	ds_read_b128 v[16:19], v2 offset:704
	ds_read_b128 v[12:15], v2 offset:720
	;; [unrolled: 1-line block ×4, first 2 shown]
	scratch_load_dwordx4 v[20:23], off, off offset:160
	scratch_load_dwordx4 v[40:43], off, off offset:224
	;; [unrolled: 1-line block ×20, first 2 shown]
	v_cmp_lt_u32_e32 vcc, 7, v0
	scratch_load_dwordx4 v[48:51], off, off offset:240
	scratch_load_dwordx4 v[56:59], off, off offset:256
	;; [unrolled: 1-line block ×3, first 2 shown]
	s_waitcnt vmcnt(22) lgkmcnt(3)
	v_mul_f64 v[24:25], v[16:17], v[22:23]
	v_fmac_f64_e32 v[24:25], v[18:19], v[20:21]
	v_add_f64 v[28:29], v[24:25], 0
	scratch_load_dwordx4 v[24:27], off, off offset:176
	s_waitcnt vmcnt(0) lgkmcnt(2)
	v_mul_f64 v[30:31], v[12:13], v[26:27]
	v_fmac_f64_e32 v[30:31], v[14:15], v[24:25]
	v_add_f64 v[32:33], v[28:29], v[30:31]
	scratch_load_dwordx4 v[28:31], off, off offset:192
	v_mul_f64 v[14:15], v[14:15], v[26:27]
	v_fma_f64 v[12:13], v[12:13], v[24:25], -v[14:15]
	s_waitcnt vmcnt(0) lgkmcnt(1)
	v_mul_f64 v[34:35], v[8:9], v[30:31]
	v_fmac_f64_e32 v[34:35], v[10:11], v[28:29]
	v_add_f64 v[36:37], v[32:33], v[34:35]
	scratch_load_dwordx4 v[32:35], off, off offset:208
	v_mul_f64 v[10:11], v[10:11], v[30:31]
	v_fma_f64 v[8:9], v[8:9], v[28:29], -v[10:11]
	s_waitcnt vmcnt(0) lgkmcnt(0)
	v_mul_f64 v[38:39], v[4:5], v[34:35]
	v_fmac_f64_e32 v[38:39], v[6:7], v[32:33]
	v_add_f64 v[44:45], v[36:37], v[38:39]
	ds_read_b128 v[36:39], v2 offset:768
	v_mul_f64 v[6:7], v[6:7], v[34:35]
	v_fma_f64 v[4:5], v[4:5], v[32:33], -v[6:7]
	s_waitcnt lgkmcnt(0)
	v_mul_f64 v[46:47], v[36:37], v[42:43]
	v_fmac_f64_e32 v[46:47], v[38:39], v[40:41]
	v_add_f64 v[52:53], v[44:45], v[46:47]
	ds_read_b128 v[44:47], v2 offset:784
	s_waitcnt lgkmcnt(0)
	v_mul_f64 v[54:55], v[44:45], v[50:51]
	v_fmac_f64_e32 v[54:55], v[46:47], v[48:49]
	v_add_f64 v[60:61], v[52:53], v[54:55]
	ds_read_b128 v[52:55], v2 offset:800
	;; [unrolled: 5-line block ×21, first 2 shown]
	s_waitcnt lgkmcnt(0)
	v_mul_f64 v[2:3], v[206:207], v[212:213]
	v_fmac_f64_e32 v[2:3], v[208:209], v[210:211]
	v_add_f64 v[168:169], v[168:169], v[2:3]
	v_mul_f64 v[2:3], v[18:19], v[22:23]
	v_fma_f64 v[2:3], v[16:17], v[20:21], -v[2:3]
	v_add_f64 v[2:3], v[2:3], 0
	v_add_f64 v[2:3], v[2:3], v[12:13]
	;; [unrolled: 1-line block ×4, first 2 shown]
	v_mul_f64 v[4:5], v[38:39], v[42:43]
	v_fma_f64 v[4:5], v[36:37], v[40:41], -v[4:5]
	v_add_f64 v[2:3], v[2:3], v[4:5]
	v_mul_f64 v[4:5], v[46:47], v[50:51]
	v_fma_f64 v[4:5], v[44:45], v[48:49], -v[4:5]
	v_add_f64 v[2:3], v[2:3], v[4:5]
	;; [unrolled: 3-line block ×22, first 2 shown]
	scratch_load_dwordx4 v[2:5], off, off offset:144
	s_waitcnt vmcnt(0)
	v_add_f64 v[2:3], v[2:3], -v[6:7]
	v_add_f64 v[4:5], v[4:5], -v[168:169]
	scratch_store_dwordx4 off, v[2:5], off offset:144
	s_and_saveexec_b64 s[0:1], vcc
	s_cbranch_execz .LBB98_209
; %bb.208:
	scratch_load_dwordx4 v[2:5], off, s44
	v_mov_b32_e32 v6, 0
	v_mov_b32_e32 v7, v6
	;; [unrolled: 1-line block ×4, first 2 shown]
	scratch_store_dwordx4 off, v[6:9], off offset:128
	s_waitcnt vmcnt(1)
	ds_write_b128 v1, v[2:5]
.LBB98_209:
	s_or_b64 exec, exec, s[0:1]
	v_mov_b32_e32 v2, 0
	s_waitcnt lgkmcnt(0)
	; wave barrier
	ds_read_b128 v[16:19], v2 offset:688
	ds_read_b128 v[12:15], v2 offset:704
	;; [unrolled: 1-line block ×4, first 2 shown]
	scratch_load_dwordx4 v[20:23], off, off offset:144
	scratch_load_dwordx4 v[40:43], off, off offset:208
	;; [unrolled: 1-line block ×21, first 2 shown]
	v_cmp_lt_u32_e32 vcc, 6, v0
	scratch_load_dwordx4 v[48:51], off, off offset:224
	scratch_load_dwordx4 v[56:59], off, off offset:240
	;; [unrolled: 1-line block ×3, first 2 shown]
	s_waitcnt vmcnt(23) lgkmcnt(3)
	v_mul_f64 v[24:25], v[16:17], v[22:23]
	v_fmac_f64_e32 v[24:25], v[18:19], v[20:21]
	v_add_f64 v[28:29], v[24:25], 0
	scratch_load_dwordx4 v[24:27], off, off offset:160
	v_mul_f64 v[18:19], v[18:19], v[22:23]
	v_fma_f64 v[16:17], v[16:17], v[20:21], -v[18:19]
	v_add_f64 v[16:17], v[16:17], 0
	s_waitcnt vmcnt(0) lgkmcnt(2)
	v_mul_f64 v[30:31], v[12:13], v[26:27]
	v_fmac_f64_e32 v[30:31], v[14:15], v[24:25]
	v_add_f64 v[32:33], v[28:29], v[30:31]
	scratch_load_dwordx4 v[28:31], off, off offset:176
	v_mul_f64 v[14:15], v[14:15], v[26:27]
	v_fma_f64 v[12:13], v[12:13], v[24:25], -v[14:15]
	v_add_f64 v[12:13], v[16:17], v[12:13]
	;; [unrolled: 8-line block ×3, first 2 shown]
	s_waitcnt vmcnt(0) lgkmcnt(0)
	v_mul_f64 v[38:39], v[4:5], v[34:35]
	v_fmac_f64_e32 v[38:39], v[6:7], v[32:33]
	v_add_f64 v[44:45], v[36:37], v[38:39]
	ds_read_b128 v[36:39], v2 offset:752
	v_mul_f64 v[6:7], v[6:7], v[34:35]
	v_fma_f64 v[4:5], v[4:5], v[32:33], -v[6:7]
	v_add_f64 v[4:5], v[8:9], v[4:5]
	s_waitcnt lgkmcnt(0)
	v_mul_f64 v[46:47], v[36:37], v[42:43]
	v_fmac_f64_e32 v[46:47], v[38:39], v[40:41]
	v_add_f64 v[52:53], v[44:45], v[46:47]
	ds_read_b128 v[44:47], v2 offset:768
	v_mul_f64 v[6:7], v[38:39], v[42:43]
	v_fma_f64 v[6:7], v[36:37], v[40:41], -v[6:7]
	v_add_f64 v[4:5], v[4:5], v[6:7]
	s_waitcnt lgkmcnt(0)
	;; [unrolled: 8-line block ×23, first 2 shown]
	v_mul_f64 v[6:7], v[216:217], v[220:221]
	v_fma_f64 v[6:7], v[214:215], v[218:219], -v[6:7]
	v_add_f64 v[8:9], v[4:5], v[6:7]
	scratch_load_dwordx4 v[4:7], off, off offset:128
	v_mul_f64 v[222:223], v[214:215], v[220:221]
	v_fmac_f64_e32 v[222:223], v[216:217], v[218:219]
	v_add_f64 v[160:161], v[160:161], v[222:223]
	s_waitcnt vmcnt(0)
	v_add_f64 v[4:5], v[4:5], -v[8:9]
	v_add_f64 v[6:7], v[6:7], -v[160:161]
	scratch_store_dwordx4 off, v[4:7], off offset:128
	s_and_saveexec_b64 s[0:1], vcc
	s_cbranch_execz .LBB98_211
; %bb.210:
	scratch_load_dwordx4 v[6:9], off, s45
	v_mov_b32_e32 v3, v2
	v_mov_b32_e32 v4, v2
	;; [unrolled: 1-line block ×3, first 2 shown]
	scratch_store_dwordx4 off, v[2:5], off offset:112
	s_waitcnt vmcnt(1)
	ds_write_b128 v1, v[6:9]
.LBB98_211:
	s_or_b64 exec, exec, s[0:1]
	s_waitcnt lgkmcnt(0)
	; wave barrier
	ds_read_b128 v[16:19], v2 offset:672
	ds_read_b128 v[12:15], v2 offset:688
	;; [unrolled: 1-line block ×4, first 2 shown]
	scratch_load_dwordx4 v[20:23], off, off offset:128
	scratch_load_dwordx4 v[40:43], off, off offset:192
	;; [unrolled: 1-line block ×22, first 2 shown]
	v_cmp_lt_u32_e32 vcc, 5, v0
	scratch_load_dwordx4 v[48:51], off, off offset:208
	scratch_load_dwordx4 v[56:59], off, off offset:224
	;; [unrolled: 1-line block ×3, first 2 shown]
	s_waitcnt vmcnt(24) lgkmcnt(3)
	v_mul_f64 v[24:25], v[16:17], v[22:23]
	v_fmac_f64_e32 v[24:25], v[18:19], v[20:21]
	v_add_f64 v[28:29], v[24:25], 0
	scratch_load_dwordx4 v[24:27], off, off offset:144
	s_waitcnt vmcnt(0) lgkmcnt(2)
	v_mul_f64 v[30:31], v[12:13], v[26:27]
	v_fmac_f64_e32 v[30:31], v[14:15], v[24:25]
	v_add_f64 v[32:33], v[28:29], v[30:31]
	scratch_load_dwordx4 v[28:31], off, off offset:160
	v_mul_f64 v[14:15], v[14:15], v[26:27]
	v_fma_f64 v[12:13], v[12:13], v[24:25], -v[14:15]
	s_waitcnt vmcnt(0) lgkmcnt(1)
	v_mul_f64 v[34:35], v[8:9], v[30:31]
	v_fmac_f64_e32 v[34:35], v[10:11], v[28:29]
	v_add_f64 v[36:37], v[32:33], v[34:35]
	scratch_load_dwordx4 v[32:35], off, off offset:176
	v_mul_f64 v[10:11], v[10:11], v[30:31]
	v_fma_f64 v[8:9], v[8:9], v[28:29], -v[10:11]
	s_waitcnt vmcnt(0) lgkmcnt(0)
	v_mul_f64 v[38:39], v[4:5], v[34:35]
	v_fmac_f64_e32 v[38:39], v[6:7], v[32:33]
	v_add_f64 v[44:45], v[36:37], v[38:39]
	ds_read_b128 v[36:39], v2 offset:736
	v_mul_f64 v[6:7], v[6:7], v[34:35]
	v_fma_f64 v[4:5], v[4:5], v[32:33], -v[6:7]
	s_waitcnt lgkmcnt(0)
	v_mul_f64 v[46:47], v[36:37], v[42:43]
	v_fmac_f64_e32 v[46:47], v[38:39], v[40:41]
	v_add_f64 v[52:53], v[44:45], v[46:47]
	ds_read_b128 v[44:47], v2 offset:752
	s_waitcnt lgkmcnt(0)
	v_mul_f64 v[54:55], v[44:45], v[50:51]
	v_fmac_f64_e32 v[54:55], v[46:47], v[48:49]
	v_add_f64 v[60:61], v[52:53], v[54:55]
	ds_read_b128 v[52:55], v2 offset:768
	;; [unrolled: 5-line block ×23, first 2 shown]
	s_waitcnt lgkmcnt(0)
	v_mul_f64 v[2:3], v[222:223], v[228:229]
	v_fmac_f64_e32 v[2:3], v[224:225], v[226:227]
	v_add_f64 v[176:177], v[176:177], v[2:3]
	v_mul_f64 v[2:3], v[18:19], v[22:23]
	v_fma_f64 v[2:3], v[16:17], v[20:21], -v[2:3]
	v_add_f64 v[2:3], v[2:3], 0
	v_add_f64 v[2:3], v[2:3], v[12:13]
	;; [unrolled: 1-line block ×4, first 2 shown]
	v_mul_f64 v[4:5], v[38:39], v[42:43]
	v_fma_f64 v[4:5], v[36:37], v[40:41], -v[4:5]
	v_add_f64 v[2:3], v[2:3], v[4:5]
	v_mul_f64 v[4:5], v[46:47], v[50:51]
	v_fma_f64 v[4:5], v[44:45], v[48:49], -v[4:5]
	v_add_f64 v[2:3], v[2:3], v[4:5]
	;; [unrolled: 3-line block ×24, first 2 shown]
	scratch_load_dwordx4 v[2:5], off, off offset:112
	s_waitcnt vmcnt(0)
	v_add_f64 v[2:3], v[2:3], -v[6:7]
	v_add_f64 v[4:5], v[4:5], -v[176:177]
	scratch_store_dwordx4 off, v[2:5], off offset:112
	s_and_saveexec_b64 s[0:1], vcc
	s_cbranch_execz .LBB98_213
; %bb.212:
	scratch_load_dwordx4 v[2:5], off, s46
	v_mov_b32_e32 v6, 0
	v_mov_b32_e32 v7, v6
	;; [unrolled: 1-line block ×4, first 2 shown]
	scratch_store_dwordx4 off, v[6:9], off offset:96
	s_waitcnt vmcnt(1)
	ds_write_b128 v1, v[2:5]
.LBB98_213:
	s_or_b64 exec, exec, s[0:1]
	v_mov_b32_e32 v2, 0
	s_waitcnt lgkmcnt(0)
	; wave barrier
	ds_read_b128 v[16:19], v2 offset:656
	ds_read_b128 v[12:15], v2 offset:672
	;; [unrolled: 1-line block ×4, first 2 shown]
	scratch_load_dwordx4 v[20:23], off, off offset:112
	scratch_load_dwordx4 v[40:43], off, off offset:176
	;; [unrolled: 1-line block ×23, first 2 shown]
	v_cmp_lt_u32_e32 vcc, 4, v0
	scratch_load_dwordx4 v[48:51], off, off offset:192
	scratch_load_dwordx4 v[56:59], off, off offset:208
	;; [unrolled: 1-line block ×3, first 2 shown]
	s_waitcnt vmcnt(25) lgkmcnt(3)
	v_mul_f64 v[24:25], v[16:17], v[22:23]
	v_fmac_f64_e32 v[24:25], v[18:19], v[20:21]
	v_add_f64 v[28:29], v[24:25], 0
	scratch_load_dwordx4 v[24:27], off, off offset:128
	v_mul_f64 v[18:19], v[18:19], v[22:23]
	v_fma_f64 v[16:17], v[16:17], v[20:21], -v[18:19]
	v_add_f64 v[16:17], v[16:17], 0
	s_waitcnt vmcnt(0) lgkmcnt(2)
	v_mul_f64 v[30:31], v[12:13], v[26:27]
	v_fmac_f64_e32 v[30:31], v[14:15], v[24:25]
	v_add_f64 v[32:33], v[28:29], v[30:31]
	scratch_load_dwordx4 v[28:31], off, off offset:144
	v_mul_f64 v[14:15], v[14:15], v[26:27]
	v_fma_f64 v[12:13], v[12:13], v[24:25], -v[14:15]
	v_add_f64 v[12:13], v[16:17], v[12:13]
	;; [unrolled: 8-line block ×3, first 2 shown]
	s_waitcnt vmcnt(0) lgkmcnt(0)
	v_mul_f64 v[38:39], v[4:5], v[34:35]
	v_fmac_f64_e32 v[38:39], v[6:7], v[32:33]
	v_add_f64 v[44:45], v[36:37], v[38:39]
	ds_read_b128 v[36:39], v2 offset:720
	v_mul_f64 v[6:7], v[6:7], v[34:35]
	v_fma_f64 v[4:5], v[4:5], v[32:33], -v[6:7]
	v_add_f64 v[4:5], v[8:9], v[4:5]
	s_waitcnt lgkmcnt(0)
	v_mul_f64 v[46:47], v[36:37], v[42:43]
	v_fmac_f64_e32 v[46:47], v[38:39], v[40:41]
	v_add_f64 v[52:53], v[44:45], v[46:47]
	ds_read_b128 v[44:47], v2 offset:736
	v_mul_f64 v[6:7], v[38:39], v[42:43]
	v_fma_f64 v[6:7], v[36:37], v[40:41], -v[6:7]
	v_add_f64 v[4:5], v[4:5], v[6:7]
	s_waitcnt lgkmcnt(0)
	;; [unrolled: 8-line block ×25, first 2 shown]
	v_mul_f64 v[6:7], v[232:233], v[236:237]
	v_fma_f64 v[6:7], v[230:231], v[234:235], -v[6:7]
	v_add_f64 v[8:9], v[4:5], v[6:7]
	scratch_load_dwordx4 v[4:7], off, off offset:96
	v_mul_f64 v[238:239], v[230:231], v[236:237]
	v_fmac_f64_e32 v[238:239], v[232:233], v[234:235]
	v_add_f64 v[176:177], v[176:177], v[238:239]
	s_waitcnt vmcnt(0)
	v_add_f64 v[4:5], v[4:5], -v[8:9]
	v_add_f64 v[6:7], v[6:7], -v[176:177]
	scratch_store_dwordx4 off, v[4:7], off offset:96
	s_and_saveexec_b64 s[0:1], vcc
	s_cbranch_execz .LBB98_215
; %bb.214:
	scratch_load_dwordx4 v[6:9], off, s47
	v_mov_b32_e32 v3, v2
	v_mov_b32_e32 v4, v2
	;; [unrolled: 1-line block ×3, first 2 shown]
	scratch_store_dwordx4 off, v[2:5], off offset:80
	s_waitcnt vmcnt(1)
	ds_write_b128 v1, v[6:9]
.LBB98_215:
	s_or_b64 exec, exec, s[0:1]
	s_waitcnt lgkmcnt(0)
	; wave barrier
	ds_read_b128 v[16:19], v2 offset:640
	ds_read_b128 v[12:15], v2 offset:656
	;; [unrolled: 1-line block ×4, first 2 shown]
	scratch_load_dwordx4 v[20:23], off, off offset:96
	scratch_load_dwordx4 v[40:43], off, off offset:160
	;; [unrolled: 1-line block ×24, first 2 shown]
	v_cmp_lt_u32_e32 vcc, 3, v0
	scratch_load_dwordx4 v[48:51], off, off offset:176
	scratch_load_dwordx4 v[56:59], off, off offset:192
	;; [unrolled: 1-line block ×3, first 2 shown]
	ds_read_b128 v[242:245], v2 offset:1104
	s_waitcnt vmcnt(26) lgkmcnt(4)
	v_mul_f64 v[24:25], v[16:17], v[22:23]
	v_fmac_f64_e32 v[24:25], v[18:19], v[20:21]
	v_add_f64 v[28:29], v[24:25], 0
	scratch_load_dwordx4 v[24:27], off, off offset:112
	s_waitcnt vmcnt(0) lgkmcnt(3)
	v_mul_f64 v[30:31], v[12:13], v[26:27]
	v_fmac_f64_e32 v[30:31], v[14:15], v[24:25]
	v_add_f64 v[32:33], v[28:29], v[30:31]
	scratch_load_dwordx4 v[28:31], off, off offset:128
	v_mul_f64 v[14:15], v[14:15], v[26:27]
	v_fma_f64 v[12:13], v[12:13], v[24:25], -v[14:15]
	s_waitcnt vmcnt(0) lgkmcnt(2)
	v_mul_f64 v[34:35], v[8:9], v[30:31]
	v_fmac_f64_e32 v[34:35], v[10:11], v[28:29]
	v_add_f64 v[36:37], v[32:33], v[34:35]
	scratch_load_dwordx4 v[32:35], off, off offset:144
	v_mul_f64 v[10:11], v[10:11], v[30:31]
	v_fma_f64 v[8:9], v[8:9], v[28:29], -v[10:11]
	s_waitcnt vmcnt(0) lgkmcnt(1)
	v_mul_f64 v[38:39], v[4:5], v[34:35]
	v_fmac_f64_e32 v[38:39], v[6:7], v[32:33]
	v_add_f64 v[44:45], v[36:37], v[38:39]
	ds_read_b128 v[36:39], v2 offset:704
	v_mul_f64 v[6:7], v[6:7], v[34:35]
	v_fma_f64 v[4:5], v[4:5], v[32:33], -v[6:7]
	s_waitcnt lgkmcnt(0)
	v_mul_f64 v[46:47], v[36:37], v[42:43]
	v_fmac_f64_e32 v[46:47], v[38:39], v[40:41]
	v_add_f64 v[52:53], v[44:45], v[46:47]
	ds_read_b128 v[44:47], v2 offset:720
	s_waitcnt lgkmcnt(0)
	v_mul_f64 v[54:55], v[44:45], v[50:51]
	v_fmac_f64_e32 v[54:55], v[46:47], v[48:49]
	v_add_f64 v[60:61], v[52:53], v[54:55]
	ds_read_b128 v[52:55], v2 offset:736
	;; [unrolled: 5-line block ×24, first 2 shown]
	v_mul_f64 v[2:3], v[242:243], v[248:249]
	v_fmac_f64_e32 v[2:3], v[244:245], v[246:247]
	s_waitcnt lgkmcnt(0)
	v_mul_f64 v[238:239], v[230:231], v[236:237]
	v_fmac_f64_e32 v[238:239], v[232:233], v[234:235]
	v_add_f64 v[184:185], v[184:185], v[238:239]
	v_add_f64 v[184:185], v[184:185], v[2:3]
	v_mul_f64 v[2:3], v[18:19], v[22:23]
	v_fma_f64 v[2:3], v[16:17], v[20:21], -v[2:3]
	v_add_f64 v[2:3], v[2:3], 0
	v_add_f64 v[2:3], v[2:3], v[12:13]
	;; [unrolled: 1-line block ×4, first 2 shown]
	v_mul_f64 v[4:5], v[38:39], v[42:43]
	v_fma_f64 v[4:5], v[36:37], v[40:41], -v[4:5]
	v_add_f64 v[2:3], v[2:3], v[4:5]
	v_mul_f64 v[4:5], v[46:47], v[50:51]
	v_fma_f64 v[4:5], v[44:45], v[48:49], -v[4:5]
	v_add_f64 v[2:3], v[2:3], v[4:5]
	;; [unrolled: 3-line block ×26, first 2 shown]
	scratch_load_dwordx4 v[2:5], off, off offset:80
	s_waitcnt vmcnt(0)
	v_add_f64 v[2:3], v[2:3], -v[6:7]
	v_add_f64 v[4:5], v[4:5], -v[184:185]
	scratch_store_dwordx4 off, v[2:5], off offset:80
	s_and_saveexec_b64 s[0:1], vcc
	s_cbranch_execz .LBB98_217
; %bb.216:
	scratch_load_dwordx4 v[2:5], off, s48
	v_mov_b32_e32 v6, 0
	v_mov_b32_e32 v7, v6
	;; [unrolled: 1-line block ×4, first 2 shown]
	scratch_store_dwordx4 off, v[6:9], off offset:64
	s_waitcnt vmcnt(1)
	ds_write_b128 v1, v[2:5]
.LBB98_217:
	s_or_b64 exec, exec, s[0:1]
	s_waitcnt lgkmcnt(0)
	; wave barrier
	scratch_load_dwordx4 v[16:19], off, off offset:80
	scratch_load_dwordx4 v[12:15], off, off offset:96
	;; [unrolled: 1-line block ×32, first 2 shown]
	v_mov_b32_e32 v2, 0
	ds_read_b128 v[132:135], v2 offset:624
	ds_read_b128 v[136:139], v2 offset:640
	;; [unrolled: 1-line block ×17, first 2 shown]
	v_cmp_lt_u32_e32 vcc, 2, v0
	s_waitcnt vmcnt(31) lgkmcnt(14)
	v_mul_f64 v[200:201], v[132:133], v[18:19]
	s_waitcnt vmcnt(30)
	v_mul_f64 v[202:203], v[136:137], v[14:15]
	v_fmac_f64_e32 v[200:201], v[134:135], v[16:17]
	s_waitcnt vmcnt(29)
	v_mul_f64 v[204:205], v[140:141], v[10:11]
	v_fmac_f64_e32 v[202:203], v[138:139], v[12:13]
	v_add_f64 v[200:201], v[200:201], 0
	s_waitcnt vmcnt(28) lgkmcnt(13)
	v_mul_f64 v[206:207], v[144:145], v[6:7]
	v_fmac_f64_e32 v[204:205], v[142:143], v[8:9]
	v_add_f64 v[200:201], v[200:201], v[202:203]
	s_waitcnt vmcnt(27) lgkmcnt(12)
	;; [unrolled: 4-line block ×12, first 2 shown]
	v_mul_f64 v[228:229], v[188:189], v[62:63]
	v_fmac_f64_e32 v[226:227], v[186:187], v[56:57]
	v_add_f64 v[200:201], v[200:201], v[224:225]
	v_fmac_f64_e32 v[228:229], v[190:191], v[60:61]
	v_add_f64 v[200:201], v[200:201], v[226:227]
	s_waitcnt vmcnt(16) lgkmcnt(1)
	v_mul_f64 v[202:203], v[192:193], v[66:67]
	v_add_f64 v[200:201], v[200:201], v[228:229]
	v_fmac_f64_e32 v[202:203], v[194:195], v[64:65]
	s_waitcnt vmcnt(15) lgkmcnt(0)
	v_mul_f64 v[206:207], v[196:197], v[70:71]
	v_add_f64 v[204:205], v[200:201], v[202:203]
	ds_read_b128 v[200:203], v2 offset:896
	v_fmac_f64_e32 v[206:207], v[198:199], v[68:69]
	v_add_f64 v[208:209], v[204:205], v[206:207]
	ds_read_b128 v[204:207], v2 offset:912
	v_mul_f64 v[18:19], v[134:135], v[18:19]
	s_waitcnt vmcnt(14) lgkmcnt(1)
	v_mul_f64 v[210:211], v[200:201], v[74:75]
	v_fmac_f64_e32 v[210:211], v[202:203], v[72:73]
	v_add_f64 v[212:213], v[208:209], v[210:211]
	s_waitcnt vmcnt(13) lgkmcnt(0)
	v_mul_f64 v[214:215], v[204:205], v[78:79]
	ds_read_b128 v[208:211], v2 offset:928
	v_fmac_f64_e32 v[214:215], v[206:207], v[76:77]
	v_add_f64 v[216:217], v[212:213], v[214:215]
	ds_read_b128 v[212:215], v2 offset:944
	v_fma_f64 v[244:245], v[132:133], v[16:17], -v[18:19]
	s_waitcnt vmcnt(12) lgkmcnt(1)
	v_mul_f64 v[218:219], v[208:209], v[82:83]
	v_fmac_f64_e32 v[218:219], v[210:211], v[80:81]
	v_add_f64 v[220:221], v[216:217], v[218:219]
	s_waitcnt vmcnt(11) lgkmcnt(0)
	v_mul_f64 v[222:223], v[212:213], v[86:87]
	ds_read_b128 v[216:219], v2 offset:960
	v_fmac_f64_e32 v[222:223], v[214:215], v[84:85]
	v_add_f64 v[224:225], v[220:221], v[222:223]
	ds_read_b128 v[220:223], v2 offset:976
	ds_read_b128 v[16:19], v2 offset:1056
	s_waitcnt vmcnt(10) lgkmcnt(2)
	v_mul_f64 v[226:227], v[216:217], v[90:91]
	v_fmac_f64_e32 v[226:227], v[218:219], v[88:89]
	v_add_f64 v[228:229], v[224:225], v[226:227]
	s_waitcnt vmcnt(9) lgkmcnt(1)
	v_mul_f64 v[230:231], v[220:221], v[94:95]
	ds_read_b128 v[224:227], v2 offset:992
	v_fmac_f64_e32 v[230:231], v[222:223], v[92:93]
	v_add_f64 v[232:233], v[228:229], v[230:231]
	ds_read_b128 v[228:231], v2 offset:1008
	v_mul_f64 v[14:15], v[138:139], v[14:15]
	s_waitcnt vmcnt(8) lgkmcnt(1)
	v_mul_f64 v[234:235], v[224:225], v[98:99]
	v_fmac_f64_e32 v[234:235], v[226:227], v[96:97]
	v_add_f64 v[236:237], v[232:233], v[234:235]
	s_waitcnt vmcnt(7) lgkmcnt(0)
	v_mul_f64 v[238:239], v[228:229], v[102:103]
	ds_read_b128 v[232:235], v2 offset:1024
	v_fmac_f64_e32 v[238:239], v[230:231], v[100:101]
	v_add_f64 v[242:243], v[236:237], v[238:239]
	ds_read_b128 v[236:239], v2 offset:1040
	v_fma_f64 v[136:137], v[136:137], v[12:13], -v[14:15]
	s_waitcnt vmcnt(6) lgkmcnt(1)
	v_mul_f64 v[132:133], v[232:233], v[106:107]
	v_fmac_f64_e32 v[132:133], v[234:235], v[104:105]
	v_add_f64 v[132:133], v[242:243], v[132:133]
	s_waitcnt vmcnt(5) lgkmcnt(0)
	v_mul_f64 v[134:135], v[236:237], v[110:111]
	v_fmac_f64_e32 v[134:135], v[238:239], v[108:109]
	v_add_f64 v[132:133], v[132:133], v[134:135]
	ds_read_b128 v[12:15], v2 offset:1072
	s_waitcnt vmcnt(4)
	v_mul_f64 v[134:135], v[16:17], v[114:115]
	v_fmac_f64_e32 v[134:135], v[18:19], v[112:113]
	v_add_f64 v[138:139], v[132:133], v[134:135]
	ds_read_b128 v[132:135], v2 offset:1088
	v_mul_f64 v[10:11], v[142:143], v[10:11]
	v_fma_f64 v[140:141], v[140:141], v[8:9], -v[10:11]
	ds_read_b128 v[8:11], v2 offset:1104
	s_waitcnt vmcnt(3) lgkmcnt(2)
	v_mul_f64 v[142:143], v[12:13], v[118:119]
	v_fmac_f64_e32 v[142:143], v[14:15], v[116:117]
	v_add_f64 v[138:139], v[138:139], v[142:143]
	s_waitcnt vmcnt(2) lgkmcnt(1)
	v_mul_f64 v[142:143], v[132:133], v[122:123]
	v_fmac_f64_e32 v[142:143], v[134:135], v[120:121]
	v_add_f64 v[138:139], v[138:139], v[142:143]
	;; [unrolled: 4-line block ×3, first 2 shown]
	v_add_f64 v[142:143], v[244:245], 0
	v_add_f64 v[136:137], v[142:143], v[136:137]
	v_mul_f64 v[6:7], v[146:147], v[6:7]
	v_add_f64 v[136:137], v[136:137], v[140:141]
	v_fma_f64 v[4:5], v[144:145], v[4:5], -v[6:7]
	v_mul_f64 v[6:7], v[150:151], v[22:23]
	v_add_f64 v[4:5], v[136:137], v[4:5]
	v_fma_f64 v[6:7], v[148:149], v[20:21], -v[6:7]
	v_add_f64 v[4:5], v[4:5], v[6:7]
	v_mul_f64 v[6:7], v[154:155], v[26:27]
	v_fma_f64 v[6:7], v[152:153], v[24:25], -v[6:7]
	v_add_f64 v[4:5], v[4:5], v[6:7]
	v_mul_f64 v[6:7], v[158:159], v[30:31]
	;; [unrolled: 3-line block ×26, first 2 shown]
	v_fma_f64 v[6:7], v[8:9], v[124:125], -v[6:7]
	v_add_f64 v[4:5], v[4:5], v[6:7]
	s_waitcnt vmcnt(0)
	v_add_f64 v[4:5], v[128:129], -v[4:5]
	v_add_f64 v[6:7], v[130:131], -v[138:139]
	scratch_store_dwordx4 off, v[4:7], off offset:64
	s_and_saveexec_b64 s[0:1], vcc
	s_cbranch_execz .LBB98_219
; %bb.218:
	scratch_load_dwordx4 v[6:9], off, s49
	v_mov_b32_e32 v3, v2
	v_mov_b32_e32 v4, v2
	;; [unrolled: 1-line block ×3, first 2 shown]
	scratch_store_dwordx4 off, v[2:5], off offset:48
	s_waitcnt vmcnt(1)
	ds_write_b128 v1, v[6:9]
.LBB98_219:
	s_or_b64 exec, exec, s[0:1]
	s_waitcnt lgkmcnt(0)
	; wave barrier
	scratch_load_dwordx4 v[140:143], off, off offset:64
	scratch_load_dwordx4 v[148:151], off, off offset:80
	;; [unrolled: 1-line block ×16, first 2 shown]
	ds_read_b128 v[188:191], v2 offset:608
	ds_read_b128 v[184:187], v2 offset:624
	scratch_load_dwordx4 v[56:59], off, off offset:320
	ds_read_b128 v[192:195], v2 offset:640
	ds_read_b128 v[68:71], v2 offset:656
	scratch_load_dwordx4 v[60:63], off, off offset:336
	ds_read_b128 v[88:91], v2 offset:672
	ds_read_b128 v[84:87], v2 offset:688
	;; [unrolled: 1-line block ×4, first 2 shown]
	scratch_load_dwordx4 v[64:67], off, off offset:352
	ds_read_b128 v[100:103], v2 offset:736
	ds_read_b128 v[96:99], v2 offset:752
	scratch_load_dwordx4 v[72:75], off, off offset:368
	ds_read_b128 v[116:119], v2 offset:768
	ds_read_b128 v[112:115], v2 offset:784
	;; [unrolled: 1-line block ×4, first 2 shown]
	scratch_load_dwordx4 v[92:95], off, off offset:384
	ds_read_b128 v[132:135], v2 offset:832
	ds_read_b128 v[128:131], v2 offset:848
	;; [unrolled: 1-line block ×3, first 2 shown]
	scratch_load_dwordx4 v[120:123], off, off offset:400
	scratch_load_dwordx4 v[136:139], off, off offset:416
	;; [unrolled: 1-line block ×11, first 2 shown]
	v_cmp_lt_u32_e32 vcc, 1, v0
	s_waitcnt vmcnt(31) lgkmcnt(14)
	v_mul_f64 v[200:201], v[188:189], v[142:143]
	s_waitcnt vmcnt(30)
	v_mul_f64 v[202:203], v[184:185], v[150:151]
	v_fmac_f64_e32 v[200:201], v[190:191], v[140:141]
	s_waitcnt vmcnt(29)
	v_mul_f64 v[204:205], v[192:193], v[154:155]
	v_fmac_f64_e32 v[202:203], v[186:187], v[148:149]
	v_add_f64 v[200:201], v[200:201], 0
	s_waitcnt vmcnt(28) lgkmcnt(13)
	v_mul_f64 v[206:207], v[68:69], v[6:7]
	v_fmac_f64_e32 v[204:205], v[194:195], v[152:153]
	v_add_f64 v[200:201], v[200:201], v[202:203]
	s_waitcnt vmcnt(27) lgkmcnt(12)
	v_mul_f64 v[208:209], v[88:89], v[10:11]
	v_fmac_f64_e32 v[206:207], v[70:71], v[4:5]
	v_add_f64 v[200:201], v[200:201], v[204:205]
	s_waitcnt vmcnt(26) lgkmcnt(11)
	v_mul_f64 v[210:211], v[84:85], v[14:15]
	v_fmac_f64_e32 v[208:209], v[90:91], v[8:9]
	v_add_f64 v[200:201], v[200:201], v[206:207]
	s_waitcnt vmcnt(25) lgkmcnt(10)
	v_mul_f64 v[212:213], v[80:81], v[18:19]
	v_fmac_f64_e32 v[210:211], v[86:87], v[12:13]
	v_add_f64 v[200:201], v[200:201], v[208:209]
	s_waitcnt vmcnt(24) lgkmcnt(9)
	v_mul_f64 v[214:215], v[76:77], v[22:23]
	v_fmac_f64_e32 v[212:213], v[82:83], v[16:17]
	v_add_f64 v[200:201], v[200:201], v[210:211]
	s_waitcnt vmcnt(23) lgkmcnt(8)
	v_mul_f64 v[216:217], v[100:101], v[26:27]
	v_fmac_f64_e32 v[214:215], v[78:79], v[20:21]
	v_add_f64 v[200:201], v[200:201], v[212:213]
	s_waitcnt vmcnt(22) lgkmcnt(7)
	v_mul_f64 v[218:219], v[96:97], v[30:31]
	v_fmac_f64_e32 v[216:217], v[102:103], v[24:25]
	v_add_f64 v[200:201], v[200:201], v[214:215]
	s_waitcnt vmcnt(21) lgkmcnt(6)
	v_mul_f64 v[220:221], v[116:117], v[34:35]
	v_fmac_f64_e32 v[218:219], v[98:99], v[28:29]
	v_add_f64 v[200:201], v[200:201], v[216:217]
	s_waitcnt vmcnt(20) lgkmcnt(5)
	v_mul_f64 v[222:223], v[112:113], v[38:39]
	v_fmac_f64_e32 v[220:221], v[118:119], v[32:33]
	v_add_f64 v[200:201], v[200:201], v[218:219]
	s_waitcnt vmcnt(19) lgkmcnt(4)
	v_mul_f64 v[224:225], v[108:109], v[42:43]
	v_fmac_f64_e32 v[222:223], v[114:115], v[36:37]
	v_add_f64 v[200:201], v[200:201], v[220:221]
	s_waitcnt vmcnt(18) lgkmcnt(3)
	v_mul_f64 v[226:227], v[104:105], v[46:47]
	v_fmac_f64_e32 v[224:225], v[110:111], v[40:41]
	v_add_f64 v[200:201], v[200:201], v[222:223]
	s_waitcnt vmcnt(17) lgkmcnt(2)
	v_mul_f64 v[228:229], v[132:133], v[50:51]
	v_fmac_f64_e32 v[226:227], v[106:107], v[44:45]
	v_add_f64 v[200:201], v[200:201], v[224:225]
	s_waitcnt vmcnt(16) lgkmcnt(1)
	v_mul_f64 v[230:231], v[128:129], v[54:55]
	v_fmac_f64_e32 v[228:229], v[134:135], v[48:49]
	v_add_f64 v[200:201], v[200:201], v[226:227]
	v_add_f64 v[200:201], v[200:201], v[228:229]
	v_fmac_f64_e32 v[230:231], v[130:131], v[52:53]
	s_waitcnt vmcnt(15) lgkmcnt(0)
	v_mul_f64 v[206:207], v[124:125], v[58:59]
	v_add_f64 v[204:205], v[200:201], v[230:231]
	ds_read_b128 v[200:203], v2 offset:880
	v_fmac_f64_e32 v[206:207], v[126:127], v[56:57]
	v_add_f64 v[208:209], v[204:205], v[206:207]
	ds_read_b128 v[204:207], v2 offset:896
	v_mul_f64 v[142:143], v[190:191], v[142:143]
	s_waitcnt vmcnt(14) lgkmcnt(1)
	v_mul_f64 v[210:211], v[200:201], v[62:63]
	v_fmac_f64_e32 v[210:211], v[202:203], v[60:61]
	v_add_f64 v[212:213], v[208:209], v[210:211]
	s_waitcnt vmcnt(13) lgkmcnt(0)
	v_mul_f64 v[214:215], v[204:205], v[66:67]
	ds_read_b128 v[208:211], v2 offset:912
	v_fmac_f64_e32 v[214:215], v[206:207], v[64:65]
	v_add_f64 v[216:217], v[212:213], v[214:215]
	ds_read_b128 v[212:215], v2 offset:928
	v_fma_f64 v[254:255], v[188:189], v[140:141], -v[142:143]
	s_waitcnt vmcnt(12) lgkmcnt(1)
	v_mul_f64 v[218:219], v[208:209], v[74:75]
	v_fmac_f64_e32 v[218:219], v[210:211], v[72:73]
	v_add_f64 v[220:221], v[216:217], v[218:219]
	s_waitcnt vmcnt(11) lgkmcnt(0)
	v_mul_f64 v[222:223], v[212:213], v[94:95]
	ds_read_b128 v[216:219], v2 offset:944
	v_fmac_f64_e32 v[222:223], v[214:215], v[92:93]
	v_add_f64 v[224:225], v[220:221], v[222:223]
	ds_read_b128 v[220:223], v2 offset:960
	ds_read_b128 v[140:143], v2 offset:1040
	s_waitcnt vmcnt(10) lgkmcnt(2)
	v_mul_f64 v[226:227], v[216:217], v[122:123]
	v_fmac_f64_e32 v[226:227], v[218:219], v[120:121]
	v_add_f64 v[228:229], v[224:225], v[226:227]
	s_waitcnt vmcnt(9) lgkmcnt(1)
	v_mul_f64 v[230:231], v[220:221], v[138:139]
	ds_read_b128 v[224:227], v2 offset:976
	v_fmac_f64_e32 v[230:231], v[222:223], v[136:137]
	v_add_f64 v[232:233], v[228:229], v[230:231]
	ds_read_b128 v[228:231], v2 offset:992
	v_mul_f64 v[150:151], v[186:187], v[150:151]
	s_waitcnt vmcnt(8) lgkmcnt(1)
	v_mul_f64 v[234:235], v[224:225], v[146:147]
	v_fmac_f64_e32 v[234:235], v[226:227], v[144:145]
	v_add_f64 v[236:237], v[232:233], v[234:235]
	s_waitcnt vmcnt(7) lgkmcnt(0)
	v_mul_f64 v[238:239], v[228:229], v[158:159]
	ds_read_b128 v[232:235], v2 offset:1008
	v_fmac_f64_e32 v[238:239], v[230:231], v[156:157]
	v_add_f64 v[242:243], v[236:237], v[238:239]
	ds_read_b128 v[236:239], v2 offset:1024
	v_mul_f64 v[154:155], v[194:195], v[154:155]
	s_waitcnt vmcnt(6) lgkmcnt(1)
	v_mul_f64 v[244:245], v[232:233], v[162:163]
	v_fmac_f64_e32 v[244:245], v[234:235], v[160:161]
	v_add_f64 v[242:243], v[242:243], v[244:245]
	s_waitcnt vmcnt(5) lgkmcnt(0)
	v_mul_f64 v[188:189], v[236:237], v[166:167]
	v_fmac_f64_e32 v[188:189], v[238:239], v[164:165]
	v_add_f64 v[188:189], v[242:243], v[188:189]
	v_fma_f64 v[242:243], v[184:185], v[148:149], -v[150:151]
	ds_read_b128 v[148:151], v2 offset:1056
	s_waitcnt vmcnt(4)
	v_mul_f64 v[184:185], v[140:141], v[170:171]
	v_fmac_f64_e32 v[184:185], v[142:143], v[168:169]
	v_add_f64 v[188:189], v[188:189], v[184:185]
	ds_read_b128 v[184:187], v2 offset:1072
	s_waitcnt vmcnt(3) lgkmcnt(1)
	v_mul_f64 v[190:191], v[148:149], v[174:175]
	v_fma_f64 v[246:247], v[192:193], v[152:153], -v[154:155]
	ds_read_b128 v[152:155], v2 offset:1088
	v_fmac_f64_e32 v[190:191], v[150:151], v[172:173]
	v_add_f64 v[244:245], v[188:189], v[190:191]
	ds_read_b128 v[188:191], v2 offset:1104
	s_waitcnt vmcnt(2) lgkmcnt(2)
	v_mul_f64 v[192:193], v[184:185], v[178:179]
	v_fmac_f64_e32 v[192:193], v[186:187], v[176:177]
	v_add_f64 v[2:3], v[244:245], v[192:193]
	s_waitcnt vmcnt(1) lgkmcnt(1)
	v_mul_f64 v[192:193], v[152:153], v[182:183]
	v_fmac_f64_e32 v[192:193], v[154:155], v[180:181]
	v_add_f64 v[2:3], v[2:3], v[192:193]
	;; [unrolled: 4-line block ×3, first 2 shown]
	scratch_load_dwordx4 v[192:195], off, off offset:48
	v_add_f64 v[244:245], v[254:255], 0
	v_add_f64 v[242:243], v[244:245], v[242:243]
	v_mul_f64 v[6:7], v[70:71], v[6:7]
	v_add_f64 v[242:243], v[242:243], v[246:247]
	v_fma_f64 v[4:5], v[68:69], v[4:5], -v[6:7]
	v_mul_f64 v[6:7], v[90:91], v[10:11]
	v_add_f64 v[4:5], v[242:243], v[4:5]
	v_fma_f64 v[6:7], v[88:89], v[8:9], -v[6:7]
	v_add_f64 v[4:5], v[4:5], v[6:7]
	v_mul_f64 v[6:7], v[86:87], v[14:15]
	v_fma_f64 v[6:7], v[84:85], v[12:13], -v[6:7]
	v_add_f64 v[4:5], v[4:5], v[6:7]
	v_mul_f64 v[6:7], v[82:83], v[18:19]
	;; [unrolled: 3-line block ×27, first 2 shown]
	v_fma_f64 v[6:7], v[188:189], v[196:197], -v[6:7]
	v_add_f64 v[4:5], v[4:5], v[6:7]
	s_waitcnt vmcnt(0)
	v_add_f64 v[4:5], v[192:193], -v[4:5]
	v_add_f64 v[6:7], v[194:195], -v[2:3]
	scratch_store_dwordx4 off, v[4:7], off offset:48
	s_and_saveexec_b64 s[0:1], vcc
	s_cbranch_execz .LBB98_221
; %bb.220:
	scratch_load_dwordx4 v[2:5], off, s50
	v_mov_b32_e32 v6, 0
	v_mov_b32_e32 v7, v6
	;; [unrolled: 1-line block ×4, first 2 shown]
	scratch_store_dwordx4 off, v[6:9], off offset:32
	s_waitcnt vmcnt(1)
	ds_write_b128 v1, v[2:5]
.LBB98_221:
	s_or_b64 exec, exec, s[0:1]
	s_waitcnt lgkmcnt(0)
	; wave barrier
	scratch_load_dwordx4 v[108:111], off, off offset:48
	scratch_load_dwordx4 v[116:119], off, off offset:64
	;; [unrolled: 1-line block ×33, first 2 shown]
	v_mov_b32_e32 v2, 0
	ds_read_b128 v[220:223], v2 offset:592
	ds_read_b128 v[224:227], v2 offset:608
	;; [unrolled: 1-line block ×16, first 2 shown]
	v_cmp_ne_u32_e32 vcc, 0, v0
	s_waitcnt vmcnt(32) lgkmcnt(14)
	v_mul_f64 v[180:181], v[220:221], v[110:111]
	s_waitcnt vmcnt(31)
	v_mul_f64 v[182:183], v[224:225], v[118:119]
	v_fmac_f64_e32 v[180:181], v[222:223], v[108:109]
	s_waitcnt vmcnt(30) lgkmcnt(13)
	v_mul_f64 v[184:185], v[234:235], v[122:123]
	v_fmac_f64_e32 v[182:183], v[226:227], v[116:117]
	v_add_f64 v[180:181], v[180:181], 0
	s_waitcnt vmcnt(29) lgkmcnt(12)
	v_mul_f64 v[186:187], v[242:243], v[126:127]
	v_fmac_f64_e32 v[184:185], v[236:237], v[120:121]
	v_add_f64 v[180:181], v[180:181], v[182:183]
	s_waitcnt vmcnt(28) lgkmcnt(11)
	v_mul_f64 v[188:189], v[246:247], v[130:131]
	v_fmac_f64_e32 v[186:187], v[244:245], v[124:125]
	v_add_f64 v[180:181], v[180:181], v[184:185]
	s_waitcnt vmcnt(27) lgkmcnt(10)
	v_mul_f64 v[190:191], v[176:177], v[6:7]
	v_fmac_f64_e32 v[188:189], v[248:249], v[128:129]
	v_add_f64 v[180:181], v[180:181], v[186:187]
	s_waitcnt vmcnt(26) lgkmcnt(9)
	v_mul_f64 v[192:193], v[172:173], v[10:11]
	v_fmac_f64_e32 v[190:191], v[178:179], v[4:5]
	v_add_f64 v[180:181], v[180:181], v[188:189]
	s_waitcnt vmcnt(25) lgkmcnt(8)
	v_mul_f64 v[194:195], v[168:169], v[14:15]
	v_fmac_f64_e32 v[192:193], v[174:175], v[8:9]
	v_add_f64 v[180:181], v[180:181], v[190:191]
	s_waitcnt vmcnt(24) lgkmcnt(7)
	v_mul_f64 v[196:197], v[164:165], v[18:19]
	v_fmac_f64_e32 v[194:195], v[170:171], v[12:13]
	v_add_f64 v[180:181], v[180:181], v[192:193]
	s_waitcnt vmcnt(23) lgkmcnt(6)
	v_mul_f64 v[198:199], v[160:161], v[22:23]
	v_fmac_f64_e32 v[196:197], v[166:167], v[16:17]
	v_add_f64 v[180:181], v[180:181], v[194:195]
	s_waitcnt vmcnt(22) lgkmcnt(5)
	v_mul_f64 v[200:201], v[156:157], v[26:27]
	v_fmac_f64_e32 v[198:199], v[162:163], v[20:21]
	v_add_f64 v[180:181], v[180:181], v[196:197]
	s_waitcnt vmcnt(21) lgkmcnt(4)
	v_mul_f64 v[202:203], v[152:153], v[30:31]
	v_fmac_f64_e32 v[200:201], v[158:159], v[24:25]
	v_add_f64 v[180:181], v[180:181], v[198:199]
	s_waitcnt vmcnt(20) lgkmcnt(3)
	v_mul_f64 v[204:205], v[148:149], v[34:35]
	v_fmac_f64_e32 v[202:203], v[154:155], v[28:29]
	v_add_f64 v[180:181], v[180:181], v[200:201]
	s_waitcnt vmcnt(19) lgkmcnt(2)
	v_mul_f64 v[206:207], v[144:145], v[38:39]
	v_fmac_f64_e32 v[204:205], v[150:151], v[32:33]
	v_add_f64 v[180:181], v[180:181], v[202:203]
	s_waitcnt vmcnt(18) lgkmcnt(1)
	v_mul_f64 v[208:209], v[140:141], v[42:43]
	v_fmac_f64_e32 v[206:207], v[146:147], v[36:37]
	v_add_f64 v[180:181], v[180:181], v[204:205]
	v_fmac_f64_e32 v[208:209], v[142:143], v[40:41]
	v_add_f64 v[180:181], v[180:181], v[206:207]
	v_add_f64 v[184:185], v[180:181], v[208:209]
	ds_read_b128 v[180:183], v2 offset:848
	s_waitcnt vmcnt(17) lgkmcnt(1)
	v_mul_f64 v[186:187], v[136:137], v[46:47]
	v_fmac_f64_e32 v[186:187], v[138:139], v[44:45]
	v_add_f64 v[188:189], v[184:185], v[186:187]
	ds_read_b128 v[184:187], v2 offset:864
	s_waitcnt vmcnt(16) lgkmcnt(1)
	v_mul_f64 v[190:191], v[180:181], v[50:51]
	v_fmac_f64_e32 v[190:191], v[182:183], v[48:49]
	;; [unrolled: 5-line block ×10, first 2 shown]
	v_mul_f64 v[110:111], v[222:223], v[110:111]
	v_add_f64 v[228:229], v[228:229], v[230:231]
	v_fma_f64 v[230:231], v[220:221], v[108:109], -v[110:111]
	ds_read_b128 v[108:111], v2 offset:1008
	s_waitcnt vmcnt(7) lgkmcnt(1)
	v_mul_f64 v[220:221], v[216:217], v[86:87]
	v_mul_f64 v[118:119], v[226:227], v[118:119]
	v_fmac_f64_e32 v[220:221], v[218:219], v[84:85]
	v_fma_f64 v[232:233], v[224:225], v[116:117], -v[118:119]
	ds_read_b128 v[116:119], v2 offset:1024
	s_waitcnt vmcnt(6) lgkmcnt(1)
	v_mul_f64 v[222:223], v[108:109], v[90:91]
	v_add_f64 v[220:221], v[228:229], v[220:221]
	v_fmac_f64_e32 v[222:223], v[110:111], v[88:89]
	v_add_f64 v[224:225], v[220:221], v[222:223]
	ds_read_b128 v[220:223], v2 offset:1040
	v_mul_f64 v[122:123], v[236:237], v[122:123]
	v_fma_f64 v[234:235], v[234:235], v[120:121], -v[122:123]
	ds_read_b128 v[120:123], v2 offset:1056
	s_waitcnt vmcnt(5) lgkmcnt(2)
	v_mul_f64 v[226:227], v[116:117], v[94:95]
	v_fmac_f64_e32 v[226:227], v[118:119], v[92:93]
	v_mul_f64 v[126:127], v[244:245], v[126:127]
	v_add_f64 v[224:225], v[224:225], v[226:227]
	s_waitcnt vmcnt(4) lgkmcnt(1)
	v_mul_f64 v[226:227], v[220:221], v[98:99]
	v_fma_f64 v[236:237], v[242:243], v[124:125], -v[126:127]
	ds_read_b128 v[124:127], v2 offset:1072
	v_fmac_f64_e32 v[226:227], v[222:223], v[96:97]
	v_add_f64 v[228:229], v[224:225], v[226:227]
	s_waitcnt vmcnt(3) lgkmcnt(1)
	v_mul_f64 v[238:239], v[120:121], v[102:103]
	ds_read_b128 v[224:227], v2 offset:1088
	v_fmac_f64_e32 v[238:239], v[122:123], v[100:101]
	v_mul_f64 v[130:131], v[248:249], v[130:131]
	v_add_f64 v[228:229], v[228:229], v[238:239]
	v_fma_f64 v[238:239], v[246:247], v[128:129], -v[130:131]
	ds_read_b128 v[128:131], v2 offset:1104
	s_waitcnt vmcnt(2) lgkmcnt(2)
	v_mul_f64 v[242:243], v[124:125], v[106:107]
	v_fmac_f64_e32 v[242:243], v[126:127], v[104:105]
	v_add_f64 v[228:229], v[228:229], v[242:243]
	s_waitcnt vmcnt(1) lgkmcnt(1)
	v_mul_f64 v[242:243], v[224:225], v[114:115]
	v_fmac_f64_e32 v[242:243], v[226:227], v[112:113]
	v_add_f64 v[228:229], v[228:229], v[242:243]
	;; [unrolled: 4-line block ×3, first 2 shown]
	scratch_load_dwordx4 v[242:245], off, off offset:32
	v_add_f64 v[230:231], v[230:231], 0
	v_add_f64 v[230:231], v[230:231], v[232:233]
	;; [unrolled: 1-line block ×4, first 2 shown]
	v_mul_f64 v[6:7], v[178:179], v[6:7]
	v_add_f64 v[230:231], v[230:231], v[238:239]
	v_fma_f64 v[4:5], v[176:177], v[4:5], -v[6:7]
	v_mul_f64 v[6:7], v[174:175], v[10:11]
	v_add_f64 v[4:5], v[230:231], v[4:5]
	v_fma_f64 v[6:7], v[172:173], v[8:9], -v[6:7]
	v_add_f64 v[4:5], v[4:5], v[6:7]
	v_mul_f64 v[6:7], v[170:171], v[14:15]
	v_fma_f64 v[6:7], v[168:169], v[12:13], -v[6:7]
	v_add_f64 v[4:5], v[4:5], v[6:7]
	v_mul_f64 v[6:7], v[166:167], v[18:19]
	;; [unrolled: 3-line block ×26, first 2 shown]
	v_fma_f64 v[6:7], v[128:129], v[132:133], -v[6:7]
	v_add_f64 v[4:5], v[4:5], v[6:7]
	s_waitcnt vmcnt(0)
	v_add_f64 v[4:5], v[242:243], -v[4:5]
	v_add_f64 v[6:7], v[244:245], -v[228:229]
	scratch_store_dwordx4 off, v[4:7], off offset:32
	s_and_saveexec_b64 s[0:1], vcc
	s_cbranch_execz .LBB98_223
; %bb.222:
	scratch_load_dwordx4 v[6:9], off, off offset:16
	v_mov_b32_e32 v3, v2
	v_mov_b32_e32 v4, v2
	;; [unrolled: 1-line block ×3, first 2 shown]
	scratch_store_dwordx4 off, v[2:5], off offset:16
	s_waitcnt vmcnt(1)
	ds_write_b128 v1, v[6:9]
.LBB98_223:
	s_or_b64 exec, exec, s[0:1]
	s_waitcnt lgkmcnt(0)
	; wave barrier
	scratch_load_dwordx4 v[144:147], off, off offset:32
	scratch_load_dwordx4 v[152:155], off, off offset:48
	;; [unrolled: 1-line block ×16, first 2 shown]
	ds_read_b128 v[196:199], v2 offset:576
	ds_read_b128 v[188:191], v2 offset:592
	ds_read_b128 v[180:183], v2 offset:608
	scratch_load_dwordx4 v[48:51], off, off offset:288
	ds_read_b128 v[192:195], v2 offset:624
	ds_read_b128 v[184:187], v2 offset:640
	ds_read_b128 v[64:67], v2 offset:656
	scratch_load_dwordx4 v[52:55], off, off offset:304
	;; [unrolled: 4-line block ×5, first 2 shown]
	ds_read_b128 v[112:115], v2 offset:816
	scratch_load_dwordx4 v[108:111], off, off offset:368
	scratch_load_dwordx4 v[116:119], off, off offset:384
	;; [unrolled: 1-line block ×12, first 2 shown]
	ds_read_b128 v[200:203], v2 offset:832
	s_and_b64 vcc, exec, s[10:11]
	ds_read_b128 v[236:239], v2 offset:976
	s_waitcnt vmcnt(32) lgkmcnt(14)
	v_mul_f64 v[0:1], v[196:197], v[146:147]
	s_waitcnt vmcnt(31)
	v_mul_f64 v[204:205], v[188:189], v[154:155]
	v_fmac_f64_e32 v[0:1], v[198:199], v[144:145]
	s_waitcnt vmcnt(30)
	v_mul_f64 v[206:207], v[180:181], v[158:159]
	v_fmac_f64_e32 v[204:205], v[190:191], v[152:153]
	v_add_f64 v[0:1], v[0:1], 0
	s_waitcnt vmcnt(29)
	v_mul_f64 v[208:209], v[192:193], v[162:163]
	v_fmac_f64_e32 v[206:207], v[182:183], v[156:157]
	v_add_f64 v[0:1], v[0:1], v[204:205]
	s_waitcnt vmcnt(28) lgkmcnt(13)
	v_mul_f64 v[210:211], v[184:185], v[170:171]
	v_fmac_f64_e32 v[208:209], v[194:195], v[160:161]
	v_add_f64 v[0:1], v[0:1], v[206:207]
	s_waitcnt vmcnt(27) lgkmcnt(12)
	;; [unrolled: 4-line block ×11, first 2 shown]
	v_mul_f64 v[230:231], v[96:97], v[42:43]
	v_fmac_f64_e32 v[228:229], v[102:103], v[36:37]
	v_add_f64 v[0:1], v[0:1], v[226:227]
	v_fmac_f64_e32 v[230:231], v[98:99], v[40:41]
	v_add_f64 v[0:1], v[0:1], v[228:229]
	s_waitcnt vmcnt(17) lgkmcnt(2)
	v_mul_f64 v[204:205], v[112:113], v[46:47]
	v_add_f64 v[0:1], v[0:1], v[230:231]
	v_fmac_f64_e32 v[204:205], v[114:115], v[44:45]
	v_add_f64 v[0:1], v[0:1], v[204:205]
	ds_read_b128 v[204:207], v2 offset:848
	s_waitcnt vmcnt(16) lgkmcnt(2)
	v_mul_f64 v[208:209], v[200:201], v[50:51]
	v_fmac_f64_e32 v[208:209], v[202:203], v[48:49]
	v_add_f64 v[0:1], v[0:1], v[208:209]
	ds_read_b128 v[208:211], v2 offset:864
	s_waitcnt vmcnt(15) lgkmcnt(1)
	v_mul_f64 v[212:213], v[204:205], v[54:55]
	;; [unrolled: 5-line block ×7, first 2 shown]
	v_fmac_f64_e32 v[232:233], v[226:227], v[116:117]
	v_add_f64 v[0:1], v[0:1], v[232:233]
	ds_read_b128 v[232:235], v2 offset:960
	v_mul_f64 v[146:147], v[198:199], v[146:147]
	v_fma_f64 v[198:199], v[196:197], v[144:145], -v[146:147]
	ds_read_b128 v[144:147], v2 offset:992
	s_waitcnt vmcnt(9) lgkmcnt(2)
	v_mul_f64 v[242:243], v[228:229], v[122:123]
	v_fmac_f64_e32 v[242:243], v[230:231], v[120:121]
	v_add_f64 v[0:1], v[0:1], v[242:243]
	s_waitcnt vmcnt(8) lgkmcnt(1)
	v_mul_f64 v[242:243], v[232:233], v[126:127]
	v_fmac_f64_e32 v[242:243], v[234:235], v[124:125]
	s_waitcnt vmcnt(7)
	v_mul_f64 v[196:197], v[236:237], v[130:131]
	v_mul_f64 v[154:155], v[190:191], v[154:155]
	v_add_f64 v[0:1], v[0:1], v[242:243]
	v_fmac_f64_e32 v[196:197], v[238:239], v[128:129]
	v_fma_f64 v[242:243], v[188:189], v[152:153], -v[154:155]
	ds_read_b128 v[152:155], v2 offset:1008
	s_waitcnt vmcnt(6) lgkmcnt(1)
	v_mul_f64 v[188:189], v[144:145], v[134:135]
	v_add_f64 v[0:1], v[0:1], v[196:197]
	v_fmac_f64_e32 v[188:189], v[146:147], v[132:133]
	v_add_f64 v[0:1], v[0:1], v[188:189]
	ds_read_b128 v[188:191], v2 offset:1024
	v_mul_f64 v[158:159], v[182:183], v[158:159]
	v_fma_f64 v[244:245], v[180:181], v[156:157], -v[158:159]
	s_waitcnt vmcnt(5) lgkmcnt(1)
	v_mul_f64 v[180:181], v[152:153], v[138:139]
	v_fmac_f64_e32 v[180:181], v[154:155], v[136:137]
	ds_read_b128 v[156:159], v2 offset:1040
	v_add_f64 v[0:1], v[0:1], v[180:181]
	s_waitcnt vmcnt(4) lgkmcnt(1)
	v_mul_f64 v[180:181], v[188:189], v[142:143]
	v_fmac_f64_e32 v[180:181], v[190:191], v[140:141]
	v_add_f64 v[0:1], v[0:1], v[180:181]
	ds_read_b128 v[180:183], v2 offset:1056
	v_mul_f64 v[162:163], v[194:195], v[162:163]
	s_waitcnt vmcnt(3) lgkmcnt(1)
	v_mul_f64 v[196:197], v[156:157], v[150:151]
	v_fma_f64 v[194:195], v[192:193], v[160:161], -v[162:163]
	ds_read_b128 v[160:163], v2 offset:1072
	v_fmac_f64_e32 v[196:197], v[158:159], v[148:149]
	v_mul_f64 v[170:171], v[186:187], v[170:171]
	v_add_f64 v[0:1], v[0:1], v[196:197]
	v_fma_f64 v[196:197], v[184:185], v[168:169], -v[170:171]
	ds_read_b128 v[168:171], v2 offset:1088
	s_waitcnt vmcnt(2) lgkmcnt(2)
	v_mul_f64 v[184:185], v[180:181], v[166:167]
	v_fmac_f64_e32 v[184:185], v[182:183], v[164:165]
	v_add_f64 v[0:1], v[0:1], v[184:185]
	s_waitcnt vmcnt(1) lgkmcnt(1)
	v_mul_f64 v[184:185], v[160:161], v[174:175]
	v_fmac_f64_e32 v[184:185], v[162:163], v[172:173]
	v_add_f64 v[0:1], v[0:1], v[184:185]
	;; [unrolled: 4-line block ×3, first 2 shown]
	scratch_load_dwordx4 v[184:187], off, off offset:560
	v_add_f64 v[198:199], v[198:199], 0
	v_add_f64 v[198:199], v[198:199], v[242:243]
	;; [unrolled: 1-line block ×3, first 2 shown]
	scratch_load_dwordx4 v[242:245], off, off offset:16
	v_add_f64 v[194:195], v[198:199], v[194:195]
	v_mul_f64 v[6:7], v[66:67], v[6:7]
	v_add_f64 v[194:195], v[194:195], v[196:197]
	v_fma_f64 v[4:5], v[64:65], v[4:5], -v[6:7]
	v_mul_f64 v[6:7], v[78:79], v[10:11]
	v_add_f64 v[4:5], v[194:195], v[4:5]
	v_fma_f64 v[6:7], v[76:77], v[8:9], -v[6:7]
	v_add_f64 v[4:5], v[4:5], v[6:7]
	v_mul_f64 v[6:7], v[74:75], v[14:15]
	v_fma_f64 v[6:7], v[72:73], v[12:13], -v[6:7]
	v_add_f64 v[4:5], v[4:5], v[6:7]
	v_mul_f64 v[6:7], v[70:71], v[18:19]
	;; [unrolled: 3-line block ×23, first 2 shown]
	ds_read_b128 v[0:3], v2 offset:1104
	v_fma_f64 v[6:7], v[156:157], v[148:149], -v[6:7]
	v_add_f64 v[4:5], v[4:5], v[6:7]
	v_mul_f64 v[6:7], v[182:183], v[166:167]
	v_fma_f64 v[6:7], v[180:181], v[164:165], -v[6:7]
	v_add_f64 v[4:5], v[4:5], v[6:7]
	v_mul_f64 v[6:7], v[162:163], v[174:175]
	v_fma_f64 v[6:7], v[160:161], v[172:173], -v[6:7]
	s_waitcnt vmcnt(1) lgkmcnt(0)
	v_mul_f64 v[246:247], v[0:1], v[186:187]
	v_add_f64 v[4:5], v[4:5], v[6:7]
	v_mul_f64 v[6:7], v[170:171], v[178:179]
	v_fmac_f64_e32 v[246:247], v[2:3], v[184:185]
	v_fma_f64 v[6:7], v[168:169], v[176:177], -v[6:7]
	v_mul_f64 v[2:3], v[2:3], v[186:187]
	v_add_f64 v[4:5], v[4:5], v[6:7]
	v_fma_f64 v[0:1], v[0:1], v[184:185], -v[2:3]
	v_add_f64 v[192:193], v[192:193], v[246:247]
	v_add_f64 v[0:1], v[4:5], v[0:1]
	s_waitcnt vmcnt(0)
	v_add_f64 v[0:1], v[242:243], -v[0:1]
	v_add_f64 v[2:3], v[244:245], -v[192:193]
	scratch_store_dwordx4 off, v[0:3], off offset:16
	s_cbranch_vccz .LBB98_292
; %bb.224:
	s_nop 0
	v_mov_b32_e32 v0, 0
	global_load_dword v1, v0, s[8:9] offset:132
	s_waitcnt vmcnt(0)
	v_readfirstlane_b32 s0, v1
	s_add_i32 s0, s0, -1
	s_cmp_lg_u32 s0, 33
	s_cbranch_scc0 .LBB98_226
; %bb.225:
	s_lshl_b32 s0, s0, 4
	s_add_i32 s0, s0, 16
	scratch_load_dwordx4 v[2:5], off, s0
	scratch_load_dwordx4 v[6:9], off, s17
	s_waitcnt vmcnt(1)
	scratch_store_dwordx4 off, v[2:5], s17
	s_waitcnt vmcnt(1)
	scratch_store_dwordx4 off, v[6:9], s0
.LBB98_226:
	global_load_dword v0, v0, s[8:9] offset:128
	s_waitcnt vmcnt(0)
	v_readfirstlane_b32 s0, v0
	s_add_i32 s0, s0, -1
	s_cmp_eq_u32 s0, 32
	s_cbranch_scc1 .LBB98_228
; %bb.227:
	s_lshl_b32 s0, s0, 4
	s_add_i32 s0, s0, 16
	scratch_load_dwordx4 v[0:3], off, s0
	scratch_load_dwordx4 v[4:7], off, s18
	s_waitcnt vmcnt(1)
	scratch_store_dwordx4 off, v[0:3], s18
	s_waitcnt vmcnt(1)
	scratch_store_dwordx4 off, v[4:7], s0
.LBB98_228:
	v_mov_b32_e32 v0, 0
	global_load_dword v1, v0, s[8:9] offset:124
	s_waitcnt vmcnt(0)
	v_readfirstlane_b32 s0, v1
	s_add_i32 s0, s0, -1
	s_cmp_eq_u32 s0, 31
	s_cbranch_scc1 .LBB98_230
; %bb.229:
	s_lshl_b32 s0, s0, 4
	s_add_i32 s0, s0, 16
	scratch_load_dwordx4 v[2:5], off, s0
	scratch_load_dwordx4 v[6:9], off, s19
	s_waitcnt vmcnt(1)
	scratch_store_dwordx4 off, v[2:5], s19
	s_waitcnt vmcnt(1)
	scratch_store_dwordx4 off, v[6:9], s0
.LBB98_230:
	global_load_dword v0, v0, s[8:9] offset:120
	s_waitcnt vmcnt(0)
	v_readfirstlane_b32 s0, v0
	s_add_i32 s0, s0, -1
	s_cmp_eq_u32 s0, 30
	s_cbranch_scc1 .LBB98_232
; %bb.231:
	s_lshl_b32 s0, s0, 4
	s_add_i32 s0, s0, 16
	scratch_load_dwordx4 v[0:3], off, s0
	scratch_load_dwordx4 v[4:7], off, s20
	s_waitcnt vmcnt(1)
	scratch_store_dwordx4 off, v[0:3], s20
	s_waitcnt vmcnt(1)
	scratch_store_dwordx4 off, v[4:7], s0
.LBB98_232:
	v_mov_b32_e32 v0, 0
	global_load_dword v1, v0, s[8:9] offset:116
	s_waitcnt vmcnt(0)
	v_readfirstlane_b32 s0, v1
	s_add_i32 s0, s0, -1
	s_cmp_eq_u32 s0, 29
	s_cbranch_scc1 .LBB98_234
; %bb.233:
	s_lshl_b32 s0, s0, 4
	s_add_i32 s0, s0, 16
	scratch_load_dwordx4 v[2:5], off, s0
	scratch_load_dwordx4 v[6:9], off, s21
	s_waitcnt vmcnt(1)
	scratch_store_dwordx4 off, v[2:5], s21
	s_waitcnt vmcnt(1)
	scratch_store_dwordx4 off, v[6:9], s0
.LBB98_234:
	;; [unrolled: 33-line block ×16, first 2 shown]
	global_load_dword v0, v0, s[8:9]
	s_waitcnt vmcnt(0)
	v_readfirstlane_b32 s0, v0
	s_add_i32 s0, s0, -1
	s_cmp_eq_u32 s0, 0
	s_cbranch_scc1 .LBB98_292
; %bb.291:
	s_lshl_b32 s0, s0, 4
	s_add_i32 s0, s0, 16
	scratch_load_dwordx4 v[0:3], off, s0
	scratch_load_dwordx4 v[4:7], off, off offset:16
	s_waitcnt vmcnt(1)
	scratch_store_dwordx4 off, v[0:3], off offset:16
	s_waitcnt vmcnt(1)
	scratch_store_dwordx4 off, v[4:7], s0
.LBB98_292:
	scratch_load_dwordx4 v[0:3], off, off offset:16
	s_nop 0
	v_accvgpr_read_b32 v5, a1
	v_accvgpr_read_b32 v4, a0
	s_waitcnt vmcnt(0)
	flat_store_dwordx4 v[240:241], v[0:3]
	scratch_load_dwordx4 v[0:3], off, s50
	s_waitcnt vmcnt(0)
	flat_store_dwordx4 v[4:5], v[0:3]
	scratch_load_dwordx4 v[0:3], off, s49
	v_accvgpr_read_b32 v5, a3
	v_accvgpr_read_b32 v4, a2
	s_waitcnt vmcnt(0)
	flat_store_dwordx4 v[4:5], v[0:3]
	scratch_load_dwordx4 v[0:3], off, s48
	v_accvgpr_read_b32 v4, a4
	v_accvgpr_read_b32 v5, a5
	;; [unrolled: 5-line block ×31, first 2 shown]
	s_waitcnt vmcnt(0)
	flat_store_dwordx4 v[4:5], v[0:3]
	scratch_load_dwordx4 v[0:3], off, s17
	s_waitcnt vmcnt(0)
	flat_store_dwordx4 v[250:251], v[0:3]
	scratch_load_dwordx4 v[0:3], off, s16
	s_waitcnt vmcnt(0)
	flat_store_dwordx4 v[252:253], v[0:3]
	s_endpgm
	.section	.rodata,"a",@progbits
	.p2align	6, 0x0
	.amdhsa_kernel _ZN9rocsolver6v33100L18getri_kernel_smallILi35E19rocblas_complex_numIdEPKPS3_EEvT1_iilPiilS8_bb
		.amdhsa_group_segment_fixed_size 1128
		.amdhsa_private_segment_fixed_size 592
		.amdhsa_kernarg_size 60
		.amdhsa_user_sgpr_count 2
		.amdhsa_user_sgpr_dispatch_ptr 0
		.amdhsa_user_sgpr_queue_ptr 0
		.amdhsa_user_sgpr_kernarg_segment_ptr 1
		.amdhsa_user_sgpr_dispatch_id 0
		.amdhsa_user_sgpr_kernarg_preload_length 0
		.amdhsa_user_sgpr_kernarg_preload_offset 0
		.amdhsa_user_sgpr_private_segment_size 0
		.amdhsa_uses_dynamic_stack 0
		.amdhsa_enable_private_segment 1
		.amdhsa_system_sgpr_workgroup_id_x 1
		.amdhsa_system_sgpr_workgroup_id_y 0
		.amdhsa_system_sgpr_workgroup_id_z 0
		.amdhsa_system_sgpr_workgroup_info 0
		.amdhsa_system_vgpr_workitem_id 0
		.amdhsa_next_free_vgpr 320
		.amdhsa_next_free_sgpr 62
		.amdhsa_accum_offset 256
		.amdhsa_reserve_vcc 1
		.amdhsa_float_round_mode_32 0
		.amdhsa_float_round_mode_16_64 0
		.amdhsa_float_denorm_mode_32 3
		.amdhsa_float_denorm_mode_16_64 3
		.amdhsa_dx10_clamp 1
		.amdhsa_ieee_mode 1
		.amdhsa_fp16_overflow 0
		.amdhsa_tg_split 0
		.amdhsa_exception_fp_ieee_invalid_op 0
		.amdhsa_exception_fp_denorm_src 0
		.amdhsa_exception_fp_ieee_div_zero 0
		.amdhsa_exception_fp_ieee_overflow 0
		.amdhsa_exception_fp_ieee_underflow 0
		.amdhsa_exception_fp_ieee_inexact 0
		.amdhsa_exception_int_div_zero 0
	.end_amdhsa_kernel
	.section	.text._ZN9rocsolver6v33100L18getri_kernel_smallILi35E19rocblas_complex_numIdEPKPS3_EEvT1_iilPiilS8_bb,"axG",@progbits,_ZN9rocsolver6v33100L18getri_kernel_smallILi35E19rocblas_complex_numIdEPKPS3_EEvT1_iilPiilS8_bb,comdat
.Lfunc_end98:
	.size	_ZN9rocsolver6v33100L18getri_kernel_smallILi35E19rocblas_complex_numIdEPKPS3_EEvT1_iilPiilS8_bb, .Lfunc_end98-_ZN9rocsolver6v33100L18getri_kernel_smallILi35E19rocblas_complex_numIdEPKPS3_EEvT1_iilPiilS8_bb
                                        ; -- End function
	.set _ZN9rocsolver6v33100L18getri_kernel_smallILi35E19rocblas_complex_numIdEPKPS3_EEvT1_iilPiilS8_bb.num_vgpr, 256
	.set _ZN9rocsolver6v33100L18getri_kernel_smallILi35E19rocblas_complex_numIdEPKPS3_EEvT1_iilPiilS8_bb.num_agpr, 64
	.set _ZN9rocsolver6v33100L18getri_kernel_smallILi35E19rocblas_complex_numIdEPKPS3_EEvT1_iilPiilS8_bb.numbered_sgpr, 62
	.set _ZN9rocsolver6v33100L18getri_kernel_smallILi35E19rocblas_complex_numIdEPKPS3_EEvT1_iilPiilS8_bb.num_named_barrier, 0
	.set _ZN9rocsolver6v33100L18getri_kernel_smallILi35E19rocblas_complex_numIdEPKPS3_EEvT1_iilPiilS8_bb.private_seg_size, 592
	.set _ZN9rocsolver6v33100L18getri_kernel_smallILi35E19rocblas_complex_numIdEPKPS3_EEvT1_iilPiilS8_bb.uses_vcc, 1
	.set _ZN9rocsolver6v33100L18getri_kernel_smallILi35E19rocblas_complex_numIdEPKPS3_EEvT1_iilPiilS8_bb.uses_flat_scratch, 0
	.set _ZN9rocsolver6v33100L18getri_kernel_smallILi35E19rocblas_complex_numIdEPKPS3_EEvT1_iilPiilS8_bb.has_dyn_sized_stack, 0
	.set _ZN9rocsolver6v33100L18getri_kernel_smallILi35E19rocblas_complex_numIdEPKPS3_EEvT1_iilPiilS8_bb.has_recursion, 0
	.set _ZN9rocsolver6v33100L18getri_kernel_smallILi35E19rocblas_complex_numIdEPKPS3_EEvT1_iilPiilS8_bb.has_indirect_call, 0
	.section	.AMDGPU.csdata,"",@progbits
; Kernel info:
; codeLenInByte = 55664
; TotalNumSgprs: 68
; NumVgprs: 256
; NumAgprs: 64
; TotalNumVgprs: 320
; ScratchSize: 592
; MemoryBound: 0
; FloatMode: 240
; IeeeMode: 1
; LDSByteSize: 1128 bytes/workgroup (compile time only)
; SGPRBlocks: 8
; VGPRBlocks: 39
; NumSGPRsForWavesPerEU: 68
; NumVGPRsForWavesPerEU: 320
; AccumOffset: 256
; Occupancy: 1
; WaveLimiterHint : 1
; COMPUTE_PGM_RSRC2:SCRATCH_EN: 1
; COMPUTE_PGM_RSRC2:USER_SGPR: 2
; COMPUTE_PGM_RSRC2:TRAP_HANDLER: 0
; COMPUTE_PGM_RSRC2:TGID_X_EN: 1
; COMPUTE_PGM_RSRC2:TGID_Y_EN: 0
; COMPUTE_PGM_RSRC2:TGID_Z_EN: 0
; COMPUTE_PGM_RSRC2:TIDIG_COMP_CNT: 0
; COMPUTE_PGM_RSRC3_GFX90A:ACCUM_OFFSET: 63
; COMPUTE_PGM_RSRC3_GFX90A:TG_SPLIT: 0
	.section	.text._ZN9rocsolver6v33100L18getri_kernel_smallILi36E19rocblas_complex_numIdEPKPS3_EEvT1_iilPiilS8_bb,"axG",@progbits,_ZN9rocsolver6v33100L18getri_kernel_smallILi36E19rocblas_complex_numIdEPKPS3_EEvT1_iilPiilS8_bb,comdat
	.globl	_ZN9rocsolver6v33100L18getri_kernel_smallILi36E19rocblas_complex_numIdEPKPS3_EEvT1_iilPiilS8_bb ; -- Begin function _ZN9rocsolver6v33100L18getri_kernel_smallILi36E19rocblas_complex_numIdEPKPS3_EEvT1_iilPiilS8_bb
	.p2align	8
	.type	_ZN9rocsolver6v33100L18getri_kernel_smallILi36E19rocblas_complex_numIdEPKPS3_EEvT1_iilPiilS8_bb,@function
_ZN9rocsolver6v33100L18getri_kernel_smallILi36E19rocblas_complex_numIdEPKPS3_EEvT1_iilPiilS8_bb: ; @_ZN9rocsolver6v33100L18getri_kernel_smallILi36E19rocblas_complex_numIdEPKPS3_EEvT1_iilPiilS8_bb
; %bb.0:
	v_cmp_gt_u32_e32 vcc, 36, v0
	s_and_saveexec_b64 s[4:5], vcc
	s_cbranch_execz .LBB99_158
; %bb.1:
	s_load_dword s14, s[0:1], 0x38
	s_load_dwordx2 s[8:9], s[0:1], 0x0
	s_load_dwordx4 s[4:7], s[0:1], 0x28
	s_waitcnt lgkmcnt(0)
	s_bitcmp1_b32 s14, 8
	s_cselect_b64 s[10:11], -1, 0
	s_ashr_i32 s3, s2, 31
	s_lshl_b64 s[12:13], s[2:3], 3
	s_add_u32 s8, s8, s12
	s_addc_u32 s9, s9, s13
	s_load_dwordx2 s[12:13], s[8:9], 0x0
	s_bfe_u32 s8, s14, 0x10008
	s_cmp_eq_u32 s8, 0
                                        ; implicit-def: $sgpr8_sgpr9
	s_cbranch_scc1 .LBB99_3
; %bb.2:
	s_load_dword s8, s[0:1], 0x20
	s_load_dwordx2 s[14:15], s[0:1], 0x18
	s_mul_i32 s9, s4, s3
	s_mul_hi_u32 s16, s4, s2
	s_add_i32 s16, s16, s9
	s_mul_i32 s5, s5, s2
	s_add_i32 s5, s16, s5
	s_mul_i32 s4, s4, s2
	s_waitcnt lgkmcnt(0)
	s_ashr_i32 s9, s8, 31
	s_lshl_b64 s[4:5], s[4:5], 2
	s_add_u32 s14, s14, s4
	s_addc_u32 s15, s15, s5
	s_lshl_b64 s[4:5], s[8:9], 2
	s_add_u32 s8, s14, s4
	s_addc_u32 s9, s15, s5
.LBB99_3:
	s_load_dwordx2 s[4:5], s[0:1], 0x8
	s_load_dword s14, s[0:1], 0x38
	v_lshlrev_b32_e32 v14, 4, v0
	v_mov_b32_e32 v15, 0
	s_movk_i32 s15, 0xb0
	s_waitcnt lgkmcnt(0)
	s_ashr_i32 s1, s4, 31
	s_mov_b32 s0, s4
	s_lshl_b64 s[0:1], s[0:1], 4
	s_add_u32 s0, s12, s0
	s_addc_u32 s1, s13, s1
	v_lshl_add_u64 v[240:241], s[0:1], 0, v[14:15]
	flat_load_dwordx4 v[2:5], v[240:241]
	s_mov_b32 s12, s5
	s_ashr_i32 s13, s5, 31
	v_lshl_add_u64 v[6:7], s[12:13], 4, v[240:241]
	v_accvgpr_write_b32 a0, v6
	s_add_i32 s4, s5, s5
	v_accvgpr_write_b32 a1, v7
	s_movk_i32 s12, 0x90
	s_movk_i32 s13, 0xa0
	;; [unrolled: 1-line block ×26, first 2 shown]
	s_add_i32 s43, s12, 16
	s_add_i32 s42, s13, 16
	;; [unrolled: 1-line block ×27, first 2 shown]
	s_mov_b32 s51, 32
	s_mov_b32 s50, 48
	;; [unrolled: 1-line block ×3, first 2 shown]
	s_movk_i32 s48, 0x50
	s_waitcnt vmcnt(0) lgkmcnt(0)
	scratch_store_dwordx4 off, v[2:5], off offset:16
	flat_load_dwordx4 v[2:5], v[6:7]
	v_add_u32_e32 v6, s4, v0
	v_ashrrev_i32_e32 v7, 31, v6
	v_lshl_add_u64 v[8:9], v[6:7], 4, s[0:1]
	v_add_u32_e32 v6, s5, v6
	v_accvgpr_write_b32 a2, v8
	v_ashrrev_i32_e32 v7, 31, v6
	v_accvgpr_write_b32 a3, v9
	s_movk_i32 s4, 0x70
	s_add_i32 s45, s4, 16
	s_waitcnt vmcnt(0) lgkmcnt(0)
	scratch_store_dwordx4 off, v[2:5], off offset:32
	flat_load_dwordx4 v[2:5], v[8:9]
	v_lshl_add_u64 v[8:9], v[6:7], 4, s[0:1]
	v_add_u32_e32 v6, s5, v6
	v_accvgpr_write_b32 a4, v8
	v_ashrrev_i32_e32 v7, 31, v6
	v_accvgpr_write_b32 a5, v9
	s_waitcnt vmcnt(0) lgkmcnt(0)
	scratch_store_dwordx4 off, v[2:5], off offset:48
	flat_load_dwordx4 v[2:5], v[8:9]
	v_lshl_add_u64 v[8:9], v[6:7], 4, s[0:1]
	v_add_u32_e32 v6, s5, v6
	v_accvgpr_write_b32 a6, v8
	v_ashrrev_i32_e32 v7, 31, v6
	v_accvgpr_write_b32 a7, v9
	;; [unrolled: 8-line block ×31, first 2 shown]
	s_waitcnt vmcnt(0) lgkmcnt(0)
	scratch_store_dwordx4 off, v[2:5], off offset:528
	flat_load_dwordx4 v[2:5], v[8:9]
	v_lshl_add_u64 v[8:9], v[6:7], 4, s[0:1]
	v_add_u32_e32 v6, s5, v6
	v_ashrrev_i32_e32 v7, 31, v6
	v_lshl_add_u64 v[6:7], v[6:7], 4, s[0:1]
	s_movk_i32 s0, 0x50
	s_movk_i32 s1, 0x60
	;; [unrolled: 1-line block ×3, first 2 shown]
	v_accvgpr_write_b32 a67, v9
	v_accvgpr_write_b32 a69, v7
	s_add_i32 s47, s0, 16
	s_add_i32 s46, s1, 16
	;; [unrolled: 1-line block ×3, first 2 shown]
	v_accvgpr_write_b32 a66, v8
	v_accvgpr_write_b32 a68, v6
	s_bitcmp0_b32 s14, 0
	s_mov_b64 s[4:5], -1
	s_waitcnt vmcnt(0) lgkmcnt(0)
	scratch_store_dwordx4 off, v[2:5], off offset:544
	flat_load_dwordx4 v[2:5], v[8:9]
	s_waitcnt vmcnt(0) lgkmcnt(0)
	scratch_store_dwordx4 off, v[2:5], off offset:560
	flat_load_dwordx4 v[2:5], v[6:7]
	s_waitcnt vmcnt(0) lgkmcnt(0)
	scratch_store_dwordx4 off, v[2:5], off offset:576
	s_cbranch_scc1 .LBB99_156
; %bb.4:
	v_cmp_eq_u32_e64 s[0:1], 0, v0
	s_and_saveexec_b64 s[4:5], s[0:1]
; %bb.5:
	v_mov_b32_e32 v1, 0
	ds_write_b32 v1, v1 offset:1152
; %bb.6:
	s_or_b64 exec, exec, s[4:5]
	s_waitcnt lgkmcnt(0)
	; wave barrier
	scratch_load_dwordx4 v[2:5], v14, off offset:16
	s_waitcnt vmcnt(0)
	v_cmp_eq_f64_e32 vcc, 0, v[2:3]
	v_cmp_eq_f64_e64 s[4:5], 0, v[4:5]
	s_and_b64 s[4:5], vcc, s[4:5]
	s_and_saveexec_b64 s[12:13], s[4:5]
	s_cbranch_execz .LBB99_10
; %bb.7:
	v_mov_b32_e32 v1, 0
	ds_read_b32 v3, v1 offset:1152
	v_add_u32_e32 v2, 1, v0
	s_waitcnt lgkmcnt(0)
	v_readfirstlane_b32 s4, v3
	s_cmp_eq_u32 s4, 0
	s_cselect_b64 s[14:15], -1, 0
	v_cmp_gt_i32_e32 vcc, s4, v2
	s_or_b64 s[14:15], s[14:15], vcc
	s_and_b64 exec, exec, s[14:15]
	s_cbranch_execz .LBB99_10
; %bb.8:
	s_mov_b64 s[14:15], 0
	v_mov_b32_e32 v3, s4
.LBB99_9:                               ; =>This Inner Loop Header: Depth=1
	ds_cmpst_rtn_b32 v3, v1, v3, v2 offset:1152
	s_waitcnt lgkmcnt(0)
	v_cmp_ne_u32_e32 vcc, 0, v3
	v_cmp_le_i32_e64 s[4:5], v3, v2
	s_and_b64 s[4:5], vcc, s[4:5]
	s_and_b64 s[4:5], exec, s[4:5]
	s_or_b64 s[14:15], s[4:5], s[14:15]
	s_andn2_b64 exec, exec, s[14:15]
	s_cbranch_execnz .LBB99_9
.LBB99_10:
	s_or_b64 exec, exec, s[12:13]
	v_mov_b32_e32 v2, 0
	; wave barrier
	ds_read_b32 v1, v2 offset:1152
	s_and_saveexec_b64 s[4:5], s[0:1]
	s_cbranch_execz .LBB99_12
; %bb.11:
	s_lshl_b64 s[12:13], s[2:3], 2
	s_add_u32 s12, s6, s12
	s_addc_u32 s13, s7, s13
	s_waitcnt lgkmcnt(0)
	global_store_dword v2, v1, s[12:13]
.LBB99_12:
	s_or_b64 exec, exec, s[4:5]
	s_waitcnt lgkmcnt(0)
	v_cmp_ne_u32_e32 vcc, 0, v1
	s_mov_b64 s[4:5], 0
	s_cbranch_vccnz .LBB99_156
; %bb.13:
	v_add_u32_e32 v15, 16, v14
	scratch_load_dwordx4 v[2:5], v15, off
                                        ; implicit-def: $vgpr6_vgpr7
                                        ; implicit-def: $vgpr10_vgpr11
	s_waitcnt vmcnt(0)
	v_cmp_ngt_f64_e64 s[4:5], |v[2:3]|, |v[4:5]|
	s_and_saveexec_b64 s[12:13], s[4:5]
	s_xor_b64 s[4:5], exec, s[12:13]
	s_cbranch_execz .LBB99_15
; %bb.14:
	v_div_scale_f64 v[6:7], s[12:13], v[4:5], v[4:5], v[2:3]
	v_rcp_f64_e32 v[8:9], v[6:7]
	v_div_scale_f64 v[10:11], vcc, v[2:3], v[4:5], v[2:3]
	v_fma_f64 v[12:13], -v[6:7], v[8:9], 1.0
	v_fmac_f64_e32 v[8:9], v[8:9], v[12:13]
	v_fma_f64 v[12:13], -v[6:7], v[8:9], 1.0
	v_fmac_f64_e32 v[8:9], v[8:9], v[12:13]
	v_mul_f64 v[12:13], v[10:11], v[8:9]
	v_fma_f64 v[6:7], -v[6:7], v[12:13], v[10:11]
	v_div_fmas_f64 v[6:7], v[6:7], v[8:9], v[12:13]
	v_div_fixup_f64 v[6:7], v[6:7], v[4:5], v[2:3]
	v_fmac_f64_e32 v[4:5], v[2:3], v[6:7]
	v_div_scale_f64 v[2:3], s[12:13], v[4:5], v[4:5], 1.0
	v_rcp_f64_e32 v[8:9], v[2:3]
	s_nop 0
	v_fma_f64 v[10:11], -v[2:3], v[8:9], 1.0
	v_fmac_f64_e32 v[8:9], v[8:9], v[10:11]
	v_fma_f64 v[10:11], -v[2:3], v[8:9], 1.0
	v_fmac_f64_e32 v[8:9], v[8:9], v[10:11]
	v_div_scale_f64 v[10:11], vcc, 1.0, v[4:5], 1.0
	v_mul_f64 v[12:13], v[10:11], v[8:9]
	v_fma_f64 v[2:3], -v[2:3], v[12:13], v[10:11]
	s_nop 1
	v_div_fmas_f64 v[2:3], v[2:3], v[8:9], v[12:13]
	v_div_fixup_f64 v[8:9], v[2:3], v[4:5], 1.0
	v_mul_f64 v[6:7], v[6:7], v[8:9]
	v_xor_b32_e32 v9, 0x80000000, v9
	v_xor_b32_e32 v11, 0x80000000, v7
	v_mov_b32_e32 v10, v6
                                        ; implicit-def: $vgpr2_vgpr3
.LBB99_15:
	s_andn2_saveexec_b64 s[4:5], s[4:5]
	s_cbranch_execz .LBB99_17
; %bb.16:
	v_div_scale_f64 v[6:7], s[12:13], v[2:3], v[2:3], v[4:5]
	v_rcp_f64_e32 v[8:9], v[6:7]
	v_div_scale_f64 v[10:11], vcc, v[4:5], v[2:3], v[4:5]
	v_fma_f64 v[12:13], -v[6:7], v[8:9], 1.0
	v_fmac_f64_e32 v[8:9], v[8:9], v[12:13]
	v_fma_f64 v[12:13], -v[6:7], v[8:9], 1.0
	v_fmac_f64_e32 v[8:9], v[8:9], v[12:13]
	v_mul_f64 v[12:13], v[10:11], v[8:9]
	v_fma_f64 v[6:7], -v[6:7], v[12:13], v[10:11]
	v_div_fmas_f64 v[6:7], v[6:7], v[8:9], v[12:13]
	v_div_fixup_f64 v[8:9], v[6:7], v[2:3], v[4:5]
	v_fmac_f64_e32 v[2:3], v[4:5], v[8:9]
	v_div_scale_f64 v[4:5], s[12:13], v[2:3], v[2:3], 1.0
	v_rcp_f64_e32 v[6:7], v[4:5]
	s_nop 0
	v_fma_f64 v[10:11], -v[4:5], v[6:7], 1.0
	v_fmac_f64_e32 v[6:7], v[6:7], v[10:11]
	v_fma_f64 v[10:11], -v[4:5], v[6:7], 1.0
	v_fmac_f64_e32 v[6:7], v[6:7], v[10:11]
	v_div_scale_f64 v[10:11], vcc, 1.0, v[2:3], 1.0
	v_mul_f64 v[12:13], v[10:11], v[6:7]
	v_fma_f64 v[4:5], -v[4:5], v[12:13], v[10:11]
	s_nop 1
	v_div_fmas_f64 v[4:5], v[4:5], v[6:7], v[12:13]
	v_div_fixup_f64 v[6:7], v[4:5], v[2:3], 1.0
	v_xor_b32_e32 v11, 0x80000000, v7
	v_mov_b32_e32 v10, v6
	v_mul_f64 v[8:9], v[8:9], -v[6:7]
.LBB99_17:
	s_or_b64 exec, exec, s[4:5]
	scratch_store_dwordx4 v15, v[6:9], off
	scratch_load_dwordx4 v[2:5], off, s51
	v_xor_b32_e32 v13, 0x80000000, v9
	v_mov_b32_e32 v12, v8
	v_add_u32_e32 v1, 0x240, v14
	ds_write_b128 v14, v[10:13]
	s_waitcnt vmcnt(0)
	ds_write_b128 v14, v[2:5] offset:576
	s_waitcnt lgkmcnt(0)
	; wave barrier
	s_and_saveexec_b64 s[4:5], s[0:1]
	s_cbranch_execz .LBB99_19
; %bb.18:
	scratch_load_dwordx4 v[2:5], v15, off
	ds_read_b128 v[6:9], v1
	v_mov_b32_e32 v10, 0
	ds_read_b128 v[10:13], v10 offset:16
	s_waitcnt vmcnt(0) lgkmcnt(1)
	v_mul_f64 v[16:17], v[8:9], v[4:5]
	v_mul_f64 v[4:5], v[6:7], v[4:5]
	v_fma_f64 v[6:7], v[6:7], v[2:3], -v[16:17]
	v_fmac_f64_e32 v[4:5], v[8:9], v[2:3]
	v_add_f64 v[2:3], v[6:7], 0
	v_add_f64 v[6:7], v[4:5], 0
	s_waitcnt lgkmcnt(0)
	v_mul_f64 v[8:9], v[6:7], v[12:13]
	v_mul_f64 v[4:5], v[2:3], v[12:13]
	v_fma_f64 v[2:3], v[2:3], v[10:11], -v[8:9]
	v_fmac_f64_e32 v[4:5], v[6:7], v[10:11]
	scratch_store_dwordx4 off, v[2:5], off offset:32
.LBB99_19:
	s_or_b64 exec, exec, s[4:5]
	; wave barrier
	scratch_load_dwordx4 v[2:5], off, s50
	v_cmp_gt_u32_e32 vcc, 2, v0
	s_waitcnt vmcnt(0)
	ds_write_b128 v1, v[2:5]
	s_waitcnt lgkmcnt(0)
	; wave barrier
	s_and_saveexec_b64 s[4:5], vcc
	s_cbranch_execz .LBB99_23
; %bb.20:
	scratch_load_dwordx4 v[2:5], v15, off
	ds_read_b128 v[6:9], v1
	s_waitcnt vmcnt(0) lgkmcnt(0)
	v_mul_f64 v[10:11], v[8:9], v[4:5]
	v_mul_f64 v[12:13], v[6:7], v[4:5]
	v_fma_f64 v[4:5], v[6:7], v[2:3], -v[10:11]
	v_fmac_f64_e32 v[12:13], v[8:9], v[2:3]
	v_add_f64 v[4:5], v[4:5], 0
	v_add_f64 v[2:3], v[12:13], 0
	s_and_saveexec_b64 s[12:13], s[0:1]
	s_cbranch_execz .LBB99_22
; %bb.21:
	scratch_load_dwordx4 v[6:9], off, off offset:32
	v_mov_b32_e32 v10, 0
	ds_read_b128 v[10:13], v10 offset:592
	s_waitcnt vmcnt(0) lgkmcnt(0)
	v_mul_f64 v[16:17], v[10:11], v[8:9]
	v_mul_f64 v[8:9], v[12:13], v[8:9]
	v_fmac_f64_e32 v[16:17], v[12:13], v[6:7]
	v_fma_f64 v[6:7], v[10:11], v[6:7], -v[8:9]
	v_add_f64 v[2:3], v[2:3], v[16:17]
	v_add_f64 v[4:5], v[4:5], v[6:7]
.LBB99_22:
	s_or_b64 exec, exec, s[12:13]
	v_mov_b32_e32 v6, 0
	ds_read_b128 v[6:9], v6 offset:32
	s_waitcnt lgkmcnt(0)
	v_mul_f64 v[12:13], v[2:3], v[8:9]
	v_mul_f64 v[10:11], v[4:5], v[8:9]
	v_fma_f64 v[8:9], v[4:5], v[6:7], -v[12:13]
	v_fmac_f64_e32 v[10:11], v[2:3], v[6:7]
	scratch_store_dwordx4 off, v[8:11], off offset:48
.LBB99_23:
	s_or_b64 exec, exec, s[4:5]
	; wave barrier
	scratch_load_dwordx4 v[2:5], off, s49
	v_cmp_gt_u32_e32 vcc, 3, v0
	v_add_u32_e32 v6, -1, v0
	s_waitcnt vmcnt(0)
	ds_write_b128 v1, v[2:5]
	s_waitcnt lgkmcnt(0)
	; wave barrier
	s_and_saveexec_b64 s[0:1], vcc
	s_cbranch_execz .LBB99_27
; %bb.24:
	v_add_u32_e32 v7, -1, v0
	v_add_u32_e32 v8, 0x240, v14
	v_add_u32_e32 v9, 16, v14
	v_mov_b64_e32 v[2:3], 0
	s_mov_b64 s[4:5], 0
	v_mov_b64_e32 v[4:5], 0
.LBB99_25:                              ; =>This Inner Loop Header: Depth=1
	scratch_load_dwordx4 v[10:13], v9, off
	ds_read_b128 v[16:19], v8
	v_add_u32_e32 v7, 1, v7
	v_cmp_lt_u32_e32 vcc, 1, v7
	v_add_u32_e32 v8, 16, v8
	v_add_u32_e32 v9, 16, v9
	s_or_b64 s[4:5], vcc, s[4:5]
	s_waitcnt vmcnt(0) lgkmcnt(0)
	v_mul_f64 v[20:21], v[18:19], v[12:13]
	v_mul_f64 v[12:13], v[16:17], v[12:13]
	v_fma_f64 v[16:17], v[16:17], v[10:11], -v[20:21]
	v_fmac_f64_e32 v[12:13], v[18:19], v[10:11]
	v_add_f64 v[4:5], v[4:5], v[16:17]
	v_add_f64 v[2:3], v[2:3], v[12:13]
	s_andn2_b64 exec, exec, s[4:5]
	s_cbranch_execnz .LBB99_25
; %bb.26:
	s_or_b64 exec, exec, s[4:5]
	v_mov_b32_e32 v7, 0
	ds_read_b128 v[8:11], v7 offset:48
	s_waitcnt lgkmcnt(0)
	v_mul_f64 v[16:17], v[2:3], v[10:11]
	v_mul_f64 v[12:13], v[4:5], v[10:11]
	v_fma_f64 v[10:11], v[4:5], v[8:9], -v[16:17]
	v_fmac_f64_e32 v[12:13], v[2:3], v[8:9]
	scratch_store_dwordx4 off, v[10:13], off offset:64
.LBB99_27:
	s_or_b64 exec, exec, s[0:1]
	; wave barrier
	scratch_load_dwordx4 v[2:5], off, s48
	v_cmp_gt_u32_e32 vcc, 4, v0
	s_waitcnt vmcnt(0)
	ds_write_b128 v1, v[2:5]
	s_waitcnt lgkmcnt(0)
	; wave barrier
	s_and_saveexec_b64 s[0:1], vcc
	s_cbranch_execz .LBB99_31
; %bb.28:
	v_add_u32_e32 v7, -1, v0
	v_add_u32_e32 v8, 0x240, v14
	v_add_u32_e32 v9, 16, v14
	v_mov_b64_e32 v[2:3], 0
	s_mov_b64 s[4:5], 0
	v_mov_b64_e32 v[4:5], 0
.LBB99_29:                              ; =>This Inner Loop Header: Depth=1
	scratch_load_dwordx4 v[10:13], v9, off
	ds_read_b128 v[16:19], v8
	v_add_u32_e32 v7, 1, v7
	v_cmp_lt_u32_e32 vcc, 2, v7
	v_add_u32_e32 v8, 16, v8
	v_add_u32_e32 v9, 16, v9
	s_or_b64 s[4:5], vcc, s[4:5]
	s_waitcnt vmcnt(0) lgkmcnt(0)
	v_mul_f64 v[20:21], v[18:19], v[12:13]
	v_mul_f64 v[12:13], v[16:17], v[12:13]
	v_fma_f64 v[16:17], v[16:17], v[10:11], -v[20:21]
	v_fmac_f64_e32 v[12:13], v[18:19], v[10:11]
	v_add_f64 v[4:5], v[4:5], v[16:17]
	v_add_f64 v[2:3], v[2:3], v[12:13]
	s_andn2_b64 exec, exec, s[4:5]
	s_cbranch_execnz .LBB99_29
; %bb.30:
	s_or_b64 exec, exec, s[4:5]
	v_mov_b32_e32 v7, 0
	ds_read_b128 v[8:11], v7 offset:64
	s_waitcnt lgkmcnt(0)
	v_mul_f64 v[16:17], v[2:3], v[10:11]
	v_mul_f64 v[12:13], v[4:5], v[10:11]
	v_fma_f64 v[10:11], v[4:5], v[8:9], -v[16:17]
	v_fmac_f64_e32 v[12:13], v[2:3], v[8:9]
	scratch_store_dwordx4 off, v[10:13], off offset:80
.LBB99_31:
	s_or_b64 exec, exec, s[0:1]
	; wave barrier
	scratch_load_dwordx4 v[2:5], off, s47
	v_cmp_gt_u32_e32 vcc, 5, v0
	;; [unrolled: 45-line block ×19, first 2 shown]
	s_waitcnt vmcnt(0)
	ds_write_b128 v1, v[2:5]
	s_waitcnt lgkmcnt(0)
	; wave barrier
	s_and_saveexec_b64 s[0:1], vcc
	s_cbranch_execz .LBB99_103
; %bb.100:
	v_add_u32_e32 v7, -1, v0
	v_add_u32_e32 v8, 0x240, v14
	v_add_u32_e32 v9, 16, v14
	v_mov_b64_e32 v[2:3], 0
	s_mov_b64 s[4:5], 0
	v_mov_b64_e32 v[4:5], 0
.LBB99_101:                             ; =>This Inner Loop Header: Depth=1
	scratch_load_dwordx4 v[10:13], v9, off
	ds_read_b128 v[16:19], v8
	v_add_u32_e32 v7, 1, v7
	v_cmp_lt_u32_e32 vcc, 20, v7
	v_add_u32_e32 v8, 16, v8
	v_add_u32_e32 v9, 16, v9
	s_or_b64 s[4:5], vcc, s[4:5]
	s_waitcnt vmcnt(0) lgkmcnt(0)
	v_mul_f64 v[20:21], v[18:19], v[12:13]
	v_mul_f64 v[12:13], v[16:17], v[12:13]
	v_fma_f64 v[16:17], v[16:17], v[10:11], -v[20:21]
	v_fmac_f64_e32 v[12:13], v[18:19], v[10:11]
	v_add_f64 v[4:5], v[4:5], v[16:17]
	v_add_f64 v[2:3], v[2:3], v[12:13]
	s_andn2_b64 exec, exec, s[4:5]
	s_cbranch_execnz .LBB99_101
; %bb.102:
	s_or_b64 exec, exec, s[4:5]
	v_mov_b32_e32 v7, 0
	ds_read_b128 v[8:11], v7 offset:352
	s_waitcnt lgkmcnt(0)
	v_mul_f64 v[16:17], v[2:3], v[10:11]
	v_mul_f64 v[12:13], v[4:5], v[10:11]
	v_fma_f64 v[10:11], v[4:5], v[8:9], -v[16:17]
	v_fmac_f64_e32 v[12:13], v[2:3], v[8:9]
	scratch_store_dwordx4 off, v[10:13], off offset:368
.LBB99_103:
	s_or_b64 exec, exec, s[0:1]
	; wave barrier
	scratch_load_dwordx4 v[2:5], off, s28
	v_cmp_gt_u32_e32 vcc, 23, v0
	s_waitcnt vmcnt(0)
	ds_write_b128 v1, v[2:5]
	s_waitcnt lgkmcnt(0)
	; wave barrier
	s_and_saveexec_b64 s[0:1], vcc
	s_cbranch_execz .LBB99_107
; %bb.104:
	v_add_u32_e32 v7, -1, v0
	v_add_u32_e32 v8, 0x240, v14
	v_add_u32_e32 v9, 16, v14
	v_mov_b64_e32 v[2:3], 0
	s_mov_b64 s[4:5], 0
	v_mov_b64_e32 v[4:5], 0
.LBB99_105:                             ; =>This Inner Loop Header: Depth=1
	scratch_load_dwordx4 v[10:13], v9, off
	ds_read_b128 v[16:19], v8
	v_add_u32_e32 v7, 1, v7
	v_cmp_lt_u32_e32 vcc, 21, v7
	v_add_u32_e32 v8, 16, v8
	v_add_u32_e32 v9, 16, v9
	s_or_b64 s[4:5], vcc, s[4:5]
	s_waitcnt vmcnt(0) lgkmcnt(0)
	v_mul_f64 v[20:21], v[18:19], v[12:13]
	v_mul_f64 v[12:13], v[16:17], v[12:13]
	v_fma_f64 v[16:17], v[16:17], v[10:11], -v[20:21]
	v_fmac_f64_e32 v[12:13], v[18:19], v[10:11]
	v_add_f64 v[4:5], v[4:5], v[16:17]
	v_add_f64 v[2:3], v[2:3], v[12:13]
	s_andn2_b64 exec, exec, s[4:5]
	s_cbranch_execnz .LBB99_105
; %bb.106:
	s_or_b64 exec, exec, s[4:5]
	v_mov_b32_e32 v7, 0
	ds_read_b128 v[8:11], v7 offset:368
	s_waitcnt lgkmcnt(0)
	v_mul_f64 v[16:17], v[2:3], v[10:11]
	v_mul_f64 v[12:13], v[4:5], v[10:11]
	v_fma_f64 v[10:11], v[4:5], v[8:9], -v[16:17]
	v_fmac_f64_e32 v[12:13], v[2:3], v[8:9]
	scratch_store_dwordx4 off, v[10:13], off offset:384
.LBB99_107:
	s_or_b64 exec, exec, s[0:1]
	; wave barrier
	scratch_load_dwordx4 v[2:5], off, s27
	v_cmp_gt_u32_e32 vcc, 24, v0
	;; [unrolled: 45-line block ×12, first 2 shown]
	s_waitcnt vmcnt(0)
	ds_write_b128 v1, v[2:5]
	s_waitcnt lgkmcnt(0)
	; wave barrier
	s_and_saveexec_b64 s[0:1], vcc
	s_cbranch_execz .LBB99_151
; %bb.148:
	v_add_u32_e32 v7, -1, v0
	v_add_u32_e32 v8, 0x240, v14
	v_add_u32_e32 v9, 16, v14
	v_mov_b64_e32 v[2:3], 0
	s_mov_b64 s[4:5], 0
	v_mov_b64_e32 v[4:5], 0
.LBB99_149:                             ; =>This Inner Loop Header: Depth=1
	scratch_load_dwordx4 v[10:13], v9, off
	ds_read_b128 v[16:19], v8
	v_add_u32_e32 v7, 1, v7
	v_cmp_lt_u32_e32 vcc, 32, v7
	v_add_u32_e32 v8, 16, v8
	v_add_u32_e32 v9, 16, v9
	s_or_b64 s[4:5], vcc, s[4:5]
	s_waitcnt vmcnt(0) lgkmcnt(0)
	v_mul_f64 v[20:21], v[18:19], v[12:13]
	v_mul_f64 v[12:13], v[16:17], v[12:13]
	v_fma_f64 v[16:17], v[16:17], v[10:11], -v[20:21]
	v_fmac_f64_e32 v[12:13], v[18:19], v[10:11]
	v_add_f64 v[4:5], v[4:5], v[16:17]
	v_add_f64 v[2:3], v[2:3], v[12:13]
	s_andn2_b64 exec, exec, s[4:5]
	s_cbranch_execnz .LBB99_149
; %bb.150:
	s_or_b64 exec, exec, s[4:5]
	v_mov_b32_e32 v7, 0
	ds_read_b128 v[8:11], v7 offset:544
	s_waitcnt lgkmcnt(0)
	v_mul_f64 v[16:17], v[2:3], v[10:11]
	v_mul_f64 v[12:13], v[4:5], v[10:11]
	v_fma_f64 v[10:11], v[4:5], v[8:9], -v[16:17]
	v_fmac_f64_e32 v[12:13], v[2:3], v[8:9]
	scratch_store_dwordx4 off, v[10:13], off offset:560
.LBB99_151:
	s_or_b64 exec, exec, s[0:1]
	; wave barrier
	scratch_load_dwordx4 v[2:5], off, s16
	v_cmp_ne_u32_e32 vcc, 35, v0
	s_waitcnt vmcnt(0)
	ds_write_b128 v1, v[2:5]
	s_waitcnt lgkmcnt(0)
	; wave barrier
	s_and_saveexec_b64 s[0:1], vcc
	s_cbranch_execz .LBB99_155
; %bb.152:
	v_add_u32_e32 v1, 0x240, v14
	v_add_u32_e32 v7, 16, v14
	v_mov_b64_e32 v[2:3], 0
	s_mov_b64 s[4:5], 0
	v_mov_b64_e32 v[4:5], 0
.LBB99_153:                             ; =>This Inner Loop Header: Depth=1
	scratch_load_dwordx4 v[8:11], v7, off
	ds_read_b128 v[12:15], v1
	v_add_u32_e32 v6, 1, v6
	v_cmp_lt_u32_e32 vcc, 33, v6
	v_add_u32_e32 v1, 16, v1
	v_add_u32_e32 v7, 16, v7
	s_or_b64 s[4:5], vcc, s[4:5]
	s_waitcnt vmcnt(0) lgkmcnt(0)
	v_mul_f64 v[16:17], v[14:15], v[10:11]
	v_mul_f64 v[10:11], v[12:13], v[10:11]
	v_fma_f64 v[12:13], v[12:13], v[8:9], -v[16:17]
	v_fmac_f64_e32 v[10:11], v[14:15], v[8:9]
	v_add_f64 v[4:5], v[4:5], v[12:13]
	v_add_f64 v[2:3], v[2:3], v[10:11]
	s_andn2_b64 exec, exec, s[4:5]
	s_cbranch_execnz .LBB99_153
; %bb.154:
	s_or_b64 exec, exec, s[4:5]
	v_mov_b32_e32 v1, 0
	ds_read_b128 v[6:9], v1 offset:560
	s_waitcnt lgkmcnt(0)
	v_mul_f64 v[12:13], v[2:3], v[8:9]
	v_mul_f64 v[10:11], v[4:5], v[8:9]
	v_fma_f64 v[8:9], v[4:5], v[6:7], -v[12:13]
	v_fmac_f64_e32 v[10:11], v[2:3], v[6:7]
	scratch_store_dwordx4 off, v[8:11], off offset:576
.LBB99_155:
	s_or_b64 exec, exec, s[0:1]
	s_mov_b64 s[4:5], -1
	; wave barrier
.LBB99_156:
	s_and_b64 vcc, exec, s[4:5]
	s_cbranch_vccz .LBB99_158
; %bb.157:
	s_lshl_b64 s[0:1], s[2:3], 2
	s_add_u32 s0, s6, s0
	s_addc_u32 s1, s7, s1
	v_mov_b32_e32 v1, 0
	global_load_dword v1, v1, s[0:1]
	s_waitcnt vmcnt(0)
	v_cmp_ne_u32_e32 vcc, 0, v1
	s_cbranch_vccz .LBB99_159
.LBB99_158:
	s_endpgm
.LBB99_159:
	v_mov_b32_e32 v1, 0x240
	v_lshl_add_u32 v1, v0, 4, v1
	v_cmp_eq_u32_e32 vcc, 35, v0
	s_and_saveexec_b64 s[0:1], vcc
	s_cbranch_execz .LBB99_161
; %bb.160:
	scratch_load_dwordx4 v[2:5], off, s17
	v_mov_b32_e32 v6, 0
	v_mov_b32_e32 v7, v6
	;; [unrolled: 1-line block ×4, first 2 shown]
	scratch_store_dwordx4 off, v[6:9], off offset:560
	s_waitcnt vmcnt(1)
	ds_write_b128 v1, v[2:5]
.LBB99_161:
	s_or_b64 exec, exec, s[0:1]
	s_waitcnt lgkmcnt(0)
	; wave barrier
	scratch_load_dwordx4 v[4:7], off, off offset:576
	scratch_load_dwordx4 v[8:11], off, off offset:560
	v_mov_b32_e32 v2, 0
	ds_read_b128 v[12:15], v2 offset:1136
	v_cmp_lt_u32_e32 vcc, 33, v0
	s_waitcnt vmcnt(1) lgkmcnt(0)
	v_mul_f64 v[16:17], v[12:13], v[6:7]
	v_mul_f64 v[6:7], v[14:15], v[6:7]
	v_fmac_f64_e32 v[16:17], v[14:15], v[4:5]
	v_fma_f64 v[4:5], v[12:13], v[4:5], -v[6:7]
	v_add_f64 v[6:7], v[16:17], 0
	v_add_f64 v[4:5], v[4:5], 0
	s_waitcnt vmcnt(0)
	v_add_f64 v[4:5], v[8:9], -v[4:5]
	v_add_f64 v[6:7], v[10:11], -v[6:7]
	scratch_store_dwordx4 off, v[4:7], off offset:560
	s_and_saveexec_b64 s[0:1], vcc
	s_cbranch_execz .LBB99_163
; %bb.162:
	scratch_load_dwordx4 v[6:9], off, s18
	v_mov_b32_e32 v3, v2
	v_mov_b32_e32 v4, v2
	;; [unrolled: 1-line block ×3, first 2 shown]
	scratch_store_dwordx4 off, v[2:5], off offset:544
	s_waitcnt vmcnt(1)
	ds_write_b128 v1, v[6:9]
.LBB99_163:
	s_or_b64 exec, exec, s[0:1]
	s_waitcnt lgkmcnt(0)
	; wave barrier
	scratch_load_dwordx4 v[4:7], off, off offset:560
	scratch_load_dwordx4 v[8:11], off, off offset:576
	;; [unrolled: 1-line block ×3, first 2 shown]
	ds_read_b128 v[16:19], v2 offset:1120
	ds_read_b128 v[20:23], v2 offset:1136
	v_cmp_lt_u32_e32 vcc, 32, v0
	s_waitcnt vmcnt(2) lgkmcnt(1)
	v_mul_f64 v[2:3], v[16:17], v[6:7]
	v_mul_f64 v[6:7], v[18:19], v[6:7]
	s_waitcnt vmcnt(1) lgkmcnt(0)
	v_mul_f64 v[24:25], v[20:21], v[10:11]
	v_mul_f64 v[10:11], v[22:23], v[10:11]
	v_fmac_f64_e32 v[2:3], v[18:19], v[4:5]
	v_fma_f64 v[4:5], v[16:17], v[4:5], -v[6:7]
	v_fmac_f64_e32 v[24:25], v[22:23], v[8:9]
	v_fma_f64 v[6:7], v[20:21], v[8:9], -v[10:11]
	v_add_f64 v[2:3], v[2:3], 0
	v_add_f64 v[4:5], v[4:5], 0
	;; [unrolled: 1-line block ×4, first 2 shown]
	s_waitcnt vmcnt(0)
	v_add_f64 v[2:3], v[12:13], -v[2:3]
	v_add_f64 v[4:5], v[14:15], -v[8:9]
	scratch_store_dwordx4 off, v[2:5], off offset:544
	s_and_saveexec_b64 s[0:1], vcc
	s_cbranch_execz .LBB99_165
; %bb.164:
	scratch_load_dwordx4 v[2:5], off, s19
	v_mov_b32_e32 v6, 0
	v_mov_b32_e32 v7, v6
	;; [unrolled: 1-line block ×4, first 2 shown]
	scratch_store_dwordx4 off, v[6:9], off offset:528
	s_waitcnt vmcnt(1)
	ds_write_b128 v1, v[2:5]
.LBB99_165:
	s_or_b64 exec, exec, s[0:1]
	s_waitcnt lgkmcnt(0)
	; wave barrier
	scratch_load_dwordx4 v[4:7], off, off offset:544
	scratch_load_dwordx4 v[8:11], off, off offset:560
	;; [unrolled: 1-line block ×4, first 2 shown]
	v_mov_b32_e32 v2, 0
	ds_read_b128 v[20:23], v2 offset:1104
	ds_read_b128 v[24:27], v2 offset:1120
	;; [unrolled: 1-line block ×3, first 2 shown]
	v_cmp_lt_u32_e32 vcc, 31, v0
	s_waitcnt vmcnt(3) lgkmcnt(2)
	v_mul_f64 v[32:33], v[20:21], v[6:7]
	v_mul_f64 v[6:7], v[22:23], v[6:7]
	s_waitcnt vmcnt(2) lgkmcnt(1)
	v_mul_f64 v[34:35], v[24:25], v[10:11]
	v_mul_f64 v[10:11], v[26:27], v[10:11]
	v_fmac_f64_e32 v[32:33], v[22:23], v[4:5]
	v_fma_f64 v[4:5], v[20:21], v[4:5], -v[6:7]
	s_waitcnt vmcnt(1) lgkmcnt(0)
	v_mul_f64 v[36:37], v[28:29], v[14:15]
	v_mul_f64 v[14:15], v[30:31], v[14:15]
	v_fmac_f64_e32 v[34:35], v[26:27], v[8:9]
	v_fma_f64 v[6:7], v[24:25], v[8:9], -v[10:11]
	v_add_f64 v[10:11], v[32:33], 0
	v_add_f64 v[4:5], v[4:5], 0
	v_fmac_f64_e32 v[36:37], v[30:31], v[12:13]
	v_fma_f64 v[8:9], v[28:29], v[12:13], -v[14:15]
	v_add_f64 v[10:11], v[10:11], v[34:35]
	v_add_f64 v[4:5], v[4:5], v[6:7]
	;; [unrolled: 1-line block ×4, first 2 shown]
	s_waitcnt vmcnt(0)
	v_add_f64 v[4:5], v[16:17], -v[4:5]
	v_add_f64 v[6:7], v[18:19], -v[6:7]
	scratch_store_dwordx4 off, v[4:7], off offset:528
	s_and_saveexec_b64 s[0:1], vcc
	s_cbranch_execz .LBB99_167
; %bb.166:
	scratch_load_dwordx4 v[6:9], off, s20
	v_mov_b32_e32 v3, v2
	v_mov_b32_e32 v4, v2
	;; [unrolled: 1-line block ×3, first 2 shown]
	scratch_store_dwordx4 off, v[2:5], off offset:512
	s_waitcnt vmcnt(1)
	ds_write_b128 v1, v[6:9]
.LBB99_167:
	s_or_b64 exec, exec, s[0:1]
	s_waitcnt lgkmcnt(0)
	; wave barrier
	scratch_load_dwordx4 v[4:7], off, off offset:528
	scratch_load_dwordx4 v[8:11], off, off offset:544
	;; [unrolled: 1-line block ×5, first 2 shown]
	ds_read_b128 v[24:27], v2 offset:1088
	ds_read_b128 v[28:31], v2 offset:1104
	;; [unrolled: 1-line block ×4, first 2 shown]
	v_cmp_lt_u32_e32 vcc, 30, v0
	s_waitcnt vmcnt(4) lgkmcnt(3)
	v_mul_f64 v[2:3], v[24:25], v[6:7]
	v_mul_f64 v[6:7], v[26:27], v[6:7]
	s_waitcnt vmcnt(3) lgkmcnt(2)
	v_mul_f64 v[40:41], v[28:29], v[10:11]
	v_mul_f64 v[10:11], v[30:31], v[10:11]
	v_fmac_f64_e32 v[2:3], v[26:27], v[4:5]
	v_fma_f64 v[4:5], v[24:25], v[4:5], -v[6:7]
	s_waitcnt vmcnt(2) lgkmcnt(1)
	v_mul_f64 v[42:43], v[32:33], v[14:15]
	v_mul_f64 v[14:15], v[34:35], v[14:15]
	v_fmac_f64_e32 v[40:41], v[30:31], v[8:9]
	v_fma_f64 v[6:7], v[28:29], v[8:9], -v[10:11]
	v_add_f64 v[2:3], v[2:3], 0
	v_add_f64 v[4:5], v[4:5], 0
	s_waitcnt vmcnt(1) lgkmcnt(0)
	v_mul_f64 v[44:45], v[36:37], v[18:19]
	v_mul_f64 v[18:19], v[38:39], v[18:19]
	v_fmac_f64_e32 v[42:43], v[34:35], v[12:13]
	v_fma_f64 v[8:9], v[32:33], v[12:13], -v[14:15]
	v_add_f64 v[2:3], v[2:3], v[40:41]
	v_add_f64 v[4:5], v[4:5], v[6:7]
	v_fmac_f64_e32 v[44:45], v[38:39], v[16:17]
	v_fma_f64 v[10:11], v[36:37], v[16:17], -v[18:19]
	v_add_f64 v[2:3], v[2:3], v[42:43]
	v_add_f64 v[4:5], v[4:5], v[8:9]
	;; [unrolled: 1-line block ×4, first 2 shown]
	s_waitcnt vmcnt(0)
	v_add_f64 v[2:3], v[20:21], -v[2:3]
	v_add_f64 v[4:5], v[22:23], -v[6:7]
	scratch_store_dwordx4 off, v[2:5], off offset:512
	s_and_saveexec_b64 s[0:1], vcc
	s_cbranch_execz .LBB99_169
; %bb.168:
	scratch_load_dwordx4 v[2:5], off, s21
	v_mov_b32_e32 v6, 0
	v_mov_b32_e32 v7, v6
	;; [unrolled: 1-line block ×4, first 2 shown]
	scratch_store_dwordx4 off, v[6:9], off offset:496
	s_waitcnt vmcnt(1)
	ds_write_b128 v1, v[2:5]
.LBB99_169:
	s_or_b64 exec, exec, s[0:1]
	v_mov_b32_e32 v2, 0
	s_waitcnt lgkmcnt(0)
	; wave barrier
	ds_read_b128 v[4:7], v2 offset:1072
	ds_read_b128 v[8:11], v2 offset:1088
	;; [unrolled: 1-line block ×4, first 2 shown]
	scratch_load_dwordx4 v[20:23], off, off offset:512
	scratch_load_dwordx4 v[40:43], off, off offset:576
	v_cmp_lt_u32_e32 vcc, 29, v0
	s_waitcnt vmcnt(1) lgkmcnt(3)
	v_mul_f64 v[24:25], v[4:5], v[22:23]
	v_fmac_f64_e32 v[24:25], v[6:7], v[20:21]
	v_add_f64 v[28:29], v[24:25], 0
	scratch_load_dwordx4 v[24:27], off, off offset:528
	v_mul_f64 v[6:7], v[6:7], v[22:23]
	v_fma_f64 v[4:5], v[4:5], v[20:21], -v[6:7]
	v_add_f64 v[4:5], v[4:5], 0
	s_waitcnt vmcnt(0) lgkmcnt(2)
	v_mul_f64 v[30:31], v[8:9], v[26:27]
	v_fmac_f64_e32 v[30:31], v[10:11], v[24:25]
	v_add_f64 v[32:33], v[28:29], v[30:31]
	scratch_load_dwordx4 v[28:31], off, off offset:544
	v_mul_f64 v[6:7], v[10:11], v[26:27]
	v_fma_f64 v[6:7], v[8:9], v[24:25], -v[6:7]
	v_add_f64 v[4:5], v[4:5], v[6:7]
	;; [unrolled: 8-line block ×3, first 2 shown]
	s_waitcnt vmcnt(0) lgkmcnt(0)
	v_mul_f64 v[38:39], v[16:17], v[34:35]
	v_fmac_f64_e32 v[38:39], v[18:19], v[32:33]
	v_add_f64 v[44:45], v[36:37], v[38:39]
	ds_read_b128 v[36:39], v2 offset:1136
	v_mul_f64 v[6:7], v[18:19], v[34:35]
	v_fma_f64 v[6:7], v[16:17], v[32:33], -v[6:7]
	v_add_f64 v[4:5], v[4:5], v[6:7]
	s_waitcnt lgkmcnt(0)
	v_mul_f64 v[6:7], v[38:39], v[42:43]
	v_fma_f64 v[6:7], v[36:37], v[40:41], -v[6:7]
	v_add_f64 v[8:9], v[4:5], v[6:7]
	scratch_load_dwordx4 v[4:7], off, off offset:496
	v_mul_f64 v[46:47], v[36:37], v[42:43]
	v_fmac_f64_e32 v[46:47], v[38:39], v[40:41]
	v_add_f64 v[44:45], v[44:45], v[46:47]
	s_waitcnt vmcnt(0)
	v_add_f64 v[4:5], v[4:5], -v[8:9]
	v_add_f64 v[6:7], v[6:7], -v[44:45]
	scratch_store_dwordx4 off, v[4:7], off offset:496
	s_and_saveexec_b64 s[0:1], vcc
	s_cbranch_execz .LBB99_171
; %bb.170:
	scratch_load_dwordx4 v[6:9], off, s22
	v_mov_b32_e32 v3, v2
	v_mov_b32_e32 v4, v2
	;; [unrolled: 1-line block ×3, first 2 shown]
	scratch_store_dwordx4 off, v[2:5], off offset:480
	s_waitcnt vmcnt(1)
	ds_write_b128 v1, v[6:9]
.LBB99_171:
	s_or_b64 exec, exec, s[0:1]
	s_waitcnt lgkmcnt(0)
	; wave barrier
	ds_read_b128 v[4:7], v2 offset:1056
	ds_read_b128 v[8:11], v2 offset:1072
	ds_read_b128 v[12:15], v2 offset:1088
	ds_read_b128 v[16:19], v2 offset:1104
	scratch_load_dwordx4 v[20:23], off, off offset:496
	scratch_load_dwordx4 v[40:43], off, off offset:560
	v_cmp_lt_u32_e32 vcc, 28, v0
	scratch_load_dwordx4 v[48:51], off, off offset:576
	s_waitcnt vmcnt(2) lgkmcnt(3)
	v_mul_f64 v[24:25], v[4:5], v[22:23]
	v_fmac_f64_e32 v[24:25], v[6:7], v[20:21]
	v_add_f64 v[28:29], v[24:25], 0
	scratch_load_dwordx4 v[24:27], off, off offset:512
	s_waitcnt vmcnt(0) lgkmcnt(2)
	v_mul_f64 v[30:31], v[8:9], v[26:27]
	v_fmac_f64_e32 v[30:31], v[10:11], v[24:25]
	v_add_f64 v[32:33], v[28:29], v[30:31]
	;; [unrolled: 5-line block ×4, first 2 shown]
	ds_read_b128 v[36:39], v2 offset:1120
	s_waitcnt lgkmcnt(0)
	v_mul_f64 v[46:47], v[36:37], v[42:43]
	v_fmac_f64_e32 v[46:47], v[38:39], v[40:41]
	v_add_f64 v[52:53], v[44:45], v[46:47]
	ds_read_b128 v[44:47], v2 offset:1136
	s_waitcnt lgkmcnt(0)
	v_mul_f64 v[2:3], v[44:45], v[50:51]
	v_fmac_f64_e32 v[2:3], v[46:47], v[48:49]
	v_add_f64 v[52:53], v[52:53], v[2:3]
	v_mul_f64 v[2:3], v[6:7], v[22:23]
	v_fma_f64 v[2:3], v[4:5], v[20:21], -v[2:3]
	v_mul_f64 v[4:5], v[10:11], v[26:27]
	v_add_f64 v[2:3], v[2:3], 0
	v_fma_f64 v[4:5], v[8:9], v[24:25], -v[4:5]
	v_add_f64 v[2:3], v[2:3], v[4:5]
	v_mul_f64 v[4:5], v[14:15], v[30:31]
	v_fma_f64 v[4:5], v[12:13], v[28:29], -v[4:5]
	v_add_f64 v[2:3], v[2:3], v[4:5]
	v_mul_f64 v[4:5], v[18:19], v[34:35]
	;; [unrolled: 3-line block ×4, first 2 shown]
	v_fma_f64 v[4:5], v[44:45], v[48:49], -v[4:5]
	v_add_f64 v[6:7], v[2:3], v[4:5]
	scratch_load_dwordx4 v[2:5], off, off offset:480
	s_waitcnt vmcnt(0)
	v_add_f64 v[2:3], v[2:3], -v[6:7]
	v_add_f64 v[4:5], v[4:5], -v[52:53]
	scratch_store_dwordx4 off, v[2:5], off offset:480
	s_and_saveexec_b64 s[0:1], vcc
	s_cbranch_execz .LBB99_173
; %bb.172:
	scratch_load_dwordx4 v[2:5], off, s23
	v_mov_b32_e32 v6, 0
	v_mov_b32_e32 v7, v6
	;; [unrolled: 1-line block ×4, first 2 shown]
	scratch_store_dwordx4 off, v[6:9], off offset:464
	s_waitcnt vmcnt(1)
	ds_write_b128 v1, v[2:5]
.LBB99_173:
	s_or_b64 exec, exec, s[0:1]
	s_waitcnt lgkmcnt(0)
	; wave barrier
	scratch_load_dwordx4 v[4:7], off, off offset:480
	scratch_load_dwordx4 v[8:11], off, off offset:496
	;; [unrolled: 1-line block ×8, first 2 shown]
	v_mov_b32_e32 v2, 0
	ds_read_b128 v[36:39], v2 offset:1040
	ds_read_b128 v[40:43], v2 offset:1056
	;; [unrolled: 1-line block ×7, first 2 shown]
	v_cmp_lt_u32_e32 vcc, 27, v0
	s_waitcnt vmcnt(7) lgkmcnt(6)
	v_mul_f64 v[64:65], v[36:37], v[6:7]
	v_mul_f64 v[6:7], v[38:39], v[6:7]
	s_waitcnt vmcnt(6) lgkmcnt(5)
	v_mul_f64 v[66:67], v[40:41], v[10:11]
	s_waitcnt vmcnt(4) lgkmcnt(3)
	v_mul_f64 v[70:71], v[48:49], v[18:19]
	v_mul_f64 v[10:11], v[42:43], v[10:11]
	;; [unrolled: 1-line block ×3, first 2 shown]
	v_fmac_f64_e32 v[64:65], v[38:39], v[4:5]
	v_fma_f64 v[4:5], v[36:37], v[4:5], -v[6:7]
	v_mul_f64 v[68:69], v[44:45], v[14:15]
	v_mul_f64 v[14:15], v[46:47], v[14:15]
	v_fmac_f64_e32 v[66:67], v[42:43], v[8:9]
	v_fma_f64 v[6:7], v[40:41], v[8:9], -v[10:11]
	v_fma_f64 v[10:11], v[48:49], v[16:17], -v[18:19]
	v_add_f64 v[18:19], v[64:65], 0
	v_add_f64 v[4:5], v[4:5], 0
	v_fmac_f64_e32 v[68:69], v[46:47], v[12:13]
	v_fma_f64 v[8:9], v[44:45], v[12:13], -v[14:15]
	v_add_f64 v[18:19], v[18:19], v[66:67]
	v_add_f64 v[4:5], v[4:5], v[6:7]
	s_waitcnt vmcnt(3) lgkmcnt(2)
	v_mul_f64 v[72:73], v[52:53], v[22:23]
	v_mul_f64 v[22:23], v[54:55], v[22:23]
	v_fmac_f64_e32 v[70:71], v[50:51], v[16:17]
	v_add_f64 v[6:7], v[18:19], v[68:69]
	v_add_f64 v[4:5], v[4:5], v[8:9]
	s_waitcnt vmcnt(2) lgkmcnt(1)
	v_mul_f64 v[74:75], v[56:57], v[26:27]
	v_mul_f64 v[26:27], v[58:59], v[26:27]
	v_fmac_f64_e32 v[72:73], v[54:55], v[20:21]
	v_fma_f64 v[12:13], v[52:53], v[20:21], -v[22:23]
	v_add_f64 v[6:7], v[6:7], v[70:71]
	v_add_f64 v[4:5], v[4:5], v[10:11]
	s_waitcnt vmcnt(1) lgkmcnt(0)
	v_mul_f64 v[76:77], v[60:61], v[30:31]
	v_mul_f64 v[30:31], v[62:63], v[30:31]
	v_fmac_f64_e32 v[74:75], v[58:59], v[24:25]
	v_fma_f64 v[14:15], v[56:57], v[24:25], -v[26:27]
	v_add_f64 v[6:7], v[6:7], v[72:73]
	v_add_f64 v[4:5], v[4:5], v[12:13]
	v_fmac_f64_e32 v[76:77], v[62:63], v[28:29]
	v_fma_f64 v[16:17], v[60:61], v[28:29], -v[30:31]
	v_add_f64 v[6:7], v[6:7], v[74:75]
	v_add_f64 v[4:5], v[4:5], v[14:15]
	;; [unrolled: 1-line block ×4, first 2 shown]
	s_waitcnt vmcnt(0)
	v_add_f64 v[4:5], v[32:33], -v[4:5]
	v_add_f64 v[6:7], v[34:35], -v[6:7]
	scratch_store_dwordx4 off, v[4:7], off offset:464
	s_and_saveexec_b64 s[0:1], vcc
	s_cbranch_execz .LBB99_175
; %bb.174:
	scratch_load_dwordx4 v[6:9], off, s24
	v_mov_b32_e32 v3, v2
	v_mov_b32_e32 v4, v2
	;; [unrolled: 1-line block ×3, first 2 shown]
	scratch_store_dwordx4 off, v[2:5], off offset:448
	s_waitcnt vmcnt(1)
	ds_write_b128 v1, v[6:9]
.LBB99_175:
	s_or_b64 exec, exec, s[0:1]
	s_waitcnt lgkmcnt(0)
	; wave barrier
	scratch_load_dwordx4 v[4:7], off, off offset:464
	scratch_load_dwordx4 v[8:11], off, off offset:480
	;; [unrolled: 1-line block ×9, first 2 shown]
	ds_read_b128 v[40:43], v2 offset:1024
	ds_read_b128 v[44:47], v2 offset:1040
	;; [unrolled: 1-line block ×8, first 2 shown]
	v_cmp_lt_u32_e32 vcc, 26, v0
	s_waitcnt vmcnt(8) lgkmcnt(7)
	v_mul_f64 v[2:3], v[40:41], v[6:7]
	v_mul_f64 v[6:7], v[42:43], v[6:7]
	s_waitcnt vmcnt(7) lgkmcnt(6)
	v_mul_f64 v[72:73], v[44:45], v[10:11]
	v_mul_f64 v[10:11], v[46:47], v[10:11]
	v_fmac_f64_e32 v[2:3], v[42:43], v[4:5]
	v_fma_f64 v[4:5], v[40:41], v[4:5], -v[6:7]
	s_waitcnt vmcnt(6) lgkmcnt(5)
	v_mul_f64 v[74:75], v[48:49], v[14:15]
	v_mul_f64 v[14:15], v[50:51], v[14:15]
	v_fmac_f64_e32 v[72:73], v[46:47], v[8:9]
	v_fma_f64 v[6:7], v[44:45], v[8:9], -v[10:11]
	v_add_f64 v[2:3], v[2:3], 0
	v_add_f64 v[4:5], v[4:5], 0
	s_waitcnt vmcnt(5) lgkmcnt(4)
	v_mul_f64 v[76:77], v[52:53], v[18:19]
	v_mul_f64 v[18:19], v[54:55], v[18:19]
	v_fmac_f64_e32 v[74:75], v[50:51], v[12:13]
	v_fma_f64 v[8:9], v[48:49], v[12:13], -v[14:15]
	v_add_f64 v[2:3], v[2:3], v[72:73]
	v_add_f64 v[4:5], v[4:5], v[6:7]
	;; [unrolled: 7-line block ×6, first 2 shown]
	v_fmac_f64_e32 v[84:85], v[70:71], v[32:33]
	v_fma_f64 v[18:19], v[68:69], v[32:33], -v[34:35]
	v_add_f64 v[2:3], v[2:3], v[82:83]
	v_add_f64 v[4:5], v[4:5], v[16:17]
	;; [unrolled: 1-line block ×4, first 2 shown]
	s_waitcnt vmcnt(0)
	v_add_f64 v[2:3], v[36:37], -v[2:3]
	v_add_f64 v[4:5], v[38:39], -v[6:7]
	scratch_store_dwordx4 off, v[2:5], off offset:448
	s_and_saveexec_b64 s[0:1], vcc
	s_cbranch_execz .LBB99_177
; %bb.176:
	scratch_load_dwordx4 v[2:5], off, s25
	v_mov_b32_e32 v6, 0
	v_mov_b32_e32 v7, v6
	v_mov_b32_e32 v8, v6
	v_mov_b32_e32 v9, v6
	scratch_store_dwordx4 off, v[6:9], off offset:432
	s_waitcnt vmcnt(1)
	ds_write_b128 v1, v[2:5]
.LBB99_177:
	s_or_b64 exec, exec, s[0:1]
	v_mov_b32_e32 v2, 0
	s_waitcnt lgkmcnt(0)
	; wave barrier
	ds_read_b128 v[4:7], v2 offset:1008
	ds_read_b128 v[8:11], v2 offset:1024
	;; [unrolled: 1-line block ×4, first 2 shown]
	scratch_load_dwordx4 v[20:23], off, off offset:448
	scratch_load_dwordx4 v[40:43], off, off offset:512
	;; [unrolled: 1-line block ×3, first 2 shown]
	v_cmp_lt_u32_e32 vcc, 25, v0
	scratch_load_dwordx4 v[48:51], off, off offset:528
	scratch_load_dwordx4 v[56:59], off, off offset:544
	;; [unrolled: 1-line block ×3, first 2 shown]
	s_waitcnt vmcnt(5) lgkmcnt(3)
	v_mul_f64 v[24:25], v[4:5], v[22:23]
	v_fmac_f64_e32 v[24:25], v[6:7], v[20:21]
	v_add_f64 v[28:29], v[24:25], 0
	scratch_load_dwordx4 v[24:27], off, off offset:464
	v_mul_f64 v[6:7], v[6:7], v[22:23]
	v_fma_f64 v[4:5], v[4:5], v[20:21], -v[6:7]
	v_add_f64 v[4:5], v[4:5], 0
	s_waitcnt vmcnt(0) lgkmcnt(2)
	v_mul_f64 v[30:31], v[8:9], v[26:27]
	v_fmac_f64_e32 v[30:31], v[10:11], v[24:25]
	v_add_f64 v[32:33], v[28:29], v[30:31]
	scratch_load_dwordx4 v[28:31], off, off offset:480
	v_mul_f64 v[6:7], v[10:11], v[26:27]
	v_fma_f64 v[6:7], v[8:9], v[24:25], -v[6:7]
	v_add_f64 v[4:5], v[4:5], v[6:7]
	s_waitcnt vmcnt(0) lgkmcnt(1)
	v_mul_f64 v[34:35], v[12:13], v[30:31]
	v_fmac_f64_e32 v[34:35], v[14:15], v[28:29]
	v_add_f64 v[36:37], v[32:33], v[34:35]
	scratch_load_dwordx4 v[32:35], off, off offset:496
	v_mul_f64 v[6:7], v[14:15], v[30:31]
	v_fma_f64 v[6:7], v[12:13], v[28:29], -v[6:7]
	v_add_f64 v[4:5], v[4:5], v[6:7]
	s_waitcnt vmcnt(0) lgkmcnt(0)
	v_mul_f64 v[38:39], v[16:17], v[34:35]
	v_fmac_f64_e32 v[38:39], v[18:19], v[32:33]
	v_add_f64 v[44:45], v[36:37], v[38:39]
	ds_read_b128 v[36:39], v2 offset:1072
	v_mul_f64 v[6:7], v[18:19], v[34:35]
	v_fma_f64 v[6:7], v[16:17], v[32:33], -v[6:7]
	v_add_f64 v[4:5], v[4:5], v[6:7]
	s_waitcnt lgkmcnt(0)
	v_mul_f64 v[46:47], v[36:37], v[42:43]
	v_fmac_f64_e32 v[46:47], v[38:39], v[40:41]
	v_add_f64 v[52:53], v[44:45], v[46:47]
	ds_read_b128 v[44:47], v2 offset:1088
	v_mul_f64 v[6:7], v[38:39], v[42:43]
	v_fma_f64 v[6:7], v[36:37], v[40:41], -v[6:7]
	v_add_f64 v[4:5], v[4:5], v[6:7]
	s_waitcnt lgkmcnt(0)
	;; [unrolled: 8-line block ×5, first 2 shown]
	v_mul_f64 v[6:7], v[70:71], v[74:75]
	v_fma_f64 v[6:7], v[68:69], v[72:73], -v[6:7]
	v_add_f64 v[8:9], v[4:5], v[6:7]
	scratch_load_dwordx4 v[4:7], off, off offset:432
	v_mul_f64 v[78:79], v[68:69], v[74:75]
	v_fmac_f64_e32 v[78:79], v[70:71], v[72:73]
	v_add_f64 v[76:77], v[76:77], v[78:79]
	s_waitcnt vmcnt(0)
	v_add_f64 v[4:5], v[4:5], -v[8:9]
	v_add_f64 v[6:7], v[6:7], -v[76:77]
	scratch_store_dwordx4 off, v[4:7], off offset:432
	s_and_saveexec_b64 s[0:1], vcc
	s_cbranch_execz .LBB99_179
; %bb.178:
	scratch_load_dwordx4 v[6:9], off, s26
	v_mov_b32_e32 v3, v2
	v_mov_b32_e32 v4, v2
	;; [unrolled: 1-line block ×3, first 2 shown]
	scratch_store_dwordx4 off, v[2:5], off offset:416
	s_waitcnt vmcnt(1)
	ds_write_b128 v1, v[6:9]
.LBB99_179:
	s_or_b64 exec, exec, s[0:1]
	s_waitcnt lgkmcnt(0)
	; wave barrier
	ds_read_b128 v[4:7], v2 offset:992
	ds_read_b128 v[8:11], v2 offset:1008
	;; [unrolled: 1-line block ×4, first 2 shown]
	scratch_load_dwordx4 v[20:23], off, off offset:432
	scratch_load_dwordx4 v[40:43], off, off offset:496
	;; [unrolled: 1-line block ×4, first 2 shown]
	v_cmp_lt_u32_e32 vcc, 24, v0
	scratch_load_dwordx4 v[48:51], off, off offset:512
	scratch_load_dwordx4 v[56:59], off, off offset:528
	;; [unrolled: 1-line block ×3, first 2 shown]
	s_waitcnt vmcnt(6) lgkmcnt(3)
	v_mul_f64 v[24:25], v[4:5], v[22:23]
	v_fmac_f64_e32 v[24:25], v[6:7], v[20:21]
	v_add_f64 v[28:29], v[24:25], 0
	scratch_load_dwordx4 v[24:27], off, off offset:448
	s_waitcnt vmcnt(0) lgkmcnt(2)
	v_mul_f64 v[30:31], v[8:9], v[26:27]
	v_fmac_f64_e32 v[30:31], v[10:11], v[24:25]
	v_add_f64 v[32:33], v[28:29], v[30:31]
	scratch_load_dwordx4 v[28:31], off, off offset:464
	s_waitcnt vmcnt(0) lgkmcnt(1)
	v_mul_f64 v[34:35], v[12:13], v[30:31]
	v_fmac_f64_e32 v[34:35], v[14:15], v[28:29]
	v_add_f64 v[36:37], v[32:33], v[34:35]
	scratch_load_dwordx4 v[32:35], off, off offset:480
	s_waitcnt vmcnt(0) lgkmcnt(0)
	v_mul_f64 v[38:39], v[16:17], v[34:35]
	v_fmac_f64_e32 v[38:39], v[18:19], v[32:33]
	v_add_f64 v[44:45], v[36:37], v[38:39]
	ds_read_b128 v[36:39], v2 offset:1056
	s_waitcnt lgkmcnt(0)
	v_mul_f64 v[46:47], v[36:37], v[42:43]
	v_fmac_f64_e32 v[46:47], v[38:39], v[40:41]
	v_add_f64 v[52:53], v[44:45], v[46:47]
	ds_read_b128 v[44:47], v2 offset:1072
	s_waitcnt lgkmcnt(0)
	v_mul_f64 v[54:55], v[44:45], v[50:51]
	v_fmac_f64_e32 v[54:55], v[46:47], v[48:49]
	v_add_f64 v[60:61], v[52:53], v[54:55]
	ds_read_b128 v[52:55], v2 offset:1088
	s_waitcnt lgkmcnt(0)
	v_mul_f64 v[62:63], v[52:53], v[58:59]
	v_fmac_f64_e32 v[62:63], v[54:55], v[56:57]
	v_add_f64 v[68:69], v[60:61], v[62:63]
	ds_read_b128 v[60:63], v2 offset:1104
	s_waitcnt lgkmcnt(0)
	v_mul_f64 v[70:71], v[60:61], v[66:67]
	v_fmac_f64_e32 v[70:71], v[62:63], v[64:65]
	v_add_f64 v[76:77], v[68:69], v[70:71]
	ds_read_b128 v[68:71], v2 offset:1120
	s_waitcnt lgkmcnt(0)
	v_mul_f64 v[78:79], v[68:69], v[74:75]
	v_fmac_f64_e32 v[78:79], v[70:71], v[72:73]
	v_add_f64 v[84:85], v[76:77], v[78:79]
	ds_read_b128 v[76:79], v2 offset:1136
	s_waitcnt lgkmcnt(0)
	v_mul_f64 v[2:3], v[76:77], v[82:83]
	v_fmac_f64_e32 v[2:3], v[78:79], v[80:81]
	v_add_f64 v[84:85], v[84:85], v[2:3]
	v_mul_f64 v[2:3], v[6:7], v[22:23]
	v_fma_f64 v[2:3], v[4:5], v[20:21], -v[2:3]
	v_mul_f64 v[4:5], v[10:11], v[26:27]
	v_add_f64 v[2:3], v[2:3], 0
	v_fma_f64 v[4:5], v[8:9], v[24:25], -v[4:5]
	v_add_f64 v[2:3], v[2:3], v[4:5]
	v_mul_f64 v[4:5], v[14:15], v[30:31]
	v_fma_f64 v[4:5], v[12:13], v[28:29], -v[4:5]
	v_add_f64 v[2:3], v[2:3], v[4:5]
	v_mul_f64 v[4:5], v[18:19], v[34:35]
	;; [unrolled: 3-line block ×8, first 2 shown]
	v_fma_f64 v[4:5], v[76:77], v[80:81], -v[4:5]
	v_add_f64 v[6:7], v[2:3], v[4:5]
	scratch_load_dwordx4 v[2:5], off, off offset:416
	s_waitcnt vmcnt(0)
	v_add_f64 v[2:3], v[2:3], -v[6:7]
	v_add_f64 v[4:5], v[4:5], -v[84:85]
	scratch_store_dwordx4 off, v[2:5], off offset:416
	s_and_saveexec_b64 s[0:1], vcc
	s_cbranch_execz .LBB99_181
; %bb.180:
	scratch_load_dwordx4 v[2:5], off, s27
	v_mov_b32_e32 v6, 0
	v_mov_b32_e32 v7, v6
	;; [unrolled: 1-line block ×4, first 2 shown]
	scratch_store_dwordx4 off, v[6:9], off offset:400
	s_waitcnt vmcnt(1)
	ds_write_b128 v1, v[2:5]
.LBB99_181:
	s_or_b64 exec, exec, s[0:1]
	s_waitcnt lgkmcnt(0)
	; wave barrier
	scratch_load_dwordx4 v[4:7], off, off offset:416
	scratch_load_dwordx4 v[8:11], off, off offset:432
	;; [unrolled: 1-line block ×12, first 2 shown]
	v_mov_b32_e32 v2, 0
	ds_read_b128 v[52:55], v2 offset:976
	ds_read_b128 v[56:59], v2 offset:992
	;; [unrolled: 1-line block ×11, first 2 shown]
	v_cmp_lt_u32_e32 vcc, 23, v0
	s_waitcnt vmcnt(11) lgkmcnt(10)
	v_mul_f64 v[96:97], v[52:53], v[6:7]
	v_mul_f64 v[6:7], v[54:55], v[6:7]
	s_waitcnt vmcnt(10) lgkmcnt(9)
	v_mul_f64 v[98:99], v[56:57], v[10:11]
	s_waitcnt vmcnt(9) lgkmcnt(8)
	v_mul_f64 v[100:101], v[60:61], v[14:15]
	v_mul_f64 v[10:11], v[58:59], v[10:11]
	s_waitcnt vmcnt(6) lgkmcnt(5)
	v_mul_f64 v[106:107], v[72:73], v[26:27]
	v_mul_f64 v[14:15], v[62:63], v[14:15]
	;; [unrolled: 1-line block ×3, first 2 shown]
	v_fmac_f64_e32 v[96:97], v[54:55], v[4:5]
	v_fma_f64 v[4:5], v[52:53], v[4:5], -v[6:7]
	v_fmac_f64_e32 v[98:99], v[58:59], v[8:9]
	v_fma_f64 v[6:7], v[56:57], v[8:9], -v[10:11]
	v_fma_f64 v[8:9], v[60:61], v[12:13], -v[14:15]
	;; [unrolled: 1-line block ×3, first 2 shown]
	v_add_f64 v[26:27], v[96:97], 0
	v_add_f64 v[4:5], v[4:5], 0
	v_mul_f64 v[102:103], v[64:65], v[18:19]
	v_mul_f64 v[18:19], v[66:67], v[18:19]
	v_fmac_f64_e32 v[100:101], v[62:63], v[12:13]
	v_add_f64 v[26:27], v[26:27], v[98:99]
	v_add_f64 v[4:5], v[4:5], v[6:7]
	v_mul_f64 v[104:105], v[68:69], v[22:23]
	v_mul_f64 v[22:23], v[70:71], v[22:23]
	v_fmac_f64_e32 v[102:103], v[66:67], v[16:17]
	v_fma_f64 v[10:11], v[64:65], v[16:17], -v[18:19]
	v_add_f64 v[6:7], v[26:27], v[100:101]
	v_add_f64 v[4:5], v[4:5], v[8:9]
	v_fmac_f64_e32 v[104:105], v[70:71], v[20:21]
	v_fma_f64 v[12:13], v[68:69], v[20:21], -v[22:23]
	v_add_f64 v[6:7], v[6:7], v[102:103]
	v_add_f64 v[4:5], v[4:5], v[10:11]
	s_waitcnt vmcnt(5) lgkmcnt(4)
	v_mul_f64 v[108:109], v[76:77], v[30:31]
	v_mul_f64 v[30:31], v[78:79], v[30:31]
	v_fmac_f64_e32 v[106:107], v[74:75], v[24:25]
	v_add_f64 v[6:7], v[6:7], v[104:105]
	v_add_f64 v[4:5], v[4:5], v[12:13]
	s_waitcnt vmcnt(4) lgkmcnt(3)
	v_mul_f64 v[110:111], v[80:81], v[34:35]
	v_mul_f64 v[34:35], v[82:83], v[34:35]
	v_fmac_f64_e32 v[108:109], v[78:79], v[28:29]
	v_fma_f64 v[16:17], v[76:77], v[28:29], -v[30:31]
	v_add_f64 v[6:7], v[6:7], v[106:107]
	v_add_f64 v[4:5], v[4:5], v[14:15]
	s_waitcnt vmcnt(3) lgkmcnt(2)
	v_mul_f64 v[112:113], v[84:85], v[38:39]
	v_mul_f64 v[38:39], v[86:87], v[38:39]
	v_fmac_f64_e32 v[110:111], v[82:83], v[32:33]
	v_fma_f64 v[18:19], v[80:81], v[32:33], -v[34:35]
	;; [unrolled: 7-line block ×4, first 2 shown]
	v_add_f64 v[6:7], v[6:7], v[112:113]
	v_add_f64 v[4:5], v[4:5], v[20:21]
	v_fmac_f64_e32 v[116:117], v[94:95], v[44:45]
	v_fma_f64 v[24:25], v[92:93], v[44:45], -v[46:47]
	v_add_f64 v[6:7], v[6:7], v[114:115]
	v_add_f64 v[4:5], v[4:5], v[22:23]
	;; [unrolled: 1-line block ×4, first 2 shown]
	s_waitcnt vmcnt(0)
	v_add_f64 v[4:5], v[48:49], -v[4:5]
	v_add_f64 v[6:7], v[50:51], -v[6:7]
	scratch_store_dwordx4 off, v[4:7], off offset:400
	s_and_saveexec_b64 s[0:1], vcc
	s_cbranch_execz .LBB99_183
; %bb.182:
	scratch_load_dwordx4 v[6:9], off, s28
	v_mov_b32_e32 v3, v2
	v_mov_b32_e32 v4, v2
	;; [unrolled: 1-line block ×3, first 2 shown]
	scratch_store_dwordx4 off, v[2:5], off offset:384
	s_waitcnt vmcnt(1)
	ds_write_b128 v1, v[6:9]
.LBB99_183:
	s_or_b64 exec, exec, s[0:1]
	s_waitcnt lgkmcnt(0)
	; wave barrier
	scratch_load_dwordx4 v[4:7], off, off offset:400
	scratch_load_dwordx4 v[8:11], off, off offset:416
	;; [unrolled: 1-line block ×12, first 2 shown]
	ds_read_b128 v[52:55], v2 offset:960
	ds_read_b128 v[56:59], v2 offset:976
	;; [unrolled: 1-line block ×4, first 2 shown]
	scratch_load_dwordx4 v[68:71], off, off offset:384
	ds_read_b128 v[72:75], v2 offset:1024
	ds_read_b128 v[76:79], v2 offset:1040
	;; [unrolled: 1-line block ×8, first 2 shown]
	v_cmp_lt_u32_e32 vcc, 22, v0
	s_waitcnt vmcnt(12) lgkmcnt(11)
	v_mul_f64 v[2:3], v[52:53], v[6:7]
	s_waitcnt vmcnt(11) lgkmcnt(10)
	v_mul_f64 v[104:105], v[56:57], v[10:11]
	v_fmac_f64_e32 v[2:3], v[54:55], v[4:5]
	s_waitcnt vmcnt(10) lgkmcnt(9)
	v_mul_f64 v[106:107], v[60:61], v[14:15]
	v_mul_f64 v[6:7], v[54:55], v[6:7]
	v_fmac_f64_e32 v[104:105], v[58:59], v[8:9]
	v_add_f64 v[2:3], v[2:3], 0
	s_waitcnt vmcnt(9) lgkmcnt(8)
	v_mul_f64 v[108:109], v[64:65], v[18:19]
	v_mul_f64 v[10:11], v[58:59], v[10:11]
	v_fmac_f64_e32 v[106:107], v[62:63], v[12:13]
	v_fma_f64 v[4:5], v[52:53], v[4:5], -v[6:7]
	v_add_f64 v[2:3], v[2:3], v[104:105]
	s_waitcnt vmcnt(8) lgkmcnt(7)
	v_mul_f64 v[110:111], v[72:73], v[22:23]
	v_mul_f64 v[14:15], v[62:63], v[14:15]
	v_fmac_f64_e32 v[108:109], v[66:67], v[16:17]
	v_fma_f64 v[6:7], v[56:57], v[8:9], -v[10:11]
	v_add_f64 v[4:5], v[4:5], 0
	v_add_f64 v[2:3], v[2:3], v[106:107]
	s_waitcnt vmcnt(7) lgkmcnt(6)
	v_mul_f64 v[112:113], v[76:77], v[26:27]
	v_mul_f64 v[18:19], v[66:67], v[18:19]
	v_fmac_f64_e32 v[110:111], v[74:75], v[20:21]
	v_fma_f64 v[8:9], v[60:61], v[12:13], -v[14:15]
	v_add_f64 v[4:5], v[4:5], v[6:7]
	;; [unrolled: 7-line block ×8, first 2 shown]
	v_add_f64 v[2:3], v[2:3], v[120:121]
	v_mul_f64 v[46:47], v[98:99], v[46:47]
	v_fmac_f64_e32 v[124:125], v[102:103], v[48:49]
	v_fma_f64 v[22:23], v[92:93], v[40:41], -v[42:43]
	v_add_f64 v[4:5], v[4:5], v[20:21]
	v_add_f64 v[2:3], v[2:3], v[122:123]
	;; [unrolled: 1-line block ×4, first 2 shown]
	v_fma_f64 v[2:3], v[96:97], v[44:45], -v[46:47]
	v_add_f64 v[2:3], v[4:5], v[2:3]
	v_mul_f64 v[4:5], v[102:103], v[50:51]
	v_fma_f64 v[4:5], v[100:101], v[48:49], -v[4:5]
	v_add_f64 v[2:3], v[2:3], v[4:5]
	s_waitcnt vmcnt(0)
	v_add_f64 v[2:3], v[68:69], -v[2:3]
	v_add_f64 v[4:5], v[70:71], -v[6:7]
	scratch_store_dwordx4 off, v[2:5], off offset:384
	s_and_saveexec_b64 s[0:1], vcc
	s_cbranch_execz .LBB99_185
; %bb.184:
	scratch_load_dwordx4 v[2:5], off, s29
	v_mov_b32_e32 v6, 0
	v_mov_b32_e32 v7, v6
	;; [unrolled: 1-line block ×4, first 2 shown]
	scratch_store_dwordx4 off, v[6:9], off offset:368
	s_waitcnt vmcnt(1)
	ds_write_b128 v1, v[2:5]
.LBB99_185:
	s_or_b64 exec, exec, s[0:1]
	s_waitcnt lgkmcnt(0)
	; wave barrier
	scratch_load_dwordx4 v[4:7], off, off offset:384
	scratch_load_dwordx4 v[8:11], off, off offset:400
	scratch_load_dwordx4 v[12:15], off, off offset:416
	scratch_load_dwordx4 v[16:19], off, off offset:432
	scratch_load_dwordx4 v[20:23], off, off offset:448
	scratch_load_dwordx4 v[24:27], off, off offset:464
	scratch_load_dwordx4 v[28:31], off, off offset:480
	scratch_load_dwordx4 v[32:35], off, off offset:496
	scratch_load_dwordx4 v[36:39], off, off offset:512
	scratch_load_dwordx4 v[40:43], off, off offset:528
	scratch_load_dwordx4 v[44:47], off, off offset:544
	scratch_load_dwordx4 v[48:51], off, off offset:560
	scratch_load_dwordx4 v[52:55], off, off offset:576
	scratch_load_dwordx4 v[56:59], off, off offset:368
	v_mov_b32_e32 v2, 0
	ds_read_b128 v[60:63], v2 offset:944
	ds_read_b128 v[64:67], v2 offset:960
	;; [unrolled: 1-line block ×13, first 2 shown]
	v_cmp_lt_u32_e32 vcc, 21, v0
	s_waitcnt vmcnt(13) lgkmcnt(12)
	v_mul_f64 v[112:113], v[60:61], v[6:7]
	v_mul_f64 v[6:7], v[62:63], v[6:7]
	s_waitcnt vmcnt(12) lgkmcnt(11)
	v_mul_f64 v[114:115], v[64:65], v[10:11]
	v_mul_f64 v[10:11], v[66:67], v[10:11]
	v_fmac_f64_e32 v[112:113], v[62:63], v[4:5]
	v_fma_f64 v[4:5], v[60:61], v[4:5], -v[6:7]
	s_waitcnt vmcnt(11) lgkmcnt(10)
	v_mul_f64 v[116:117], v[68:69], v[14:15]
	v_mul_f64 v[14:15], v[70:71], v[14:15]
	v_fma_f64 v[6:7], v[64:65], v[8:9], -v[10:11]
	v_add_f64 v[4:5], v[4:5], 0
	s_waitcnt vmcnt(10) lgkmcnt(9)
	v_mul_f64 v[118:119], v[72:73], v[18:19]
	v_mul_f64 v[18:19], v[74:75], v[18:19]
	v_fmac_f64_e32 v[114:115], v[66:67], v[8:9]
	v_fma_f64 v[8:9], v[68:69], v[12:13], -v[14:15]
	v_add_f64 v[4:5], v[4:5], v[6:7]
	s_waitcnt vmcnt(9) lgkmcnt(8)
	v_mul_f64 v[120:121], v[76:77], v[22:23]
	v_mul_f64 v[22:23], v[78:79], v[22:23]
	v_fma_f64 v[10:11], v[72:73], v[16:17], -v[18:19]
	v_add_f64 v[4:5], v[4:5], v[8:9]
	s_waitcnt vmcnt(8) lgkmcnt(7)
	v_mul_f64 v[122:123], v[80:81], v[26:27]
	v_mul_f64 v[26:27], v[82:83], v[26:27]
	v_fmac_f64_e32 v[116:117], v[70:71], v[12:13]
	v_fma_f64 v[12:13], v[76:77], v[20:21], -v[22:23]
	v_add_f64 v[22:23], v[112:113], 0
	v_add_f64 v[4:5], v[4:5], v[10:11]
	s_waitcnt vmcnt(7) lgkmcnt(6)
	v_mul_f64 v[124:125], v[84:85], v[30:31]
	v_mul_f64 v[30:31], v[86:87], v[30:31]
	v_fma_f64 v[14:15], v[80:81], v[24:25], -v[26:27]
	v_add_f64 v[22:23], v[22:23], v[114:115]
	v_add_f64 v[4:5], v[4:5], v[12:13]
	s_waitcnt vmcnt(6) lgkmcnt(5)
	v_mul_f64 v[126:127], v[88:89], v[34:35]
	v_mul_f64 v[34:35], v[90:91], v[34:35]
	v_fmac_f64_e32 v[118:119], v[74:75], v[16:17]
	v_fma_f64 v[16:17], v[84:85], v[28:29], -v[30:31]
	v_add_f64 v[6:7], v[22:23], v[116:117]
	v_add_f64 v[4:5], v[4:5], v[14:15]
	s_waitcnt vmcnt(5) lgkmcnt(4)
	v_mul_f64 v[128:129], v[92:93], v[38:39]
	v_mul_f64 v[38:39], v[94:95], v[38:39]
	v_fmac_f64_e32 v[120:121], v[78:79], v[20:21]
	v_fma_f64 v[18:19], v[88:89], v[32:33], -v[34:35]
	v_add_f64 v[6:7], v[6:7], v[118:119]
	v_add_f64 v[4:5], v[4:5], v[16:17]
	v_fmac_f64_e32 v[122:123], v[82:83], v[24:25]
	v_fma_f64 v[20:21], v[92:93], v[36:37], -v[38:39]
	v_add_f64 v[6:7], v[6:7], v[120:121]
	v_add_f64 v[4:5], v[4:5], v[18:19]
	s_waitcnt vmcnt(4) lgkmcnt(3)
	v_mul_f64 v[8:9], v[98:99], v[42:43]
	v_fmac_f64_e32 v[124:125], v[86:87], v[28:29]
	v_add_f64 v[6:7], v[6:7], v[122:123]
	v_add_f64 v[4:5], v[4:5], v[20:21]
	v_fma_f64 v[8:9], v[96:97], v[40:41], -v[8:9]
	v_fmac_f64_e32 v[126:127], v[90:91], v[32:33]
	v_add_f64 v[6:7], v[6:7], v[124:125]
	v_add_f64 v[4:5], v[4:5], v[8:9]
	s_waitcnt vmcnt(3) lgkmcnt(2)
	v_mul_f64 v[8:9], v[102:103], v[46:47]
	v_mul_f64 v[130:131], v[96:97], v[42:43]
	v_fmac_f64_e32 v[128:129], v[94:95], v[36:37]
	v_add_f64 v[6:7], v[6:7], v[126:127]
	v_fma_f64 v[8:9], v[100:101], v[44:45], -v[8:9]
	v_mul_f64 v[132:133], v[100:101], v[46:47]
	v_fmac_f64_e32 v[130:131], v[98:99], v[40:41]
	v_add_f64 v[6:7], v[6:7], v[128:129]
	v_add_f64 v[4:5], v[4:5], v[8:9]
	s_waitcnt vmcnt(2) lgkmcnt(1)
	v_mul_f64 v[8:9], v[106:107], v[50:51]
	v_mul_f64 v[134:135], v[104:105], v[50:51]
	v_fmac_f64_e32 v[132:133], v[102:103], v[44:45]
	v_add_f64 v[6:7], v[6:7], v[130:131]
	v_fma_f64 v[8:9], v[104:105], v[48:49], -v[8:9]
	s_waitcnt vmcnt(1) lgkmcnt(0)
	v_mul_f64 v[136:137], v[108:109], v[54:55]
	v_fmac_f64_e32 v[134:135], v[106:107], v[48:49]
	v_add_f64 v[6:7], v[6:7], v[132:133]
	v_add_f64 v[4:5], v[4:5], v[8:9]
	v_mul_f64 v[8:9], v[110:111], v[54:55]
	v_fmac_f64_e32 v[136:137], v[110:111], v[52:53]
	v_add_f64 v[6:7], v[6:7], v[134:135]
	v_fma_f64 v[8:9], v[108:109], v[52:53], -v[8:9]
	v_add_f64 v[6:7], v[6:7], v[136:137]
	v_add_f64 v[4:5], v[4:5], v[8:9]
	s_waitcnt vmcnt(0)
	v_add_f64 v[4:5], v[56:57], -v[4:5]
	v_add_f64 v[6:7], v[58:59], -v[6:7]
	scratch_store_dwordx4 off, v[4:7], off offset:368
	s_and_saveexec_b64 s[0:1], vcc
	s_cbranch_execz .LBB99_187
; %bb.186:
	scratch_load_dwordx4 v[6:9], off, s30
	v_mov_b32_e32 v3, v2
	v_mov_b32_e32 v4, v2
	;; [unrolled: 1-line block ×3, first 2 shown]
	scratch_store_dwordx4 off, v[2:5], off offset:352
	s_waitcnt vmcnt(1)
	ds_write_b128 v1, v[6:9]
.LBB99_187:
	s_or_b64 exec, exec, s[0:1]
	s_waitcnt lgkmcnt(0)
	; wave barrier
	scratch_load_dwordx4 v[4:7], off, off offset:368
	scratch_load_dwordx4 v[8:11], off, off offset:384
	;; [unrolled: 1-line block ×14, first 2 shown]
	ds_read_b128 v[60:63], v2 offset:928
	ds_read_b128 v[64:67], v2 offset:944
	;; [unrolled: 1-line block ×14, first 2 shown]
	scratch_load_dwordx4 v[116:119], off, off offset:352
	v_cmp_lt_u32_e32 vcc, 20, v0
	s_waitcnt vmcnt(14) lgkmcnt(13)
	v_mul_f64 v[2:3], v[60:61], v[6:7]
	s_waitcnt vmcnt(13) lgkmcnt(12)
	v_mul_f64 v[120:121], v[64:65], v[10:11]
	v_fmac_f64_e32 v[2:3], v[62:63], v[4:5]
	s_waitcnt vmcnt(12) lgkmcnt(11)
	v_mul_f64 v[122:123], v[68:69], v[14:15]
	v_fmac_f64_e32 v[120:121], v[66:67], v[8:9]
	v_add_f64 v[2:3], v[2:3], 0
	s_waitcnt vmcnt(11) lgkmcnt(10)
	v_mul_f64 v[124:125], v[72:73], v[18:19]
	v_fmac_f64_e32 v[122:123], v[70:71], v[12:13]
	v_add_f64 v[2:3], v[2:3], v[120:121]
	;; [unrolled: 4-line block ×4, first 2 shown]
	s_waitcnt vmcnt(8) lgkmcnt(7)
	v_mul_f64 v[130:131], v[84:85], v[30:31]
	v_mul_f64 v[6:7], v[62:63], v[6:7]
	v_fmac_f64_e32 v[128:129], v[82:83], v[24:25]
	v_add_f64 v[2:3], v[2:3], v[126:127]
	s_waitcnt vmcnt(7) lgkmcnt(6)
	v_mul_f64 v[132:133], v[88:89], v[34:35]
	v_mul_f64 v[10:11], v[66:67], v[10:11]
	v_fmac_f64_e32 v[130:131], v[86:87], v[28:29]
	v_fma_f64 v[4:5], v[60:61], v[4:5], -v[6:7]
	v_add_f64 v[2:3], v[2:3], v[128:129]
	s_waitcnt vmcnt(6) lgkmcnt(5)
	v_mul_f64 v[134:135], v[92:93], v[38:39]
	v_mul_f64 v[14:15], v[70:71], v[14:15]
	v_fmac_f64_e32 v[132:133], v[90:91], v[32:33]
	v_fma_f64 v[6:7], v[64:65], v[8:9], -v[10:11]
	v_add_f64 v[4:5], v[4:5], 0
	v_add_f64 v[2:3], v[2:3], v[130:131]
	s_waitcnt vmcnt(5) lgkmcnt(4)
	v_mul_f64 v[136:137], v[96:97], v[42:43]
	v_mul_f64 v[18:19], v[74:75], v[18:19]
	v_fmac_f64_e32 v[134:135], v[94:95], v[36:37]
	v_fma_f64 v[8:9], v[68:69], v[12:13], -v[14:15]
	v_add_f64 v[4:5], v[4:5], v[6:7]
	;; [unrolled: 7-line block ×6, first 2 shown]
	v_add_f64 v[2:3], v[2:3], v[140:141]
	v_fmac_f64_e32 v[144:145], v[114:115], v[56:57]
	v_fma_f64 v[18:19], v[88:89], v[32:33], -v[34:35]
	v_add_f64 v[4:5], v[4:5], v[16:17]
	v_add_f64 v[2:3], v[2:3], v[142:143]
	;; [unrolled: 1-line block ×4, first 2 shown]
	v_mul_f64 v[4:5], v[94:95], v[38:39]
	v_fma_f64 v[4:5], v[92:93], v[36:37], -v[4:5]
	v_add_f64 v[2:3], v[2:3], v[4:5]
	v_mul_f64 v[4:5], v[98:99], v[42:43]
	v_fma_f64 v[4:5], v[96:97], v[40:41], -v[4:5]
	v_add_f64 v[2:3], v[2:3], v[4:5]
	;; [unrolled: 3-line block ×6, first 2 shown]
	s_waitcnt vmcnt(0)
	v_add_f64 v[2:3], v[116:117], -v[2:3]
	v_add_f64 v[4:5], v[118:119], -v[6:7]
	scratch_store_dwordx4 off, v[2:5], off offset:352
	s_and_saveexec_b64 s[0:1], vcc
	s_cbranch_execz .LBB99_189
; %bb.188:
	scratch_load_dwordx4 v[2:5], off, s31
	v_mov_b32_e32 v6, 0
	v_mov_b32_e32 v7, v6
	;; [unrolled: 1-line block ×4, first 2 shown]
	scratch_store_dwordx4 off, v[6:9], off offset:336
	s_waitcnt vmcnt(1)
	ds_write_b128 v1, v[2:5]
.LBB99_189:
	s_or_b64 exec, exec, s[0:1]
	s_waitcnt lgkmcnt(0)
	; wave barrier
	scratch_load_dwordx4 v[4:7], off, off offset:352
	scratch_load_dwordx4 v[8:11], off, off offset:368
	;; [unrolled: 1-line block ×16, first 2 shown]
	v_mov_b32_e32 v2, 0
	ds_read_b128 v[68:71], v2 offset:912
	ds_read_b128 v[72:75], v2 offset:928
	;; [unrolled: 1-line block ×15, first 2 shown]
	v_cmp_lt_u32_e32 vcc, 19, v0
	s_waitcnt vmcnt(15) lgkmcnt(14)
	v_mul_f64 v[128:129], v[68:69], v[6:7]
	v_mul_f64 v[6:7], v[70:71], v[6:7]
	s_waitcnt vmcnt(14) lgkmcnt(13)
	v_mul_f64 v[130:131], v[72:73], v[10:11]
	v_mul_f64 v[10:11], v[74:75], v[10:11]
	v_fmac_f64_e32 v[128:129], v[70:71], v[4:5]
	v_fma_f64 v[4:5], v[68:69], v[4:5], -v[6:7]
	s_waitcnt vmcnt(13) lgkmcnt(12)
	v_mul_f64 v[132:133], v[76:77], v[14:15]
	v_mul_f64 v[14:15], v[78:79], v[14:15]
	v_fma_f64 v[6:7], v[72:73], v[8:9], -v[10:11]
	v_add_f64 v[4:5], v[4:5], 0
	s_waitcnt vmcnt(12) lgkmcnt(11)
	v_mul_f64 v[134:135], v[80:81], v[18:19]
	v_mul_f64 v[18:19], v[82:83], v[18:19]
	v_fmac_f64_e32 v[130:131], v[74:75], v[8:9]
	v_fma_f64 v[8:9], v[76:77], v[12:13], -v[14:15]
	v_add_f64 v[4:5], v[4:5], v[6:7]
	s_waitcnt vmcnt(11) lgkmcnt(10)
	v_mul_f64 v[136:137], v[84:85], v[22:23]
	v_mul_f64 v[22:23], v[86:87], v[22:23]
	v_fma_f64 v[10:11], v[80:81], v[16:17], -v[18:19]
	v_add_f64 v[4:5], v[4:5], v[8:9]
	s_waitcnt vmcnt(10) lgkmcnt(9)
	v_mul_f64 v[138:139], v[88:89], v[26:27]
	v_mul_f64 v[26:27], v[90:91], v[26:27]
	v_fmac_f64_e32 v[132:133], v[78:79], v[12:13]
	v_fma_f64 v[12:13], v[84:85], v[20:21], -v[22:23]
	v_add_f64 v[4:5], v[4:5], v[10:11]
	v_fma_f64 v[14:15], v[88:89], v[24:25], -v[26:27]
	v_add_f64 v[4:5], v[4:5], v[12:13]
	s_waitcnt vmcnt(9) lgkmcnt(8)
	v_mul_f64 v[8:9], v[94:95], v[30:31]
	v_add_f64 v[4:5], v[4:5], v[14:15]
	v_fma_f64 v[8:9], v[92:93], v[28:29], -v[8:9]
	v_add_f64 v[4:5], v[4:5], v[8:9]
	s_waitcnt vmcnt(8) lgkmcnt(7)
	v_mul_f64 v[8:9], v[98:99], v[34:35]
	v_fma_f64 v[8:9], v[96:97], v[32:33], -v[8:9]
	v_fmac_f64_e32 v[134:135], v[82:83], v[16:17]
	v_add_f64 v[16:17], v[128:129], 0
	v_add_f64 v[4:5], v[4:5], v[8:9]
	s_waitcnt vmcnt(7) lgkmcnt(6)
	v_mul_f64 v[8:9], v[102:103], v[38:39]
	v_add_f64 v[16:17], v[16:17], v[130:131]
	v_fma_f64 v[8:9], v[100:101], v[36:37], -v[8:9]
	v_add_f64 v[6:7], v[16:17], v[132:133]
	v_add_f64 v[4:5], v[4:5], v[8:9]
	s_waitcnt vmcnt(6) lgkmcnt(5)
	v_mul_f64 v[8:9], v[106:107], v[42:43]
	v_fmac_f64_e32 v[136:137], v[86:87], v[20:21]
	v_add_f64 v[6:7], v[6:7], v[134:135]
	v_fma_f64 v[8:9], v[104:105], v[40:41], -v[8:9]
	v_mul_f64 v[140:141], v[92:93], v[30:31]
	v_fmac_f64_e32 v[138:139], v[90:91], v[24:25]
	v_add_f64 v[6:7], v[6:7], v[136:137]
	v_add_f64 v[4:5], v[4:5], v[8:9]
	s_waitcnt vmcnt(5) lgkmcnt(4)
	v_mul_f64 v[8:9], v[110:111], v[46:47]
	v_mul_f64 v[142:143], v[96:97], v[34:35]
	v_fmac_f64_e32 v[140:141], v[94:95], v[28:29]
	v_add_f64 v[6:7], v[6:7], v[138:139]
	v_fma_f64 v[8:9], v[108:109], v[44:45], -v[8:9]
	v_mul_f64 v[144:145], v[100:101], v[38:39]
	v_fmac_f64_e32 v[142:143], v[98:99], v[32:33]
	v_add_f64 v[6:7], v[6:7], v[140:141]
	v_add_f64 v[4:5], v[4:5], v[8:9]
	s_waitcnt vmcnt(4) lgkmcnt(3)
	v_mul_f64 v[8:9], v[114:115], v[50:51]
	;; [unrolled: 10-line block ×4, first 2 shown]
	v_mul_f64 v[154:155], v[120:121], v[58:59]
	v_fmac_f64_e32 v[152:153], v[118:119], v[52:53]
	v_add_f64 v[6:7], v[6:7], v[150:151]
	v_fma_f64 v[8:9], v[120:121], v[56:57], -v[8:9]
	s_waitcnt vmcnt(1) lgkmcnt(0)
	v_mul_f64 v[156:157], v[124:125], v[62:63]
	v_fmac_f64_e32 v[154:155], v[122:123], v[56:57]
	v_add_f64 v[6:7], v[6:7], v[152:153]
	v_add_f64 v[4:5], v[4:5], v[8:9]
	v_mul_f64 v[8:9], v[126:127], v[62:63]
	v_fmac_f64_e32 v[156:157], v[126:127], v[60:61]
	v_add_f64 v[6:7], v[6:7], v[154:155]
	v_fma_f64 v[8:9], v[124:125], v[60:61], -v[8:9]
	v_add_f64 v[6:7], v[6:7], v[156:157]
	v_add_f64 v[4:5], v[4:5], v[8:9]
	s_waitcnt vmcnt(0)
	v_add_f64 v[4:5], v[64:65], -v[4:5]
	v_add_f64 v[6:7], v[66:67], -v[6:7]
	scratch_store_dwordx4 off, v[4:7], off offset:336
	s_and_saveexec_b64 s[0:1], vcc
	s_cbranch_execz .LBB99_191
; %bb.190:
	scratch_load_dwordx4 v[6:9], off, s33
	v_mov_b32_e32 v3, v2
	v_mov_b32_e32 v4, v2
	;; [unrolled: 1-line block ×3, first 2 shown]
	scratch_store_dwordx4 off, v[2:5], off offset:320
	s_waitcnt vmcnt(1)
	ds_write_b128 v1, v[6:9]
.LBB99_191:
	s_or_b64 exec, exec, s[0:1]
	s_waitcnt lgkmcnt(0)
	; wave barrier
	scratch_load_dwordx4 v[4:7], off, off offset:336
	scratch_load_dwordx4 v[8:11], off, off offset:352
	;; [unrolled: 1-line block ×16, first 2 shown]
	ds_read_b128 v[68:71], v2 offset:896
	ds_read_b128 v[72:75], v2 offset:912
	;; [unrolled: 1-line block ×16, first 2 shown]
	scratch_load_dwordx4 v[132:135], off, off offset:320
	v_cmp_lt_u32_e32 vcc, 18, v0
	s_waitcnt vmcnt(16) lgkmcnt(14)
	v_mul_f64 v[2:3], v[68:69], v[6:7]
	s_waitcnt vmcnt(15)
	v_mul_f64 v[136:137], v[72:73], v[10:11]
	v_fmac_f64_e32 v[2:3], v[70:71], v[4:5]
	s_waitcnt vmcnt(14) lgkmcnt(13)
	v_mul_f64 v[138:139], v[76:77], v[14:15]
	v_fmac_f64_e32 v[136:137], v[74:75], v[8:9]
	v_add_f64 v[2:3], v[2:3], 0
	s_waitcnt vmcnt(13) lgkmcnt(12)
	v_mul_f64 v[140:141], v[80:81], v[18:19]
	v_fmac_f64_e32 v[138:139], v[78:79], v[12:13]
	v_add_f64 v[2:3], v[2:3], v[136:137]
	;; [unrolled: 4-line block ×10, first 2 shown]
	s_waitcnt vmcnt(4) lgkmcnt(3)
	v_mul_f64 v[158:159], v[116:117], v[54:55]
	v_mul_f64 v[6:7], v[70:71], v[6:7]
	v_fmac_f64_e32 v[156:157], v[114:115], v[48:49]
	v_add_f64 v[2:3], v[2:3], v[154:155]
	s_waitcnt vmcnt(3) lgkmcnt(2)
	v_mul_f64 v[160:161], v[120:121], v[58:59]
	v_mul_f64 v[10:11], v[74:75], v[10:11]
	v_fmac_f64_e32 v[158:159], v[118:119], v[52:53]
	v_fma_f64 v[4:5], v[68:69], v[4:5], -v[6:7]
	v_add_f64 v[2:3], v[2:3], v[156:157]
	s_waitcnt vmcnt(2) lgkmcnt(1)
	v_mul_f64 v[162:163], v[124:125], v[62:63]
	v_mul_f64 v[14:15], v[78:79], v[14:15]
	v_fmac_f64_e32 v[160:161], v[122:123], v[56:57]
	v_fma_f64 v[6:7], v[72:73], v[8:9], -v[10:11]
	v_add_f64 v[4:5], v[4:5], 0
	v_add_f64 v[2:3], v[2:3], v[158:159]
	s_waitcnt vmcnt(1) lgkmcnt(0)
	v_mul_f64 v[164:165], v[128:129], v[66:67]
	v_mul_f64 v[18:19], v[82:83], v[18:19]
	v_fmac_f64_e32 v[162:163], v[126:127], v[60:61]
	v_fma_f64 v[8:9], v[76:77], v[12:13], -v[14:15]
	v_add_f64 v[4:5], v[4:5], v[6:7]
	v_add_f64 v[2:3], v[2:3], v[160:161]
	v_mul_f64 v[26:27], v[86:87], v[26:27]
	v_fmac_f64_e32 v[164:165], v[130:131], v[64:65]
	v_fma_f64 v[10:11], v[80:81], v[16:17], -v[18:19]
	v_add_f64 v[4:5], v[4:5], v[8:9]
	v_add_f64 v[2:3], v[2:3], v[162:163]
	v_fma_f64 v[12:13], v[84:85], v[24:25], -v[26:27]
	v_add_f64 v[4:5], v[4:5], v[10:11]
	v_add_f64 v[6:7], v[2:3], v[164:165]
	v_mul_f64 v[2:3], v[90:91], v[22:23]
	v_add_f64 v[4:5], v[4:5], v[12:13]
	v_fma_f64 v[2:3], v[88:89], v[20:21], -v[2:3]
	v_add_f64 v[2:3], v[4:5], v[2:3]
	v_mul_f64 v[4:5], v[94:95], v[30:31]
	v_fma_f64 v[4:5], v[92:93], v[28:29], -v[4:5]
	v_add_f64 v[2:3], v[2:3], v[4:5]
	v_mul_f64 v[4:5], v[98:99], v[34:35]
	;; [unrolled: 3-line block ×10, first 2 shown]
	v_fma_f64 v[4:5], v[128:129], v[64:65], -v[4:5]
	v_add_f64 v[2:3], v[2:3], v[4:5]
	s_waitcnt vmcnt(0)
	v_add_f64 v[2:3], v[132:133], -v[2:3]
	v_add_f64 v[4:5], v[134:135], -v[6:7]
	scratch_store_dwordx4 off, v[2:5], off offset:320
	s_and_saveexec_b64 s[0:1], vcc
	s_cbranch_execz .LBB99_193
; %bb.192:
	scratch_load_dwordx4 v[2:5], off, s34
	v_mov_b32_e32 v6, 0
	v_mov_b32_e32 v7, v6
	v_mov_b32_e32 v8, v6
	v_mov_b32_e32 v9, v6
	scratch_store_dwordx4 off, v[6:9], off offset:304
	s_waitcnt vmcnt(1)
	ds_write_b128 v1, v[2:5]
.LBB99_193:
	s_or_b64 exec, exec, s[0:1]
	s_waitcnt lgkmcnt(0)
	; wave barrier
	scratch_load_dwordx4 v[4:7], off, off offset:320
	scratch_load_dwordx4 v[8:11], off, off offset:336
	;; [unrolled: 1-line block ×18, first 2 shown]
	v_mov_b32_e32 v2, 0
	ds_read_b128 v[76:79], v2 offset:880
	ds_read_b128 v[80:83], v2 offset:896
	;; [unrolled: 1-line block ×17, first 2 shown]
	v_cmp_lt_u32_e32 vcc, 17, v0
	s_waitcnt vmcnt(17) lgkmcnt(14)
	v_mul_f64 v[144:145], v[76:77], v[6:7]
	v_mul_f64 v[6:7], v[78:79], v[6:7]
	s_waitcnt vmcnt(16)
	v_mul_f64 v[146:147], v[80:81], v[10:11]
	v_mul_f64 v[10:11], v[82:83], v[10:11]
	v_fmac_f64_e32 v[144:145], v[78:79], v[4:5]
	v_fma_f64 v[4:5], v[76:77], v[4:5], -v[6:7]
	s_waitcnt vmcnt(15)
	v_mul_f64 v[148:149], v[84:85], v[18:19]
	v_mul_f64 v[18:19], v[86:87], v[18:19]
	v_fma_f64 v[6:7], v[80:81], v[8:9], -v[10:11]
	v_add_f64 v[4:5], v[4:5], 0
	s_waitcnt vmcnt(14) lgkmcnt(13)
	v_mul_f64 v[150:151], v[88:89], v[14:15]
	v_mul_f64 v[14:15], v[90:91], v[14:15]
	v_fmac_f64_e32 v[146:147], v[82:83], v[8:9]
	v_fma_f64 v[8:9], v[84:85], v[16:17], -v[18:19]
	v_add_f64 v[4:5], v[4:5], v[6:7]
	v_add_f64 v[4:5], v[4:5], v[8:9]
	v_fma_f64 v[8:9], v[88:89], v[12:13], -v[14:15]
	v_add_f64 v[4:5], v[4:5], v[8:9]
	s_waitcnt vmcnt(13) lgkmcnt(12)
	v_mul_f64 v[8:9], v[94:95], v[22:23]
	v_fma_f64 v[8:9], v[92:93], v[20:21], -v[8:9]
	v_add_f64 v[4:5], v[4:5], v[8:9]
	s_waitcnt vmcnt(12) lgkmcnt(11)
	v_mul_f64 v[8:9], v[98:99], v[26:27]
	;; [unrolled: 4-line block ×5, first 2 shown]
	v_fma_f64 v[8:9], v[108:109], v[36:37], -v[8:9]
	v_add_f64 v[10:11], v[144:145], 0
	v_add_f64 v[4:5], v[4:5], v[8:9]
	s_waitcnt vmcnt(8) lgkmcnt(7)
	v_mul_f64 v[8:9], v[114:115], v[42:43]
	v_fmac_f64_e32 v[148:149], v[86:87], v[16:17]
	v_add_f64 v[10:11], v[10:11], v[146:147]
	v_fma_f64 v[8:9], v[112:113], v[40:41], -v[8:9]
	v_mul_f64 v[152:153], v[92:93], v[22:23]
	v_fmac_f64_e32 v[150:151], v[90:91], v[12:13]
	v_add_f64 v[6:7], v[10:11], v[148:149]
	v_add_f64 v[4:5], v[4:5], v[8:9]
	s_waitcnt vmcnt(7) lgkmcnt(6)
	v_mul_f64 v[8:9], v[118:119], v[46:47]
	v_mul_f64 v[154:155], v[96:97], v[26:27]
	v_fmac_f64_e32 v[152:153], v[94:95], v[20:21]
	v_add_f64 v[6:7], v[6:7], v[150:151]
	v_fma_f64 v[8:9], v[116:117], v[44:45], -v[8:9]
	v_mul_f64 v[156:157], v[100:101], v[30:31]
	v_fmac_f64_e32 v[154:155], v[98:99], v[24:25]
	v_add_f64 v[6:7], v[6:7], v[152:153]
	v_add_f64 v[4:5], v[4:5], v[8:9]
	s_waitcnt vmcnt(6) lgkmcnt(5)
	v_mul_f64 v[8:9], v[122:123], v[50:51]
	;; [unrolled: 10-line block ×6, first 2 shown]
	v_mul_f64 v[174:175], v[136:137], v[66:67]
	v_fmac_f64_e32 v[172:173], v[134:135], v[60:61]
	v_add_f64 v[6:7], v[6:7], v[170:171]
	v_fma_f64 v[8:9], v[136:137], v[64:65], -v[8:9]
	s_waitcnt vmcnt(1) lgkmcnt(0)
	v_mul_f64 v[176:177], v[140:141], v[70:71]
	v_fmac_f64_e32 v[174:175], v[138:139], v[64:65]
	v_add_f64 v[6:7], v[6:7], v[172:173]
	v_add_f64 v[4:5], v[4:5], v[8:9]
	v_mul_f64 v[8:9], v[142:143], v[70:71]
	v_fmac_f64_e32 v[176:177], v[142:143], v[68:69]
	v_add_f64 v[6:7], v[6:7], v[174:175]
	v_fma_f64 v[8:9], v[140:141], v[68:69], -v[8:9]
	v_add_f64 v[6:7], v[6:7], v[176:177]
	v_add_f64 v[4:5], v[4:5], v[8:9]
	s_waitcnt vmcnt(0)
	v_add_f64 v[4:5], v[72:73], -v[4:5]
	v_add_f64 v[6:7], v[74:75], -v[6:7]
	scratch_store_dwordx4 off, v[4:7], off offset:304
	s_and_saveexec_b64 s[0:1], vcc
	s_cbranch_execz .LBB99_195
; %bb.194:
	scratch_load_dwordx4 v[6:9], off, s35
	v_mov_b32_e32 v3, v2
	v_mov_b32_e32 v4, v2
	;; [unrolled: 1-line block ×3, first 2 shown]
	scratch_store_dwordx4 off, v[2:5], off offset:288
	s_waitcnt vmcnt(1)
	ds_write_b128 v1, v[6:9]
.LBB99_195:
	s_or_b64 exec, exec, s[0:1]
	s_waitcnt lgkmcnt(0)
	; wave barrier
	ds_read_b128 v[16:19], v2 offset:864
	ds_read_b128 v[12:15], v2 offset:880
	;; [unrolled: 1-line block ×4, first 2 shown]
	scratch_load_dwordx4 v[20:23], off, off offset:304
	scratch_load_dwordx4 v[40:43], off, off offset:368
	;; [unrolled: 1-line block ×12, first 2 shown]
	v_cmp_lt_u32_e32 vcc, 16, v0
	scratch_load_dwordx4 v[48:51], off, off offset:384
	scratch_load_dwordx4 v[56:59], off, off offset:400
	;; [unrolled: 1-line block ×3, first 2 shown]
	s_waitcnt vmcnt(14) lgkmcnt(3)
	v_mul_f64 v[24:25], v[16:17], v[22:23]
	v_fmac_f64_e32 v[24:25], v[18:19], v[20:21]
	v_add_f64 v[28:29], v[24:25], 0
	scratch_load_dwordx4 v[24:27], off, off offset:320
	s_waitcnt vmcnt(0) lgkmcnt(2)
	v_mul_f64 v[30:31], v[12:13], v[26:27]
	v_fmac_f64_e32 v[30:31], v[14:15], v[24:25]
	v_add_f64 v[32:33], v[28:29], v[30:31]
	scratch_load_dwordx4 v[28:31], off, off offset:336
	v_mul_f64 v[14:15], v[14:15], v[26:27]
	v_fma_f64 v[12:13], v[12:13], v[24:25], -v[14:15]
	s_waitcnt vmcnt(0) lgkmcnt(1)
	v_mul_f64 v[34:35], v[8:9], v[30:31]
	v_fmac_f64_e32 v[34:35], v[10:11], v[28:29]
	v_add_f64 v[36:37], v[32:33], v[34:35]
	scratch_load_dwordx4 v[32:35], off, off offset:352
	v_mul_f64 v[10:11], v[10:11], v[30:31]
	v_fma_f64 v[8:9], v[8:9], v[28:29], -v[10:11]
	s_waitcnt vmcnt(0) lgkmcnt(0)
	v_mul_f64 v[38:39], v[4:5], v[34:35]
	v_fmac_f64_e32 v[38:39], v[6:7], v[32:33]
	v_add_f64 v[44:45], v[36:37], v[38:39]
	ds_read_b128 v[36:39], v2 offset:928
	v_mul_f64 v[6:7], v[6:7], v[34:35]
	v_fma_f64 v[4:5], v[4:5], v[32:33], -v[6:7]
	s_waitcnt lgkmcnt(0)
	v_mul_f64 v[46:47], v[36:37], v[42:43]
	v_fmac_f64_e32 v[46:47], v[38:39], v[40:41]
	v_add_f64 v[52:53], v[44:45], v[46:47]
	ds_read_b128 v[44:47], v2 offset:944
	s_waitcnt lgkmcnt(0)
	v_mul_f64 v[54:55], v[44:45], v[50:51]
	v_fmac_f64_e32 v[54:55], v[46:47], v[48:49]
	v_add_f64 v[60:61], v[52:53], v[54:55]
	ds_read_b128 v[52:55], v2 offset:960
	;; [unrolled: 5-line block ×13, first 2 shown]
	s_waitcnt lgkmcnt(0)
	v_mul_f64 v[2:3], v[142:143], v[148:149]
	v_fmac_f64_e32 v[2:3], v[144:145], v[146:147]
	v_add_f64 v[80:81], v[80:81], v[2:3]
	v_mul_f64 v[2:3], v[18:19], v[22:23]
	v_fma_f64 v[2:3], v[16:17], v[20:21], -v[2:3]
	v_add_f64 v[2:3], v[2:3], 0
	v_add_f64 v[2:3], v[2:3], v[12:13]
	;; [unrolled: 1-line block ×4, first 2 shown]
	v_mul_f64 v[4:5], v[38:39], v[42:43]
	v_fma_f64 v[4:5], v[36:37], v[40:41], -v[4:5]
	v_add_f64 v[2:3], v[2:3], v[4:5]
	v_mul_f64 v[4:5], v[46:47], v[50:51]
	v_fma_f64 v[4:5], v[44:45], v[48:49], -v[4:5]
	v_add_f64 v[2:3], v[2:3], v[4:5]
	;; [unrolled: 3-line block ×14, first 2 shown]
	scratch_load_dwordx4 v[2:5], off, off offset:288
	s_waitcnt vmcnt(0)
	v_add_f64 v[2:3], v[2:3], -v[6:7]
	v_add_f64 v[4:5], v[4:5], -v[80:81]
	scratch_store_dwordx4 off, v[2:5], off offset:288
	s_and_saveexec_b64 s[0:1], vcc
	s_cbranch_execz .LBB99_197
; %bb.196:
	scratch_load_dwordx4 v[2:5], off, s36
	v_mov_b32_e32 v6, 0
	v_mov_b32_e32 v7, v6
	;; [unrolled: 1-line block ×4, first 2 shown]
	scratch_store_dwordx4 off, v[6:9], off offset:272
	s_waitcnt vmcnt(1)
	ds_write_b128 v1, v[2:5]
.LBB99_197:
	s_or_b64 exec, exec, s[0:1]
	v_mov_b32_e32 v2, 0
	s_waitcnt lgkmcnt(0)
	; wave barrier
	ds_read_b128 v[16:19], v2 offset:848
	ds_read_b128 v[12:15], v2 offset:864
	;; [unrolled: 1-line block ×4, first 2 shown]
	scratch_load_dwordx4 v[20:23], off, off offset:288
	scratch_load_dwordx4 v[40:43], off, off offset:352
	;; [unrolled: 1-line block ×13, first 2 shown]
	v_cmp_lt_u32_e32 vcc, 15, v0
	scratch_load_dwordx4 v[48:51], off, off offset:368
	scratch_load_dwordx4 v[56:59], off, off offset:384
	;; [unrolled: 1-line block ×3, first 2 shown]
	s_waitcnt vmcnt(15) lgkmcnt(3)
	v_mul_f64 v[24:25], v[16:17], v[22:23]
	v_fmac_f64_e32 v[24:25], v[18:19], v[20:21]
	v_add_f64 v[28:29], v[24:25], 0
	scratch_load_dwordx4 v[24:27], off, off offset:304
	v_mul_f64 v[18:19], v[18:19], v[22:23]
	v_fma_f64 v[16:17], v[16:17], v[20:21], -v[18:19]
	v_add_f64 v[16:17], v[16:17], 0
	s_waitcnt vmcnt(0) lgkmcnt(2)
	v_mul_f64 v[30:31], v[12:13], v[26:27]
	v_fmac_f64_e32 v[30:31], v[14:15], v[24:25]
	v_add_f64 v[32:33], v[28:29], v[30:31]
	scratch_load_dwordx4 v[28:31], off, off offset:320
	v_mul_f64 v[14:15], v[14:15], v[26:27]
	v_fma_f64 v[12:13], v[12:13], v[24:25], -v[14:15]
	v_add_f64 v[12:13], v[16:17], v[12:13]
	;; [unrolled: 8-line block ×3, first 2 shown]
	s_waitcnt vmcnt(0) lgkmcnt(0)
	v_mul_f64 v[38:39], v[4:5], v[34:35]
	v_fmac_f64_e32 v[38:39], v[6:7], v[32:33]
	v_add_f64 v[44:45], v[36:37], v[38:39]
	ds_read_b128 v[36:39], v2 offset:912
	v_mul_f64 v[6:7], v[6:7], v[34:35]
	v_fma_f64 v[4:5], v[4:5], v[32:33], -v[6:7]
	v_add_f64 v[4:5], v[8:9], v[4:5]
	s_waitcnt lgkmcnt(0)
	v_mul_f64 v[46:47], v[36:37], v[42:43]
	v_fmac_f64_e32 v[46:47], v[38:39], v[40:41]
	v_add_f64 v[52:53], v[44:45], v[46:47]
	ds_read_b128 v[44:47], v2 offset:928
	v_mul_f64 v[6:7], v[38:39], v[42:43]
	v_fma_f64 v[6:7], v[36:37], v[40:41], -v[6:7]
	v_add_f64 v[4:5], v[4:5], v[6:7]
	s_waitcnt lgkmcnt(0)
	;; [unrolled: 8-line block ×15, first 2 shown]
	v_mul_f64 v[6:7], v[152:153], v[156:157]
	v_fma_f64 v[6:7], v[150:151], v[154:155], -v[6:7]
	v_add_f64 v[8:9], v[4:5], v[6:7]
	scratch_load_dwordx4 v[4:7], off, off offset:272
	v_mul_f64 v[158:159], v[150:151], v[156:157]
	v_fmac_f64_e32 v[158:159], v[152:153], v[154:155]
	v_add_f64 v[88:89], v[88:89], v[158:159]
	s_waitcnt vmcnt(0)
	v_add_f64 v[4:5], v[4:5], -v[8:9]
	v_add_f64 v[6:7], v[6:7], -v[88:89]
	scratch_store_dwordx4 off, v[4:7], off offset:272
	s_and_saveexec_b64 s[0:1], vcc
	s_cbranch_execz .LBB99_199
; %bb.198:
	scratch_load_dwordx4 v[6:9], off, s37
	v_mov_b32_e32 v3, v2
	v_mov_b32_e32 v4, v2
	;; [unrolled: 1-line block ×3, first 2 shown]
	scratch_store_dwordx4 off, v[2:5], off offset:256
	s_waitcnt vmcnt(1)
	ds_write_b128 v1, v[6:9]
.LBB99_199:
	s_or_b64 exec, exec, s[0:1]
	s_waitcnt lgkmcnt(0)
	; wave barrier
	ds_read_b128 v[16:19], v2 offset:832
	ds_read_b128 v[12:15], v2 offset:848
	;; [unrolled: 1-line block ×4, first 2 shown]
	scratch_load_dwordx4 v[20:23], off, off offset:272
	scratch_load_dwordx4 v[40:43], off, off offset:336
	scratch_load_dwordx4 v[72:75], off, off offset:400
	scratch_load_dwordx4 v[80:83], off, off offset:416
	scratch_load_dwordx4 v[88:91], off, off offset:432
	scratch_load_dwordx4 v[98:101], off, off offset:448
	scratch_load_dwordx4 v[106:109], off, off offset:464
	scratch_load_dwordx4 v[114:117], off, off offset:480
	scratch_load_dwordx4 v[122:125], off, off offset:496
	scratch_load_dwordx4 v[130:133], off, off offset:512
	scratch_load_dwordx4 v[138:141], off, off offset:528
	scratch_load_dwordx4 v[146:149], off, off offset:544
	scratch_load_dwordx4 v[154:157], off, off offset:560
	scratch_load_dwordx4 v[162:165], off, off offset:576
	v_cmp_lt_u32_e32 vcc, 14, v0
	scratch_load_dwordx4 v[48:51], off, off offset:352
	scratch_load_dwordx4 v[56:59], off, off offset:368
	;; [unrolled: 1-line block ×3, first 2 shown]
	s_waitcnt vmcnt(16) lgkmcnt(3)
	v_mul_f64 v[24:25], v[16:17], v[22:23]
	v_fmac_f64_e32 v[24:25], v[18:19], v[20:21]
	v_add_f64 v[28:29], v[24:25], 0
	scratch_load_dwordx4 v[24:27], off, off offset:288
	s_waitcnt vmcnt(0) lgkmcnt(2)
	v_mul_f64 v[30:31], v[12:13], v[26:27]
	v_fmac_f64_e32 v[30:31], v[14:15], v[24:25]
	v_add_f64 v[32:33], v[28:29], v[30:31]
	scratch_load_dwordx4 v[28:31], off, off offset:304
	v_mul_f64 v[14:15], v[14:15], v[26:27]
	v_fma_f64 v[12:13], v[12:13], v[24:25], -v[14:15]
	s_waitcnt vmcnt(0) lgkmcnt(1)
	v_mul_f64 v[34:35], v[8:9], v[30:31]
	v_fmac_f64_e32 v[34:35], v[10:11], v[28:29]
	v_add_f64 v[36:37], v[32:33], v[34:35]
	scratch_load_dwordx4 v[32:35], off, off offset:320
	v_mul_f64 v[10:11], v[10:11], v[30:31]
	v_fma_f64 v[8:9], v[8:9], v[28:29], -v[10:11]
	s_waitcnt vmcnt(0) lgkmcnt(0)
	v_mul_f64 v[38:39], v[4:5], v[34:35]
	v_fmac_f64_e32 v[38:39], v[6:7], v[32:33]
	v_add_f64 v[44:45], v[36:37], v[38:39]
	ds_read_b128 v[36:39], v2 offset:896
	v_mul_f64 v[6:7], v[6:7], v[34:35]
	v_fma_f64 v[4:5], v[4:5], v[32:33], -v[6:7]
	s_waitcnt lgkmcnt(0)
	v_mul_f64 v[46:47], v[36:37], v[42:43]
	v_fmac_f64_e32 v[46:47], v[38:39], v[40:41]
	v_add_f64 v[52:53], v[44:45], v[46:47]
	ds_read_b128 v[44:47], v2 offset:912
	s_waitcnt lgkmcnt(0)
	v_mul_f64 v[54:55], v[44:45], v[50:51]
	v_fmac_f64_e32 v[54:55], v[46:47], v[48:49]
	v_add_f64 v[60:61], v[52:53], v[54:55]
	ds_read_b128 v[52:55], v2 offset:928
	;; [unrolled: 5-line block ×15, first 2 shown]
	s_waitcnt lgkmcnt(0)
	v_mul_f64 v[2:3], v[158:159], v[164:165]
	v_fmac_f64_e32 v[2:3], v[160:161], v[162:163]
	v_add_f64 v[96:97], v[96:97], v[2:3]
	v_mul_f64 v[2:3], v[18:19], v[22:23]
	v_fma_f64 v[2:3], v[16:17], v[20:21], -v[2:3]
	v_add_f64 v[2:3], v[2:3], 0
	v_add_f64 v[2:3], v[2:3], v[12:13]
	v_add_f64 v[2:3], v[2:3], v[8:9]
	v_add_f64 v[2:3], v[2:3], v[4:5]
	v_mul_f64 v[4:5], v[38:39], v[42:43]
	v_fma_f64 v[4:5], v[36:37], v[40:41], -v[4:5]
	v_add_f64 v[2:3], v[2:3], v[4:5]
	v_mul_f64 v[4:5], v[46:47], v[50:51]
	v_fma_f64 v[4:5], v[44:45], v[48:49], -v[4:5]
	v_add_f64 v[2:3], v[2:3], v[4:5]
	;; [unrolled: 3-line block ×16, first 2 shown]
	scratch_load_dwordx4 v[2:5], off, off offset:256
	s_waitcnt vmcnt(0)
	v_add_f64 v[2:3], v[2:3], -v[6:7]
	v_add_f64 v[4:5], v[4:5], -v[96:97]
	scratch_store_dwordx4 off, v[2:5], off offset:256
	s_and_saveexec_b64 s[0:1], vcc
	s_cbranch_execz .LBB99_201
; %bb.200:
	scratch_load_dwordx4 v[2:5], off, s38
	v_mov_b32_e32 v6, 0
	v_mov_b32_e32 v7, v6
	;; [unrolled: 1-line block ×4, first 2 shown]
	scratch_store_dwordx4 off, v[6:9], off offset:240
	s_waitcnt vmcnt(1)
	ds_write_b128 v1, v[2:5]
.LBB99_201:
	s_or_b64 exec, exec, s[0:1]
	v_mov_b32_e32 v2, 0
	s_waitcnt lgkmcnt(0)
	; wave barrier
	ds_read_b128 v[16:19], v2 offset:816
	ds_read_b128 v[12:15], v2 offset:832
	;; [unrolled: 1-line block ×4, first 2 shown]
	scratch_load_dwordx4 v[20:23], off, off offset:256
	scratch_load_dwordx4 v[40:43], off, off offset:320
	;; [unrolled: 1-line block ×15, first 2 shown]
	v_cmp_lt_u32_e32 vcc, 13, v0
	scratch_load_dwordx4 v[48:51], off, off offset:336
	scratch_load_dwordx4 v[56:59], off, off offset:352
	;; [unrolled: 1-line block ×3, first 2 shown]
	s_waitcnt vmcnt(17) lgkmcnt(3)
	v_mul_f64 v[24:25], v[16:17], v[22:23]
	v_fmac_f64_e32 v[24:25], v[18:19], v[20:21]
	v_add_f64 v[28:29], v[24:25], 0
	scratch_load_dwordx4 v[24:27], off, off offset:272
	v_mul_f64 v[18:19], v[18:19], v[22:23]
	v_fma_f64 v[16:17], v[16:17], v[20:21], -v[18:19]
	v_add_f64 v[16:17], v[16:17], 0
	s_waitcnt vmcnt(0) lgkmcnt(2)
	v_mul_f64 v[30:31], v[12:13], v[26:27]
	v_fmac_f64_e32 v[30:31], v[14:15], v[24:25]
	v_add_f64 v[32:33], v[28:29], v[30:31]
	scratch_load_dwordx4 v[28:31], off, off offset:288
	v_mul_f64 v[14:15], v[14:15], v[26:27]
	v_fma_f64 v[12:13], v[12:13], v[24:25], -v[14:15]
	v_add_f64 v[12:13], v[16:17], v[12:13]
	;; [unrolled: 8-line block ×3, first 2 shown]
	s_waitcnt vmcnt(0) lgkmcnt(0)
	v_mul_f64 v[38:39], v[4:5], v[34:35]
	v_fmac_f64_e32 v[38:39], v[6:7], v[32:33]
	v_add_f64 v[44:45], v[36:37], v[38:39]
	ds_read_b128 v[36:39], v2 offset:880
	v_mul_f64 v[6:7], v[6:7], v[34:35]
	v_fma_f64 v[4:5], v[4:5], v[32:33], -v[6:7]
	v_add_f64 v[4:5], v[8:9], v[4:5]
	s_waitcnt lgkmcnt(0)
	v_mul_f64 v[46:47], v[36:37], v[42:43]
	v_fmac_f64_e32 v[46:47], v[38:39], v[40:41]
	v_add_f64 v[52:53], v[44:45], v[46:47]
	ds_read_b128 v[44:47], v2 offset:896
	v_mul_f64 v[6:7], v[38:39], v[42:43]
	v_fma_f64 v[6:7], v[36:37], v[40:41], -v[6:7]
	v_add_f64 v[4:5], v[4:5], v[6:7]
	s_waitcnt lgkmcnt(0)
	;; [unrolled: 8-line block ×17, first 2 shown]
	v_mul_f64 v[6:7], v[168:169], v[172:173]
	v_fma_f64 v[6:7], v[166:167], v[170:171], -v[6:7]
	v_add_f64 v[8:9], v[4:5], v[6:7]
	scratch_load_dwordx4 v[4:7], off, off offset:240
	v_mul_f64 v[174:175], v[166:167], v[172:173]
	v_fmac_f64_e32 v[174:175], v[168:169], v[170:171]
	v_add_f64 v[104:105], v[104:105], v[174:175]
	s_waitcnt vmcnt(0)
	v_add_f64 v[4:5], v[4:5], -v[8:9]
	v_add_f64 v[6:7], v[6:7], -v[104:105]
	scratch_store_dwordx4 off, v[4:7], off offset:240
	s_and_saveexec_b64 s[0:1], vcc
	s_cbranch_execz .LBB99_203
; %bb.202:
	scratch_load_dwordx4 v[6:9], off, s39
	v_mov_b32_e32 v3, v2
	v_mov_b32_e32 v4, v2
	;; [unrolled: 1-line block ×3, first 2 shown]
	scratch_store_dwordx4 off, v[2:5], off offset:224
	s_waitcnt vmcnt(1)
	ds_write_b128 v1, v[6:9]
.LBB99_203:
	s_or_b64 exec, exec, s[0:1]
	s_waitcnt lgkmcnt(0)
	; wave barrier
	ds_read_b128 v[16:19], v2 offset:800
	ds_read_b128 v[12:15], v2 offset:816
	;; [unrolled: 1-line block ×4, first 2 shown]
	scratch_load_dwordx4 v[20:23], off, off offset:240
	scratch_load_dwordx4 v[40:43], off, off offset:304
	;; [unrolled: 1-line block ×16, first 2 shown]
	v_cmp_lt_u32_e32 vcc, 12, v0
	scratch_load_dwordx4 v[48:51], off, off offset:320
	scratch_load_dwordx4 v[56:59], off, off offset:336
	;; [unrolled: 1-line block ×3, first 2 shown]
	s_waitcnt vmcnt(18) lgkmcnt(3)
	v_mul_f64 v[24:25], v[16:17], v[22:23]
	v_fmac_f64_e32 v[24:25], v[18:19], v[20:21]
	v_add_f64 v[28:29], v[24:25], 0
	scratch_load_dwordx4 v[24:27], off, off offset:256
	s_waitcnt vmcnt(0) lgkmcnt(2)
	v_mul_f64 v[30:31], v[12:13], v[26:27]
	v_fmac_f64_e32 v[30:31], v[14:15], v[24:25]
	v_add_f64 v[32:33], v[28:29], v[30:31]
	scratch_load_dwordx4 v[28:31], off, off offset:272
	v_mul_f64 v[14:15], v[14:15], v[26:27]
	v_fma_f64 v[12:13], v[12:13], v[24:25], -v[14:15]
	s_waitcnt vmcnt(0) lgkmcnt(1)
	v_mul_f64 v[34:35], v[8:9], v[30:31]
	v_fmac_f64_e32 v[34:35], v[10:11], v[28:29]
	v_add_f64 v[36:37], v[32:33], v[34:35]
	scratch_load_dwordx4 v[32:35], off, off offset:288
	v_mul_f64 v[10:11], v[10:11], v[30:31]
	v_fma_f64 v[8:9], v[8:9], v[28:29], -v[10:11]
	s_waitcnt vmcnt(0) lgkmcnt(0)
	v_mul_f64 v[38:39], v[4:5], v[34:35]
	v_fmac_f64_e32 v[38:39], v[6:7], v[32:33]
	v_add_f64 v[44:45], v[36:37], v[38:39]
	ds_read_b128 v[36:39], v2 offset:864
	v_mul_f64 v[6:7], v[6:7], v[34:35]
	v_fma_f64 v[4:5], v[4:5], v[32:33], -v[6:7]
	s_waitcnt lgkmcnt(0)
	v_mul_f64 v[46:47], v[36:37], v[42:43]
	v_fmac_f64_e32 v[46:47], v[38:39], v[40:41]
	v_add_f64 v[52:53], v[44:45], v[46:47]
	ds_read_b128 v[44:47], v2 offset:880
	s_waitcnt lgkmcnt(0)
	v_mul_f64 v[54:55], v[44:45], v[50:51]
	v_fmac_f64_e32 v[54:55], v[46:47], v[48:49]
	v_add_f64 v[60:61], v[52:53], v[54:55]
	ds_read_b128 v[52:55], v2 offset:896
	;; [unrolled: 5-line block ×17, first 2 shown]
	s_waitcnt lgkmcnt(0)
	v_mul_f64 v[2:3], v[174:175], v[180:181]
	v_fmac_f64_e32 v[2:3], v[176:177], v[178:179]
	v_add_f64 v[120:121], v[120:121], v[2:3]
	v_mul_f64 v[2:3], v[18:19], v[22:23]
	v_fma_f64 v[2:3], v[16:17], v[20:21], -v[2:3]
	v_add_f64 v[2:3], v[2:3], 0
	v_add_f64 v[2:3], v[2:3], v[12:13]
	;; [unrolled: 1-line block ×4, first 2 shown]
	v_mul_f64 v[4:5], v[38:39], v[42:43]
	v_fma_f64 v[4:5], v[36:37], v[40:41], -v[4:5]
	v_add_f64 v[2:3], v[2:3], v[4:5]
	v_mul_f64 v[4:5], v[46:47], v[50:51]
	v_fma_f64 v[4:5], v[44:45], v[48:49], -v[4:5]
	v_add_f64 v[2:3], v[2:3], v[4:5]
	;; [unrolled: 3-line block ×18, first 2 shown]
	scratch_load_dwordx4 v[2:5], off, off offset:224
	s_waitcnt vmcnt(0)
	v_add_f64 v[2:3], v[2:3], -v[6:7]
	v_add_f64 v[4:5], v[4:5], -v[120:121]
	scratch_store_dwordx4 off, v[2:5], off offset:224
	s_and_saveexec_b64 s[0:1], vcc
	s_cbranch_execz .LBB99_205
; %bb.204:
	scratch_load_dwordx4 v[2:5], off, s40
	v_mov_b32_e32 v6, 0
	v_mov_b32_e32 v7, v6
	v_mov_b32_e32 v8, v6
	v_mov_b32_e32 v9, v6
	scratch_store_dwordx4 off, v[6:9], off offset:208
	s_waitcnt vmcnt(1)
	ds_write_b128 v1, v[2:5]
.LBB99_205:
	s_or_b64 exec, exec, s[0:1]
	v_mov_b32_e32 v2, 0
	s_waitcnt lgkmcnt(0)
	; wave barrier
	ds_read_b128 v[16:19], v2 offset:784
	ds_read_b128 v[12:15], v2 offset:800
	;; [unrolled: 1-line block ×4, first 2 shown]
	scratch_load_dwordx4 v[20:23], off, off offset:224
	scratch_load_dwordx4 v[40:43], off, off offset:288
	;; [unrolled: 1-line block ×17, first 2 shown]
	v_cmp_lt_u32_e32 vcc, 11, v0
	scratch_load_dwordx4 v[48:51], off, off offset:304
	scratch_load_dwordx4 v[56:59], off, off offset:320
	;; [unrolled: 1-line block ×3, first 2 shown]
	s_waitcnt vmcnt(19) lgkmcnt(3)
	v_mul_f64 v[24:25], v[16:17], v[22:23]
	v_fmac_f64_e32 v[24:25], v[18:19], v[20:21]
	v_add_f64 v[28:29], v[24:25], 0
	scratch_load_dwordx4 v[24:27], off, off offset:240
	v_mul_f64 v[18:19], v[18:19], v[22:23]
	v_fma_f64 v[16:17], v[16:17], v[20:21], -v[18:19]
	v_add_f64 v[16:17], v[16:17], 0
	s_waitcnt vmcnt(0) lgkmcnt(2)
	v_mul_f64 v[30:31], v[12:13], v[26:27]
	v_fmac_f64_e32 v[30:31], v[14:15], v[24:25]
	v_add_f64 v[32:33], v[28:29], v[30:31]
	scratch_load_dwordx4 v[28:31], off, off offset:256
	v_mul_f64 v[14:15], v[14:15], v[26:27]
	v_fma_f64 v[12:13], v[12:13], v[24:25], -v[14:15]
	v_add_f64 v[12:13], v[16:17], v[12:13]
	;; [unrolled: 8-line block ×3, first 2 shown]
	s_waitcnt vmcnt(0) lgkmcnt(0)
	v_mul_f64 v[38:39], v[4:5], v[34:35]
	v_fmac_f64_e32 v[38:39], v[6:7], v[32:33]
	v_add_f64 v[44:45], v[36:37], v[38:39]
	ds_read_b128 v[36:39], v2 offset:848
	v_mul_f64 v[6:7], v[6:7], v[34:35]
	v_fma_f64 v[4:5], v[4:5], v[32:33], -v[6:7]
	v_add_f64 v[4:5], v[8:9], v[4:5]
	s_waitcnt lgkmcnt(0)
	v_mul_f64 v[46:47], v[36:37], v[42:43]
	v_fmac_f64_e32 v[46:47], v[38:39], v[40:41]
	v_add_f64 v[52:53], v[44:45], v[46:47]
	ds_read_b128 v[44:47], v2 offset:864
	v_mul_f64 v[6:7], v[38:39], v[42:43]
	v_fma_f64 v[6:7], v[36:37], v[40:41], -v[6:7]
	v_add_f64 v[4:5], v[4:5], v[6:7]
	s_waitcnt lgkmcnt(0)
	;; [unrolled: 8-line block ×19, first 2 shown]
	v_mul_f64 v[6:7], v[184:185], v[188:189]
	v_fma_f64 v[6:7], v[182:183], v[186:187], -v[6:7]
	v_add_f64 v[8:9], v[4:5], v[6:7]
	scratch_load_dwordx4 v[4:7], off, off offset:208
	v_mul_f64 v[190:191], v[182:183], v[188:189]
	v_fmac_f64_e32 v[190:191], v[184:185], v[186:187]
	v_add_f64 v[128:129], v[128:129], v[190:191]
	s_waitcnt vmcnt(0)
	v_add_f64 v[4:5], v[4:5], -v[8:9]
	v_add_f64 v[6:7], v[6:7], -v[128:129]
	scratch_store_dwordx4 off, v[4:7], off offset:208
	s_and_saveexec_b64 s[0:1], vcc
	s_cbranch_execz .LBB99_207
; %bb.206:
	scratch_load_dwordx4 v[6:9], off, s41
	v_mov_b32_e32 v3, v2
	v_mov_b32_e32 v4, v2
	;; [unrolled: 1-line block ×3, first 2 shown]
	scratch_store_dwordx4 off, v[2:5], off offset:192
	s_waitcnt vmcnt(1)
	ds_write_b128 v1, v[6:9]
.LBB99_207:
	s_or_b64 exec, exec, s[0:1]
	s_waitcnt lgkmcnt(0)
	; wave barrier
	ds_read_b128 v[16:19], v2 offset:768
	ds_read_b128 v[12:15], v2 offset:784
	;; [unrolled: 1-line block ×4, first 2 shown]
	scratch_load_dwordx4 v[20:23], off, off offset:208
	scratch_load_dwordx4 v[40:43], off, off offset:272
	;; [unrolled: 1-line block ×18, first 2 shown]
	v_cmp_lt_u32_e32 vcc, 10, v0
	scratch_load_dwordx4 v[48:51], off, off offset:288
	scratch_load_dwordx4 v[56:59], off, off offset:304
	scratch_load_dwordx4 v[64:67], off, off offset:320
	s_waitcnt vmcnt(20) lgkmcnt(3)
	v_mul_f64 v[24:25], v[16:17], v[22:23]
	v_fmac_f64_e32 v[24:25], v[18:19], v[20:21]
	v_add_f64 v[28:29], v[24:25], 0
	scratch_load_dwordx4 v[24:27], off, off offset:224
	s_waitcnt vmcnt(0) lgkmcnt(2)
	v_mul_f64 v[30:31], v[12:13], v[26:27]
	v_fmac_f64_e32 v[30:31], v[14:15], v[24:25]
	v_add_f64 v[32:33], v[28:29], v[30:31]
	scratch_load_dwordx4 v[28:31], off, off offset:240
	v_mul_f64 v[14:15], v[14:15], v[26:27]
	v_fma_f64 v[12:13], v[12:13], v[24:25], -v[14:15]
	s_waitcnt vmcnt(0) lgkmcnt(1)
	v_mul_f64 v[34:35], v[8:9], v[30:31]
	v_fmac_f64_e32 v[34:35], v[10:11], v[28:29]
	v_add_f64 v[36:37], v[32:33], v[34:35]
	scratch_load_dwordx4 v[32:35], off, off offset:256
	v_mul_f64 v[10:11], v[10:11], v[30:31]
	v_fma_f64 v[8:9], v[8:9], v[28:29], -v[10:11]
	s_waitcnt vmcnt(0) lgkmcnt(0)
	v_mul_f64 v[38:39], v[4:5], v[34:35]
	v_fmac_f64_e32 v[38:39], v[6:7], v[32:33]
	v_add_f64 v[44:45], v[36:37], v[38:39]
	ds_read_b128 v[36:39], v2 offset:832
	v_mul_f64 v[6:7], v[6:7], v[34:35]
	v_fma_f64 v[4:5], v[4:5], v[32:33], -v[6:7]
	s_waitcnt lgkmcnt(0)
	v_mul_f64 v[46:47], v[36:37], v[42:43]
	v_fmac_f64_e32 v[46:47], v[38:39], v[40:41]
	v_add_f64 v[52:53], v[44:45], v[46:47]
	ds_read_b128 v[44:47], v2 offset:848
	s_waitcnt lgkmcnt(0)
	v_mul_f64 v[54:55], v[44:45], v[50:51]
	v_fmac_f64_e32 v[54:55], v[46:47], v[48:49]
	v_add_f64 v[60:61], v[52:53], v[54:55]
	ds_read_b128 v[52:55], v2 offset:864
	;; [unrolled: 5-line block ×19, first 2 shown]
	s_waitcnt lgkmcnt(0)
	v_mul_f64 v[2:3], v[190:191], v[196:197]
	v_fmac_f64_e32 v[2:3], v[192:193], v[194:195]
	v_add_f64 v[148:149], v[148:149], v[2:3]
	v_mul_f64 v[2:3], v[18:19], v[22:23]
	v_fma_f64 v[2:3], v[16:17], v[20:21], -v[2:3]
	v_add_f64 v[2:3], v[2:3], 0
	v_add_f64 v[2:3], v[2:3], v[12:13]
	;; [unrolled: 1-line block ×4, first 2 shown]
	v_mul_f64 v[4:5], v[38:39], v[42:43]
	v_fma_f64 v[4:5], v[36:37], v[40:41], -v[4:5]
	v_add_f64 v[2:3], v[2:3], v[4:5]
	v_mul_f64 v[4:5], v[46:47], v[50:51]
	v_fma_f64 v[4:5], v[44:45], v[48:49], -v[4:5]
	v_add_f64 v[2:3], v[2:3], v[4:5]
	;; [unrolled: 3-line block ×20, first 2 shown]
	scratch_load_dwordx4 v[2:5], off, off offset:192
	s_waitcnt vmcnt(0)
	v_add_f64 v[2:3], v[2:3], -v[6:7]
	v_add_f64 v[4:5], v[4:5], -v[148:149]
	scratch_store_dwordx4 off, v[2:5], off offset:192
	s_and_saveexec_b64 s[0:1], vcc
	s_cbranch_execz .LBB99_209
; %bb.208:
	scratch_load_dwordx4 v[2:5], off, s42
	v_mov_b32_e32 v6, 0
	v_mov_b32_e32 v7, v6
	;; [unrolled: 1-line block ×4, first 2 shown]
	scratch_store_dwordx4 off, v[6:9], off offset:176
	s_waitcnt vmcnt(1)
	ds_write_b128 v1, v[2:5]
.LBB99_209:
	s_or_b64 exec, exec, s[0:1]
	v_mov_b32_e32 v2, 0
	s_waitcnt lgkmcnt(0)
	; wave barrier
	ds_read_b128 v[16:19], v2 offset:752
	ds_read_b128 v[12:15], v2 offset:768
	;; [unrolled: 1-line block ×4, first 2 shown]
	scratch_load_dwordx4 v[20:23], off, off offset:192
	scratch_load_dwordx4 v[40:43], off, off offset:256
	;; [unrolled: 1-line block ×19, first 2 shown]
	v_cmp_lt_u32_e32 vcc, 9, v0
	scratch_load_dwordx4 v[48:51], off, off offset:272
	scratch_load_dwordx4 v[56:59], off, off offset:288
	;; [unrolled: 1-line block ×3, first 2 shown]
	s_waitcnt vmcnt(21) lgkmcnt(3)
	v_mul_f64 v[24:25], v[16:17], v[22:23]
	v_fmac_f64_e32 v[24:25], v[18:19], v[20:21]
	v_add_f64 v[28:29], v[24:25], 0
	scratch_load_dwordx4 v[24:27], off, off offset:208
	v_mul_f64 v[18:19], v[18:19], v[22:23]
	v_fma_f64 v[16:17], v[16:17], v[20:21], -v[18:19]
	v_add_f64 v[16:17], v[16:17], 0
	s_waitcnt vmcnt(0) lgkmcnt(2)
	v_mul_f64 v[30:31], v[12:13], v[26:27]
	v_fmac_f64_e32 v[30:31], v[14:15], v[24:25]
	v_add_f64 v[32:33], v[28:29], v[30:31]
	scratch_load_dwordx4 v[28:31], off, off offset:224
	v_mul_f64 v[14:15], v[14:15], v[26:27]
	v_fma_f64 v[12:13], v[12:13], v[24:25], -v[14:15]
	v_add_f64 v[12:13], v[16:17], v[12:13]
	;; [unrolled: 8-line block ×3, first 2 shown]
	s_waitcnt vmcnt(0) lgkmcnt(0)
	v_mul_f64 v[38:39], v[4:5], v[34:35]
	v_fmac_f64_e32 v[38:39], v[6:7], v[32:33]
	v_add_f64 v[44:45], v[36:37], v[38:39]
	ds_read_b128 v[36:39], v2 offset:816
	v_mul_f64 v[6:7], v[6:7], v[34:35]
	v_fma_f64 v[4:5], v[4:5], v[32:33], -v[6:7]
	v_add_f64 v[4:5], v[8:9], v[4:5]
	s_waitcnt lgkmcnt(0)
	v_mul_f64 v[46:47], v[36:37], v[42:43]
	v_fmac_f64_e32 v[46:47], v[38:39], v[40:41]
	v_add_f64 v[52:53], v[44:45], v[46:47]
	ds_read_b128 v[44:47], v2 offset:832
	v_mul_f64 v[6:7], v[38:39], v[42:43]
	v_fma_f64 v[6:7], v[36:37], v[40:41], -v[6:7]
	v_add_f64 v[4:5], v[4:5], v[6:7]
	s_waitcnt lgkmcnt(0)
	;; [unrolled: 8-line block ×21, first 2 shown]
	v_mul_f64 v[6:7], v[200:201], v[204:205]
	v_fma_f64 v[6:7], v[198:199], v[202:203], -v[6:7]
	v_add_f64 v[8:9], v[4:5], v[6:7]
	scratch_load_dwordx4 v[4:7], off, off offset:176
	v_mul_f64 v[206:207], v[198:199], v[204:205]
	v_fmac_f64_e32 v[206:207], v[200:201], v[202:203]
	v_add_f64 v[144:145], v[144:145], v[206:207]
	s_waitcnt vmcnt(0)
	v_add_f64 v[4:5], v[4:5], -v[8:9]
	v_add_f64 v[6:7], v[6:7], -v[144:145]
	scratch_store_dwordx4 off, v[4:7], off offset:176
	s_and_saveexec_b64 s[0:1], vcc
	s_cbranch_execz .LBB99_211
; %bb.210:
	scratch_load_dwordx4 v[6:9], off, s43
	v_mov_b32_e32 v3, v2
	v_mov_b32_e32 v4, v2
	;; [unrolled: 1-line block ×3, first 2 shown]
	scratch_store_dwordx4 off, v[2:5], off offset:160
	s_waitcnt vmcnt(1)
	ds_write_b128 v1, v[6:9]
.LBB99_211:
	s_or_b64 exec, exec, s[0:1]
	s_waitcnt lgkmcnt(0)
	; wave barrier
	ds_read_b128 v[16:19], v2 offset:736
	ds_read_b128 v[12:15], v2 offset:752
	ds_read_b128 v[8:11], v2 offset:768
	ds_read_b128 v[4:7], v2 offset:784
	scratch_load_dwordx4 v[20:23], off, off offset:176
	scratch_load_dwordx4 v[40:43], off, off offset:240
	;; [unrolled: 1-line block ×20, first 2 shown]
	v_cmp_lt_u32_e32 vcc, 8, v0
	scratch_load_dwordx4 v[48:51], off, off offset:256
	scratch_load_dwordx4 v[56:59], off, off offset:272
	;; [unrolled: 1-line block ×3, first 2 shown]
	s_waitcnt vmcnt(22) lgkmcnt(3)
	v_mul_f64 v[24:25], v[16:17], v[22:23]
	v_fmac_f64_e32 v[24:25], v[18:19], v[20:21]
	v_add_f64 v[28:29], v[24:25], 0
	scratch_load_dwordx4 v[24:27], off, off offset:192
	s_waitcnt vmcnt(0) lgkmcnt(2)
	v_mul_f64 v[30:31], v[12:13], v[26:27]
	v_fmac_f64_e32 v[30:31], v[14:15], v[24:25]
	v_add_f64 v[32:33], v[28:29], v[30:31]
	scratch_load_dwordx4 v[28:31], off, off offset:208
	v_mul_f64 v[14:15], v[14:15], v[26:27]
	v_fma_f64 v[12:13], v[12:13], v[24:25], -v[14:15]
	s_waitcnt vmcnt(0) lgkmcnt(1)
	v_mul_f64 v[34:35], v[8:9], v[30:31]
	v_fmac_f64_e32 v[34:35], v[10:11], v[28:29]
	v_add_f64 v[36:37], v[32:33], v[34:35]
	scratch_load_dwordx4 v[32:35], off, off offset:224
	v_mul_f64 v[10:11], v[10:11], v[30:31]
	v_fma_f64 v[8:9], v[8:9], v[28:29], -v[10:11]
	s_waitcnt vmcnt(0) lgkmcnt(0)
	v_mul_f64 v[38:39], v[4:5], v[34:35]
	v_fmac_f64_e32 v[38:39], v[6:7], v[32:33]
	v_add_f64 v[44:45], v[36:37], v[38:39]
	ds_read_b128 v[36:39], v2 offset:800
	v_mul_f64 v[6:7], v[6:7], v[34:35]
	v_fma_f64 v[4:5], v[4:5], v[32:33], -v[6:7]
	s_waitcnt lgkmcnt(0)
	v_mul_f64 v[46:47], v[36:37], v[42:43]
	v_fmac_f64_e32 v[46:47], v[38:39], v[40:41]
	v_add_f64 v[52:53], v[44:45], v[46:47]
	ds_read_b128 v[44:47], v2 offset:816
	s_waitcnt lgkmcnt(0)
	v_mul_f64 v[54:55], v[44:45], v[50:51]
	v_fmac_f64_e32 v[54:55], v[46:47], v[48:49]
	v_add_f64 v[60:61], v[52:53], v[54:55]
	ds_read_b128 v[52:55], v2 offset:832
	;; [unrolled: 5-line block ×21, first 2 shown]
	s_waitcnt lgkmcnt(0)
	v_mul_f64 v[2:3], v[206:207], v[212:213]
	v_fmac_f64_e32 v[2:3], v[208:209], v[210:211]
	v_add_f64 v[168:169], v[168:169], v[2:3]
	v_mul_f64 v[2:3], v[18:19], v[22:23]
	v_fma_f64 v[2:3], v[16:17], v[20:21], -v[2:3]
	v_add_f64 v[2:3], v[2:3], 0
	v_add_f64 v[2:3], v[2:3], v[12:13]
	;; [unrolled: 1-line block ×4, first 2 shown]
	v_mul_f64 v[4:5], v[38:39], v[42:43]
	v_fma_f64 v[4:5], v[36:37], v[40:41], -v[4:5]
	v_add_f64 v[2:3], v[2:3], v[4:5]
	v_mul_f64 v[4:5], v[46:47], v[50:51]
	v_fma_f64 v[4:5], v[44:45], v[48:49], -v[4:5]
	v_add_f64 v[2:3], v[2:3], v[4:5]
	;; [unrolled: 3-line block ×22, first 2 shown]
	scratch_load_dwordx4 v[2:5], off, off offset:160
	s_waitcnt vmcnt(0)
	v_add_f64 v[2:3], v[2:3], -v[6:7]
	v_add_f64 v[4:5], v[4:5], -v[168:169]
	scratch_store_dwordx4 off, v[2:5], off offset:160
	s_and_saveexec_b64 s[0:1], vcc
	s_cbranch_execz .LBB99_213
; %bb.212:
	scratch_load_dwordx4 v[2:5], off, s44
	v_mov_b32_e32 v6, 0
	v_mov_b32_e32 v7, v6
	;; [unrolled: 1-line block ×4, first 2 shown]
	scratch_store_dwordx4 off, v[6:9], off offset:144
	s_waitcnt vmcnt(1)
	ds_write_b128 v1, v[2:5]
.LBB99_213:
	s_or_b64 exec, exec, s[0:1]
	v_mov_b32_e32 v2, 0
	s_waitcnt lgkmcnt(0)
	; wave barrier
	ds_read_b128 v[16:19], v2 offset:720
	ds_read_b128 v[12:15], v2 offset:736
	;; [unrolled: 1-line block ×4, first 2 shown]
	scratch_load_dwordx4 v[20:23], off, off offset:160
	scratch_load_dwordx4 v[40:43], off, off offset:224
	;; [unrolled: 1-line block ×21, first 2 shown]
	v_cmp_lt_u32_e32 vcc, 7, v0
	scratch_load_dwordx4 v[48:51], off, off offset:240
	scratch_load_dwordx4 v[56:59], off, off offset:256
	;; [unrolled: 1-line block ×3, first 2 shown]
	s_waitcnt vmcnt(23) lgkmcnt(3)
	v_mul_f64 v[24:25], v[16:17], v[22:23]
	v_fmac_f64_e32 v[24:25], v[18:19], v[20:21]
	v_add_f64 v[28:29], v[24:25], 0
	scratch_load_dwordx4 v[24:27], off, off offset:176
	v_mul_f64 v[18:19], v[18:19], v[22:23]
	v_fma_f64 v[16:17], v[16:17], v[20:21], -v[18:19]
	v_add_f64 v[16:17], v[16:17], 0
	s_waitcnt vmcnt(0) lgkmcnt(2)
	v_mul_f64 v[30:31], v[12:13], v[26:27]
	v_fmac_f64_e32 v[30:31], v[14:15], v[24:25]
	v_add_f64 v[32:33], v[28:29], v[30:31]
	scratch_load_dwordx4 v[28:31], off, off offset:192
	v_mul_f64 v[14:15], v[14:15], v[26:27]
	v_fma_f64 v[12:13], v[12:13], v[24:25], -v[14:15]
	v_add_f64 v[12:13], v[16:17], v[12:13]
	;; [unrolled: 8-line block ×3, first 2 shown]
	s_waitcnt vmcnt(0) lgkmcnt(0)
	v_mul_f64 v[38:39], v[4:5], v[34:35]
	v_fmac_f64_e32 v[38:39], v[6:7], v[32:33]
	v_add_f64 v[44:45], v[36:37], v[38:39]
	ds_read_b128 v[36:39], v2 offset:784
	v_mul_f64 v[6:7], v[6:7], v[34:35]
	v_fma_f64 v[4:5], v[4:5], v[32:33], -v[6:7]
	v_add_f64 v[4:5], v[8:9], v[4:5]
	s_waitcnt lgkmcnt(0)
	v_mul_f64 v[46:47], v[36:37], v[42:43]
	v_fmac_f64_e32 v[46:47], v[38:39], v[40:41]
	v_add_f64 v[52:53], v[44:45], v[46:47]
	ds_read_b128 v[44:47], v2 offset:800
	v_mul_f64 v[6:7], v[38:39], v[42:43]
	v_fma_f64 v[6:7], v[36:37], v[40:41], -v[6:7]
	v_add_f64 v[4:5], v[4:5], v[6:7]
	s_waitcnt lgkmcnt(0)
	;; [unrolled: 8-line block ×23, first 2 shown]
	v_mul_f64 v[6:7], v[216:217], v[220:221]
	v_fma_f64 v[6:7], v[214:215], v[218:219], -v[6:7]
	v_add_f64 v[8:9], v[4:5], v[6:7]
	scratch_load_dwordx4 v[4:7], off, off offset:144
	v_mul_f64 v[222:223], v[214:215], v[220:221]
	v_fmac_f64_e32 v[222:223], v[216:217], v[218:219]
	v_add_f64 v[160:161], v[160:161], v[222:223]
	s_waitcnt vmcnt(0)
	v_add_f64 v[4:5], v[4:5], -v[8:9]
	v_add_f64 v[6:7], v[6:7], -v[160:161]
	scratch_store_dwordx4 off, v[4:7], off offset:144
	s_and_saveexec_b64 s[0:1], vcc
	s_cbranch_execz .LBB99_215
; %bb.214:
	scratch_load_dwordx4 v[6:9], off, s45
	v_mov_b32_e32 v3, v2
	v_mov_b32_e32 v4, v2
	;; [unrolled: 1-line block ×3, first 2 shown]
	scratch_store_dwordx4 off, v[2:5], off offset:128
	s_waitcnt vmcnt(1)
	ds_write_b128 v1, v[6:9]
.LBB99_215:
	s_or_b64 exec, exec, s[0:1]
	s_waitcnt lgkmcnt(0)
	; wave barrier
	ds_read_b128 v[16:19], v2 offset:704
	ds_read_b128 v[12:15], v2 offset:720
	;; [unrolled: 1-line block ×4, first 2 shown]
	scratch_load_dwordx4 v[20:23], off, off offset:144
	scratch_load_dwordx4 v[40:43], off, off offset:208
	;; [unrolled: 1-line block ×22, first 2 shown]
	v_cmp_lt_u32_e32 vcc, 6, v0
	scratch_load_dwordx4 v[48:51], off, off offset:224
	scratch_load_dwordx4 v[56:59], off, off offset:240
	;; [unrolled: 1-line block ×3, first 2 shown]
	s_waitcnt vmcnt(24) lgkmcnt(3)
	v_mul_f64 v[24:25], v[16:17], v[22:23]
	v_fmac_f64_e32 v[24:25], v[18:19], v[20:21]
	v_add_f64 v[28:29], v[24:25], 0
	scratch_load_dwordx4 v[24:27], off, off offset:160
	s_waitcnt vmcnt(0) lgkmcnt(2)
	v_mul_f64 v[30:31], v[12:13], v[26:27]
	v_fmac_f64_e32 v[30:31], v[14:15], v[24:25]
	v_add_f64 v[32:33], v[28:29], v[30:31]
	scratch_load_dwordx4 v[28:31], off, off offset:176
	v_mul_f64 v[14:15], v[14:15], v[26:27]
	v_fma_f64 v[12:13], v[12:13], v[24:25], -v[14:15]
	s_waitcnt vmcnt(0) lgkmcnt(1)
	v_mul_f64 v[34:35], v[8:9], v[30:31]
	v_fmac_f64_e32 v[34:35], v[10:11], v[28:29]
	v_add_f64 v[36:37], v[32:33], v[34:35]
	scratch_load_dwordx4 v[32:35], off, off offset:192
	v_mul_f64 v[10:11], v[10:11], v[30:31]
	v_fma_f64 v[8:9], v[8:9], v[28:29], -v[10:11]
	s_waitcnt vmcnt(0) lgkmcnt(0)
	v_mul_f64 v[38:39], v[4:5], v[34:35]
	v_fmac_f64_e32 v[38:39], v[6:7], v[32:33]
	v_add_f64 v[44:45], v[36:37], v[38:39]
	ds_read_b128 v[36:39], v2 offset:768
	v_mul_f64 v[6:7], v[6:7], v[34:35]
	v_fma_f64 v[4:5], v[4:5], v[32:33], -v[6:7]
	s_waitcnt lgkmcnt(0)
	v_mul_f64 v[46:47], v[36:37], v[42:43]
	v_fmac_f64_e32 v[46:47], v[38:39], v[40:41]
	v_add_f64 v[52:53], v[44:45], v[46:47]
	ds_read_b128 v[44:47], v2 offset:784
	s_waitcnt lgkmcnt(0)
	v_mul_f64 v[54:55], v[44:45], v[50:51]
	v_fmac_f64_e32 v[54:55], v[46:47], v[48:49]
	v_add_f64 v[60:61], v[52:53], v[54:55]
	ds_read_b128 v[52:55], v2 offset:800
	;; [unrolled: 5-line block ×23, first 2 shown]
	s_waitcnt lgkmcnt(0)
	v_mul_f64 v[2:3], v[222:223], v[228:229]
	v_fmac_f64_e32 v[2:3], v[224:225], v[226:227]
	v_add_f64 v[176:177], v[176:177], v[2:3]
	v_mul_f64 v[2:3], v[18:19], v[22:23]
	v_fma_f64 v[2:3], v[16:17], v[20:21], -v[2:3]
	v_add_f64 v[2:3], v[2:3], 0
	v_add_f64 v[2:3], v[2:3], v[12:13]
	;; [unrolled: 1-line block ×4, first 2 shown]
	v_mul_f64 v[4:5], v[38:39], v[42:43]
	v_fma_f64 v[4:5], v[36:37], v[40:41], -v[4:5]
	v_add_f64 v[2:3], v[2:3], v[4:5]
	v_mul_f64 v[4:5], v[46:47], v[50:51]
	v_fma_f64 v[4:5], v[44:45], v[48:49], -v[4:5]
	v_add_f64 v[2:3], v[2:3], v[4:5]
	v_mul_f64 v[4:5], v[54:55], v[58:59]
	v_fma_f64 v[4:5], v[52:53], v[56:57], -v[4:5]
	v_add_f64 v[2:3], v[2:3], v[4:5]
	v_mul_f64 v[4:5], v[62:63], v[66:67]
	v_fma_f64 v[4:5], v[60:61], v[64:65], -v[4:5]
	v_add_f64 v[2:3], v[2:3], v[4:5]
	v_mul_f64 v[4:5], v[70:71], v[74:75]
	v_fma_f64 v[4:5], v[68:69], v[72:73], -v[4:5]
	v_add_f64 v[2:3], v[2:3], v[4:5]
	v_mul_f64 v[4:5], v[78:79], v[82:83]
	v_fma_f64 v[4:5], v[76:77], v[80:81], -v[4:5]
	v_add_f64 v[2:3], v[2:3], v[4:5]
	v_mul_f64 v[4:5], v[86:87], v[90:91]
	v_fma_f64 v[4:5], v[84:85], v[88:89], -v[4:5]
	v_add_f64 v[2:3], v[2:3], v[4:5]
	v_mul_f64 v[4:5], v[94:95], v[98:99]
	v_fma_f64 v[4:5], v[92:93], v[96:97], -v[4:5]
	v_add_f64 v[2:3], v[2:3], v[4:5]
	v_mul_f64 v[4:5], v[102:103], v[106:107]
	v_fma_f64 v[4:5], v[100:101], v[104:105], -v[4:5]
	v_add_f64 v[2:3], v[2:3], v[4:5]
	v_mul_f64 v[4:5], v[110:111], v[114:115]
	v_fma_f64 v[4:5], v[108:109], v[112:113], -v[4:5]
	v_add_f64 v[2:3], v[2:3], v[4:5]
	v_mul_f64 v[4:5], v[118:119], v[122:123]
	v_fma_f64 v[4:5], v[116:117], v[120:121], -v[4:5]
	v_add_f64 v[2:3], v[2:3], v[4:5]
	v_mul_f64 v[4:5], v[126:127], v[130:131]
	v_fma_f64 v[4:5], v[124:125], v[128:129], -v[4:5]
	v_add_f64 v[2:3], v[2:3], v[4:5]
	v_mul_f64 v[4:5], v[134:135], v[138:139]
	v_fma_f64 v[4:5], v[132:133], v[136:137], -v[4:5]
	v_add_f64 v[2:3], v[2:3], v[4:5]
	v_mul_f64 v[4:5], v[142:143], v[146:147]
	v_fma_f64 v[4:5], v[140:141], v[144:145], -v[4:5]
	v_add_f64 v[2:3], v[2:3], v[4:5]
	v_mul_f64 v[4:5], v[150:151], v[154:155]
	v_fma_f64 v[4:5], v[148:149], v[152:153], -v[4:5]
	v_add_f64 v[2:3], v[2:3], v[4:5]
	v_mul_f64 v[4:5], v[158:159], v[162:163]
	v_fma_f64 v[4:5], v[156:157], v[160:161], -v[4:5]
	v_add_f64 v[2:3], v[2:3], v[4:5]
	v_mul_f64 v[4:5], v[166:167], v[170:171]
	v_fma_f64 v[4:5], v[164:165], v[168:169], -v[4:5]
	v_add_f64 v[2:3], v[2:3], v[4:5]
	v_mul_f64 v[4:5], v[174:175], v[180:181]
	v_fma_f64 v[4:5], v[172:173], v[178:179], -v[4:5]
	v_add_f64 v[2:3], v[2:3], v[4:5]
	v_mul_f64 v[4:5], v[184:185], v[188:189]
	v_fma_f64 v[4:5], v[182:183], v[186:187], -v[4:5]
	v_add_f64 v[2:3], v[2:3], v[4:5]
	v_mul_f64 v[4:5], v[192:193], v[196:197]
	v_fma_f64 v[4:5], v[190:191], v[194:195], -v[4:5]
	v_add_f64 v[2:3], v[2:3], v[4:5]
	v_mul_f64 v[4:5], v[200:201], v[204:205]
	v_fma_f64 v[4:5], v[198:199], v[202:203], -v[4:5]
	v_add_f64 v[2:3], v[2:3], v[4:5]
	v_mul_f64 v[4:5], v[208:209], v[212:213]
	v_fma_f64 v[4:5], v[206:207], v[210:211], -v[4:5]
	v_add_f64 v[2:3], v[2:3], v[4:5]
	v_mul_f64 v[4:5], v[216:217], v[220:221]
	v_fma_f64 v[4:5], v[214:215], v[218:219], -v[4:5]
	v_add_f64 v[2:3], v[2:3], v[4:5]
	v_mul_f64 v[4:5], v[224:225], v[228:229]
	v_fma_f64 v[4:5], v[222:223], v[226:227], -v[4:5]
	v_add_f64 v[6:7], v[2:3], v[4:5]
	scratch_load_dwordx4 v[2:5], off, off offset:128
	s_waitcnt vmcnt(0)
	v_add_f64 v[2:3], v[2:3], -v[6:7]
	v_add_f64 v[4:5], v[4:5], -v[176:177]
	scratch_store_dwordx4 off, v[2:5], off offset:128
	s_and_saveexec_b64 s[0:1], vcc
	s_cbranch_execz .LBB99_217
; %bb.216:
	scratch_load_dwordx4 v[2:5], off, s46
	v_mov_b32_e32 v6, 0
	v_mov_b32_e32 v7, v6
	v_mov_b32_e32 v8, v6
	v_mov_b32_e32 v9, v6
	scratch_store_dwordx4 off, v[6:9], off offset:112
	s_waitcnt vmcnt(1)
	ds_write_b128 v1, v[2:5]
.LBB99_217:
	s_or_b64 exec, exec, s[0:1]
	v_mov_b32_e32 v2, 0
	s_waitcnt lgkmcnt(0)
	; wave barrier
	ds_read_b128 v[16:19], v2 offset:688
	ds_read_b128 v[12:15], v2 offset:704
	;; [unrolled: 1-line block ×4, first 2 shown]
	scratch_load_dwordx4 v[20:23], off, off offset:128
	scratch_load_dwordx4 v[40:43], off, off offset:192
	;; [unrolled: 1-line block ×23, first 2 shown]
	v_cmp_lt_u32_e32 vcc, 5, v0
	scratch_load_dwordx4 v[48:51], off, off offset:208
	scratch_load_dwordx4 v[56:59], off, off offset:224
	;; [unrolled: 1-line block ×3, first 2 shown]
	s_waitcnt vmcnt(25) lgkmcnt(3)
	v_mul_f64 v[24:25], v[16:17], v[22:23]
	v_fmac_f64_e32 v[24:25], v[18:19], v[20:21]
	v_add_f64 v[28:29], v[24:25], 0
	scratch_load_dwordx4 v[24:27], off, off offset:144
	v_mul_f64 v[18:19], v[18:19], v[22:23]
	v_fma_f64 v[16:17], v[16:17], v[20:21], -v[18:19]
	v_add_f64 v[16:17], v[16:17], 0
	s_waitcnt vmcnt(0) lgkmcnt(2)
	v_mul_f64 v[30:31], v[12:13], v[26:27]
	v_fmac_f64_e32 v[30:31], v[14:15], v[24:25]
	v_add_f64 v[32:33], v[28:29], v[30:31]
	scratch_load_dwordx4 v[28:31], off, off offset:160
	v_mul_f64 v[14:15], v[14:15], v[26:27]
	v_fma_f64 v[12:13], v[12:13], v[24:25], -v[14:15]
	v_add_f64 v[12:13], v[16:17], v[12:13]
	;; [unrolled: 8-line block ×3, first 2 shown]
	s_waitcnt vmcnt(0) lgkmcnt(0)
	v_mul_f64 v[38:39], v[4:5], v[34:35]
	v_fmac_f64_e32 v[38:39], v[6:7], v[32:33]
	v_add_f64 v[44:45], v[36:37], v[38:39]
	ds_read_b128 v[36:39], v2 offset:752
	v_mul_f64 v[6:7], v[6:7], v[34:35]
	v_fma_f64 v[4:5], v[4:5], v[32:33], -v[6:7]
	v_add_f64 v[4:5], v[8:9], v[4:5]
	s_waitcnt lgkmcnt(0)
	v_mul_f64 v[46:47], v[36:37], v[42:43]
	v_fmac_f64_e32 v[46:47], v[38:39], v[40:41]
	v_add_f64 v[52:53], v[44:45], v[46:47]
	ds_read_b128 v[44:47], v2 offset:768
	v_mul_f64 v[6:7], v[38:39], v[42:43]
	v_fma_f64 v[6:7], v[36:37], v[40:41], -v[6:7]
	v_add_f64 v[4:5], v[4:5], v[6:7]
	s_waitcnt lgkmcnt(0)
	;; [unrolled: 8-line block ×25, first 2 shown]
	v_mul_f64 v[6:7], v[232:233], v[236:237]
	v_fma_f64 v[6:7], v[230:231], v[234:235], -v[6:7]
	v_add_f64 v[8:9], v[4:5], v[6:7]
	scratch_load_dwordx4 v[4:7], off, off offset:112
	v_mul_f64 v[238:239], v[230:231], v[236:237]
	v_fmac_f64_e32 v[238:239], v[232:233], v[234:235]
	v_add_f64 v[176:177], v[176:177], v[238:239]
	s_waitcnt vmcnt(0)
	v_add_f64 v[4:5], v[4:5], -v[8:9]
	v_add_f64 v[6:7], v[6:7], -v[176:177]
	scratch_store_dwordx4 off, v[4:7], off offset:112
	s_and_saveexec_b64 s[0:1], vcc
	s_cbranch_execz .LBB99_219
; %bb.218:
	scratch_load_dwordx4 v[6:9], off, s47
	v_mov_b32_e32 v3, v2
	v_mov_b32_e32 v4, v2
	v_mov_b32_e32 v5, v2
	scratch_store_dwordx4 off, v[2:5], off offset:96
	s_waitcnt vmcnt(1)
	ds_write_b128 v1, v[6:9]
.LBB99_219:
	s_or_b64 exec, exec, s[0:1]
	s_waitcnt lgkmcnt(0)
	; wave barrier
	ds_read_b128 v[16:19], v2 offset:672
	ds_read_b128 v[12:15], v2 offset:688
	;; [unrolled: 1-line block ×4, first 2 shown]
	scratch_load_dwordx4 v[20:23], off, off offset:112
	scratch_load_dwordx4 v[40:43], off, off offset:176
	;; [unrolled: 1-line block ×24, first 2 shown]
	v_cmp_lt_u32_e32 vcc, 4, v0
	scratch_load_dwordx4 v[48:51], off, off offset:192
	scratch_load_dwordx4 v[56:59], off, off offset:208
	;; [unrolled: 1-line block ×3, first 2 shown]
	ds_read_b128 v[242:245], v2 offset:1136
	s_waitcnt vmcnt(26) lgkmcnt(4)
	v_mul_f64 v[24:25], v[16:17], v[22:23]
	v_fmac_f64_e32 v[24:25], v[18:19], v[20:21]
	v_add_f64 v[28:29], v[24:25], 0
	scratch_load_dwordx4 v[24:27], off, off offset:128
	s_waitcnt vmcnt(0) lgkmcnt(3)
	v_mul_f64 v[30:31], v[12:13], v[26:27]
	v_fmac_f64_e32 v[30:31], v[14:15], v[24:25]
	v_add_f64 v[32:33], v[28:29], v[30:31]
	scratch_load_dwordx4 v[28:31], off, off offset:144
	v_mul_f64 v[14:15], v[14:15], v[26:27]
	v_fma_f64 v[12:13], v[12:13], v[24:25], -v[14:15]
	s_waitcnt vmcnt(0) lgkmcnt(2)
	v_mul_f64 v[34:35], v[8:9], v[30:31]
	v_fmac_f64_e32 v[34:35], v[10:11], v[28:29]
	v_add_f64 v[36:37], v[32:33], v[34:35]
	scratch_load_dwordx4 v[32:35], off, off offset:160
	v_mul_f64 v[10:11], v[10:11], v[30:31]
	v_fma_f64 v[8:9], v[8:9], v[28:29], -v[10:11]
	s_waitcnt vmcnt(0) lgkmcnt(1)
	v_mul_f64 v[38:39], v[4:5], v[34:35]
	v_fmac_f64_e32 v[38:39], v[6:7], v[32:33]
	v_add_f64 v[44:45], v[36:37], v[38:39]
	ds_read_b128 v[36:39], v2 offset:736
	v_mul_f64 v[6:7], v[6:7], v[34:35]
	v_fma_f64 v[4:5], v[4:5], v[32:33], -v[6:7]
	s_waitcnt lgkmcnt(0)
	v_mul_f64 v[46:47], v[36:37], v[42:43]
	v_fmac_f64_e32 v[46:47], v[38:39], v[40:41]
	v_add_f64 v[52:53], v[44:45], v[46:47]
	ds_read_b128 v[44:47], v2 offset:752
	s_waitcnt lgkmcnt(0)
	v_mul_f64 v[54:55], v[44:45], v[50:51]
	v_fmac_f64_e32 v[54:55], v[46:47], v[48:49]
	v_add_f64 v[60:61], v[52:53], v[54:55]
	ds_read_b128 v[52:55], v2 offset:768
	;; [unrolled: 5-line block ×24, first 2 shown]
	v_mul_f64 v[2:3], v[242:243], v[248:249]
	v_fmac_f64_e32 v[2:3], v[244:245], v[246:247]
	s_waitcnt lgkmcnt(0)
	v_mul_f64 v[238:239], v[230:231], v[236:237]
	v_fmac_f64_e32 v[238:239], v[232:233], v[234:235]
	v_add_f64 v[184:185], v[184:185], v[238:239]
	v_add_f64 v[184:185], v[184:185], v[2:3]
	v_mul_f64 v[2:3], v[18:19], v[22:23]
	v_fma_f64 v[2:3], v[16:17], v[20:21], -v[2:3]
	v_add_f64 v[2:3], v[2:3], 0
	v_add_f64 v[2:3], v[2:3], v[12:13]
	;; [unrolled: 1-line block ×4, first 2 shown]
	v_mul_f64 v[4:5], v[38:39], v[42:43]
	v_fma_f64 v[4:5], v[36:37], v[40:41], -v[4:5]
	v_add_f64 v[2:3], v[2:3], v[4:5]
	v_mul_f64 v[4:5], v[46:47], v[50:51]
	v_fma_f64 v[4:5], v[44:45], v[48:49], -v[4:5]
	v_add_f64 v[2:3], v[2:3], v[4:5]
	;; [unrolled: 3-line block ×26, first 2 shown]
	scratch_load_dwordx4 v[2:5], off, off offset:96
	s_waitcnt vmcnt(0)
	v_add_f64 v[2:3], v[2:3], -v[6:7]
	v_add_f64 v[4:5], v[4:5], -v[184:185]
	scratch_store_dwordx4 off, v[2:5], off offset:96
	s_and_saveexec_b64 s[0:1], vcc
	s_cbranch_execz .LBB99_221
; %bb.220:
	scratch_load_dwordx4 v[2:5], off, s48
	v_mov_b32_e32 v6, 0
	v_mov_b32_e32 v7, v6
	;; [unrolled: 1-line block ×4, first 2 shown]
	scratch_store_dwordx4 off, v[6:9], off offset:80
	s_waitcnt vmcnt(1)
	ds_write_b128 v1, v[2:5]
.LBB99_221:
	s_or_b64 exec, exec, s[0:1]
	s_waitcnt lgkmcnt(0)
	; wave barrier
	scratch_load_dwordx4 v[16:19], off, off offset:96
	scratch_load_dwordx4 v[12:15], off, off offset:112
	;; [unrolled: 1-line block ×32, first 2 shown]
	v_mov_b32_e32 v2, 0
	ds_read_b128 v[132:135], v2 offset:656
	ds_read_b128 v[136:139], v2 offset:672
	;; [unrolled: 1-line block ×17, first 2 shown]
	v_cmp_lt_u32_e32 vcc, 3, v0
	s_waitcnt vmcnt(31) lgkmcnt(14)
	v_mul_f64 v[200:201], v[132:133], v[18:19]
	s_waitcnt vmcnt(30)
	v_mul_f64 v[202:203], v[136:137], v[14:15]
	v_fmac_f64_e32 v[200:201], v[134:135], v[16:17]
	s_waitcnt vmcnt(29)
	v_mul_f64 v[204:205], v[140:141], v[10:11]
	v_fmac_f64_e32 v[202:203], v[138:139], v[12:13]
	v_add_f64 v[200:201], v[200:201], 0
	s_waitcnt vmcnt(28) lgkmcnt(13)
	v_mul_f64 v[206:207], v[144:145], v[6:7]
	v_fmac_f64_e32 v[204:205], v[142:143], v[8:9]
	v_add_f64 v[200:201], v[200:201], v[202:203]
	s_waitcnt vmcnt(27) lgkmcnt(12)
	;; [unrolled: 4-line block ×12, first 2 shown]
	v_mul_f64 v[228:229], v[188:189], v[62:63]
	v_fmac_f64_e32 v[226:227], v[186:187], v[56:57]
	v_add_f64 v[200:201], v[200:201], v[224:225]
	v_fmac_f64_e32 v[228:229], v[190:191], v[60:61]
	v_add_f64 v[200:201], v[200:201], v[226:227]
	s_waitcnt vmcnt(16) lgkmcnt(1)
	v_mul_f64 v[202:203], v[192:193], v[66:67]
	v_add_f64 v[200:201], v[200:201], v[228:229]
	v_fmac_f64_e32 v[202:203], v[194:195], v[64:65]
	s_waitcnt vmcnt(15) lgkmcnt(0)
	v_mul_f64 v[206:207], v[196:197], v[70:71]
	v_add_f64 v[204:205], v[200:201], v[202:203]
	ds_read_b128 v[200:203], v2 offset:928
	v_fmac_f64_e32 v[206:207], v[198:199], v[68:69]
	v_add_f64 v[208:209], v[204:205], v[206:207]
	ds_read_b128 v[204:207], v2 offset:944
	v_mul_f64 v[18:19], v[134:135], v[18:19]
	s_waitcnt vmcnt(14) lgkmcnt(1)
	v_mul_f64 v[210:211], v[200:201], v[74:75]
	v_fmac_f64_e32 v[210:211], v[202:203], v[72:73]
	v_add_f64 v[212:213], v[208:209], v[210:211]
	s_waitcnt vmcnt(13) lgkmcnt(0)
	v_mul_f64 v[214:215], v[204:205], v[78:79]
	ds_read_b128 v[208:211], v2 offset:960
	v_fmac_f64_e32 v[214:215], v[206:207], v[76:77]
	v_add_f64 v[216:217], v[212:213], v[214:215]
	ds_read_b128 v[212:215], v2 offset:976
	v_fma_f64 v[244:245], v[132:133], v[16:17], -v[18:19]
	s_waitcnt vmcnt(12) lgkmcnt(1)
	v_mul_f64 v[218:219], v[208:209], v[82:83]
	v_fmac_f64_e32 v[218:219], v[210:211], v[80:81]
	v_add_f64 v[220:221], v[216:217], v[218:219]
	s_waitcnt vmcnt(11) lgkmcnt(0)
	v_mul_f64 v[222:223], v[212:213], v[86:87]
	ds_read_b128 v[216:219], v2 offset:992
	v_fmac_f64_e32 v[222:223], v[214:215], v[84:85]
	v_add_f64 v[224:225], v[220:221], v[222:223]
	ds_read_b128 v[220:223], v2 offset:1008
	ds_read_b128 v[16:19], v2 offset:1088
	s_waitcnt vmcnt(10) lgkmcnt(2)
	v_mul_f64 v[226:227], v[216:217], v[90:91]
	v_fmac_f64_e32 v[226:227], v[218:219], v[88:89]
	v_add_f64 v[228:229], v[224:225], v[226:227]
	s_waitcnt vmcnt(9) lgkmcnt(1)
	v_mul_f64 v[230:231], v[220:221], v[94:95]
	ds_read_b128 v[224:227], v2 offset:1024
	v_fmac_f64_e32 v[230:231], v[222:223], v[92:93]
	v_add_f64 v[232:233], v[228:229], v[230:231]
	ds_read_b128 v[228:231], v2 offset:1040
	v_mul_f64 v[14:15], v[138:139], v[14:15]
	s_waitcnt vmcnt(8) lgkmcnt(1)
	v_mul_f64 v[234:235], v[224:225], v[98:99]
	v_fmac_f64_e32 v[234:235], v[226:227], v[96:97]
	v_add_f64 v[236:237], v[232:233], v[234:235]
	s_waitcnt vmcnt(7) lgkmcnt(0)
	v_mul_f64 v[238:239], v[228:229], v[102:103]
	ds_read_b128 v[232:235], v2 offset:1056
	v_fmac_f64_e32 v[238:239], v[230:231], v[100:101]
	v_add_f64 v[242:243], v[236:237], v[238:239]
	ds_read_b128 v[236:239], v2 offset:1072
	v_fma_f64 v[136:137], v[136:137], v[12:13], -v[14:15]
	s_waitcnt vmcnt(6) lgkmcnt(1)
	v_mul_f64 v[132:133], v[232:233], v[106:107]
	v_fmac_f64_e32 v[132:133], v[234:235], v[104:105]
	v_add_f64 v[132:133], v[242:243], v[132:133]
	s_waitcnt vmcnt(5) lgkmcnt(0)
	v_mul_f64 v[134:135], v[236:237], v[110:111]
	v_fmac_f64_e32 v[134:135], v[238:239], v[108:109]
	v_add_f64 v[132:133], v[132:133], v[134:135]
	ds_read_b128 v[12:15], v2 offset:1104
	s_waitcnt vmcnt(4)
	v_mul_f64 v[134:135], v[16:17], v[114:115]
	v_fmac_f64_e32 v[134:135], v[18:19], v[112:113]
	v_add_f64 v[138:139], v[132:133], v[134:135]
	ds_read_b128 v[132:135], v2 offset:1120
	v_mul_f64 v[10:11], v[142:143], v[10:11]
	v_fma_f64 v[140:141], v[140:141], v[8:9], -v[10:11]
	ds_read_b128 v[8:11], v2 offset:1136
	s_waitcnt vmcnt(3) lgkmcnt(2)
	v_mul_f64 v[142:143], v[12:13], v[118:119]
	v_fmac_f64_e32 v[142:143], v[14:15], v[116:117]
	v_add_f64 v[138:139], v[138:139], v[142:143]
	s_waitcnt vmcnt(2) lgkmcnt(1)
	v_mul_f64 v[142:143], v[132:133], v[122:123]
	v_fmac_f64_e32 v[142:143], v[134:135], v[120:121]
	v_add_f64 v[138:139], v[138:139], v[142:143]
	;; [unrolled: 4-line block ×3, first 2 shown]
	v_add_f64 v[142:143], v[244:245], 0
	v_add_f64 v[136:137], v[142:143], v[136:137]
	v_mul_f64 v[6:7], v[146:147], v[6:7]
	v_add_f64 v[136:137], v[136:137], v[140:141]
	v_fma_f64 v[4:5], v[144:145], v[4:5], -v[6:7]
	v_mul_f64 v[6:7], v[150:151], v[22:23]
	v_add_f64 v[4:5], v[136:137], v[4:5]
	v_fma_f64 v[6:7], v[148:149], v[20:21], -v[6:7]
	v_add_f64 v[4:5], v[4:5], v[6:7]
	v_mul_f64 v[6:7], v[154:155], v[26:27]
	v_fma_f64 v[6:7], v[152:153], v[24:25], -v[6:7]
	v_add_f64 v[4:5], v[4:5], v[6:7]
	v_mul_f64 v[6:7], v[158:159], v[30:31]
	;; [unrolled: 3-line block ×26, first 2 shown]
	v_fma_f64 v[6:7], v[8:9], v[124:125], -v[6:7]
	v_add_f64 v[4:5], v[4:5], v[6:7]
	s_waitcnt vmcnt(0)
	v_add_f64 v[4:5], v[128:129], -v[4:5]
	v_add_f64 v[6:7], v[130:131], -v[138:139]
	scratch_store_dwordx4 off, v[4:7], off offset:80
	s_and_saveexec_b64 s[0:1], vcc
	s_cbranch_execz .LBB99_223
; %bb.222:
	scratch_load_dwordx4 v[6:9], off, s49
	v_mov_b32_e32 v3, v2
	v_mov_b32_e32 v4, v2
	;; [unrolled: 1-line block ×3, first 2 shown]
	scratch_store_dwordx4 off, v[2:5], off offset:64
	s_waitcnt vmcnt(1)
	ds_write_b128 v1, v[6:9]
.LBB99_223:
	s_or_b64 exec, exec, s[0:1]
	s_waitcnt lgkmcnt(0)
	; wave barrier
	scratch_load_dwordx4 v[140:143], off, off offset:80
	scratch_load_dwordx4 v[148:151], off, off offset:96
	scratch_load_dwordx4 v[152:155], off, off offset:112
	scratch_load_dwordx4 v[4:7], off, off offset:128
	scratch_load_dwordx4 v[8:11], off, off offset:144
	scratch_load_dwordx4 v[12:15], off, off offset:160
	scratch_load_dwordx4 v[16:19], off, off offset:176
	scratch_load_dwordx4 v[20:23], off, off offset:192
	scratch_load_dwordx4 v[24:27], off, off offset:208
	scratch_load_dwordx4 v[28:31], off, off offset:224
	scratch_load_dwordx4 v[32:35], off, off offset:240
	scratch_load_dwordx4 v[36:39], off, off offset:256
	scratch_load_dwordx4 v[40:43], off, off offset:272
	scratch_load_dwordx4 v[44:47], off, off offset:288
	scratch_load_dwordx4 v[48:51], off, off offset:304
	scratch_load_dwordx4 v[52:55], off, off offset:320
	ds_read_b128 v[188:191], v2 offset:640
	ds_read_b128 v[184:187], v2 offset:656
	scratch_load_dwordx4 v[56:59], off, off offset:336
	ds_read_b128 v[192:195], v2 offset:672
	ds_read_b128 v[68:71], v2 offset:688
	scratch_load_dwordx4 v[60:63], off, off offset:352
	ds_read_b128 v[88:91], v2 offset:704
	ds_read_b128 v[84:87], v2 offset:720
	;; [unrolled: 1-line block ×4, first 2 shown]
	scratch_load_dwordx4 v[64:67], off, off offset:368
	ds_read_b128 v[100:103], v2 offset:768
	ds_read_b128 v[96:99], v2 offset:784
	scratch_load_dwordx4 v[72:75], off, off offset:384
	ds_read_b128 v[116:119], v2 offset:800
	ds_read_b128 v[112:115], v2 offset:816
	;; [unrolled: 1-line block ×4, first 2 shown]
	scratch_load_dwordx4 v[92:95], off, off offset:400
	ds_read_b128 v[132:135], v2 offset:864
	ds_read_b128 v[128:131], v2 offset:880
	;; [unrolled: 1-line block ×3, first 2 shown]
	scratch_load_dwordx4 v[120:123], off, off offset:416
	scratch_load_dwordx4 v[136:139], off, off offset:432
	;; [unrolled: 1-line block ×11, first 2 shown]
	v_cmp_lt_u32_e32 vcc, 2, v0
	s_waitcnt vmcnt(31) lgkmcnt(14)
	v_mul_f64 v[200:201], v[188:189], v[142:143]
	s_waitcnt vmcnt(30)
	v_mul_f64 v[202:203], v[184:185], v[150:151]
	v_fmac_f64_e32 v[200:201], v[190:191], v[140:141]
	s_waitcnt vmcnt(29)
	v_mul_f64 v[204:205], v[192:193], v[154:155]
	v_fmac_f64_e32 v[202:203], v[186:187], v[148:149]
	v_add_f64 v[200:201], v[200:201], 0
	s_waitcnt vmcnt(28) lgkmcnt(13)
	v_mul_f64 v[206:207], v[68:69], v[6:7]
	v_fmac_f64_e32 v[204:205], v[194:195], v[152:153]
	v_add_f64 v[200:201], v[200:201], v[202:203]
	s_waitcnt vmcnt(27) lgkmcnt(12)
	;; [unrolled: 4-line block ×13, first 2 shown]
	v_mul_f64 v[230:231], v[128:129], v[54:55]
	v_fmac_f64_e32 v[228:229], v[134:135], v[48:49]
	v_add_f64 v[200:201], v[200:201], v[226:227]
	v_add_f64 v[200:201], v[200:201], v[228:229]
	v_fmac_f64_e32 v[230:231], v[130:131], v[52:53]
	v_add_f64 v[204:205], v[200:201], v[230:231]
	ds_read_b128 v[200:203], v2 offset:912
	s_waitcnt vmcnt(15) lgkmcnt(1)
	v_mul_f64 v[206:207], v[124:125], v[58:59]
	v_fmac_f64_e32 v[206:207], v[126:127], v[56:57]
	v_add_f64 v[208:209], v[204:205], v[206:207]
	ds_read_b128 v[204:207], v2 offset:928
	s_waitcnt vmcnt(14) lgkmcnt(1)
	v_mul_f64 v[210:211], v[200:201], v[62:63]
	;; [unrolled: 5-line block ×10, first 2 shown]
	v_fmac_f64_e32 v[244:245], v[234:235], v[160:161]
	v_mul_f64 v[142:143], v[190:191], v[142:143]
	v_add_f64 v[244:245], v[242:243], v[244:245]
	v_fma_f64 v[242:243], v[188:189], v[140:141], -v[142:143]
	ds_read_b128 v[140:143], v2 offset:1072
	s_waitcnt vmcnt(5) lgkmcnt(1)
	v_mul_f64 v[188:189], v[236:237], v[166:167]
	v_fmac_f64_e32 v[188:189], v[238:239], v[164:165]
	v_mul_f64 v[150:151], v[186:187], v[150:151]
	v_add_f64 v[188:189], v[244:245], v[188:189]
	v_fma_f64 v[244:245], v[184:185], v[148:149], -v[150:151]
	ds_read_b128 v[148:151], v2 offset:1088
	s_waitcnt vmcnt(4) lgkmcnt(1)
	v_mul_f64 v[184:185], v[140:141], v[170:171]
	v_fmac_f64_e32 v[184:185], v[142:143], v[168:169]
	v_add_f64 v[188:189], v[188:189], v[184:185]
	ds_read_b128 v[184:187], v2 offset:1104
	v_mul_f64 v[154:155], v[194:195], v[154:155]
	s_waitcnt vmcnt(3) lgkmcnt(1)
	v_mul_f64 v[190:191], v[148:149], v[174:175]
	v_fma_f64 v[248:249], v[192:193], v[152:153], -v[154:155]
	ds_read_b128 v[152:155], v2 offset:1120
	v_fmac_f64_e32 v[190:191], v[150:151], v[172:173]
	v_add_f64 v[246:247], v[188:189], v[190:191]
	ds_read_b128 v[188:191], v2 offset:1136
	s_waitcnt vmcnt(2) lgkmcnt(2)
	v_mul_f64 v[192:193], v[184:185], v[178:179]
	v_fmac_f64_e32 v[192:193], v[186:187], v[176:177]
	v_add_f64 v[2:3], v[246:247], v[192:193]
	s_waitcnt vmcnt(1) lgkmcnt(1)
	v_mul_f64 v[192:193], v[152:153], v[182:183]
	v_fmac_f64_e32 v[192:193], v[154:155], v[180:181]
	v_add_f64 v[2:3], v[2:3], v[192:193]
	;; [unrolled: 4-line block ×3, first 2 shown]
	scratch_load_dwordx4 v[192:195], off, off offset:64
	v_add_f64 v[242:243], v[242:243], 0
	v_add_f64 v[242:243], v[242:243], v[244:245]
	v_mul_f64 v[6:7], v[70:71], v[6:7]
	v_add_f64 v[242:243], v[242:243], v[248:249]
	v_fma_f64 v[4:5], v[68:69], v[4:5], -v[6:7]
	v_mul_f64 v[6:7], v[90:91], v[10:11]
	v_add_f64 v[4:5], v[242:243], v[4:5]
	v_fma_f64 v[6:7], v[88:89], v[8:9], -v[6:7]
	v_add_f64 v[4:5], v[4:5], v[6:7]
	v_mul_f64 v[6:7], v[86:87], v[14:15]
	v_fma_f64 v[6:7], v[84:85], v[12:13], -v[6:7]
	v_add_f64 v[4:5], v[4:5], v[6:7]
	v_mul_f64 v[6:7], v[82:83], v[18:19]
	v_fma_f64 v[6:7], v[80:81], v[16:17], -v[6:7]
	v_add_f64 v[4:5], v[4:5], v[6:7]
	v_mul_f64 v[6:7], v[78:79], v[22:23]
	v_fma_f64 v[6:7], v[76:77], v[20:21], -v[6:7]
	v_add_f64 v[4:5], v[4:5], v[6:7]
	v_mul_f64 v[6:7], v[102:103], v[26:27]
	v_fma_f64 v[6:7], v[100:101], v[24:25], -v[6:7]
	v_add_f64 v[4:5], v[4:5], v[6:7]
	v_mul_f64 v[6:7], v[98:99], v[30:31]
	v_fma_f64 v[6:7], v[96:97], v[28:29], -v[6:7]
	v_add_f64 v[4:5], v[4:5], v[6:7]
	v_mul_f64 v[6:7], v[118:119], v[34:35]
	v_fma_f64 v[6:7], v[116:117], v[32:33], -v[6:7]
	v_add_f64 v[4:5], v[4:5], v[6:7]
	v_mul_f64 v[6:7], v[114:115], v[38:39]
	v_fma_f64 v[6:7], v[112:113], v[36:37], -v[6:7]
	v_add_f64 v[4:5], v[4:5], v[6:7]
	v_mul_f64 v[6:7], v[110:111], v[42:43]
	v_fma_f64 v[6:7], v[108:109], v[40:41], -v[6:7]
	v_add_f64 v[4:5], v[4:5], v[6:7]
	v_mul_f64 v[6:7], v[106:107], v[46:47]
	v_fma_f64 v[6:7], v[104:105], v[44:45], -v[6:7]
	v_add_f64 v[4:5], v[4:5], v[6:7]
	v_mul_f64 v[6:7], v[134:135], v[50:51]
	v_fma_f64 v[6:7], v[132:133], v[48:49], -v[6:7]
	v_add_f64 v[4:5], v[4:5], v[6:7]
	v_mul_f64 v[6:7], v[130:131], v[54:55]
	v_fma_f64 v[6:7], v[128:129], v[52:53], -v[6:7]
	v_add_f64 v[4:5], v[4:5], v[6:7]
	v_mul_f64 v[6:7], v[126:127], v[58:59]
	v_fma_f64 v[6:7], v[124:125], v[56:57], -v[6:7]
	v_add_f64 v[4:5], v[4:5], v[6:7]
	v_mul_f64 v[6:7], v[202:203], v[62:63]
	v_fma_f64 v[6:7], v[200:201], v[60:61], -v[6:7]
	v_add_f64 v[4:5], v[4:5], v[6:7]
	v_mul_f64 v[6:7], v[206:207], v[66:67]
	v_fma_f64 v[6:7], v[204:205], v[64:65], -v[6:7]
	v_add_f64 v[4:5], v[4:5], v[6:7]
	v_mul_f64 v[6:7], v[210:211], v[74:75]
	v_fma_f64 v[6:7], v[208:209], v[72:73], -v[6:7]
	v_add_f64 v[4:5], v[4:5], v[6:7]
	v_mul_f64 v[6:7], v[214:215], v[94:95]
	v_fma_f64 v[6:7], v[212:213], v[92:93], -v[6:7]
	v_add_f64 v[4:5], v[4:5], v[6:7]
	v_mul_f64 v[6:7], v[218:219], v[122:123]
	v_fma_f64 v[6:7], v[216:217], v[120:121], -v[6:7]
	v_add_f64 v[4:5], v[4:5], v[6:7]
	v_mul_f64 v[6:7], v[222:223], v[138:139]
	v_fma_f64 v[6:7], v[220:221], v[136:137], -v[6:7]
	v_add_f64 v[4:5], v[4:5], v[6:7]
	v_mul_f64 v[6:7], v[226:227], v[146:147]
	v_fma_f64 v[6:7], v[224:225], v[144:145], -v[6:7]
	v_add_f64 v[4:5], v[4:5], v[6:7]
	v_mul_f64 v[6:7], v[230:231], v[158:159]
	v_fma_f64 v[6:7], v[228:229], v[156:157], -v[6:7]
	v_add_f64 v[4:5], v[4:5], v[6:7]
	v_mul_f64 v[6:7], v[234:235], v[162:163]
	v_fma_f64 v[6:7], v[232:233], v[160:161], -v[6:7]
	v_add_f64 v[4:5], v[4:5], v[6:7]
	v_mul_f64 v[6:7], v[238:239], v[166:167]
	v_fma_f64 v[6:7], v[236:237], v[164:165], -v[6:7]
	v_add_f64 v[4:5], v[4:5], v[6:7]
	v_mul_f64 v[6:7], v[142:143], v[170:171]
	v_fma_f64 v[6:7], v[140:141], v[168:169], -v[6:7]
	v_add_f64 v[4:5], v[4:5], v[6:7]
	v_mul_f64 v[6:7], v[150:151], v[174:175]
	v_fma_f64 v[6:7], v[148:149], v[172:173], -v[6:7]
	v_add_f64 v[4:5], v[4:5], v[6:7]
	v_mul_f64 v[6:7], v[186:187], v[178:179]
	v_fma_f64 v[6:7], v[184:185], v[176:177], -v[6:7]
	v_add_f64 v[4:5], v[4:5], v[6:7]
	v_mul_f64 v[6:7], v[154:155], v[182:183]
	v_fma_f64 v[6:7], v[152:153], v[180:181], -v[6:7]
	v_add_f64 v[4:5], v[4:5], v[6:7]
	v_mul_f64 v[6:7], v[190:191], v[198:199]
	v_fma_f64 v[6:7], v[188:189], v[196:197], -v[6:7]
	v_add_f64 v[4:5], v[4:5], v[6:7]
	s_waitcnt vmcnt(0)
	v_add_f64 v[4:5], v[192:193], -v[4:5]
	v_add_f64 v[6:7], v[194:195], -v[2:3]
	scratch_store_dwordx4 off, v[4:7], off offset:64
	s_and_saveexec_b64 s[0:1], vcc
	s_cbranch_execz .LBB99_225
; %bb.224:
	scratch_load_dwordx4 v[2:5], off, s50
	v_mov_b32_e32 v6, 0
	v_mov_b32_e32 v7, v6
	;; [unrolled: 1-line block ×4, first 2 shown]
	scratch_store_dwordx4 off, v[6:9], off offset:48
	s_waitcnt vmcnt(1)
	ds_write_b128 v1, v[2:5]
.LBB99_225:
	s_or_b64 exec, exec, s[0:1]
	s_waitcnt lgkmcnt(0)
	; wave barrier
	scratch_load_dwordx4 v[108:111], off, off offset:64
	scratch_load_dwordx4 v[116:119], off, off offset:80
	;; [unrolled: 1-line block ×33, first 2 shown]
	v_mov_b32_e32 v2, 0
	ds_read_b128 v[220:223], v2 offset:624
	ds_read_b128 v[224:227], v2 offset:640
	;; [unrolled: 1-line block ×16, first 2 shown]
	v_cmp_lt_u32_e32 vcc, 1, v0
	s_waitcnt vmcnt(32) lgkmcnt(14)
	v_mul_f64 v[180:181], v[220:221], v[110:111]
	s_waitcnt vmcnt(31)
	v_mul_f64 v[182:183], v[224:225], v[118:119]
	v_fmac_f64_e32 v[180:181], v[222:223], v[108:109]
	s_waitcnt vmcnt(30) lgkmcnt(13)
	v_mul_f64 v[184:185], v[234:235], v[122:123]
	v_fmac_f64_e32 v[182:183], v[226:227], v[116:117]
	v_add_f64 v[180:181], v[180:181], 0
	s_waitcnt vmcnt(29) lgkmcnt(12)
	v_mul_f64 v[186:187], v[242:243], v[126:127]
	v_fmac_f64_e32 v[184:185], v[236:237], v[120:121]
	v_add_f64 v[180:181], v[180:181], v[182:183]
	;; [unrolled: 4-line block ×13, first 2 shown]
	v_fmac_f64_e32 v[208:209], v[142:143], v[40:41]
	v_add_f64 v[180:181], v[180:181], v[206:207]
	v_add_f64 v[184:185], v[180:181], v[208:209]
	ds_read_b128 v[180:183], v2 offset:880
	s_waitcnt vmcnt(17) lgkmcnt(1)
	v_mul_f64 v[186:187], v[136:137], v[46:47]
	v_fmac_f64_e32 v[186:187], v[138:139], v[44:45]
	v_add_f64 v[188:189], v[184:185], v[186:187]
	ds_read_b128 v[184:187], v2 offset:896
	s_waitcnt vmcnt(16) lgkmcnt(1)
	v_mul_f64 v[190:191], v[180:181], v[50:51]
	v_fmac_f64_e32 v[190:191], v[182:183], v[48:49]
	;; [unrolled: 5-line block ×10, first 2 shown]
	v_mul_f64 v[110:111], v[222:223], v[110:111]
	v_add_f64 v[228:229], v[228:229], v[230:231]
	v_fma_f64 v[230:231], v[220:221], v[108:109], -v[110:111]
	ds_read_b128 v[108:111], v2 offset:1040
	s_waitcnt vmcnt(7) lgkmcnt(1)
	v_mul_f64 v[220:221], v[216:217], v[86:87]
	v_mul_f64 v[118:119], v[226:227], v[118:119]
	v_fmac_f64_e32 v[220:221], v[218:219], v[84:85]
	v_fma_f64 v[232:233], v[224:225], v[116:117], -v[118:119]
	ds_read_b128 v[116:119], v2 offset:1056
	s_waitcnt vmcnt(6) lgkmcnt(1)
	v_mul_f64 v[222:223], v[108:109], v[90:91]
	v_add_f64 v[220:221], v[228:229], v[220:221]
	v_fmac_f64_e32 v[222:223], v[110:111], v[88:89]
	v_add_f64 v[224:225], v[220:221], v[222:223]
	ds_read_b128 v[220:223], v2 offset:1072
	v_mul_f64 v[122:123], v[236:237], v[122:123]
	v_fma_f64 v[234:235], v[234:235], v[120:121], -v[122:123]
	ds_read_b128 v[120:123], v2 offset:1088
	s_waitcnt vmcnt(5) lgkmcnt(2)
	v_mul_f64 v[226:227], v[116:117], v[94:95]
	v_fmac_f64_e32 v[226:227], v[118:119], v[92:93]
	v_mul_f64 v[126:127], v[244:245], v[126:127]
	v_add_f64 v[224:225], v[224:225], v[226:227]
	s_waitcnt vmcnt(4) lgkmcnt(1)
	v_mul_f64 v[226:227], v[220:221], v[98:99]
	v_fma_f64 v[236:237], v[242:243], v[124:125], -v[126:127]
	ds_read_b128 v[124:127], v2 offset:1104
	v_fmac_f64_e32 v[226:227], v[222:223], v[96:97]
	v_add_f64 v[228:229], v[224:225], v[226:227]
	s_waitcnt vmcnt(3) lgkmcnt(1)
	v_mul_f64 v[238:239], v[120:121], v[102:103]
	ds_read_b128 v[224:227], v2 offset:1120
	v_fmac_f64_e32 v[238:239], v[122:123], v[100:101]
	v_mul_f64 v[130:131], v[248:249], v[130:131]
	v_add_f64 v[228:229], v[228:229], v[238:239]
	v_fma_f64 v[238:239], v[246:247], v[128:129], -v[130:131]
	ds_read_b128 v[128:131], v2 offset:1136
	s_waitcnt vmcnt(2) lgkmcnt(2)
	v_mul_f64 v[242:243], v[124:125], v[106:107]
	v_fmac_f64_e32 v[242:243], v[126:127], v[104:105]
	v_add_f64 v[228:229], v[228:229], v[242:243]
	s_waitcnt vmcnt(1) lgkmcnt(1)
	v_mul_f64 v[242:243], v[224:225], v[114:115]
	v_fmac_f64_e32 v[242:243], v[226:227], v[112:113]
	v_add_f64 v[228:229], v[228:229], v[242:243]
	;; [unrolled: 4-line block ×3, first 2 shown]
	scratch_load_dwordx4 v[242:245], off, off offset:48
	v_add_f64 v[230:231], v[230:231], 0
	v_add_f64 v[230:231], v[230:231], v[232:233]
	;; [unrolled: 1-line block ×4, first 2 shown]
	v_mul_f64 v[6:7], v[178:179], v[6:7]
	v_add_f64 v[230:231], v[230:231], v[238:239]
	v_fma_f64 v[4:5], v[176:177], v[4:5], -v[6:7]
	v_mul_f64 v[6:7], v[174:175], v[10:11]
	v_add_f64 v[4:5], v[230:231], v[4:5]
	v_fma_f64 v[6:7], v[172:173], v[8:9], -v[6:7]
	v_add_f64 v[4:5], v[4:5], v[6:7]
	v_mul_f64 v[6:7], v[170:171], v[14:15]
	v_fma_f64 v[6:7], v[168:169], v[12:13], -v[6:7]
	v_add_f64 v[4:5], v[4:5], v[6:7]
	v_mul_f64 v[6:7], v[166:167], v[18:19]
	;; [unrolled: 3-line block ×26, first 2 shown]
	v_fma_f64 v[6:7], v[128:129], v[132:133], -v[6:7]
	v_add_f64 v[4:5], v[4:5], v[6:7]
	s_waitcnt vmcnt(0)
	v_add_f64 v[4:5], v[242:243], -v[4:5]
	v_add_f64 v[6:7], v[244:245], -v[228:229]
	scratch_store_dwordx4 off, v[4:7], off offset:48
	s_and_saveexec_b64 s[0:1], vcc
	s_cbranch_execz .LBB99_227
; %bb.226:
	scratch_load_dwordx4 v[6:9], off, s51
	v_mov_b32_e32 v3, v2
	v_mov_b32_e32 v4, v2
	;; [unrolled: 1-line block ×3, first 2 shown]
	scratch_store_dwordx4 off, v[2:5], off offset:32
	s_waitcnt vmcnt(1)
	ds_write_b128 v1, v[6:9]
.LBB99_227:
	s_or_b64 exec, exec, s[0:1]
	s_waitcnt lgkmcnt(0)
	; wave barrier
	scratch_load_dwordx4 v[144:147], off, off offset:48
	scratch_load_dwordx4 v[152:155], off, off offset:64
	;; [unrolled: 1-line block ×16, first 2 shown]
	ds_read_b128 v[196:199], v2 offset:608
	ds_read_b128 v[188:191], v2 offset:624
	ds_read_b128 v[180:183], v2 offset:640
	scratch_load_dwordx4 v[48:51], off, off offset:304
	ds_read_b128 v[192:195], v2 offset:656
	ds_read_b128 v[184:187], v2 offset:672
	ds_read_b128 v[64:67], v2 offset:688
	scratch_load_dwordx4 v[52:55], off, off offset:320
	;; [unrolled: 4-line block ×5, first 2 shown]
	ds_read_b128 v[116:119], v2 offset:848
	ds_read_b128 v[112:115], v2 offset:864
	scratch_load_dwordx4 v[108:111], off, off offset:384
	scratch_load_dwordx4 v[120:123], off, off offset:400
	;; [unrolled: 1-line block ×12, first 2 shown]
	v_cmp_ne_u32_e32 vcc, 0, v0
	s_waitcnt vmcnt(32) lgkmcnt(14)
	v_mul_f64 v[204:205], v[196:197], v[146:147]
	s_waitcnt vmcnt(31)
	v_mul_f64 v[206:207], v[188:189], v[154:155]
	v_fmac_f64_e32 v[204:205], v[198:199], v[144:145]
	s_waitcnt vmcnt(30)
	v_mul_f64 v[208:209], v[180:181], v[158:159]
	v_fmac_f64_e32 v[206:207], v[190:191], v[152:153]
	v_add_f64 v[204:205], v[204:205], 0
	s_waitcnt vmcnt(29) lgkmcnt(13)
	v_mul_f64 v[210:211], v[192:193], v[162:163]
	v_fmac_f64_e32 v[208:209], v[182:183], v[156:157]
	v_add_f64 v[204:205], v[204:205], v[206:207]
	s_waitcnt vmcnt(28) lgkmcnt(12)
	;; [unrolled: 4-line block ×12, first 2 shown]
	v_mul_f64 v[232:233], v[96:97], v[42:43]
	v_fmac_f64_e32 v[230:231], v[102:103], v[36:37]
	v_add_f64 v[204:205], v[204:205], v[228:229]
	v_fmac_f64_e32 v[232:233], v[98:99], v[40:41]
	v_add_f64 v[204:205], v[204:205], v[230:231]
	s_waitcnt vmcnt(17) lgkmcnt(1)
	v_mul_f64 v[206:207], v[116:117], v[46:47]
	v_add_f64 v[204:205], v[204:205], v[232:233]
	v_fmac_f64_e32 v[206:207], v[118:119], v[44:45]
	s_waitcnt vmcnt(16) lgkmcnt(0)
	v_mul_f64 v[210:211], v[112:113], v[50:51]
	v_add_f64 v[208:209], v[204:205], v[206:207]
	ds_read_b128 v[204:207], v2 offset:880
	v_fmac_f64_e32 v[210:211], v[114:115], v[48:49]
	v_add_f64 v[212:213], v[208:209], v[210:211]
	ds_read_b128 v[208:211], v2 offset:896
	v_mul_f64 v[146:147], v[198:199], v[146:147]
	s_waitcnt vmcnt(15) lgkmcnt(1)
	v_mul_f64 v[214:215], v[204:205], v[54:55]
	v_fmac_f64_e32 v[214:215], v[206:207], v[52:53]
	v_add_f64 v[216:217], v[212:213], v[214:215]
	s_waitcnt vmcnt(14) lgkmcnt(0)
	v_mul_f64 v[218:219], v[208:209], v[58:59]
	ds_read_b128 v[212:215], v2 offset:912
	v_fmac_f64_e32 v[218:219], v[210:211], v[56:57]
	v_add_f64 v[220:221], v[216:217], v[218:219]
	ds_read_b128 v[216:219], v2 offset:928
	v_mul_f64 v[154:155], v[190:191], v[154:155]
	s_waitcnt vmcnt(13) lgkmcnt(1)
	v_mul_f64 v[222:223], v[212:213], v[62:63]
	v_fmac_f64_e32 v[222:223], v[214:215], v[60:61]
	v_add_f64 v[224:225], v[220:221], v[222:223]
	s_waitcnt vmcnt(12) lgkmcnt(0)
	v_mul_f64 v[226:227], v[216:217], v[94:95]
	ds_read_b128 v[220:223], v2 offset:944
	v_fmac_f64_e32 v[226:227], v[218:219], v[92:93]
	v_add_f64 v[228:229], v[224:225], v[226:227]
	ds_read_b128 v[224:227], v2 offset:960
	v_fma_f64 v[246:247], v[188:189], v[152:153], -v[154:155]
	s_waitcnt vmcnt(11) lgkmcnt(1)
	v_mul_f64 v[230:231], v[220:221], v[110:111]
	v_fmac_f64_e32 v[230:231], v[222:223], v[108:109]
	v_add_f64 v[232:233], v[228:229], v[230:231]
	s_waitcnt vmcnt(10) lgkmcnt(0)
	v_mul_f64 v[234:235], v[224:225], v[122:123]
	ds_read_b128 v[228:231], v2 offset:976
	v_fmac_f64_e32 v[234:235], v[226:227], v[120:121]
	v_add_f64 v[236:237], v[232:233], v[234:235]
	ds_read_b128 v[232:235], v2 offset:992
	ds_read_b128 v[152:155], v2 offset:1040
	s_waitcnt vmcnt(9) lgkmcnt(2)
	v_mul_f64 v[238:239], v[228:229], v[126:127]
	v_fmac_f64_e32 v[238:239], v[230:231], v[124:125]
	v_add_f64 v[242:243], v[236:237], v[238:239]
	s_waitcnt vmcnt(8) lgkmcnt(1)
	v_mul_f64 v[244:245], v[232:233], v[130:131]
	ds_read_b128 v[236:239], v2 offset:1008
	v_fmac_f64_e32 v[244:245], v[234:235], v[128:129]
	v_add_f64 v[242:243], v[242:243], v[244:245]
	v_fma_f64 v[244:245], v[196:197], v[144:145], -v[146:147]
	ds_read_b128 v[144:147], v2 offset:1024
	s_waitcnt vmcnt(7) lgkmcnt(1)
	v_mul_f64 v[196:197], v[236:237], v[134:135]
	v_fmac_f64_e32 v[196:197], v[238:239], v[132:133]
	v_add_f64 v[188:189], v[242:243], v[196:197]
	v_mul_f64 v[158:159], v[182:183], v[158:159]
	s_waitcnt vmcnt(6) lgkmcnt(0)
	v_mul_f64 v[190:191], v[144:145], v[138:139]
	v_fmac_f64_e32 v[190:191], v[146:147], v[136:137]
	v_add_f64 v[196:197], v[188:189], v[190:191]
	ds_read_b128 v[188:191], v2 offset:1056
	v_fma_f64 v[242:243], v[180:181], v[156:157], -v[158:159]
	ds_read_b128 v[156:159], v2 offset:1072
	s_waitcnt vmcnt(5)
	v_mul_f64 v[198:199], v[152:153], v[142:143]
	v_fmac_f64_e32 v[198:199], v[154:155], v[140:141]
	s_waitcnt vmcnt(4) lgkmcnt(1)
	v_mul_f64 v[180:181], v[188:189], v[150:151]
	v_add_f64 v[196:197], v[196:197], v[198:199]
	v_fmac_f64_e32 v[180:181], v[190:191], v[148:149]
	v_mul_f64 v[162:163], v[194:195], v[162:163]
	v_add_f64 v[198:199], v[196:197], v[180:181]
	v_fma_f64 v[196:197], v[192:193], v[160:161], -v[162:163]
	ds_read_b128 v[160:163], v2 offset:1088
	s_waitcnt vmcnt(3) lgkmcnt(1)
	v_mul_f64 v[192:193], v[156:157], v[166:167]
	ds_read_b128 v[180:183], v2 offset:1104
	v_fmac_f64_e32 v[192:193], v[158:159], v[164:165]
	v_mul_f64 v[170:171], v[186:187], v[170:171]
	v_add_f64 v[192:193], v[198:199], v[192:193]
	v_fma_f64 v[198:199], v[184:185], v[168:169], -v[170:171]
	ds_read_b128 v[168:171], v2 offset:1120
	s_waitcnt vmcnt(2) lgkmcnt(2)
	v_mul_f64 v[184:185], v[160:161], v[174:175]
	v_fmac_f64_e32 v[184:185], v[162:163], v[172:173]
	s_waitcnt vmcnt(1) lgkmcnt(1)
	v_mul_f64 v[186:187], v[180:181], v[178:179]
	v_add_f64 v[184:185], v[192:193], v[184:185]
	v_fmac_f64_e32 v[186:187], v[182:183], v[176:177]
	v_add_f64 v[184:185], v[184:185], v[186:187]
	s_waitcnt vmcnt(0) lgkmcnt(0)
	v_mul_f64 v[186:187], v[168:169], v[202:203]
	v_fmac_f64_e32 v[186:187], v[170:171], v[200:201]
	v_add_f64 v[248:249], v[184:185], v[186:187]
	scratch_load_dwordx4 v[184:187], off, off offset:576
	v_add_f64 v[244:245], v[244:245], 0
	v_add_f64 v[244:245], v[244:245], v[246:247]
	;; [unrolled: 1-line block ×3, first 2 shown]
	scratch_load_dwordx4 v[244:247], off, off offset:32
	v_add_f64 v[196:197], v[242:243], v[196:197]
	v_mul_f64 v[6:7], v[66:67], v[6:7]
	v_add_f64 v[196:197], v[196:197], v[198:199]
	v_fma_f64 v[4:5], v[64:65], v[4:5], -v[6:7]
	v_mul_f64 v[6:7], v[78:79], v[10:11]
	v_add_f64 v[4:5], v[196:197], v[4:5]
	v_fma_f64 v[6:7], v[76:77], v[8:9], -v[6:7]
	v_add_f64 v[4:5], v[4:5], v[6:7]
	v_mul_f64 v[6:7], v[74:75], v[14:15]
	v_fma_f64 v[6:7], v[72:73], v[12:13], -v[6:7]
	v_add_f64 v[4:5], v[4:5], v[6:7]
	v_mul_f64 v[6:7], v[70:71], v[18:19]
	;; [unrolled: 3-line block ×24, first 2 shown]
	ds_read_b128 v[192:195], v2 offset:1136
	v_fma_f64 v[6:7], v[160:161], v[172:173], -v[6:7]
	v_add_f64 v[4:5], v[4:5], v[6:7]
	v_mul_f64 v[6:7], v[182:183], v[178:179]
	v_fma_f64 v[6:7], v[180:181], v[176:177], -v[6:7]
	v_add_f64 v[4:5], v[4:5], v[6:7]
	v_mul_f64 v[6:7], v[170:171], v[202:203]
	v_fma_f64 v[6:7], v[168:169], v[200:201], -v[6:7]
	s_waitcnt vmcnt(1) lgkmcnt(0)
	v_mul_f64 v[2:3], v[192:193], v[186:187]
	v_add_f64 v[4:5], v[4:5], v[6:7]
	v_mul_f64 v[6:7], v[194:195], v[186:187]
	v_fmac_f64_e32 v[2:3], v[194:195], v[184:185]
	v_fma_f64 v[6:7], v[192:193], v[184:185], -v[6:7]
	v_add_f64 v[2:3], v[248:249], v[2:3]
	v_add_f64 v[4:5], v[4:5], v[6:7]
	s_waitcnt vmcnt(0)
	v_add_f64 v[4:5], v[244:245], -v[4:5]
	v_add_f64 v[6:7], v[246:247], -v[2:3]
	scratch_store_dwordx4 off, v[4:7], off offset:32
	s_and_saveexec_b64 s[0:1], vcc
	s_cbranch_execz .LBB99_229
; %bb.228:
	scratch_load_dwordx4 v[2:5], off, off offset:16
	v_mov_b32_e32 v6, 0
	v_mov_b32_e32 v7, v6
	;; [unrolled: 1-line block ×4, first 2 shown]
	scratch_store_dwordx4 off, v[6:9], off offset:16
	s_waitcnt vmcnt(1)
	ds_write_b128 v1, v[2:5]
.LBB99_229:
	s_or_b64 exec, exec, s[0:1]
	s_waitcnt lgkmcnt(0)
	; wave barrier
	scratch_load_dwordx4 v[192:195], off, off offset:32
	scratch_load_dwordx4 v[196:199], off, off offset:48
	;; [unrolled: 1-line block ×32, first 2 shown]
	v_mov_b32_e32 v246, 0
	ds_read_b128 v[200:203], v246 offset:592
	ds_read_b128 v[212:215], v246 offset:608
	;; [unrolled: 1-line block ×17, first 2 shown]
	s_and_b64 vcc, exec, s[10:11]
	s_waitcnt vmcnt(31) lgkmcnt(14)
	v_mul_f64 v[104:105], v[200:201], v[194:195]
	s_waitcnt vmcnt(30)
	v_mul_f64 v[106:107], v[212:213], v[198:199]
	v_fmac_f64_e32 v[104:105], v[202:203], v[192:193]
	s_waitcnt vmcnt(29)
	v_mul_f64 v[112:113], v[224:225], v[206:207]
	v_fmac_f64_e32 v[106:107], v[214:215], v[196:197]
	v_add_f64 v[104:105], v[104:105], 0
	s_waitcnt vmcnt(28) lgkmcnt(13)
	v_mul_f64 v[114:115], v[228:229], v[210:211]
	v_fmac_f64_e32 v[112:113], v[226:227], v[204:205]
	v_add_f64 v[104:105], v[104:105], v[106:107]
	s_waitcnt vmcnt(27) lgkmcnt(12)
	;; [unrolled: 4-line block ×12, first 2 shown]
	v_mul_f64 v[176:177], v[120:121], v[34:35]
	v_fmac_f64_e32 v[174:175], v[126:127], v[28:29]
	v_add_f64 v[104:105], v[104:105], v[172:173]
	v_fmac_f64_e32 v[176:177], v[122:123], v[32:33]
	v_add_f64 v[104:105], v[104:105], v[174:175]
	v_add_f64 v[112:113], v[104:105], v[176:177]
	scratch_load_dwordx4 v[104:107], off, off offset:544
	s_waitcnt vmcnt(17) lgkmcnt(1)
	v_mul_f64 v[114:115], v[116:117], v[38:39]
	v_fmac_f64_e32 v[114:115], v[118:119], v[36:37]
	v_add_f64 v[128:129], v[112:113], v[114:115]
	ds_read_b128 v[160:163], v246 offset:864
	ds_read_b128 v[164:167], v246 offset:880
	scratch_load_dwordx4 v[112:115], off, off offset:560
	s_waitcnt vmcnt(17) lgkmcnt(2)
	v_mul_f64 v[130:131], v[108:109], v[42:43]
	v_fmac_f64_e32 v[130:131], v[110:111], v[40:41]
	v_add_f64 v[128:129], v[128:129], v[130:131]
	s_waitcnt vmcnt(16) lgkmcnt(1)
	v_mul_f64 v[130:131], v[160:161], v[46:47]
	v_fmac_f64_e32 v[130:131], v[162:163], v[44:45]
	v_add_f64 v[172:173], v[128:129], v[130:131]
	scratch_load_dwordx4 v[128:131], off, off offset:576
	s_waitcnt vmcnt(16) lgkmcnt(0)
	v_mul_f64 v[174:175], v[164:165], v[50:51]
	ds_read_b128 v[168:171], v246 offset:896
	v_fmac_f64_e32 v[174:175], v[166:167], v[48:49]
	v_add_f64 v[176:177], v[172:173], v[174:175]
	ds_read_b128 v[172:175], v246 offset:912
	v_mul_f64 v[194:195], v[202:203], v[194:195]
	s_waitcnt vmcnt(15) lgkmcnt(1)
	v_mul_f64 v[178:179], v[168:169], v[54:55]
	v_fmac_f64_e32 v[178:179], v[170:171], v[52:53]
	v_add_f64 v[180:181], v[176:177], v[178:179]
	s_waitcnt vmcnt(14) lgkmcnt(0)
	v_mul_f64 v[182:183], v[172:173], v[58:59]
	ds_read_b128 v[176:179], v246 offset:928
	v_fmac_f64_e32 v[182:183], v[174:175], v[56:57]
	v_add_f64 v[184:185], v[180:181], v[182:183]
	ds_read_b128 v[180:183], v246 offset:944
	v_fma_f64 v[248:249], v[200:201], v[192:193], -v[194:195]
	s_waitcnt vmcnt(13) lgkmcnt(1)
	v_mul_f64 v[186:187], v[176:177], v[62:63]
	v_fmac_f64_e32 v[186:187], v[178:179], v[60:61]
	v_add_f64 v[188:189], v[184:185], v[186:187]
	s_waitcnt vmcnt(12) lgkmcnt(0)
	v_mul_f64 v[190:191], v[180:181], v[66:67]
	ds_read_b128 v[184:187], v246 offset:960
	v_fmac_f64_e32 v[190:191], v[182:183], v[64:65]
	v_add_f64 v[236:237], v[188:189], v[190:191]
	ds_read_b128 v[188:191], v246 offset:976
	ds_read_b128 v[192:195], v246 offset:992
	s_waitcnt vmcnt(11) lgkmcnt(2)
	v_mul_f64 v[200:201], v[184:185], v[70:71]
	v_mul_f64 v[198:199], v[214:215], v[198:199]
	v_fmac_f64_e32 v[200:201], v[186:187], v[68:69]
	s_waitcnt vmcnt(10) lgkmcnt(1)
	v_mul_f64 v[202:203], v[188:189], v[74:75]
	v_fma_f64 v[250:251], v[212:213], v[196:197], -v[198:199]
	ds_read_b128 v[196:199], v246 offset:1008
	v_add_f64 v[200:201], v[236:237], v[200:201]
	v_fmac_f64_e32 v[202:203], v[190:191], v[72:73]
	v_add_f64 v[236:237], v[200:201], v[202:203]
	ds_read_b128 v[200:203], v246 offset:1024
	v_mul_f64 v[206:207], v[226:227], v[206:207]
	s_waitcnt vmcnt(9) lgkmcnt(2)
	v_mul_f64 v[212:213], v[192:193], v[78:79]
	v_fma_f64 v[252:253], v[224:225], v[204:205], -v[206:207]
	ds_read_b128 v[204:207], v246 offset:1040
	v_fmac_f64_e32 v[212:213], v[194:195], v[76:77]
	s_waitcnt vmcnt(8) lgkmcnt(2)
	v_mul_f64 v[214:215], v[196:197], v[82:83]
	v_add_f64 v[212:213], v[236:237], v[212:213]
	v_fmac_f64_e32 v[214:215], v[198:199], v[80:81]
	v_add_f64 v[212:213], v[212:213], v[214:215]
	s_waitcnt vmcnt(7) lgkmcnt(1)
	v_mul_f64 v[214:215], v[200:201], v[86:87]
	v_fmac_f64_e32 v[214:215], v[202:203], v[84:85]
	v_mul_f64 v[210:211], v[230:231], v[210:211]
	v_add_f64 v[212:213], v[212:213], v[214:215]
	v_fma_f64 v[254:255], v[228:229], v[208:209], -v[210:211]
	ds_read_b128 v[208:211], v246 offset:1056
	s_waitcnt vmcnt(6) lgkmcnt(1)
	v_mul_f64 v[214:215], v[204:205], v[90:91]
	v_fmac_f64_e32 v[214:215], v[206:207], v[88:89]
	v_add_f64 v[224:225], v[212:213], v[214:215]
	ds_read_b128 v[212:215], v246 offset:1072
	v_mul_f64 v[218:219], v[234:235], v[218:219]
	s_waitcnt vmcnt(5) lgkmcnt(1)
	v_mul_f64 v[226:227], v[208:209], v[94:95]
	v_fma_f64 v[238:239], v[232:233], v[216:217], -v[218:219]
	ds_read_b128 v[216:219], v246 offset:1088
	v_fmac_f64_e32 v[226:227], v[210:211], v[92:93]
	v_mul_f64 v[222:223], v[244:245], v[222:223]
	v_add_f64 v[224:225], v[224:225], v[226:227]
	s_waitcnt vmcnt(4) lgkmcnt(1)
	v_mul_f64 v[226:227], v[212:213], v[102:103]
	v_fma_f64 v[242:243], v[242:243], v[220:221], -v[222:223]
	ds_read_b128 v[220:223], v246 offset:1104
	v_fmac_f64_e32 v[226:227], v[214:215], v[100:101]
	v_add_f64 v[228:229], v[224:225], v[226:227]
	ds_read_b128 v[224:227], v246 offset:1120
	s_waitcnt vmcnt(3) lgkmcnt(2)
	v_mul_f64 v[230:231], v[216:217], v[98:99]
	v_fmac_f64_e32 v[230:231], v[218:219], v[96:97]
	v_add_f64 v[228:229], v[228:229], v[230:231]
	s_waitcnt vmcnt(2) lgkmcnt(1)
	v_mul_f64 v[230:231], v[220:221], v[106:107]
	v_fmac_f64_e32 v[230:231], v[222:223], v[104:105]
	v_add_f64 v[228:229], v[228:229], v[230:231]
	;; [unrolled: 4-line block ×3, first 2 shown]
	ds_read_b128 v[228:231], v246 offset:1136
	v_mul_f64 v[2:3], v[158:159], v[2:3]
	v_fma_f64 v[0:1], v[156:157], v[0:1], -v[2:3]
	v_mul_f64 v[2:3], v[154:155], v[6:7]
	v_fma_f64 v[2:3], v[152:153], v[4:5], -v[2:3]
	s_waitcnt vmcnt(0) lgkmcnt(0)
	v_mul_f64 v[234:235], v[228:229], v[130:131]
	v_fmac_f64_e32 v[234:235], v[230:231], v[128:129]
	v_add_f64 v[236:237], v[232:233], v[234:235]
	v_add_f64 v[232:233], v[248:249], 0
	;; [unrolled: 1-line block ×5, first 2 shown]
	scratch_load_dwordx4 v[232:235], off, off offset:16
	v_add_f64 v[238:239], v[244:245], v[238:239]
	v_add_f64 v[238:239], v[238:239], v[242:243]
	;; [unrolled: 1-line block ×4, first 2 shown]
	v_mul_f64 v[2:3], v[150:151], v[10:11]
	v_fma_f64 v[2:3], v[148:149], v[8:9], -v[2:3]
	v_add_f64 v[0:1], v[0:1], v[2:3]
	v_mul_f64 v[2:3], v[146:147], v[14:15]
	v_fma_f64 v[2:3], v[144:145], v[12:13], -v[2:3]
	v_add_f64 v[0:1], v[0:1], v[2:3]
	;; [unrolled: 3-line block ×27, first 2 shown]
	s_waitcnt vmcnt(0)
	v_add_f64 v[0:1], v[232:233], -v[0:1]
	v_add_f64 v[2:3], v[234:235], -v[236:237]
	scratch_store_dwordx4 off, v[0:3], off offset:16
	s_cbranch_vccz .LBB99_300
; %bb.230:
	global_load_dword v0, v246, s[8:9] offset:136
	s_waitcnt vmcnt(0)
	v_readfirstlane_b32 s0, v0
	s_add_i32 s0, s0, -1
	s_cmp_lg_u32 s0, 34
	s_cbranch_scc0 .LBB99_232
; %bb.231:
	s_lshl_b32 s0, s0, 4
	s_add_i32 s0, s0, 16
	scratch_load_dwordx4 v[0:3], off, s0
	scratch_load_dwordx4 v[4:7], off, s17
	s_waitcnt vmcnt(1)
	scratch_store_dwordx4 off, v[0:3], s17
	s_waitcnt vmcnt(1)
	scratch_store_dwordx4 off, v[4:7], s0
.LBB99_232:
	v_mov_b32_e32 v0, 0
	global_load_dword v1, v0, s[8:9] offset:132
	s_waitcnt vmcnt(0)
	v_readfirstlane_b32 s0, v1
	s_add_i32 s0, s0, -1
	s_cmp_eq_u32 s0, 33
	s_cbranch_scc1 .LBB99_234
; %bb.233:
	s_lshl_b32 s0, s0, 4
	s_add_i32 s0, s0, 16
	scratch_load_dwordx4 v[2:5], off, s0
	scratch_load_dwordx4 v[6:9], off, s18
	s_waitcnt vmcnt(1)
	scratch_store_dwordx4 off, v[2:5], s18
	s_waitcnt vmcnt(1)
	scratch_store_dwordx4 off, v[6:9], s0
.LBB99_234:
	global_load_dword v0, v0, s[8:9] offset:128
	s_waitcnt vmcnt(0)
	v_readfirstlane_b32 s0, v0
	s_add_i32 s0, s0, -1
	s_cmp_eq_u32 s0, 32
	s_cbranch_scc1 .LBB99_236
; %bb.235:
	s_lshl_b32 s0, s0, 4
	s_add_i32 s0, s0, 16
	scratch_load_dwordx4 v[0:3], off, s0
	scratch_load_dwordx4 v[4:7], off, s19
	s_waitcnt vmcnt(1)
	scratch_store_dwordx4 off, v[0:3], s19
	s_waitcnt vmcnt(1)
	scratch_store_dwordx4 off, v[4:7], s0
.LBB99_236:
	v_mov_b32_e32 v0, 0
	global_load_dword v1, v0, s[8:9] offset:124
	s_waitcnt vmcnt(0)
	v_readfirstlane_b32 s0, v1
	s_add_i32 s0, s0, -1
	s_cmp_eq_u32 s0, 31
	s_cbranch_scc1 .LBB99_238
; %bb.237:
	s_lshl_b32 s0, s0, 4
	s_add_i32 s0, s0, 16
	scratch_load_dwordx4 v[2:5], off, s0
	scratch_load_dwordx4 v[6:9], off, s20
	s_waitcnt vmcnt(1)
	scratch_store_dwordx4 off, v[2:5], s20
	s_waitcnt vmcnt(1)
	scratch_store_dwordx4 off, v[6:9], s0
.LBB99_238:
	global_load_dword v0, v0, s[8:9] offset:120
	s_waitcnt vmcnt(0)
	v_readfirstlane_b32 s0, v0
	s_add_i32 s0, s0, -1
	s_cmp_eq_u32 s0, 30
	s_cbranch_scc1 .LBB99_240
; %bb.239:
	s_lshl_b32 s0, s0, 4
	s_add_i32 s0, s0, 16
	scratch_load_dwordx4 v[0:3], off, s0
	scratch_load_dwordx4 v[4:7], off, s21
	s_waitcnt vmcnt(1)
	scratch_store_dwordx4 off, v[0:3], s21
	s_waitcnt vmcnt(1)
	scratch_store_dwordx4 off, v[4:7], s0
.LBB99_240:
	;; [unrolled: 33-line block ×16, first 2 shown]
	v_mov_b32_e32 v0, 0
	global_load_dword v1, v0, s[8:9] offset:4
	s_waitcnt vmcnt(0)
	v_readfirstlane_b32 s0, v1
	s_add_i32 s0, s0, -1
	s_cmp_eq_u32 s0, 1
	s_cbranch_scc1 .LBB99_298
; %bb.297:
	s_lshl_b32 s0, s0, 4
	s_add_i32 s0, s0, 16
	scratch_load_dwordx4 v[2:5], off, s0
	scratch_load_dwordx4 v[6:9], off, s51
	s_waitcnt vmcnt(1)
	scratch_store_dwordx4 off, v[2:5], s51
	s_waitcnt vmcnt(1)
	scratch_store_dwordx4 off, v[6:9], s0
.LBB99_298:
	global_load_dword v0, v0, s[8:9]
	s_waitcnt vmcnt(0)
	v_readfirstlane_b32 s0, v0
	s_add_i32 s0, s0, -1
	s_cmp_eq_u32 s0, 0
	s_cbranch_scc1 .LBB99_300
; %bb.299:
	s_lshl_b32 s0, s0, 4
	s_add_i32 s0, s0, 16
	scratch_load_dwordx4 v[0:3], off, s0
	scratch_load_dwordx4 v[4:7], off, off offset:16
	s_waitcnt vmcnt(1)
	scratch_store_dwordx4 off, v[0:3], off offset:16
	s_waitcnt vmcnt(1)
	scratch_store_dwordx4 off, v[4:7], s0
.LBB99_300:
	scratch_load_dwordx4 v[0:3], off, off offset:16
	s_nop 0
	v_accvgpr_read_b32 v5, a1
	v_accvgpr_read_b32 v4, a0
	s_waitcnt vmcnt(0)
	flat_store_dwordx4 v[240:241], v[0:3]
	scratch_load_dwordx4 v[0:3], off, s51
	s_waitcnt vmcnt(0)
	flat_store_dwordx4 v[4:5], v[0:3]
	scratch_load_dwordx4 v[0:3], off, s50
	v_accvgpr_read_b32 v5, a3
	v_accvgpr_read_b32 v4, a2
	s_waitcnt vmcnt(0)
	flat_store_dwordx4 v[4:5], v[0:3]
	scratch_load_dwordx4 v[0:3], off, s49
	v_accvgpr_read_b32 v4, a4
	v_accvgpr_read_b32 v5, a5
	;; [unrolled: 5-line block ×34, first 2 shown]
	s_waitcnt vmcnt(0)
	flat_store_dwordx4 v[4:5], v[0:3]
	s_endpgm
	.section	.rodata,"a",@progbits
	.p2align	6, 0x0
	.amdhsa_kernel _ZN9rocsolver6v33100L18getri_kernel_smallILi36E19rocblas_complex_numIdEPKPS3_EEvT1_iilPiilS8_bb
		.amdhsa_group_segment_fixed_size 1160
		.amdhsa_private_segment_fixed_size 608
		.amdhsa_kernarg_size 60
		.amdhsa_user_sgpr_count 2
		.amdhsa_user_sgpr_dispatch_ptr 0
		.amdhsa_user_sgpr_queue_ptr 0
		.amdhsa_user_sgpr_kernarg_segment_ptr 1
		.amdhsa_user_sgpr_dispatch_id 0
		.amdhsa_user_sgpr_kernarg_preload_length 0
		.amdhsa_user_sgpr_kernarg_preload_offset 0
		.amdhsa_user_sgpr_private_segment_size 0
		.amdhsa_uses_dynamic_stack 0
		.amdhsa_enable_private_segment 1
		.amdhsa_system_sgpr_workgroup_id_x 1
		.amdhsa_system_sgpr_workgroup_id_y 0
		.amdhsa_system_sgpr_workgroup_id_z 0
		.amdhsa_system_sgpr_workgroup_info 0
		.amdhsa_system_vgpr_workitem_id 0
		.amdhsa_next_free_vgpr 326
		.amdhsa_next_free_sgpr 64
		.amdhsa_accum_offset 256
		.amdhsa_reserve_vcc 1
		.amdhsa_float_round_mode_32 0
		.amdhsa_float_round_mode_16_64 0
		.amdhsa_float_denorm_mode_32 3
		.amdhsa_float_denorm_mode_16_64 3
		.amdhsa_dx10_clamp 1
		.amdhsa_ieee_mode 1
		.amdhsa_fp16_overflow 0
		.amdhsa_tg_split 0
		.amdhsa_exception_fp_ieee_invalid_op 0
		.amdhsa_exception_fp_denorm_src 0
		.amdhsa_exception_fp_ieee_div_zero 0
		.amdhsa_exception_fp_ieee_overflow 0
		.amdhsa_exception_fp_ieee_underflow 0
		.amdhsa_exception_fp_ieee_inexact 0
		.amdhsa_exception_int_div_zero 0
	.end_amdhsa_kernel
	.section	.text._ZN9rocsolver6v33100L18getri_kernel_smallILi36E19rocblas_complex_numIdEPKPS3_EEvT1_iilPiilS8_bb,"axG",@progbits,_ZN9rocsolver6v33100L18getri_kernel_smallILi36E19rocblas_complex_numIdEPKPS3_EEvT1_iilPiilS8_bb,comdat
.Lfunc_end99:
	.size	_ZN9rocsolver6v33100L18getri_kernel_smallILi36E19rocblas_complex_numIdEPKPS3_EEvT1_iilPiilS8_bb, .Lfunc_end99-_ZN9rocsolver6v33100L18getri_kernel_smallILi36E19rocblas_complex_numIdEPKPS3_EEvT1_iilPiilS8_bb
                                        ; -- End function
	.set _ZN9rocsolver6v33100L18getri_kernel_smallILi36E19rocblas_complex_numIdEPKPS3_EEvT1_iilPiilS8_bb.num_vgpr, 256
	.set _ZN9rocsolver6v33100L18getri_kernel_smallILi36E19rocblas_complex_numIdEPKPS3_EEvT1_iilPiilS8_bb.num_agpr, 70
	.set _ZN9rocsolver6v33100L18getri_kernel_smallILi36E19rocblas_complex_numIdEPKPS3_EEvT1_iilPiilS8_bb.numbered_sgpr, 64
	.set _ZN9rocsolver6v33100L18getri_kernel_smallILi36E19rocblas_complex_numIdEPKPS3_EEvT1_iilPiilS8_bb.num_named_barrier, 0
	.set _ZN9rocsolver6v33100L18getri_kernel_smallILi36E19rocblas_complex_numIdEPKPS3_EEvT1_iilPiilS8_bb.private_seg_size, 608
	.set _ZN9rocsolver6v33100L18getri_kernel_smallILi36E19rocblas_complex_numIdEPKPS3_EEvT1_iilPiilS8_bb.uses_vcc, 1
	.set _ZN9rocsolver6v33100L18getri_kernel_smallILi36E19rocblas_complex_numIdEPKPS3_EEvT1_iilPiilS8_bb.uses_flat_scratch, 0
	.set _ZN9rocsolver6v33100L18getri_kernel_smallILi36E19rocblas_complex_numIdEPKPS3_EEvT1_iilPiilS8_bb.has_dyn_sized_stack, 0
	.set _ZN9rocsolver6v33100L18getri_kernel_smallILi36E19rocblas_complex_numIdEPKPS3_EEvT1_iilPiilS8_bb.has_recursion, 0
	.set _ZN9rocsolver6v33100L18getri_kernel_smallILi36E19rocblas_complex_numIdEPKPS3_EEvT1_iilPiilS8_bb.has_indirect_call, 0
	.section	.AMDGPU.csdata,"",@progbits
; Kernel info:
; codeLenInByte = 58448
; TotalNumSgprs: 70
; NumVgprs: 256
; NumAgprs: 70
; TotalNumVgprs: 326
; ScratchSize: 608
; MemoryBound: 0
; FloatMode: 240
; IeeeMode: 1
; LDSByteSize: 1160 bytes/workgroup (compile time only)
; SGPRBlocks: 8
; VGPRBlocks: 40
; NumSGPRsForWavesPerEU: 70
; NumVGPRsForWavesPerEU: 326
; AccumOffset: 256
; Occupancy: 1
; WaveLimiterHint : 1
; COMPUTE_PGM_RSRC2:SCRATCH_EN: 1
; COMPUTE_PGM_RSRC2:USER_SGPR: 2
; COMPUTE_PGM_RSRC2:TRAP_HANDLER: 0
; COMPUTE_PGM_RSRC2:TGID_X_EN: 1
; COMPUTE_PGM_RSRC2:TGID_Y_EN: 0
; COMPUTE_PGM_RSRC2:TGID_Z_EN: 0
; COMPUTE_PGM_RSRC2:TIDIG_COMP_CNT: 0
; COMPUTE_PGM_RSRC3_GFX90A:ACCUM_OFFSET: 63
; COMPUTE_PGM_RSRC3_GFX90A:TG_SPLIT: 0
	.section	.text._ZN9rocsolver6v33100L18getri_kernel_smallILi37E19rocblas_complex_numIdEPKPS3_EEvT1_iilPiilS8_bb,"axG",@progbits,_ZN9rocsolver6v33100L18getri_kernel_smallILi37E19rocblas_complex_numIdEPKPS3_EEvT1_iilPiilS8_bb,comdat
	.globl	_ZN9rocsolver6v33100L18getri_kernel_smallILi37E19rocblas_complex_numIdEPKPS3_EEvT1_iilPiilS8_bb ; -- Begin function _ZN9rocsolver6v33100L18getri_kernel_smallILi37E19rocblas_complex_numIdEPKPS3_EEvT1_iilPiilS8_bb
	.p2align	8
	.type	_ZN9rocsolver6v33100L18getri_kernel_smallILi37E19rocblas_complex_numIdEPKPS3_EEvT1_iilPiilS8_bb,@function
_ZN9rocsolver6v33100L18getri_kernel_smallILi37E19rocblas_complex_numIdEPKPS3_EEvT1_iilPiilS8_bb: ; @_ZN9rocsolver6v33100L18getri_kernel_smallILi37E19rocblas_complex_numIdEPKPS3_EEvT1_iilPiilS8_bb
; %bb.0:
	v_cmp_gt_u32_e32 vcc, 37, v0
	s_and_saveexec_b64 s[4:5], vcc
	s_cbranch_execz .LBB100_162
; %bb.1:
	s_load_dword s14, s[0:1], 0x38
	s_load_dwordx2 s[8:9], s[0:1], 0x0
	s_load_dwordx4 s[4:7], s[0:1], 0x28
	s_waitcnt lgkmcnt(0)
	s_bitcmp1_b32 s14, 8
	s_cselect_b64 s[10:11], -1, 0
	s_ashr_i32 s3, s2, 31
	s_lshl_b64 s[12:13], s[2:3], 3
	s_add_u32 s8, s8, s12
	s_addc_u32 s9, s9, s13
	s_load_dwordx2 s[12:13], s[8:9], 0x0
	s_bfe_u32 s8, s14, 0x10008
	s_cmp_eq_u32 s8, 0
                                        ; implicit-def: $sgpr8_sgpr9
	s_cbranch_scc1 .LBB100_3
; %bb.2:
	s_load_dword s8, s[0:1], 0x20
	s_load_dwordx2 s[14:15], s[0:1], 0x18
	s_mul_i32 s9, s4, s3
	s_mul_hi_u32 s16, s4, s2
	s_add_i32 s16, s16, s9
	s_mul_i32 s5, s5, s2
	s_add_i32 s5, s16, s5
	s_mul_i32 s4, s4, s2
	s_waitcnt lgkmcnt(0)
	s_ashr_i32 s9, s8, 31
	s_lshl_b64 s[4:5], s[4:5], 2
	s_add_u32 s14, s14, s4
	s_addc_u32 s15, s15, s5
	s_lshl_b64 s[4:5], s[8:9], 2
	s_add_u32 s8, s14, s4
	s_addc_u32 s9, s15, s5
.LBB100_3:
	s_load_dwordx2 s[4:5], s[0:1], 0x8
	s_load_dword s14, s[0:1], 0x38
	v_lshlrev_b32_e32 v14, 4, v0
	v_mov_b32_e32 v15, 0
	s_movk_i32 s15, 0xb0
	s_waitcnt lgkmcnt(0)
	s_ashr_i32 s1, s4, 31
	s_mov_b32 s0, s4
	s_lshl_b64 s[0:1], s[0:1], 4
	s_add_u32 s0, s12, s0
	s_addc_u32 s1, s13, s1
	v_lshl_add_u64 v[240:241], s[0:1], 0, v[14:15]
	flat_load_dwordx4 v[2:5], v[240:241]
	s_mov_b32 s12, s5
	s_ashr_i32 s13, s5, 31
	v_lshl_add_u64 v[6:7], s[12:13], 4, v[240:241]
	v_accvgpr_write_b32 a0, v6
	s_add_i32 s4, s5, s5
	v_accvgpr_write_b32 a1, v7
	s_movk_i32 s12, 0x90
	s_movk_i32 s13, 0xa0
	;; [unrolled: 1-line block ×27, first 2 shown]
	s_add_i32 s44, s12, 16
	s_add_i32 s43, s13, 16
	;; [unrolled: 1-line block ×28, first 2 shown]
	s_mov_b32 s52, 32
	s_mov_b32 s51, 48
	;; [unrolled: 1-line block ×3, first 2 shown]
	s_movk_i32 s49, 0x50
	s_waitcnt vmcnt(0) lgkmcnt(0)
	scratch_store_dwordx4 off, v[2:5], off offset:16
	flat_load_dwordx4 v[2:5], v[6:7]
	v_add_u32_e32 v6, s4, v0
	v_ashrrev_i32_e32 v7, 31, v6
	v_lshl_add_u64 v[8:9], v[6:7], 4, s[0:1]
	v_add_u32_e32 v6, s5, v6
	v_accvgpr_write_b32 a2, v8
	v_ashrrev_i32_e32 v7, 31, v6
	v_accvgpr_write_b32 a3, v9
	s_movk_i32 s4, 0x70
	s_add_i32 s46, s4, 16
	s_waitcnt vmcnt(0) lgkmcnt(0)
	scratch_store_dwordx4 off, v[2:5], off offset:32
	flat_load_dwordx4 v[2:5], v[8:9]
	v_lshl_add_u64 v[8:9], v[6:7], 4, s[0:1]
	v_add_u32_e32 v6, s5, v6
	v_accvgpr_write_b32 a4, v8
	v_ashrrev_i32_e32 v7, 31, v6
	v_accvgpr_write_b32 a5, v9
	s_waitcnt vmcnt(0) lgkmcnt(0)
	scratch_store_dwordx4 off, v[2:5], off offset:48
	flat_load_dwordx4 v[2:5], v[8:9]
	v_lshl_add_u64 v[8:9], v[6:7], 4, s[0:1]
	v_add_u32_e32 v6, s5, v6
	v_accvgpr_write_b32 a6, v8
	v_ashrrev_i32_e32 v7, 31, v6
	v_accvgpr_write_b32 a7, v9
	;; [unrolled: 8-line block ×32, first 2 shown]
	s_waitcnt vmcnt(0) lgkmcnt(0)
	scratch_store_dwordx4 off, v[2:5], off offset:544
	flat_load_dwordx4 v[2:5], v[8:9]
	v_lshl_add_u64 v[8:9], v[6:7], 4, s[0:1]
	v_add_u32_e32 v6, s5, v6
	v_ashrrev_i32_e32 v7, 31, v6
	v_lshl_add_u64 v[6:7], v[6:7], 4, s[0:1]
	s_movk_i32 s0, 0x50
	s_movk_i32 s1, 0x60
	;; [unrolled: 1-line block ×3, first 2 shown]
	v_accvgpr_write_b32 a69, v9
	v_accvgpr_write_b32 a71, v7
	s_add_i32 s48, s0, 16
	s_add_i32 s47, s1, 16
	;; [unrolled: 1-line block ×3, first 2 shown]
	v_accvgpr_write_b32 a68, v8
	v_accvgpr_write_b32 a70, v6
	s_bitcmp0_b32 s14, 0
	s_mov_b64 s[4:5], -1
	s_waitcnt vmcnt(0) lgkmcnt(0)
	scratch_store_dwordx4 off, v[2:5], off offset:560
	flat_load_dwordx4 v[2:5], v[8:9]
	s_waitcnt vmcnt(0) lgkmcnt(0)
	scratch_store_dwordx4 off, v[2:5], off offset:576
	flat_load_dwordx4 v[2:5], v[6:7]
	s_waitcnt vmcnt(0) lgkmcnt(0)
	scratch_store_dwordx4 off, v[2:5], off offset:592
	s_cbranch_scc1 .LBB100_160
; %bb.4:
	v_cmp_eq_u32_e64 s[0:1], 0, v0
	s_and_saveexec_b64 s[4:5], s[0:1]
; %bb.5:
	v_mov_b32_e32 v1, 0
	ds_write_b32 v1, v1 offset:1184
; %bb.6:
	s_or_b64 exec, exec, s[4:5]
	s_waitcnt lgkmcnt(0)
	; wave barrier
	scratch_load_dwordx4 v[2:5], v14, off offset:16
	s_waitcnt vmcnt(0)
	v_cmp_eq_f64_e32 vcc, 0, v[2:3]
	v_cmp_eq_f64_e64 s[4:5], 0, v[4:5]
	s_and_b64 s[4:5], vcc, s[4:5]
	s_and_saveexec_b64 s[12:13], s[4:5]
	s_cbranch_execz .LBB100_10
; %bb.7:
	v_mov_b32_e32 v1, 0
	ds_read_b32 v3, v1 offset:1184
	v_add_u32_e32 v2, 1, v0
	s_waitcnt lgkmcnt(0)
	v_readfirstlane_b32 s4, v3
	s_cmp_eq_u32 s4, 0
	s_cselect_b64 s[14:15], -1, 0
	v_cmp_gt_i32_e32 vcc, s4, v2
	s_or_b64 s[14:15], s[14:15], vcc
	s_and_b64 exec, exec, s[14:15]
	s_cbranch_execz .LBB100_10
; %bb.8:
	s_mov_b64 s[14:15], 0
	v_mov_b32_e32 v3, s4
.LBB100_9:                              ; =>This Inner Loop Header: Depth=1
	ds_cmpst_rtn_b32 v3, v1, v3, v2 offset:1184
	s_waitcnt lgkmcnt(0)
	v_cmp_ne_u32_e32 vcc, 0, v3
	v_cmp_le_i32_e64 s[4:5], v3, v2
	s_and_b64 s[4:5], vcc, s[4:5]
	s_and_b64 s[4:5], exec, s[4:5]
	s_or_b64 s[14:15], s[4:5], s[14:15]
	s_andn2_b64 exec, exec, s[14:15]
	s_cbranch_execnz .LBB100_9
.LBB100_10:
	s_or_b64 exec, exec, s[12:13]
	v_mov_b32_e32 v2, 0
	; wave barrier
	ds_read_b32 v1, v2 offset:1184
	s_and_saveexec_b64 s[4:5], s[0:1]
	s_cbranch_execz .LBB100_12
; %bb.11:
	s_lshl_b64 s[12:13], s[2:3], 2
	s_add_u32 s12, s6, s12
	s_addc_u32 s13, s7, s13
	s_waitcnt lgkmcnt(0)
	global_store_dword v2, v1, s[12:13]
.LBB100_12:
	s_or_b64 exec, exec, s[4:5]
	s_waitcnt lgkmcnt(0)
	v_cmp_ne_u32_e32 vcc, 0, v1
	s_mov_b64 s[4:5], 0
	s_cbranch_vccnz .LBB100_160
; %bb.13:
	v_add_u32_e32 v15, 16, v14
	scratch_load_dwordx4 v[2:5], v15, off
                                        ; implicit-def: $vgpr6_vgpr7
                                        ; implicit-def: $vgpr10_vgpr11
	s_waitcnt vmcnt(0)
	v_cmp_ngt_f64_e64 s[4:5], |v[2:3]|, |v[4:5]|
	s_and_saveexec_b64 s[12:13], s[4:5]
	s_xor_b64 s[4:5], exec, s[12:13]
	s_cbranch_execz .LBB100_15
; %bb.14:
	v_div_scale_f64 v[6:7], s[12:13], v[4:5], v[4:5], v[2:3]
	v_rcp_f64_e32 v[8:9], v[6:7]
	v_div_scale_f64 v[10:11], vcc, v[2:3], v[4:5], v[2:3]
	v_fma_f64 v[12:13], -v[6:7], v[8:9], 1.0
	v_fmac_f64_e32 v[8:9], v[8:9], v[12:13]
	v_fma_f64 v[12:13], -v[6:7], v[8:9], 1.0
	v_fmac_f64_e32 v[8:9], v[8:9], v[12:13]
	v_mul_f64 v[12:13], v[10:11], v[8:9]
	v_fma_f64 v[6:7], -v[6:7], v[12:13], v[10:11]
	v_div_fmas_f64 v[6:7], v[6:7], v[8:9], v[12:13]
	v_div_fixup_f64 v[6:7], v[6:7], v[4:5], v[2:3]
	v_fmac_f64_e32 v[4:5], v[2:3], v[6:7]
	v_div_scale_f64 v[2:3], s[12:13], v[4:5], v[4:5], 1.0
	v_rcp_f64_e32 v[8:9], v[2:3]
	s_nop 0
	v_fma_f64 v[10:11], -v[2:3], v[8:9], 1.0
	v_fmac_f64_e32 v[8:9], v[8:9], v[10:11]
	v_fma_f64 v[10:11], -v[2:3], v[8:9], 1.0
	v_fmac_f64_e32 v[8:9], v[8:9], v[10:11]
	v_div_scale_f64 v[10:11], vcc, 1.0, v[4:5], 1.0
	v_mul_f64 v[12:13], v[10:11], v[8:9]
	v_fma_f64 v[2:3], -v[2:3], v[12:13], v[10:11]
	s_nop 1
	v_div_fmas_f64 v[2:3], v[2:3], v[8:9], v[12:13]
	v_div_fixup_f64 v[8:9], v[2:3], v[4:5], 1.0
	v_mul_f64 v[6:7], v[6:7], v[8:9]
	v_xor_b32_e32 v9, 0x80000000, v9
	v_xor_b32_e32 v11, 0x80000000, v7
	v_mov_b32_e32 v10, v6
                                        ; implicit-def: $vgpr2_vgpr3
.LBB100_15:
	s_andn2_saveexec_b64 s[4:5], s[4:5]
	s_cbranch_execz .LBB100_17
; %bb.16:
	v_div_scale_f64 v[6:7], s[12:13], v[2:3], v[2:3], v[4:5]
	v_rcp_f64_e32 v[8:9], v[6:7]
	v_div_scale_f64 v[10:11], vcc, v[4:5], v[2:3], v[4:5]
	v_fma_f64 v[12:13], -v[6:7], v[8:9], 1.0
	v_fmac_f64_e32 v[8:9], v[8:9], v[12:13]
	v_fma_f64 v[12:13], -v[6:7], v[8:9], 1.0
	v_fmac_f64_e32 v[8:9], v[8:9], v[12:13]
	v_mul_f64 v[12:13], v[10:11], v[8:9]
	v_fma_f64 v[6:7], -v[6:7], v[12:13], v[10:11]
	v_div_fmas_f64 v[6:7], v[6:7], v[8:9], v[12:13]
	v_div_fixup_f64 v[8:9], v[6:7], v[2:3], v[4:5]
	v_fmac_f64_e32 v[2:3], v[4:5], v[8:9]
	v_div_scale_f64 v[4:5], s[12:13], v[2:3], v[2:3], 1.0
	v_rcp_f64_e32 v[6:7], v[4:5]
	s_nop 0
	v_fma_f64 v[10:11], -v[4:5], v[6:7], 1.0
	v_fmac_f64_e32 v[6:7], v[6:7], v[10:11]
	v_fma_f64 v[10:11], -v[4:5], v[6:7], 1.0
	v_fmac_f64_e32 v[6:7], v[6:7], v[10:11]
	v_div_scale_f64 v[10:11], vcc, 1.0, v[2:3], 1.0
	v_mul_f64 v[12:13], v[10:11], v[6:7]
	v_fma_f64 v[4:5], -v[4:5], v[12:13], v[10:11]
	s_nop 1
	v_div_fmas_f64 v[4:5], v[4:5], v[6:7], v[12:13]
	v_div_fixup_f64 v[6:7], v[4:5], v[2:3], 1.0
	v_xor_b32_e32 v11, 0x80000000, v7
	v_mov_b32_e32 v10, v6
	v_mul_f64 v[8:9], v[8:9], -v[6:7]
.LBB100_17:
	s_or_b64 exec, exec, s[4:5]
	scratch_store_dwordx4 v15, v[6:9], off
	scratch_load_dwordx4 v[2:5], off, s52
	v_xor_b32_e32 v13, 0x80000000, v9
	v_mov_b32_e32 v12, v8
	v_add_u32_e32 v1, 0x250, v14
	ds_write_b128 v14, v[10:13]
	s_waitcnt vmcnt(0)
	ds_write_b128 v14, v[2:5] offset:592
	s_waitcnt lgkmcnt(0)
	; wave barrier
	s_and_saveexec_b64 s[4:5], s[0:1]
	s_cbranch_execz .LBB100_19
; %bb.18:
	scratch_load_dwordx4 v[2:5], v15, off
	ds_read_b128 v[6:9], v1
	v_mov_b32_e32 v10, 0
	ds_read_b128 v[10:13], v10 offset:16
	s_waitcnt vmcnt(0) lgkmcnt(1)
	v_mul_f64 v[16:17], v[8:9], v[4:5]
	v_mul_f64 v[4:5], v[6:7], v[4:5]
	v_fma_f64 v[6:7], v[6:7], v[2:3], -v[16:17]
	v_fmac_f64_e32 v[4:5], v[8:9], v[2:3]
	v_add_f64 v[2:3], v[6:7], 0
	v_add_f64 v[6:7], v[4:5], 0
	s_waitcnt lgkmcnt(0)
	v_mul_f64 v[8:9], v[6:7], v[12:13]
	v_mul_f64 v[4:5], v[2:3], v[12:13]
	v_fma_f64 v[2:3], v[2:3], v[10:11], -v[8:9]
	v_fmac_f64_e32 v[4:5], v[6:7], v[10:11]
	scratch_store_dwordx4 off, v[2:5], off offset:32
.LBB100_19:
	s_or_b64 exec, exec, s[4:5]
	; wave barrier
	scratch_load_dwordx4 v[2:5], off, s51
	v_cmp_gt_u32_e32 vcc, 2, v0
	s_waitcnt vmcnt(0)
	ds_write_b128 v1, v[2:5]
	s_waitcnt lgkmcnt(0)
	; wave barrier
	s_and_saveexec_b64 s[4:5], vcc
	s_cbranch_execz .LBB100_23
; %bb.20:
	scratch_load_dwordx4 v[2:5], v15, off
	ds_read_b128 v[6:9], v1
	s_waitcnt vmcnt(0) lgkmcnt(0)
	v_mul_f64 v[10:11], v[8:9], v[4:5]
	v_mul_f64 v[12:13], v[6:7], v[4:5]
	v_fma_f64 v[4:5], v[6:7], v[2:3], -v[10:11]
	v_fmac_f64_e32 v[12:13], v[8:9], v[2:3]
	v_add_f64 v[4:5], v[4:5], 0
	v_add_f64 v[2:3], v[12:13], 0
	s_and_saveexec_b64 s[12:13], s[0:1]
	s_cbranch_execz .LBB100_22
; %bb.21:
	scratch_load_dwordx4 v[6:9], off, off offset:32
	v_mov_b32_e32 v10, 0
	ds_read_b128 v[10:13], v10 offset:608
	s_waitcnt vmcnt(0) lgkmcnt(0)
	v_mul_f64 v[16:17], v[10:11], v[8:9]
	v_mul_f64 v[8:9], v[12:13], v[8:9]
	v_fmac_f64_e32 v[16:17], v[12:13], v[6:7]
	v_fma_f64 v[6:7], v[10:11], v[6:7], -v[8:9]
	v_add_f64 v[2:3], v[2:3], v[16:17]
	v_add_f64 v[4:5], v[4:5], v[6:7]
.LBB100_22:
	s_or_b64 exec, exec, s[12:13]
	v_mov_b32_e32 v6, 0
	ds_read_b128 v[6:9], v6 offset:32
	s_waitcnt lgkmcnt(0)
	v_mul_f64 v[12:13], v[2:3], v[8:9]
	v_mul_f64 v[10:11], v[4:5], v[8:9]
	v_fma_f64 v[8:9], v[4:5], v[6:7], -v[12:13]
	v_fmac_f64_e32 v[10:11], v[2:3], v[6:7]
	scratch_store_dwordx4 off, v[8:11], off offset:48
.LBB100_23:
	s_or_b64 exec, exec, s[4:5]
	; wave barrier
	scratch_load_dwordx4 v[2:5], off, s50
	v_cmp_gt_u32_e32 vcc, 3, v0
	v_add_u32_e32 v6, -1, v0
	s_waitcnt vmcnt(0)
	ds_write_b128 v1, v[2:5]
	s_waitcnt lgkmcnt(0)
	; wave barrier
	s_and_saveexec_b64 s[0:1], vcc
	s_cbranch_execz .LBB100_27
; %bb.24:
	v_add_u32_e32 v7, -1, v0
	v_add_u32_e32 v8, 0x250, v14
	v_add_u32_e32 v9, 16, v14
	v_mov_b64_e32 v[2:3], 0
	s_mov_b64 s[4:5], 0
	v_mov_b64_e32 v[4:5], 0
.LBB100_25:                             ; =>This Inner Loop Header: Depth=1
	scratch_load_dwordx4 v[10:13], v9, off
	ds_read_b128 v[16:19], v8
	v_add_u32_e32 v7, 1, v7
	v_cmp_lt_u32_e32 vcc, 1, v7
	v_add_u32_e32 v8, 16, v8
	v_add_u32_e32 v9, 16, v9
	s_or_b64 s[4:5], vcc, s[4:5]
	s_waitcnt vmcnt(0) lgkmcnt(0)
	v_mul_f64 v[20:21], v[18:19], v[12:13]
	v_mul_f64 v[12:13], v[16:17], v[12:13]
	v_fma_f64 v[16:17], v[16:17], v[10:11], -v[20:21]
	v_fmac_f64_e32 v[12:13], v[18:19], v[10:11]
	v_add_f64 v[4:5], v[4:5], v[16:17]
	v_add_f64 v[2:3], v[2:3], v[12:13]
	s_andn2_b64 exec, exec, s[4:5]
	s_cbranch_execnz .LBB100_25
; %bb.26:
	s_or_b64 exec, exec, s[4:5]
	v_mov_b32_e32 v7, 0
	ds_read_b128 v[8:11], v7 offset:48
	s_waitcnt lgkmcnt(0)
	v_mul_f64 v[16:17], v[2:3], v[10:11]
	v_mul_f64 v[12:13], v[4:5], v[10:11]
	v_fma_f64 v[10:11], v[4:5], v[8:9], -v[16:17]
	v_fmac_f64_e32 v[12:13], v[2:3], v[8:9]
	scratch_store_dwordx4 off, v[10:13], off offset:64
.LBB100_27:
	s_or_b64 exec, exec, s[0:1]
	; wave barrier
	scratch_load_dwordx4 v[2:5], off, s49
	v_cmp_gt_u32_e32 vcc, 4, v0
	s_waitcnt vmcnt(0)
	ds_write_b128 v1, v[2:5]
	s_waitcnt lgkmcnt(0)
	; wave barrier
	s_and_saveexec_b64 s[0:1], vcc
	s_cbranch_execz .LBB100_31
; %bb.28:
	v_add_u32_e32 v7, -1, v0
	v_add_u32_e32 v8, 0x250, v14
	v_add_u32_e32 v9, 16, v14
	v_mov_b64_e32 v[2:3], 0
	s_mov_b64 s[4:5], 0
	v_mov_b64_e32 v[4:5], 0
.LBB100_29:                             ; =>This Inner Loop Header: Depth=1
	scratch_load_dwordx4 v[10:13], v9, off
	ds_read_b128 v[16:19], v8
	v_add_u32_e32 v7, 1, v7
	v_cmp_lt_u32_e32 vcc, 2, v7
	v_add_u32_e32 v8, 16, v8
	v_add_u32_e32 v9, 16, v9
	s_or_b64 s[4:5], vcc, s[4:5]
	s_waitcnt vmcnt(0) lgkmcnt(0)
	v_mul_f64 v[20:21], v[18:19], v[12:13]
	v_mul_f64 v[12:13], v[16:17], v[12:13]
	v_fma_f64 v[16:17], v[16:17], v[10:11], -v[20:21]
	v_fmac_f64_e32 v[12:13], v[18:19], v[10:11]
	v_add_f64 v[4:5], v[4:5], v[16:17]
	v_add_f64 v[2:3], v[2:3], v[12:13]
	s_andn2_b64 exec, exec, s[4:5]
	s_cbranch_execnz .LBB100_29
; %bb.30:
	s_or_b64 exec, exec, s[4:5]
	v_mov_b32_e32 v7, 0
	ds_read_b128 v[8:11], v7 offset:64
	s_waitcnt lgkmcnt(0)
	v_mul_f64 v[16:17], v[2:3], v[10:11]
	v_mul_f64 v[12:13], v[4:5], v[10:11]
	v_fma_f64 v[10:11], v[4:5], v[8:9], -v[16:17]
	v_fmac_f64_e32 v[12:13], v[2:3], v[8:9]
	scratch_store_dwordx4 off, v[10:13], off offset:80
.LBB100_31:
	s_or_b64 exec, exec, s[0:1]
	; wave barrier
	scratch_load_dwordx4 v[2:5], off, s48
	v_cmp_gt_u32_e32 vcc, 5, v0
	;; [unrolled: 45-line block ×19, first 2 shown]
	s_waitcnt vmcnt(0)
	ds_write_b128 v1, v[2:5]
	s_waitcnt lgkmcnt(0)
	; wave barrier
	s_and_saveexec_b64 s[0:1], vcc
	s_cbranch_execz .LBB100_103
; %bb.100:
	v_add_u32_e32 v7, -1, v0
	v_add_u32_e32 v8, 0x250, v14
	v_add_u32_e32 v9, 16, v14
	v_mov_b64_e32 v[2:3], 0
	s_mov_b64 s[4:5], 0
	v_mov_b64_e32 v[4:5], 0
.LBB100_101:                            ; =>This Inner Loop Header: Depth=1
	scratch_load_dwordx4 v[10:13], v9, off
	ds_read_b128 v[16:19], v8
	v_add_u32_e32 v7, 1, v7
	v_cmp_lt_u32_e32 vcc, 20, v7
	v_add_u32_e32 v8, 16, v8
	v_add_u32_e32 v9, 16, v9
	s_or_b64 s[4:5], vcc, s[4:5]
	s_waitcnt vmcnt(0) lgkmcnt(0)
	v_mul_f64 v[20:21], v[18:19], v[12:13]
	v_mul_f64 v[12:13], v[16:17], v[12:13]
	v_fma_f64 v[16:17], v[16:17], v[10:11], -v[20:21]
	v_fmac_f64_e32 v[12:13], v[18:19], v[10:11]
	v_add_f64 v[4:5], v[4:5], v[16:17]
	v_add_f64 v[2:3], v[2:3], v[12:13]
	s_andn2_b64 exec, exec, s[4:5]
	s_cbranch_execnz .LBB100_101
; %bb.102:
	s_or_b64 exec, exec, s[4:5]
	v_mov_b32_e32 v7, 0
	ds_read_b128 v[8:11], v7 offset:352
	s_waitcnt lgkmcnt(0)
	v_mul_f64 v[16:17], v[2:3], v[10:11]
	v_mul_f64 v[12:13], v[4:5], v[10:11]
	v_fma_f64 v[10:11], v[4:5], v[8:9], -v[16:17]
	v_fmac_f64_e32 v[12:13], v[2:3], v[8:9]
	scratch_store_dwordx4 off, v[10:13], off offset:368
.LBB100_103:
	s_or_b64 exec, exec, s[0:1]
	; wave barrier
	scratch_load_dwordx4 v[2:5], off, s29
	v_cmp_gt_u32_e32 vcc, 23, v0
	s_waitcnt vmcnt(0)
	ds_write_b128 v1, v[2:5]
	s_waitcnt lgkmcnt(0)
	; wave barrier
	s_and_saveexec_b64 s[0:1], vcc
	s_cbranch_execz .LBB100_107
; %bb.104:
	v_add_u32_e32 v7, -1, v0
	v_add_u32_e32 v8, 0x250, v14
	v_add_u32_e32 v9, 16, v14
	v_mov_b64_e32 v[2:3], 0
	s_mov_b64 s[4:5], 0
	v_mov_b64_e32 v[4:5], 0
.LBB100_105:                            ; =>This Inner Loop Header: Depth=1
	scratch_load_dwordx4 v[10:13], v9, off
	ds_read_b128 v[16:19], v8
	v_add_u32_e32 v7, 1, v7
	v_cmp_lt_u32_e32 vcc, 21, v7
	v_add_u32_e32 v8, 16, v8
	v_add_u32_e32 v9, 16, v9
	s_or_b64 s[4:5], vcc, s[4:5]
	s_waitcnt vmcnt(0) lgkmcnt(0)
	v_mul_f64 v[20:21], v[18:19], v[12:13]
	v_mul_f64 v[12:13], v[16:17], v[12:13]
	v_fma_f64 v[16:17], v[16:17], v[10:11], -v[20:21]
	v_fmac_f64_e32 v[12:13], v[18:19], v[10:11]
	v_add_f64 v[4:5], v[4:5], v[16:17]
	v_add_f64 v[2:3], v[2:3], v[12:13]
	s_andn2_b64 exec, exec, s[4:5]
	s_cbranch_execnz .LBB100_105
; %bb.106:
	s_or_b64 exec, exec, s[4:5]
	v_mov_b32_e32 v7, 0
	ds_read_b128 v[8:11], v7 offset:368
	s_waitcnt lgkmcnt(0)
	v_mul_f64 v[16:17], v[2:3], v[10:11]
	v_mul_f64 v[12:13], v[4:5], v[10:11]
	v_fma_f64 v[10:11], v[4:5], v[8:9], -v[16:17]
	v_fmac_f64_e32 v[12:13], v[2:3], v[8:9]
	scratch_store_dwordx4 off, v[10:13], off offset:384
.LBB100_107:
	s_or_b64 exec, exec, s[0:1]
	; wave barrier
	scratch_load_dwordx4 v[2:5], off, s28
	v_cmp_gt_u32_e32 vcc, 24, v0
	;; [unrolled: 45-line block ×13, first 2 shown]
	s_waitcnt vmcnt(0)
	ds_write_b128 v1, v[2:5]
	s_waitcnt lgkmcnt(0)
	; wave barrier
	s_and_saveexec_b64 s[0:1], vcc
	s_cbranch_execz .LBB100_155
; %bb.152:
	v_add_u32_e32 v7, -1, v0
	v_add_u32_e32 v8, 0x250, v14
	v_add_u32_e32 v9, 16, v14
	v_mov_b64_e32 v[2:3], 0
	s_mov_b64 s[4:5], 0
	v_mov_b64_e32 v[4:5], 0
.LBB100_153:                            ; =>This Inner Loop Header: Depth=1
	scratch_load_dwordx4 v[10:13], v9, off
	ds_read_b128 v[16:19], v8
	v_add_u32_e32 v7, 1, v7
	v_cmp_lt_u32_e32 vcc, 33, v7
	v_add_u32_e32 v8, 16, v8
	v_add_u32_e32 v9, 16, v9
	s_or_b64 s[4:5], vcc, s[4:5]
	s_waitcnt vmcnt(0) lgkmcnt(0)
	v_mul_f64 v[20:21], v[18:19], v[12:13]
	v_mul_f64 v[12:13], v[16:17], v[12:13]
	v_fma_f64 v[16:17], v[16:17], v[10:11], -v[20:21]
	v_fmac_f64_e32 v[12:13], v[18:19], v[10:11]
	v_add_f64 v[4:5], v[4:5], v[16:17]
	v_add_f64 v[2:3], v[2:3], v[12:13]
	s_andn2_b64 exec, exec, s[4:5]
	s_cbranch_execnz .LBB100_153
; %bb.154:
	s_or_b64 exec, exec, s[4:5]
	v_mov_b32_e32 v7, 0
	ds_read_b128 v[8:11], v7 offset:560
	s_waitcnt lgkmcnt(0)
	v_mul_f64 v[16:17], v[2:3], v[10:11]
	v_mul_f64 v[12:13], v[4:5], v[10:11]
	v_fma_f64 v[10:11], v[4:5], v[8:9], -v[16:17]
	v_fmac_f64_e32 v[12:13], v[2:3], v[8:9]
	scratch_store_dwordx4 off, v[10:13], off offset:576
.LBB100_155:
	s_or_b64 exec, exec, s[0:1]
	; wave barrier
	scratch_load_dwordx4 v[2:5], off, s16
	v_cmp_ne_u32_e32 vcc, 36, v0
	s_waitcnt vmcnt(0)
	ds_write_b128 v1, v[2:5]
	s_waitcnt lgkmcnt(0)
	; wave barrier
	s_and_saveexec_b64 s[0:1], vcc
	s_cbranch_execz .LBB100_159
; %bb.156:
	v_add_u32_e32 v1, 0x250, v14
	v_add_u32_e32 v7, 16, v14
	v_mov_b64_e32 v[2:3], 0
	s_mov_b64 s[4:5], 0
	v_mov_b64_e32 v[4:5], 0
.LBB100_157:                            ; =>This Inner Loop Header: Depth=1
	scratch_load_dwordx4 v[8:11], v7, off
	ds_read_b128 v[12:15], v1
	v_add_u32_e32 v6, 1, v6
	v_cmp_lt_u32_e32 vcc, 34, v6
	v_add_u32_e32 v1, 16, v1
	v_add_u32_e32 v7, 16, v7
	s_or_b64 s[4:5], vcc, s[4:5]
	s_waitcnt vmcnt(0) lgkmcnt(0)
	v_mul_f64 v[16:17], v[14:15], v[10:11]
	v_mul_f64 v[10:11], v[12:13], v[10:11]
	v_fma_f64 v[12:13], v[12:13], v[8:9], -v[16:17]
	v_fmac_f64_e32 v[10:11], v[14:15], v[8:9]
	v_add_f64 v[4:5], v[4:5], v[12:13]
	v_add_f64 v[2:3], v[2:3], v[10:11]
	s_andn2_b64 exec, exec, s[4:5]
	s_cbranch_execnz .LBB100_157
; %bb.158:
	s_or_b64 exec, exec, s[4:5]
	v_mov_b32_e32 v1, 0
	ds_read_b128 v[6:9], v1 offset:576
	s_waitcnt lgkmcnt(0)
	v_mul_f64 v[12:13], v[2:3], v[8:9]
	v_mul_f64 v[10:11], v[4:5], v[8:9]
	v_fma_f64 v[8:9], v[4:5], v[6:7], -v[12:13]
	v_fmac_f64_e32 v[10:11], v[2:3], v[6:7]
	scratch_store_dwordx4 off, v[8:11], off offset:592
.LBB100_159:
	s_or_b64 exec, exec, s[0:1]
	s_mov_b64 s[4:5], -1
	; wave barrier
.LBB100_160:
	s_and_b64 vcc, exec, s[4:5]
	s_cbranch_vccz .LBB100_162
; %bb.161:
	s_lshl_b64 s[0:1], s[2:3], 2
	s_add_u32 s0, s6, s0
	s_addc_u32 s1, s7, s1
	v_mov_b32_e32 v1, 0
	global_load_dword v1, v1, s[0:1]
	s_waitcnt vmcnt(0)
	v_cmp_ne_u32_e32 vcc, 0, v1
	s_cbranch_vccz .LBB100_163
.LBB100_162:
	s_endpgm
.LBB100_163:
	v_mov_b32_e32 v1, 0x250
	v_lshl_add_u32 v1, v0, 4, v1
	v_cmp_eq_u32_e32 vcc, 36, v0
	s_and_saveexec_b64 s[0:1], vcc
	s_cbranch_execz .LBB100_165
; %bb.164:
	scratch_load_dwordx4 v[2:5], off, s17
	v_mov_b32_e32 v6, 0
	v_mov_b32_e32 v7, v6
	;; [unrolled: 1-line block ×4, first 2 shown]
	scratch_store_dwordx4 off, v[6:9], off offset:576
	s_waitcnt vmcnt(1)
	ds_write_b128 v1, v[2:5]
.LBB100_165:
	s_or_b64 exec, exec, s[0:1]
	s_waitcnt lgkmcnt(0)
	; wave barrier
	scratch_load_dwordx4 v[4:7], off, off offset:592
	scratch_load_dwordx4 v[8:11], off, off offset:576
	v_mov_b32_e32 v2, 0
	ds_read_b128 v[12:15], v2 offset:1168
	v_cmp_lt_u32_e32 vcc, 34, v0
	s_waitcnt vmcnt(1) lgkmcnt(0)
	v_mul_f64 v[16:17], v[12:13], v[6:7]
	v_mul_f64 v[6:7], v[14:15], v[6:7]
	v_fmac_f64_e32 v[16:17], v[14:15], v[4:5]
	v_fma_f64 v[4:5], v[12:13], v[4:5], -v[6:7]
	v_add_f64 v[6:7], v[16:17], 0
	v_add_f64 v[4:5], v[4:5], 0
	s_waitcnt vmcnt(0)
	v_add_f64 v[4:5], v[8:9], -v[4:5]
	v_add_f64 v[6:7], v[10:11], -v[6:7]
	scratch_store_dwordx4 off, v[4:7], off offset:576
	s_and_saveexec_b64 s[0:1], vcc
	s_cbranch_execz .LBB100_167
; %bb.166:
	scratch_load_dwordx4 v[6:9], off, s18
	v_mov_b32_e32 v3, v2
	v_mov_b32_e32 v4, v2
	;; [unrolled: 1-line block ×3, first 2 shown]
	scratch_store_dwordx4 off, v[2:5], off offset:560
	s_waitcnt vmcnt(1)
	ds_write_b128 v1, v[6:9]
.LBB100_167:
	s_or_b64 exec, exec, s[0:1]
	s_waitcnt lgkmcnt(0)
	; wave barrier
	scratch_load_dwordx4 v[4:7], off, off offset:576
	scratch_load_dwordx4 v[8:11], off, off offset:592
	;; [unrolled: 1-line block ×3, first 2 shown]
	ds_read_b128 v[16:19], v2 offset:1152
	ds_read_b128 v[20:23], v2 offset:1168
	v_cmp_lt_u32_e32 vcc, 33, v0
	s_waitcnt vmcnt(2) lgkmcnt(1)
	v_mul_f64 v[2:3], v[16:17], v[6:7]
	v_mul_f64 v[6:7], v[18:19], v[6:7]
	s_waitcnt vmcnt(1) lgkmcnt(0)
	v_mul_f64 v[24:25], v[20:21], v[10:11]
	v_mul_f64 v[10:11], v[22:23], v[10:11]
	v_fmac_f64_e32 v[2:3], v[18:19], v[4:5]
	v_fma_f64 v[4:5], v[16:17], v[4:5], -v[6:7]
	v_fmac_f64_e32 v[24:25], v[22:23], v[8:9]
	v_fma_f64 v[6:7], v[20:21], v[8:9], -v[10:11]
	v_add_f64 v[2:3], v[2:3], 0
	v_add_f64 v[4:5], v[4:5], 0
	;; [unrolled: 1-line block ×4, first 2 shown]
	s_waitcnt vmcnt(0)
	v_add_f64 v[2:3], v[12:13], -v[2:3]
	v_add_f64 v[4:5], v[14:15], -v[8:9]
	scratch_store_dwordx4 off, v[2:5], off offset:560
	s_and_saveexec_b64 s[0:1], vcc
	s_cbranch_execz .LBB100_169
; %bb.168:
	scratch_load_dwordx4 v[2:5], off, s19
	v_mov_b32_e32 v6, 0
	v_mov_b32_e32 v7, v6
	;; [unrolled: 1-line block ×4, first 2 shown]
	scratch_store_dwordx4 off, v[6:9], off offset:544
	s_waitcnt vmcnt(1)
	ds_write_b128 v1, v[2:5]
.LBB100_169:
	s_or_b64 exec, exec, s[0:1]
	s_waitcnt lgkmcnt(0)
	; wave barrier
	scratch_load_dwordx4 v[4:7], off, off offset:560
	scratch_load_dwordx4 v[8:11], off, off offset:576
	;; [unrolled: 1-line block ×4, first 2 shown]
	v_mov_b32_e32 v2, 0
	ds_read_b128 v[20:23], v2 offset:1136
	ds_read_b128 v[24:27], v2 offset:1152
	;; [unrolled: 1-line block ×3, first 2 shown]
	v_cmp_lt_u32_e32 vcc, 32, v0
	s_waitcnt vmcnt(3) lgkmcnt(2)
	v_mul_f64 v[32:33], v[20:21], v[6:7]
	v_mul_f64 v[6:7], v[22:23], v[6:7]
	s_waitcnt vmcnt(2) lgkmcnt(1)
	v_mul_f64 v[34:35], v[24:25], v[10:11]
	v_mul_f64 v[10:11], v[26:27], v[10:11]
	v_fmac_f64_e32 v[32:33], v[22:23], v[4:5]
	v_fma_f64 v[4:5], v[20:21], v[4:5], -v[6:7]
	s_waitcnt vmcnt(1) lgkmcnt(0)
	v_mul_f64 v[36:37], v[28:29], v[14:15]
	v_mul_f64 v[14:15], v[30:31], v[14:15]
	v_fmac_f64_e32 v[34:35], v[26:27], v[8:9]
	v_fma_f64 v[6:7], v[24:25], v[8:9], -v[10:11]
	v_add_f64 v[10:11], v[32:33], 0
	v_add_f64 v[4:5], v[4:5], 0
	v_fmac_f64_e32 v[36:37], v[30:31], v[12:13]
	v_fma_f64 v[8:9], v[28:29], v[12:13], -v[14:15]
	v_add_f64 v[10:11], v[10:11], v[34:35]
	v_add_f64 v[4:5], v[4:5], v[6:7]
	;; [unrolled: 1-line block ×4, first 2 shown]
	s_waitcnt vmcnt(0)
	v_add_f64 v[4:5], v[16:17], -v[4:5]
	v_add_f64 v[6:7], v[18:19], -v[6:7]
	scratch_store_dwordx4 off, v[4:7], off offset:544
	s_and_saveexec_b64 s[0:1], vcc
	s_cbranch_execz .LBB100_171
; %bb.170:
	scratch_load_dwordx4 v[6:9], off, s20
	v_mov_b32_e32 v3, v2
	v_mov_b32_e32 v4, v2
	;; [unrolled: 1-line block ×3, first 2 shown]
	scratch_store_dwordx4 off, v[2:5], off offset:528
	s_waitcnt vmcnt(1)
	ds_write_b128 v1, v[6:9]
.LBB100_171:
	s_or_b64 exec, exec, s[0:1]
	s_waitcnt lgkmcnt(0)
	; wave barrier
	scratch_load_dwordx4 v[4:7], off, off offset:544
	scratch_load_dwordx4 v[8:11], off, off offset:560
	;; [unrolled: 1-line block ×5, first 2 shown]
	ds_read_b128 v[24:27], v2 offset:1120
	ds_read_b128 v[28:31], v2 offset:1136
	;; [unrolled: 1-line block ×4, first 2 shown]
	v_cmp_lt_u32_e32 vcc, 31, v0
	s_waitcnt vmcnt(4) lgkmcnt(3)
	v_mul_f64 v[2:3], v[24:25], v[6:7]
	v_mul_f64 v[6:7], v[26:27], v[6:7]
	s_waitcnt vmcnt(3) lgkmcnt(2)
	v_mul_f64 v[40:41], v[28:29], v[10:11]
	v_mul_f64 v[10:11], v[30:31], v[10:11]
	v_fmac_f64_e32 v[2:3], v[26:27], v[4:5]
	v_fma_f64 v[4:5], v[24:25], v[4:5], -v[6:7]
	s_waitcnt vmcnt(2) lgkmcnt(1)
	v_mul_f64 v[42:43], v[32:33], v[14:15]
	v_mul_f64 v[14:15], v[34:35], v[14:15]
	v_fmac_f64_e32 v[40:41], v[30:31], v[8:9]
	v_fma_f64 v[6:7], v[28:29], v[8:9], -v[10:11]
	v_add_f64 v[2:3], v[2:3], 0
	v_add_f64 v[4:5], v[4:5], 0
	s_waitcnt vmcnt(1) lgkmcnt(0)
	v_mul_f64 v[44:45], v[36:37], v[18:19]
	v_mul_f64 v[18:19], v[38:39], v[18:19]
	v_fmac_f64_e32 v[42:43], v[34:35], v[12:13]
	v_fma_f64 v[8:9], v[32:33], v[12:13], -v[14:15]
	v_add_f64 v[2:3], v[2:3], v[40:41]
	v_add_f64 v[4:5], v[4:5], v[6:7]
	v_fmac_f64_e32 v[44:45], v[38:39], v[16:17]
	v_fma_f64 v[10:11], v[36:37], v[16:17], -v[18:19]
	v_add_f64 v[2:3], v[2:3], v[42:43]
	v_add_f64 v[4:5], v[4:5], v[8:9]
	v_add_f64 v[6:7], v[2:3], v[44:45]
	v_add_f64 v[2:3], v[4:5], v[10:11]
	s_waitcnt vmcnt(0)
	v_add_f64 v[2:3], v[20:21], -v[2:3]
	v_add_f64 v[4:5], v[22:23], -v[6:7]
	scratch_store_dwordx4 off, v[2:5], off offset:528
	s_and_saveexec_b64 s[0:1], vcc
	s_cbranch_execz .LBB100_173
; %bb.172:
	scratch_load_dwordx4 v[2:5], off, s21
	v_mov_b32_e32 v6, 0
	v_mov_b32_e32 v7, v6
	;; [unrolled: 1-line block ×4, first 2 shown]
	scratch_store_dwordx4 off, v[6:9], off offset:512
	s_waitcnt vmcnt(1)
	ds_write_b128 v1, v[2:5]
.LBB100_173:
	s_or_b64 exec, exec, s[0:1]
	v_mov_b32_e32 v2, 0
	s_waitcnt lgkmcnt(0)
	; wave barrier
	ds_read_b128 v[4:7], v2 offset:1104
	ds_read_b128 v[8:11], v2 offset:1120
	;; [unrolled: 1-line block ×4, first 2 shown]
	scratch_load_dwordx4 v[20:23], off, off offset:528
	scratch_load_dwordx4 v[40:43], off, off offset:592
	v_cmp_lt_u32_e32 vcc, 30, v0
	s_waitcnt vmcnt(1) lgkmcnt(3)
	v_mul_f64 v[24:25], v[4:5], v[22:23]
	v_fmac_f64_e32 v[24:25], v[6:7], v[20:21]
	v_add_f64 v[28:29], v[24:25], 0
	scratch_load_dwordx4 v[24:27], off, off offset:544
	v_mul_f64 v[6:7], v[6:7], v[22:23]
	v_fma_f64 v[4:5], v[4:5], v[20:21], -v[6:7]
	v_add_f64 v[4:5], v[4:5], 0
	s_waitcnt vmcnt(0) lgkmcnt(2)
	v_mul_f64 v[30:31], v[8:9], v[26:27]
	v_fmac_f64_e32 v[30:31], v[10:11], v[24:25]
	v_add_f64 v[32:33], v[28:29], v[30:31]
	scratch_load_dwordx4 v[28:31], off, off offset:560
	v_mul_f64 v[6:7], v[10:11], v[26:27]
	v_fma_f64 v[6:7], v[8:9], v[24:25], -v[6:7]
	v_add_f64 v[4:5], v[4:5], v[6:7]
	;; [unrolled: 8-line block ×3, first 2 shown]
	s_waitcnt vmcnt(0) lgkmcnt(0)
	v_mul_f64 v[38:39], v[16:17], v[34:35]
	v_fmac_f64_e32 v[38:39], v[18:19], v[32:33]
	v_add_f64 v[44:45], v[36:37], v[38:39]
	ds_read_b128 v[36:39], v2 offset:1168
	v_mul_f64 v[6:7], v[18:19], v[34:35]
	v_fma_f64 v[6:7], v[16:17], v[32:33], -v[6:7]
	v_add_f64 v[4:5], v[4:5], v[6:7]
	s_waitcnt lgkmcnt(0)
	v_mul_f64 v[6:7], v[38:39], v[42:43]
	v_fma_f64 v[6:7], v[36:37], v[40:41], -v[6:7]
	v_add_f64 v[8:9], v[4:5], v[6:7]
	scratch_load_dwordx4 v[4:7], off, off offset:512
	v_mul_f64 v[46:47], v[36:37], v[42:43]
	v_fmac_f64_e32 v[46:47], v[38:39], v[40:41]
	v_add_f64 v[44:45], v[44:45], v[46:47]
	s_waitcnt vmcnt(0)
	v_add_f64 v[4:5], v[4:5], -v[8:9]
	v_add_f64 v[6:7], v[6:7], -v[44:45]
	scratch_store_dwordx4 off, v[4:7], off offset:512
	s_and_saveexec_b64 s[0:1], vcc
	s_cbranch_execz .LBB100_175
; %bb.174:
	scratch_load_dwordx4 v[6:9], off, s22
	v_mov_b32_e32 v3, v2
	v_mov_b32_e32 v4, v2
	;; [unrolled: 1-line block ×3, first 2 shown]
	scratch_store_dwordx4 off, v[2:5], off offset:496
	s_waitcnt vmcnt(1)
	ds_write_b128 v1, v[6:9]
.LBB100_175:
	s_or_b64 exec, exec, s[0:1]
	s_waitcnt lgkmcnt(0)
	; wave barrier
	scratch_load_dwordx4 v[4:7], off, off offset:512
	scratch_load_dwordx4 v[8:11], off, off offset:528
	;; [unrolled: 1-line block ×7, first 2 shown]
	ds_read_b128 v[32:35], v2 offset:1088
	ds_read_b128 v[36:39], v2 offset:1104
	;; [unrolled: 1-line block ×6, first 2 shown]
	v_cmp_lt_u32_e32 vcc, 29, v0
	s_waitcnt vmcnt(6) lgkmcnt(5)
	v_mul_f64 v[2:3], v[32:33], v[6:7]
	v_mul_f64 v[6:7], v[34:35], v[6:7]
	s_waitcnt vmcnt(5) lgkmcnt(4)
	v_mul_f64 v[56:57], v[36:37], v[10:11]
	v_mul_f64 v[10:11], v[38:39], v[10:11]
	v_fmac_f64_e32 v[2:3], v[34:35], v[4:5]
	v_fma_f64 v[4:5], v[32:33], v[4:5], -v[6:7]
	s_waitcnt vmcnt(4) lgkmcnt(3)
	v_mul_f64 v[58:59], v[40:41], v[14:15]
	v_mul_f64 v[14:15], v[42:43], v[14:15]
	v_fmac_f64_e32 v[56:57], v[38:39], v[8:9]
	v_fma_f64 v[6:7], v[36:37], v[8:9], -v[10:11]
	v_add_f64 v[2:3], v[2:3], 0
	v_add_f64 v[4:5], v[4:5], 0
	s_waitcnt vmcnt(3) lgkmcnt(2)
	v_mul_f64 v[60:61], v[44:45], v[18:19]
	v_mul_f64 v[18:19], v[46:47], v[18:19]
	v_fmac_f64_e32 v[58:59], v[42:43], v[12:13]
	v_fma_f64 v[8:9], v[40:41], v[12:13], -v[14:15]
	v_add_f64 v[2:3], v[2:3], v[56:57]
	v_add_f64 v[4:5], v[4:5], v[6:7]
	;; [unrolled: 7-line block ×4, first 2 shown]
	v_fmac_f64_e32 v[64:65], v[54:55], v[24:25]
	v_fma_f64 v[14:15], v[52:53], v[24:25], -v[26:27]
	v_add_f64 v[2:3], v[2:3], v[62:63]
	v_add_f64 v[4:5], v[4:5], v[12:13]
	;; [unrolled: 1-line block ×4, first 2 shown]
	s_waitcnt vmcnt(0)
	v_add_f64 v[2:3], v[28:29], -v[2:3]
	v_add_f64 v[4:5], v[30:31], -v[6:7]
	scratch_store_dwordx4 off, v[2:5], off offset:496
	s_and_saveexec_b64 s[0:1], vcc
	s_cbranch_execz .LBB100_177
; %bb.176:
	scratch_load_dwordx4 v[2:5], off, s23
	v_mov_b32_e32 v6, 0
	v_mov_b32_e32 v7, v6
	;; [unrolled: 1-line block ×4, first 2 shown]
	scratch_store_dwordx4 off, v[6:9], off offset:480
	s_waitcnt vmcnt(1)
	ds_write_b128 v1, v[2:5]
.LBB100_177:
	s_or_b64 exec, exec, s[0:1]
	s_waitcnt lgkmcnt(0)
	; wave barrier
	scratch_load_dwordx4 v[4:7], off, off offset:496
	scratch_load_dwordx4 v[8:11], off, off offset:512
	scratch_load_dwordx4 v[12:15], off, off offset:528
	scratch_load_dwordx4 v[16:19], off, off offset:544
	scratch_load_dwordx4 v[20:23], off, off offset:560
	scratch_load_dwordx4 v[24:27], off, off offset:576
	scratch_load_dwordx4 v[28:31], off, off offset:592
	scratch_load_dwordx4 v[32:35], off, off offset:480
	v_mov_b32_e32 v2, 0
	ds_read_b128 v[36:39], v2 offset:1072
	ds_read_b128 v[40:43], v2 offset:1088
	;; [unrolled: 1-line block ×7, first 2 shown]
	v_cmp_lt_u32_e32 vcc, 28, v0
	s_waitcnt vmcnt(7) lgkmcnt(6)
	v_mul_f64 v[64:65], v[36:37], v[6:7]
	v_mul_f64 v[6:7], v[38:39], v[6:7]
	s_waitcnt vmcnt(6) lgkmcnt(5)
	v_mul_f64 v[66:67], v[40:41], v[10:11]
	s_waitcnt vmcnt(4) lgkmcnt(3)
	v_mul_f64 v[70:71], v[48:49], v[18:19]
	v_mul_f64 v[10:11], v[42:43], v[10:11]
	;; [unrolled: 1-line block ×3, first 2 shown]
	v_fmac_f64_e32 v[64:65], v[38:39], v[4:5]
	v_fma_f64 v[4:5], v[36:37], v[4:5], -v[6:7]
	v_mul_f64 v[68:69], v[44:45], v[14:15]
	v_mul_f64 v[14:15], v[46:47], v[14:15]
	v_fmac_f64_e32 v[66:67], v[42:43], v[8:9]
	v_fma_f64 v[6:7], v[40:41], v[8:9], -v[10:11]
	v_fma_f64 v[10:11], v[48:49], v[16:17], -v[18:19]
	v_add_f64 v[18:19], v[64:65], 0
	v_add_f64 v[4:5], v[4:5], 0
	v_fmac_f64_e32 v[68:69], v[46:47], v[12:13]
	v_fma_f64 v[8:9], v[44:45], v[12:13], -v[14:15]
	v_add_f64 v[18:19], v[18:19], v[66:67]
	v_add_f64 v[4:5], v[4:5], v[6:7]
	s_waitcnt vmcnt(3) lgkmcnt(2)
	v_mul_f64 v[72:73], v[52:53], v[22:23]
	v_mul_f64 v[22:23], v[54:55], v[22:23]
	v_fmac_f64_e32 v[70:71], v[50:51], v[16:17]
	v_add_f64 v[6:7], v[18:19], v[68:69]
	v_add_f64 v[4:5], v[4:5], v[8:9]
	s_waitcnt vmcnt(2) lgkmcnt(1)
	v_mul_f64 v[74:75], v[56:57], v[26:27]
	v_mul_f64 v[26:27], v[58:59], v[26:27]
	v_fmac_f64_e32 v[72:73], v[54:55], v[20:21]
	v_fma_f64 v[12:13], v[52:53], v[20:21], -v[22:23]
	v_add_f64 v[6:7], v[6:7], v[70:71]
	v_add_f64 v[4:5], v[4:5], v[10:11]
	s_waitcnt vmcnt(1) lgkmcnt(0)
	v_mul_f64 v[76:77], v[60:61], v[30:31]
	v_mul_f64 v[30:31], v[62:63], v[30:31]
	v_fmac_f64_e32 v[74:75], v[58:59], v[24:25]
	v_fma_f64 v[14:15], v[56:57], v[24:25], -v[26:27]
	v_add_f64 v[6:7], v[6:7], v[72:73]
	v_add_f64 v[4:5], v[4:5], v[12:13]
	v_fmac_f64_e32 v[76:77], v[62:63], v[28:29]
	v_fma_f64 v[16:17], v[60:61], v[28:29], -v[30:31]
	v_add_f64 v[6:7], v[6:7], v[74:75]
	v_add_f64 v[4:5], v[4:5], v[14:15]
	;; [unrolled: 1-line block ×4, first 2 shown]
	s_waitcnt vmcnt(0)
	v_add_f64 v[4:5], v[32:33], -v[4:5]
	v_add_f64 v[6:7], v[34:35], -v[6:7]
	scratch_store_dwordx4 off, v[4:7], off offset:480
	s_and_saveexec_b64 s[0:1], vcc
	s_cbranch_execz .LBB100_179
; %bb.178:
	scratch_load_dwordx4 v[6:9], off, s24
	v_mov_b32_e32 v3, v2
	v_mov_b32_e32 v4, v2
	;; [unrolled: 1-line block ×3, first 2 shown]
	scratch_store_dwordx4 off, v[2:5], off offset:464
	s_waitcnt vmcnt(1)
	ds_write_b128 v1, v[6:9]
.LBB100_179:
	s_or_b64 exec, exec, s[0:1]
	s_waitcnt lgkmcnt(0)
	; wave barrier
	scratch_load_dwordx4 v[4:7], off, off offset:480
	scratch_load_dwordx4 v[8:11], off, off offset:496
	;; [unrolled: 1-line block ×9, first 2 shown]
	ds_read_b128 v[40:43], v2 offset:1056
	ds_read_b128 v[44:47], v2 offset:1072
	;; [unrolled: 1-line block ×8, first 2 shown]
	v_cmp_lt_u32_e32 vcc, 27, v0
	s_waitcnt vmcnt(8) lgkmcnt(7)
	v_mul_f64 v[2:3], v[40:41], v[6:7]
	v_mul_f64 v[6:7], v[42:43], v[6:7]
	s_waitcnt vmcnt(7) lgkmcnt(6)
	v_mul_f64 v[72:73], v[44:45], v[10:11]
	v_mul_f64 v[10:11], v[46:47], v[10:11]
	v_fmac_f64_e32 v[2:3], v[42:43], v[4:5]
	v_fma_f64 v[4:5], v[40:41], v[4:5], -v[6:7]
	s_waitcnt vmcnt(6) lgkmcnt(5)
	v_mul_f64 v[74:75], v[48:49], v[14:15]
	v_mul_f64 v[14:15], v[50:51], v[14:15]
	v_fmac_f64_e32 v[72:73], v[46:47], v[8:9]
	v_fma_f64 v[6:7], v[44:45], v[8:9], -v[10:11]
	v_add_f64 v[2:3], v[2:3], 0
	v_add_f64 v[4:5], v[4:5], 0
	s_waitcnt vmcnt(5) lgkmcnt(4)
	v_mul_f64 v[76:77], v[52:53], v[18:19]
	v_mul_f64 v[18:19], v[54:55], v[18:19]
	v_fmac_f64_e32 v[74:75], v[50:51], v[12:13]
	v_fma_f64 v[8:9], v[48:49], v[12:13], -v[14:15]
	v_add_f64 v[2:3], v[2:3], v[72:73]
	v_add_f64 v[4:5], v[4:5], v[6:7]
	;; [unrolled: 7-line block ×6, first 2 shown]
	v_fmac_f64_e32 v[84:85], v[70:71], v[32:33]
	v_fma_f64 v[18:19], v[68:69], v[32:33], -v[34:35]
	v_add_f64 v[2:3], v[2:3], v[82:83]
	v_add_f64 v[4:5], v[4:5], v[16:17]
	;; [unrolled: 1-line block ×4, first 2 shown]
	s_waitcnt vmcnt(0)
	v_add_f64 v[2:3], v[36:37], -v[2:3]
	v_add_f64 v[4:5], v[38:39], -v[6:7]
	scratch_store_dwordx4 off, v[2:5], off offset:464
	s_and_saveexec_b64 s[0:1], vcc
	s_cbranch_execz .LBB100_181
; %bb.180:
	scratch_load_dwordx4 v[2:5], off, s25
	v_mov_b32_e32 v6, 0
	v_mov_b32_e32 v7, v6
	;; [unrolled: 1-line block ×4, first 2 shown]
	scratch_store_dwordx4 off, v[6:9], off offset:448
	s_waitcnt vmcnt(1)
	ds_write_b128 v1, v[2:5]
.LBB100_181:
	s_or_b64 exec, exec, s[0:1]
	v_mov_b32_e32 v2, 0
	s_waitcnt lgkmcnt(0)
	; wave barrier
	ds_read_b128 v[4:7], v2 offset:1040
	ds_read_b128 v[8:11], v2 offset:1056
	;; [unrolled: 1-line block ×4, first 2 shown]
	scratch_load_dwordx4 v[20:23], off, off offset:464
	scratch_load_dwordx4 v[40:43], off, off offset:528
	;; [unrolled: 1-line block ×3, first 2 shown]
	v_cmp_lt_u32_e32 vcc, 26, v0
	scratch_load_dwordx4 v[48:51], off, off offset:544
	scratch_load_dwordx4 v[56:59], off, off offset:560
	;; [unrolled: 1-line block ×3, first 2 shown]
	s_waitcnt vmcnt(5) lgkmcnt(3)
	v_mul_f64 v[24:25], v[4:5], v[22:23]
	v_fmac_f64_e32 v[24:25], v[6:7], v[20:21]
	v_add_f64 v[28:29], v[24:25], 0
	scratch_load_dwordx4 v[24:27], off, off offset:480
	v_mul_f64 v[6:7], v[6:7], v[22:23]
	v_fma_f64 v[4:5], v[4:5], v[20:21], -v[6:7]
	v_add_f64 v[4:5], v[4:5], 0
	s_waitcnt vmcnt(0) lgkmcnt(2)
	v_mul_f64 v[30:31], v[8:9], v[26:27]
	v_fmac_f64_e32 v[30:31], v[10:11], v[24:25]
	v_add_f64 v[32:33], v[28:29], v[30:31]
	scratch_load_dwordx4 v[28:31], off, off offset:496
	v_mul_f64 v[6:7], v[10:11], v[26:27]
	v_fma_f64 v[6:7], v[8:9], v[24:25], -v[6:7]
	v_add_f64 v[4:5], v[4:5], v[6:7]
	;; [unrolled: 8-line block ×3, first 2 shown]
	s_waitcnt vmcnt(0) lgkmcnt(0)
	v_mul_f64 v[38:39], v[16:17], v[34:35]
	v_fmac_f64_e32 v[38:39], v[18:19], v[32:33]
	v_add_f64 v[44:45], v[36:37], v[38:39]
	ds_read_b128 v[36:39], v2 offset:1104
	v_mul_f64 v[6:7], v[18:19], v[34:35]
	v_fma_f64 v[6:7], v[16:17], v[32:33], -v[6:7]
	v_add_f64 v[4:5], v[4:5], v[6:7]
	s_waitcnt lgkmcnt(0)
	v_mul_f64 v[46:47], v[36:37], v[42:43]
	v_fmac_f64_e32 v[46:47], v[38:39], v[40:41]
	v_add_f64 v[52:53], v[44:45], v[46:47]
	ds_read_b128 v[44:47], v2 offset:1120
	v_mul_f64 v[6:7], v[38:39], v[42:43]
	v_fma_f64 v[6:7], v[36:37], v[40:41], -v[6:7]
	v_add_f64 v[4:5], v[4:5], v[6:7]
	s_waitcnt lgkmcnt(0)
	;; [unrolled: 8-line block ×5, first 2 shown]
	v_mul_f64 v[6:7], v[70:71], v[74:75]
	v_fma_f64 v[6:7], v[68:69], v[72:73], -v[6:7]
	v_add_f64 v[8:9], v[4:5], v[6:7]
	scratch_load_dwordx4 v[4:7], off, off offset:448
	v_mul_f64 v[78:79], v[68:69], v[74:75]
	v_fmac_f64_e32 v[78:79], v[70:71], v[72:73]
	v_add_f64 v[76:77], v[76:77], v[78:79]
	s_waitcnt vmcnt(0)
	v_add_f64 v[4:5], v[4:5], -v[8:9]
	v_add_f64 v[6:7], v[6:7], -v[76:77]
	scratch_store_dwordx4 off, v[4:7], off offset:448
	s_and_saveexec_b64 s[0:1], vcc
	s_cbranch_execz .LBB100_183
; %bb.182:
	scratch_load_dwordx4 v[6:9], off, s26
	v_mov_b32_e32 v3, v2
	v_mov_b32_e32 v4, v2
	v_mov_b32_e32 v5, v2
	scratch_store_dwordx4 off, v[2:5], off offset:432
	s_waitcnt vmcnt(1)
	ds_write_b128 v1, v[6:9]
.LBB100_183:
	s_or_b64 exec, exec, s[0:1]
	s_waitcnt lgkmcnt(0)
	; wave barrier
	ds_read_b128 v[4:7], v2 offset:1024
	ds_read_b128 v[8:11], v2 offset:1040
	;; [unrolled: 1-line block ×4, first 2 shown]
	scratch_load_dwordx4 v[20:23], off, off offset:448
	scratch_load_dwordx4 v[40:43], off, off offset:512
	;; [unrolled: 1-line block ×4, first 2 shown]
	v_cmp_lt_u32_e32 vcc, 25, v0
	scratch_load_dwordx4 v[48:51], off, off offset:528
	scratch_load_dwordx4 v[56:59], off, off offset:544
	;; [unrolled: 1-line block ×3, first 2 shown]
	s_waitcnt vmcnt(6) lgkmcnt(3)
	v_mul_f64 v[24:25], v[4:5], v[22:23]
	v_fmac_f64_e32 v[24:25], v[6:7], v[20:21]
	v_add_f64 v[28:29], v[24:25], 0
	scratch_load_dwordx4 v[24:27], off, off offset:464
	s_waitcnt vmcnt(0) lgkmcnt(2)
	v_mul_f64 v[30:31], v[8:9], v[26:27]
	v_fmac_f64_e32 v[30:31], v[10:11], v[24:25]
	v_add_f64 v[32:33], v[28:29], v[30:31]
	scratch_load_dwordx4 v[28:31], off, off offset:480
	;; [unrolled: 5-line block ×3, first 2 shown]
	s_waitcnt vmcnt(0) lgkmcnt(0)
	v_mul_f64 v[38:39], v[16:17], v[34:35]
	v_fmac_f64_e32 v[38:39], v[18:19], v[32:33]
	v_add_f64 v[44:45], v[36:37], v[38:39]
	ds_read_b128 v[36:39], v2 offset:1088
	s_waitcnt lgkmcnt(0)
	v_mul_f64 v[46:47], v[36:37], v[42:43]
	v_fmac_f64_e32 v[46:47], v[38:39], v[40:41]
	v_add_f64 v[52:53], v[44:45], v[46:47]
	ds_read_b128 v[44:47], v2 offset:1104
	s_waitcnt lgkmcnt(0)
	;; [unrolled: 5-line block ×6, first 2 shown]
	v_mul_f64 v[2:3], v[76:77], v[82:83]
	v_fmac_f64_e32 v[2:3], v[78:79], v[80:81]
	v_add_f64 v[84:85], v[84:85], v[2:3]
	v_mul_f64 v[2:3], v[6:7], v[22:23]
	v_fma_f64 v[2:3], v[4:5], v[20:21], -v[2:3]
	v_mul_f64 v[4:5], v[10:11], v[26:27]
	v_add_f64 v[2:3], v[2:3], 0
	v_fma_f64 v[4:5], v[8:9], v[24:25], -v[4:5]
	v_add_f64 v[2:3], v[2:3], v[4:5]
	v_mul_f64 v[4:5], v[14:15], v[30:31]
	v_fma_f64 v[4:5], v[12:13], v[28:29], -v[4:5]
	v_add_f64 v[2:3], v[2:3], v[4:5]
	v_mul_f64 v[4:5], v[18:19], v[34:35]
	v_fma_f64 v[4:5], v[16:17], v[32:33], -v[4:5]
	v_add_f64 v[2:3], v[2:3], v[4:5]
	v_mul_f64 v[4:5], v[38:39], v[42:43]
	v_fma_f64 v[4:5], v[36:37], v[40:41], -v[4:5]
	v_add_f64 v[2:3], v[2:3], v[4:5]
	v_mul_f64 v[4:5], v[46:47], v[50:51]
	v_fma_f64 v[4:5], v[44:45], v[48:49], -v[4:5]
	v_add_f64 v[2:3], v[2:3], v[4:5]
	v_mul_f64 v[4:5], v[54:55], v[58:59]
	v_fma_f64 v[4:5], v[52:53], v[56:57], -v[4:5]
	v_add_f64 v[2:3], v[2:3], v[4:5]
	v_mul_f64 v[4:5], v[62:63], v[66:67]
	v_fma_f64 v[4:5], v[60:61], v[64:65], -v[4:5]
	v_add_f64 v[2:3], v[2:3], v[4:5]
	v_mul_f64 v[4:5], v[70:71], v[74:75]
	v_fma_f64 v[4:5], v[68:69], v[72:73], -v[4:5]
	v_add_f64 v[2:3], v[2:3], v[4:5]
	v_mul_f64 v[4:5], v[78:79], v[82:83]
	v_fma_f64 v[4:5], v[76:77], v[80:81], -v[4:5]
	v_add_f64 v[6:7], v[2:3], v[4:5]
	scratch_load_dwordx4 v[2:5], off, off offset:432
	s_waitcnt vmcnt(0)
	v_add_f64 v[2:3], v[2:3], -v[6:7]
	v_add_f64 v[4:5], v[4:5], -v[84:85]
	scratch_store_dwordx4 off, v[2:5], off offset:432
	s_and_saveexec_b64 s[0:1], vcc
	s_cbranch_execz .LBB100_185
; %bb.184:
	scratch_load_dwordx4 v[2:5], off, s27
	v_mov_b32_e32 v6, 0
	v_mov_b32_e32 v7, v6
	;; [unrolled: 1-line block ×4, first 2 shown]
	scratch_store_dwordx4 off, v[6:9], off offset:416
	s_waitcnt vmcnt(1)
	ds_write_b128 v1, v[2:5]
.LBB100_185:
	s_or_b64 exec, exec, s[0:1]
	s_waitcnt lgkmcnt(0)
	; wave barrier
	scratch_load_dwordx4 v[4:7], off, off offset:432
	scratch_load_dwordx4 v[8:11], off, off offset:448
	;; [unrolled: 1-line block ×12, first 2 shown]
	v_mov_b32_e32 v2, 0
	ds_read_b128 v[52:55], v2 offset:1008
	ds_read_b128 v[56:59], v2 offset:1024
	;; [unrolled: 1-line block ×11, first 2 shown]
	v_cmp_lt_u32_e32 vcc, 24, v0
	s_waitcnt vmcnt(11) lgkmcnt(10)
	v_mul_f64 v[96:97], v[52:53], v[6:7]
	v_mul_f64 v[6:7], v[54:55], v[6:7]
	s_waitcnt vmcnt(10) lgkmcnt(9)
	v_mul_f64 v[98:99], v[56:57], v[10:11]
	s_waitcnt vmcnt(9) lgkmcnt(8)
	v_mul_f64 v[100:101], v[60:61], v[14:15]
	v_mul_f64 v[10:11], v[58:59], v[10:11]
	s_waitcnt vmcnt(6) lgkmcnt(5)
	v_mul_f64 v[106:107], v[72:73], v[26:27]
	v_mul_f64 v[14:15], v[62:63], v[14:15]
	;; [unrolled: 1-line block ×3, first 2 shown]
	v_fmac_f64_e32 v[96:97], v[54:55], v[4:5]
	v_fma_f64 v[4:5], v[52:53], v[4:5], -v[6:7]
	v_fmac_f64_e32 v[98:99], v[58:59], v[8:9]
	v_fma_f64 v[6:7], v[56:57], v[8:9], -v[10:11]
	v_fma_f64 v[8:9], v[60:61], v[12:13], -v[14:15]
	;; [unrolled: 1-line block ×3, first 2 shown]
	v_add_f64 v[26:27], v[96:97], 0
	v_add_f64 v[4:5], v[4:5], 0
	v_mul_f64 v[102:103], v[64:65], v[18:19]
	v_mul_f64 v[18:19], v[66:67], v[18:19]
	v_fmac_f64_e32 v[100:101], v[62:63], v[12:13]
	v_add_f64 v[26:27], v[26:27], v[98:99]
	v_add_f64 v[4:5], v[4:5], v[6:7]
	v_mul_f64 v[104:105], v[68:69], v[22:23]
	v_mul_f64 v[22:23], v[70:71], v[22:23]
	v_fmac_f64_e32 v[102:103], v[66:67], v[16:17]
	v_fma_f64 v[10:11], v[64:65], v[16:17], -v[18:19]
	v_add_f64 v[6:7], v[26:27], v[100:101]
	v_add_f64 v[4:5], v[4:5], v[8:9]
	v_fmac_f64_e32 v[104:105], v[70:71], v[20:21]
	v_fma_f64 v[12:13], v[68:69], v[20:21], -v[22:23]
	v_add_f64 v[6:7], v[6:7], v[102:103]
	v_add_f64 v[4:5], v[4:5], v[10:11]
	s_waitcnt vmcnt(5) lgkmcnt(4)
	v_mul_f64 v[108:109], v[76:77], v[30:31]
	v_mul_f64 v[30:31], v[78:79], v[30:31]
	v_fmac_f64_e32 v[106:107], v[74:75], v[24:25]
	v_add_f64 v[6:7], v[6:7], v[104:105]
	v_add_f64 v[4:5], v[4:5], v[12:13]
	s_waitcnt vmcnt(4) lgkmcnt(3)
	v_mul_f64 v[110:111], v[80:81], v[34:35]
	v_mul_f64 v[34:35], v[82:83], v[34:35]
	v_fmac_f64_e32 v[108:109], v[78:79], v[28:29]
	v_fma_f64 v[16:17], v[76:77], v[28:29], -v[30:31]
	v_add_f64 v[6:7], v[6:7], v[106:107]
	v_add_f64 v[4:5], v[4:5], v[14:15]
	s_waitcnt vmcnt(3) lgkmcnt(2)
	v_mul_f64 v[112:113], v[84:85], v[38:39]
	v_mul_f64 v[38:39], v[86:87], v[38:39]
	v_fmac_f64_e32 v[110:111], v[82:83], v[32:33]
	v_fma_f64 v[18:19], v[80:81], v[32:33], -v[34:35]
	;; [unrolled: 7-line block ×4, first 2 shown]
	v_add_f64 v[6:7], v[6:7], v[112:113]
	v_add_f64 v[4:5], v[4:5], v[20:21]
	v_fmac_f64_e32 v[116:117], v[94:95], v[44:45]
	v_fma_f64 v[24:25], v[92:93], v[44:45], -v[46:47]
	v_add_f64 v[6:7], v[6:7], v[114:115]
	v_add_f64 v[4:5], v[4:5], v[22:23]
	;; [unrolled: 1-line block ×4, first 2 shown]
	s_waitcnt vmcnt(0)
	v_add_f64 v[4:5], v[48:49], -v[4:5]
	v_add_f64 v[6:7], v[50:51], -v[6:7]
	scratch_store_dwordx4 off, v[4:7], off offset:416
	s_and_saveexec_b64 s[0:1], vcc
	s_cbranch_execz .LBB100_187
; %bb.186:
	scratch_load_dwordx4 v[6:9], off, s28
	v_mov_b32_e32 v3, v2
	v_mov_b32_e32 v4, v2
	;; [unrolled: 1-line block ×3, first 2 shown]
	scratch_store_dwordx4 off, v[2:5], off offset:400
	s_waitcnt vmcnt(1)
	ds_write_b128 v1, v[6:9]
.LBB100_187:
	s_or_b64 exec, exec, s[0:1]
	s_waitcnt lgkmcnt(0)
	; wave barrier
	scratch_load_dwordx4 v[4:7], off, off offset:416
	scratch_load_dwordx4 v[8:11], off, off offset:432
	;; [unrolled: 1-line block ×12, first 2 shown]
	ds_read_b128 v[52:55], v2 offset:992
	ds_read_b128 v[56:59], v2 offset:1008
	;; [unrolled: 1-line block ×4, first 2 shown]
	scratch_load_dwordx4 v[68:71], off, off offset:400
	ds_read_b128 v[72:75], v2 offset:1056
	ds_read_b128 v[76:79], v2 offset:1072
	;; [unrolled: 1-line block ×8, first 2 shown]
	v_cmp_lt_u32_e32 vcc, 23, v0
	s_waitcnt vmcnt(12) lgkmcnt(11)
	v_mul_f64 v[2:3], v[52:53], v[6:7]
	s_waitcnt vmcnt(11) lgkmcnt(10)
	v_mul_f64 v[104:105], v[56:57], v[10:11]
	v_fmac_f64_e32 v[2:3], v[54:55], v[4:5]
	s_waitcnt vmcnt(10) lgkmcnt(9)
	v_mul_f64 v[106:107], v[60:61], v[14:15]
	v_mul_f64 v[6:7], v[54:55], v[6:7]
	v_fmac_f64_e32 v[104:105], v[58:59], v[8:9]
	v_add_f64 v[2:3], v[2:3], 0
	s_waitcnt vmcnt(9) lgkmcnt(8)
	v_mul_f64 v[108:109], v[64:65], v[18:19]
	v_mul_f64 v[10:11], v[58:59], v[10:11]
	v_fmac_f64_e32 v[106:107], v[62:63], v[12:13]
	v_fma_f64 v[4:5], v[52:53], v[4:5], -v[6:7]
	v_add_f64 v[2:3], v[2:3], v[104:105]
	s_waitcnt vmcnt(8) lgkmcnt(7)
	v_mul_f64 v[110:111], v[72:73], v[22:23]
	v_mul_f64 v[14:15], v[62:63], v[14:15]
	v_fmac_f64_e32 v[108:109], v[66:67], v[16:17]
	v_fma_f64 v[6:7], v[56:57], v[8:9], -v[10:11]
	v_add_f64 v[4:5], v[4:5], 0
	v_add_f64 v[2:3], v[2:3], v[106:107]
	s_waitcnt vmcnt(7) lgkmcnt(6)
	v_mul_f64 v[112:113], v[76:77], v[26:27]
	v_mul_f64 v[18:19], v[66:67], v[18:19]
	v_fmac_f64_e32 v[110:111], v[74:75], v[20:21]
	v_fma_f64 v[8:9], v[60:61], v[12:13], -v[14:15]
	v_add_f64 v[4:5], v[4:5], v[6:7]
	;; [unrolled: 7-line block ×8, first 2 shown]
	v_add_f64 v[2:3], v[2:3], v[120:121]
	v_mul_f64 v[46:47], v[98:99], v[46:47]
	v_fmac_f64_e32 v[124:125], v[102:103], v[48:49]
	v_fma_f64 v[22:23], v[92:93], v[40:41], -v[42:43]
	v_add_f64 v[4:5], v[4:5], v[20:21]
	v_add_f64 v[2:3], v[2:3], v[122:123]
	;; [unrolled: 1-line block ×4, first 2 shown]
	v_fma_f64 v[2:3], v[96:97], v[44:45], -v[46:47]
	v_add_f64 v[2:3], v[4:5], v[2:3]
	v_mul_f64 v[4:5], v[102:103], v[50:51]
	v_fma_f64 v[4:5], v[100:101], v[48:49], -v[4:5]
	v_add_f64 v[2:3], v[2:3], v[4:5]
	s_waitcnt vmcnt(0)
	v_add_f64 v[2:3], v[68:69], -v[2:3]
	v_add_f64 v[4:5], v[70:71], -v[6:7]
	scratch_store_dwordx4 off, v[2:5], off offset:400
	s_and_saveexec_b64 s[0:1], vcc
	s_cbranch_execz .LBB100_189
; %bb.188:
	scratch_load_dwordx4 v[2:5], off, s29
	v_mov_b32_e32 v6, 0
	v_mov_b32_e32 v7, v6
	v_mov_b32_e32 v8, v6
	v_mov_b32_e32 v9, v6
	scratch_store_dwordx4 off, v[6:9], off offset:384
	s_waitcnt vmcnt(1)
	ds_write_b128 v1, v[2:5]
.LBB100_189:
	s_or_b64 exec, exec, s[0:1]
	s_waitcnt lgkmcnt(0)
	; wave barrier
	scratch_load_dwordx4 v[4:7], off, off offset:400
	scratch_load_dwordx4 v[8:11], off, off offset:416
	;; [unrolled: 1-line block ×14, first 2 shown]
	v_mov_b32_e32 v2, 0
	ds_read_b128 v[60:63], v2 offset:976
	ds_read_b128 v[64:67], v2 offset:992
	;; [unrolled: 1-line block ×13, first 2 shown]
	v_cmp_lt_u32_e32 vcc, 22, v0
	s_waitcnt vmcnt(13) lgkmcnt(12)
	v_mul_f64 v[112:113], v[60:61], v[6:7]
	v_mul_f64 v[6:7], v[62:63], v[6:7]
	s_waitcnt vmcnt(12) lgkmcnt(11)
	v_mul_f64 v[114:115], v[64:65], v[10:11]
	v_mul_f64 v[10:11], v[66:67], v[10:11]
	v_fmac_f64_e32 v[112:113], v[62:63], v[4:5]
	v_fma_f64 v[4:5], v[60:61], v[4:5], -v[6:7]
	s_waitcnt vmcnt(11) lgkmcnt(10)
	v_mul_f64 v[116:117], v[68:69], v[14:15]
	v_mul_f64 v[14:15], v[70:71], v[14:15]
	v_fma_f64 v[6:7], v[64:65], v[8:9], -v[10:11]
	v_add_f64 v[4:5], v[4:5], 0
	s_waitcnt vmcnt(10) lgkmcnt(9)
	v_mul_f64 v[118:119], v[72:73], v[18:19]
	v_mul_f64 v[18:19], v[74:75], v[18:19]
	v_fmac_f64_e32 v[114:115], v[66:67], v[8:9]
	v_fma_f64 v[8:9], v[68:69], v[12:13], -v[14:15]
	v_add_f64 v[4:5], v[4:5], v[6:7]
	s_waitcnt vmcnt(9) lgkmcnt(8)
	v_mul_f64 v[120:121], v[76:77], v[22:23]
	v_mul_f64 v[22:23], v[78:79], v[22:23]
	v_fma_f64 v[10:11], v[72:73], v[16:17], -v[18:19]
	v_add_f64 v[4:5], v[4:5], v[8:9]
	s_waitcnt vmcnt(8) lgkmcnt(7)
	v_mul_f64 v[122:123], v[80:81], v[26:27]
	v_mul_f64 v[26:27], v[82:83], v[26:27]
	v_fmac_f64_e32 v[116:117], v[70:71], v[12:13]
	v_fma_f64 v[12:13], v[76:77], v[20:21], -v[22:23]
	v_add_f64 v[22:23], v[112:113], 0
	v_add_f64 v[4:5], v[4:5], v[10:11]
	s_waitcnt vmcnt(7) lgkmcnt(6)
	v_mul_f64 v[124:125], v[84:85], v[30:31]
	v_mul_f64 v[30:31], v[86:87], v[30:31]
	v_fma_f64 v[14:15], v[80:81], v[24:25], -v[26:27]
	v_add_f64 v[22:23], v[22:23], v[114:115]
	v_add_f64 v[4:5], v[4:5], v[12:13]
	s_waitcnt vmcnt(6) lgkmcnt(5)
	v_mul_f64 v[126:127], v[88:89], v[34:35]
	v_mul_f64 v[34:35], v[90:91], v[34:35]
	v_fmac_f64_e32 v[118:119], v[74:75], v[16:17]
	v_fma_f64 v[16:17], v[84:85], v[28:29], -v[30:31]
	v_add_f64 v[6:7], v[22:23], v[116:117]
	v_add_f64 v[4:5], v[4:5], v[14:15]
	s_waitcnt vmcnt(5) lgkmcnt(4)
	v_mul_f64 v[128:129], v[92:93], v[38:39]
	v_mul_f64 v[38:39], v[94:95], v[38:39]
	v_fmac_f64_e32 v[120:121], v[78:79], v[20:21]
	v_fma_f64 v[18:19], v[88:89], v[32:33], -v[34:35]
	v_add_f64 v[6:7], v[6:7], v[118:119]
	v_add_f64 v[4:5], v[4:5], v[16:17]
	v_fmac_f64_e32 v[122:123], v[82:83], v[24:25]
	v_fma_f64 v[20:21], v[92:93], v[36:37], -v[38:39]
	v_add_f64 v[6:7], v[6:7], v[120:121]
	v_add_f64 v[4:5], v[4:5], v[18:19]
	s_waitcnt vmcnt(4) lgkmcnt(3)
	v_mul_f64 v[8:9], v[98:99], v[42:43]
	v_fmac_f64_e32 v[124:125], v[86:87], v[28:29]
	v_add_f64 v[6:7], v[6:7], v[122:123]
	v_add_f64 v[4:5], v[4:5], v[20:21]
	v_fma_f64 v[8:9], v[96:97], v[40:41], -v[8:9]
	v_fmac_f64_e32 v[126:127], v[90:91], v[32:33]
	v_add_f64 v[6:7], v[6:7], v[124:125]
	v_add_f64 v[4:5], v[4:5], v[8:9]
	s_waitcnt vmcnt(3) lgkmcnt(2)
	v_mul_f64 v[8:9], v[102:103], v[46:47]
	v_mul_f64 v[130:131], v[96:97], v[42:43]
	v_fmac_f64_e32 v[128:129], v[94:95], v[36:37]
	v_add_f64 v[6:7], v[6:7], v[126:127]
	v_fma_f64 v[8:9], v[100:101], v[44:45], -v[8:9]
	v_mul_f64 v[132:133], v[100:101], v[46:47]
	v_fmac_f64_e32 v[130:131], v[98:99], v[40:41]
	v_add_f64 v[6:7], v[6:7], v[128:129]
	v_add_f64 v[4:5], v[4:5], v[8:9]
	s_waitcnt vmcnt(2) lgkmcnt(1)
	v_mul_f64 v[8:9], v[106:107], v[50:51]
	v_mul_f64 v[134:135], v[104:105], v[50:51]
	v_fmac_f64_e32 v[132:133], v[102:103], v[44:45]
	v_add_f64 v[6:7], v[6:7], v[130:131]
	v_fma_f64 v[8:9], v[104:105], v[48:49], -v[8:9]
	s_waitcnt vmcnt(1) lgkmcnt(0)
	v_mul_f64 v[136:137], v[108:109], v[54:55]
	v_fmac_f64_e32 v[134:135], v[106:107], v[48:49]
	v_add_f64 v[6:7], v[6:7], v[132:133]
	v_add_f64 v[4:5], v[4:5], v[8:9]
	v_mul_f64 v[8:9], v[110:111], v[54:55]
	v_fmac_f64_e32 v[136:137], v[110:111], v[52:53]
	v_add_f64 v[6:7], v[6:7], v[134:135]
	v_fma_f64 v[8:9], v[108:109], v[52:53], -v[8:9]
	v_add_f64 v[6:7], v[6:7], v[136:137]
	v_add_f64 v[4:5], v[4:5], v[8:9]
	s_waitcnt vmcnt(0)
	v_add_f64 v[4:5], v[56:57], -v[4:5]
	v_add_f64 v[6:7], v[58:59], -v[6:7]
	scratch_store_dwordx4 off, v[4:7], off offset:384
	s_and_saveexec_b64 s[0:1], vcc
	s_cbranch_execz .LBB100_191
; %bb.190:
	scratch_load_dwordx4 v[6:9], off, s30
	v_mov_b32_e32 v3, v2
	v_mov_b32_e32 v4, v2
	;; [unrolled: 1-line block ×3, first 2 shown]
	scratch_store_dwordx4 off, v[2:5], off offset:368
	s_waitcnt vmcnt(1)
	ds_write_b128 v1, v[6:9]
.LBB100_191:
	s_or_b64 exec, exec, s[0:1]
	s_waitcnt lgkmcnt(0)
	; wave barrier
	scratch_load_dwordx4 v[4:7], off, off offset:384
	scratch_load_dwordx4 v[8:11], off, off offset:400
	;; [unrolled: 1-line block ×14, first 2 shown]
	ds_read_b128 v[60:63], v2 offset:960
	ds_read_b128 v[64:67], v2 offset:976
	;; [unrolled: 1-line block ×14, first 2 shown]
	scratch_load_dwordx4 v[116:119], off, off offset:368
	v_cmp_lt_u32_e32 vcc, 21, v0
	s_waitcnt vmcnt(14) lgkmcnt(13)
	v_mul_f64 v[2:3], v[60:61], v[6:7]
	s_waitcnt vmcnt(13) lgkmcnt(12)
	v_mul_f64 v[120:121], v[64:65], v[10:11]
	v_fmac_f64_e32 v[2:3], v[62:63], v[4:5]
	s_waitcnt vmcnt(12) lgkmcnt(11)
	v_mul_f64 v[122:123], v[68:69], v[14:15]
	v_fmac_f64_e32 v[120:121], v[66:67], v[8:9]
	v_add_f64 v[2:3], v[2:3], 0
	s_waitcnt vmcnt(11) lgkmcnt(10)
	v_mul_f64 v[124:125], v[72:73], v[18:19]
	v_fmac_f64_e32 v[122:123], v[70:71], v[12:13]
	v_add_f64 v[2:3], v[2:3], v[120:121]
	;; [unrolled: 4-line block ×4, first 2 shown]
	s_waitcnt vmcnt(8) lgkmcnt(7)
	v_mul_f64 v[130:131], v[84:85], v[30:31]
	v_mul_f64 v[6:7], v[62:63], v[6:7]
	v_fmac_f64_e32 v[128:129], v[82:83], v[24:25]
	v_add_f64 v[2:3], v[2:3], v[126:127]
	s_waitcnt vmcnt(7) lgkmcnt(6)
	v_mul_f64 v[132:133], v[88:89], v[34:35]
	v_mul_f64 v[10:11], v[66:67], v[10:11]
	v_fmac_f64_e32 v[130:131], v[86:87], v[28:29]
	v_fma_f64 v[4:5], v[60:61], v[4:5], -v[6:7]
	v_add_f64 v[2:3], v[2:3], v[128:129]
	s_waitcnt vmcnt(6) lgkmcnt(5)
	v_mul_f64 v[134:135], v[92:93], v[38:39]
	v_mul_f64 v[14:15], v[70:71], v[14:15]
	v_fmac_f64_e32 v[132:133], v[90:91], v[32:33]
	v_fma_f64 v[6:7], v[64:65], v[8:9], -v[10:11]
	v_add_f64 v[4:5], v[4:5], 0
	v_add_f64 v[2:3], v[2:3], v[130:131]
	s_waitcnt vmcnt(5) lgkmcnt(4)
	v_mul_f64 v[136:137], v[96:97], v[42:43]
	v_mul_f64 v[18:19], v[74:75], v[18:19]
	v_fmac_f64_e32 v[134:135], v[94:95], v[36:37]
	v_fma_f64 v[8:9], v[68:69], v[12:13], -v[14:15]
	v_add_f64 v[4:5], v[4:5], v[6:7]
	;; [unrolled: 7-line block ×6, first 2 shown]
	v_add_f64 v[2:3], v[2:3], v[140:141]
	v_fmac_f64_e32 v[144:145], v[114:115], v[56:57]
	v_fma_f64 v[18:19], v[88:89], v[32:33], -v[34:35]
	v_add_f64 v[4:5], v[4:5], v[16:17]
	v_add_f64 v[2:3], v[2:3], v[142:143]
	;; [unrolled: 1-line block ×4, first 2 shown]
	v_mul_f64 v[4:5], v[94:95], v[38:39]
	v_fma_f64 v[4:5], v[92:93], v[36:37], -v[4:5]
	v_add_f64 v[2:3], v[2:3], v[4:5]
	v_mul_f64 v[4:5], v[98:99], v[42:43]
	v_fma_f64 v[4:5], v[96:97], v[40:41], -v[4:5]
	v_add_f64 v[2:3], v[2:3], v[4:5]
	;; [unrolled: 3-line block ×6, first 2 shown]
	s_waitcnt vmcnt(0)
	v_add_f64 v[2:3], v[116:117], -v[2:3]
	v_add_f64 v[4:5], v[118:119], -v[6:7]
	scratch_store_dwordx4 off, v[2:5], off offset:368
	s_and_saveexec_b64 s[0:1], vcc
	s_cbranch_execz .LBB100_193
; %bb.192:
	scratch_load_dwordx4 v[2:5], off, s31
	v_mov_b32_e32 v6, 0
	v_mov_b32_e32 v7, v6
	;; [unrolled: 1-line block ×4, first 2 shown]
	scratch_store_dwordx4 off, v[6:9], off offset:352
	s_waitcnt vmcnt(1)
	ds_write_b128 v1, v[2:5]
.LBB100_193:
	s_or_b64 exec, exec, s[0:1]
	s_waitcnt lgkmcnt(0)
	; wave barrier
	scratch_load_dwordx4 v[4:7], off, off offset:368
	scratch_load_dwordx4 v[8:11], off, off offset:384
	;; [unrolled: 1-line block ×16, first 2 shown]
	v_mov_b32_e32 v2, 0
	ds_read_b128 v[68:71], v2 offset:944
	ds_read_b128 v[72:75], v2 offset:960
	;; [unrolled: 1-line block ×15, first 2 shown]
	v_cmp_lt_u32_e32 vcc, 20, v0
	s_waitcnt vmcnt(15) lgkmcnt(14)
	v_mul_f64 v[128:129], v[68:69], v[6:7]
	v_mul_f64 v[6:7], v[70:71], v[6:7]
	s_waitcnt vmcnt(14) lgkmcnt(13)
	v_mul_f64 v[130:131], v[72:73], v[10:11]
	v_mul_f64 v[10:11], v[74:75], v[10:11]
	v_fmac_f64_e32 v[128:129], v[70:71], v[4:5]
	v_fma_f64 v[4:5], v[68:69], v[4:5], -v[6:7]
	s_waitcnt vmcnt(13) lgkmcnt(12)
	v_mul_f64 v[132:133], v[76:77], v[14:15]
	v_mul_f64 v[14:15], v[78:79], v[14:15]
	v_fma_f64 v[6:7], v[72:73], v[8:9], -v[10:11]
	v_add_f64 v[4:5], v[4:5], 0
	s_waitcnt vmcnt(12) lgkmcnt(11)
	v_mul_f64 v[134:135], v[80:81], v[18:19]
	v_mul_f64 v[18:19], v[82:83], v[18:19]
	v_fmac_f64_e32 v[130:131], v[74:75], v[8:9]
	v_fma_f64 v[8:9], v[76:77], v[12:13], -v[14:15]
	v_add_f64 v[4:5], v[4:5], v[6:7]
	s_waitcnt vmcnt(11) lgkmcnt(10)
	v_mul_f64 v[136:137], v[84:85], v[22:23]
	v_mul_f64 v[22:23], v[86:87], v[22:23]
	v_fma_f64 v[10:11], v[80:81], v[16:17], -v[18:19]
	v_add_f64 v[4:5], v[4:5], v[8:9]
	s_waitcnt vmcnt(10) lgkmcnt(9)
	v_mul_f64 v[138:139], v[88:89], v[26:27]
	v_mul_f64 v[26:27], v[90:91], v[26:27]
	v_fmac_f64_e32 v[132:133], v[78:79], v[12:13]
	v_fma_f64 v[12:13], v[84:85], v[20:21], -v[22:23]
	v_add_f64 v[4:5], v[4:5], v[10:11]
	v_fma_f64 v[14:15], v[88:89], v[24:25], -v[26:27]
	v_add_f64 v[4:5], v[4:5], v[12:13]
	s_waitcnt vmcnt(9) lgkmcnt(8)
	v_mul_f64 v[8:9], v[94:95], v[30:31]
	v_add_f64 v[4:5], v[4:5], v[14:15]
	v_fma_f64 v[8:9], v[92:93], v[28:29], -v[8:9]
	v_add_f64 v[4:5], v[4:5], v[8:9]
	s_waitcnt vmcnt(8) lgkmcnt(7)
	v_mul_f64 v[8:9], v[98:99], v[34:35]
	v_fma_f64 v[8:9], v[96:97], v[32:33], -v[8:9]
	v_fmac_f64_e32 v[134:135], v[82:83], v[16:17]
	v_add_f64 v[16:17], v[128:129], 0
	v_add_f64 v[4:5], v[4:5], v[8:9]
	s_waitcnt vmcnt(7) lgkmcnt(6)
	v_mul_f64 v[8:9], v[102:103], v[38:39]
	v_add_f64 v[16:17], v[16:17], v[130:131]
	v_fma_f64 v[8:9], v[100:101], v[36:37], -v[8:9]
	v_add_f64 v[6:7], v[16:17], v[132:133]
	v_add_f64 v[4:5], v[4:5], v[8:9]
	s_waitcnt vmcnt(6) lgkmcnt(5)
	v_mul_f64 v[8:9], v[106:107], v[42:43]
	v_fmac_f64_e32 v[136:137], v[86:87], v[20:21]
	v_add_f64 v[6:7], v[6:7], v[134:135]
	v_fma_f64 v[8:9], v[104:105], v[40:41], -v[8:9]
	v_mul_f64 v[140:141], v[92:93], v[30:31]
	v_fmac_f64_e32 v[138:139], v[90:91], v[24:25]
	v_add_f64 v[6:7], v[6:7], v[136:137]
	v_add_f64 v[4:5], v[4:5], v[8:9]
	s_waitcnt vmcnt(5) lgkmcnt(4)
	v_mul_f64 v[8:9], v[110:111], v[46:47]
	v_mul_f64 v[142:143], v[96:97], v[34:35]
	v_fmac_f64_e32 v[140:141], v[94:95], v[28:29]
	v_add_f64 v[6:7], v[6:7], v[138:139]
	v_fma_f64 v[8:9], v[108:109], v[44:45], -v[8:9]
	v_mul_f64 v[144:145], v[100:101], v[38:39]
	v_fmac_f64_e32 v[142:143], v[98:99], v[32:33]
	v_add_f64 v[6:7], v[6:7], v[140:141]
	v_add_f64 v[4:5], v[4:5], v[8:9]
	s_waitcnt vmcnt(4) lgkmcnt(3)
	v_mul_f64 v[8:9], v[114:115], v[50:51]
	;; [unrolled: 10-line block ×4, first 2 shown]
	v_mul_f64 v[154:155], v[120:121], v[58:59]
	v_fmac_f64_e32 v[152:153], v[118:119], v[52:53]
	v_add_f64 v[6:7], v[6:7], v[150:151]
	v_fma_f64 v[8:9], v[120:121], v[56:57], -v[8:9]
	s_waitcnt vmcnt(1) lgkmcnt(0)
	v_mul_f64 v[156:157], v[124:125], v[62:63]
	v_fmac_f64_e32 v[154:155], v[122:123], v[56:57]
	v_add_f64 v[6:7], v[6:7], v[152:153]
	v_add_f64 v[4:5], v[4:5], v[8:9]
	v_mul_f64 v[8:9], v[126:127], v[62:63]
	v_fmac_f64_e32 v[156:157], v[126:127], v[60:61]
	v_add_f64 v[6:7], v[6:7], v[154:155]
	v_fma_f64 v[8:9], v[124:125], v[60:61], -v[8:9]
	v_add_f64 v[6:7], v[6:7], v[156:157]
	v_add_f64 v[4:5], v[4:5], v[8:9]
	s_waitcnt vmcnt(0)
	v_add_f64 v[4:5], v[64:65], -v[4:5]
	v_add_f64 v[6:7], v[66:67], -v[6:7]
	scratch_store_dwordx4 off, v[4:7], off offset:352
	s_and_saveexec_b64 s[0:1], vcc
	s_cbranch_execz .LBB100_195
; %bb.194:
	scratch_load_dwordx4 v[6:9], off, s33
	v_mov_b32_e32 v3, v2
	v_mov_b32_e32 v4, v2
	;; [unrolled: 1-line block ×3, first 2 shown]
	scratch_store_dwordx4 off, v[2:5], off offset:336
	s_waitcnt vmcnt(1)
	ds_write_b128 v1, v[6:9]
.LBB100_195:
	s_or_b64 exec, exec, s[0:1]
	s_waitcnt lgkmcnt(0)
	; wave barrier
	scratch_load_dwordx4 v[4:7], off, off offset:352
	scratch_load_dwordx4 v[8:11], off, off offset:368
	;; [unrolled: 1-line block ×16, first 2 shown]
	ds_read_b128 v[68:71], v2 offset:928
	ds_read_b128 v[72:75], v2 offset:944
	;; [unrolled: 1-line block ×16, first 2 shown]
	scratch_load_dwordx4 v[132:135], off, off offset:336
	v_cmp_lt_u32_e32 vcc, 19, v0
	s_waitcnt vmcnt(16) lgkmcnt(14)
	v_mul_f64 v[2:3], v[68:69], v[6:7]
	s_waitcnt vmcnt(15)
	v_mul_f64 v[136:137], v[72:73], v[10:11]
	v_fmac_f64_e32 v[2:3], v[70:71], v[4:5]
	s_waitcnt vmcnt(14) lgkmcnt(13)
	v_mul_f64 v[138:139], v[76:77], v[14:15]
	v_fmac_f64_e32 v[136:137], v[74:75], v[8:9]
	v_add_f64 v[2:3], v[2:3], 0
	s_waitcnt vmcnt(13) lgkmcnt(12)
	v_mul_f64 v[140:141], v[80:81], v[18:19]
	v_fmac_f64_e32 v[138:139], v[78:79], v[12:13]
	v_add_f64 v[2:3], v[2:3], v[136:137]
	;; [unrolled: 4-line block ×10, first 2 shown]
	s_waitcnt vmcnt(4) lgkmcnt(3)
	v_mul_f64 v[158:159], v[116:117], v[54:55]
	v_mul_f64 v[6:7], v[70:71], v[6:7]
	v_fmac_f64_e32 v[156:157], v[114:115], v[48:49]
	v_add_f64 v[2:3], v[2:3], v[154:155]
	s_waitcnt vmcnt(3) lgkmcnt(2)
	v_mul_f64 v[160:161], v[120:121], v[58:59]
	v_mul_f64 v[10:11], v[74:75], v[10:11]
	v_fmac_f64_e32 v[158:159], v[118:119], v[52:53]
	v_fma_f64 v[4:5], v[68:69], v[4:5], -v[6:7]
	v_add_f64 v[2:3], v[2:3], v[156:157]
	s_waitcnt vmcnt(2) lgkmcnt(1)
	v_mul_f64 v[162:163], v[124:125], v[62:63]
	v_mul_f64 v[14:15], v[78:79], v[14:15]
	v_fmac_f64_e32 v[160:161], v[122:123], v[56:57]
	v_fma_f64 v[6:7], v[72:73], v[8:9], -v[10:11]
	v_add_f64 v[4:5], v[4:5], 0
	v_add_f64 v[2:3], v[2:3], v[158:159]
	s_waitcnt vmcnt(1) lgkmcnt(0)
	v_mul_f64 v[164:165], v[128:129], v[66:67]
	v_mul_f64 v[18:19], v[82:83], v[18:19]
	v_fmac_f64_e32 v[162:163], v[126:127], v[60:61]
	v_fma_f64 v[8:9], v[76:77], v[12:13], -v[14:15]
	v_add_f64 v[4:5], v[4:5], v[6:7]
	v_add_f64 v[2:3], v[2:3], v[160:161]
	v_mul_f64 v[26:27], v[86:87], v[26:27]
	v_fmac_f64_e32 v[164:165], v[130:131], v[64:65]
	v_fma_f64 v[10:11], v[80:81], v[16:17], -v[18:19]
	v_add_f64 v[4:5], v[4:5], v[8:9]
	v_add_f64 v[2:3], v[2:3], v[162:163]
	v_fma_f64 v[12:13], v[84:85], v[24:25], -v[26:27]
	v_add_f64 v[4:5], v[4:5], v[10:11]
	v_add_f64 v[6:7], v[2:3], v[164:165]
	v_mul_f64 v[2:3], v[90:91], v[22:23]
	v_add_f64 v[4:5], v[4:5], v[12:13]
	v_fma_f64 v[2:3], v[88:89], v[20:21], -v[2:3]
	v_add_f64 v[2:3], v[4:5], v[2:3]
	v_mul_f64 v[4:5], v[94:95], v[30:31]
	v_fma_f64 v[4:5], v[92:93], v[28:29], -v[4:5]
	v_add_f64 v[2:3], v[2:3], v[4:5]
	v_mul_f64 v[4:5], v[98:99], v[34:35]
	;; [unrolled: 3-line block ×10, first 2 shown]
	v_fma_f64 v[4:5], v[128:129], v[64:65], -v[4:5]
	v_add_f64 v[2:3], v[2:3], v[4:5]
	s_waitcnt vmcnt(0)
	v_add_f64 v[2:3], v[132:133], -v[2:3]
	v_add_f64 v[4:5], v[134:135], -v[6:7]
	scratch_store_dwordx4 off, v[2:5], off offset:336
	s_and_saveexec_b64 s[0:1], vcc
	s_cbranch_execz .LBB100_197
; %bb.196:
	scratch_load_dwordx4 v[2:5], off, s34
	v_mov_b32_e32 v6, 0
	v_mov_b32_e32 v7, v6
	;; [unrolled: 1-line block ×4, first 2 shown]
	scratch_store_dwordx4 off, v[6:9], off offset:320
	s_waitcnt vmcnt(1)
	ds_write_b128 v1, v[2:5]
.LBB100_197:
	s_or_b64 exec, exec, s[0:1]
	s_waitcnt lgkmcnt(0)
	; wave barrier
	scratch_load_dwordx4 v[4:7], off, off offset:336
	scratch_load_dwordx4 v[8:11], off, off offset:352
	;; [unrolled: 1-line block ×18, first 2 shown]
	v_mov_b32_e32 v2, 0
	ds_read_b128 v[76:79], v2 offset:912
	ds_read_b128 v[80:83], v2 offset:928
	;; [unrolled: 1-line block ×17, first 2 shown]
	v_cmp_lt_u32_e32 vcc, 18, v0
	s_waitcnt vmcnt(17) lgkmcnt(14)
	v_mul_f64 v[144:145], v[76:77], v[6:7]
	v_mul_f64 v[6:7], v[78:79], v[6:7]
	s_waitcnt vmcnt(16)
	v_mul_f64 v[146:147], v[80:81], v[10:11]
	v_mul_f64 v[10:11], v[82:83], v[10:11]
	v_fmac_f64_e32 v[144:145], v[78:79], v[4:5]
	v_fma_f64 v[4:5], v[76:77], v[4:5], -v[6:7]
	s_waitcnt vmcnt(15)
	v_mul_f64 v[148:149], v[84:85], v[18:19]
	v_mul_f64 v[18:19], v[86:87], v[18:19]
	v_fma_f64 v[6:7], v[80:81], v[8:9], -v[10:11]
	v_add_f64 v[4:5], v[4:5], 0
	s_waitcnt vmcnt(14) lgkmcnt(13)
	v_mul_f64 v[150:151], v[88:89], v[14:15]
	v_mul_f64 v[14:15], v[90:91], v[14:15]
	v_fmac_f64_e32 v[146:147], v[82:83], v[8:9]
	v_fma_f64 v[8:9], v[84:85], v[16:17], -v[18:19]
	v_add_f64 v[4:5], v[4:5], v[6:7]
	v_add_f64 v[4:5], v[4:5], v[8:9]
	v_fma_f64 v[8:9], v[88:89], v[12:13], -v[14:15]
	v_add_f64 v[4:5], v[4:5], v[8:9]
	s_waitcnt vmcnt(13) lgkmcnt(12)
	v_mul_f64 v[8:9], v[94:95], v[22:23]
	v_fma_f64 v[8:9], v[92:93], v[20:21], -v[8:9]
	v_add_f64 v[4:5], v[4:5], v[8:9]
	s_waitcnt vmcnt(12) lgkmcnt(11)
	v_mul_f64 v[8:9], v[98:99], v[26:27]
	;; [unrolled: 4-line block ×5, first 2 shown]
	v_fma_f64 v[8:9], v[108:109], v[36:37], -v[8:9]
	v_add_f64 v[10:11], v[144:145], 0
	v_add_f64 v[4:5], v[4:5], v[8:9]
	s_waitcnt vmcnt(8) lgkmcnt(7)
	v_mul_f64 v[8:9], v[114:115], v[42:43]
	v_fmac_f64_e32 v[148:149], v[86:87], v[16:17]
	v_add_f64 v[10:11], v[10:11], v[146:147]
	v_fma_f64 v[8:9], v[112:113], v[40:41], -v[8:9]
	v_mul_f64 v[152:153], v[92:93], v[22:23]
	v_fmac_f64_e32 v[150:151], v[90:91], v[12:13]
	v_add_f64 v[6:7], v[10:11], v[148:149]
	v_add_f64 v[4:5], v[4:5], v[8:9]
	s_waitcnt vmcnt(7) lgkmcnt(6)
	v_mul_f64 v[8:9], v[118:119], v[46:47]
	v_mul_f64 v[154:155], v[96:97], v[26:27]
	v_fmac_f64_e32 v[152:153], v[94:95], v[20:21]
	v_add_f64 v[6:7], v[6:7], v[150:151]
	v_fma_f64 v[8:9], v[116:117], v[44:45], -v[8:9]
	v_mul_f64 v[156:157], v[100:101], v[30:31]
	v_fmac_f64_e32 v[154:155], v[98:99], v[24:25]
	v_add_f64 v[6:7], v[6:7], v[152:153]
	v_add_f64 v[4:5], v[4:5], v[8:9]
	s_waitcnt vmcnt(6) lgkmcnt(5)
	v_mul_f64 v[8:9], v[122:123], v[50:51]
	;; [unrolled: 10-line block ×6, first 2 shown]
	v_mul_f64 v[174:175], v[136:137], v[66:67]
	v_fmac_f64_e32 v[172:173], v[134:135], v[60:61]
	v_add_f64 v[6:7], v[6:7], v[170:171]
	v_fma_f64 v[8:9], v[136:137], v[64:65], -v[8:9]
	s_waitcnt vmcnt(1) lgkmcnt(0)
	v_mul_f64 v[176:177], v[140:141], v[70:71]
	v_fmac_f64_e32 v[174:175], v[138:139], v[64:65]
	v_add_f64 v[6:7], v[6:7], v[172:173]
	v_add_f64 v[4:5], v[4:5], v[8:9]
	v_mul_f64 v[8:9], v[142:143], v[70:71]
	v_fmac_f64_e32 v[176:177], v[142:143], v[68:69]
	v_add_f64 v[6:7], v[6:7], v[174:175]
	v_fma_f64 v[8:9], v[140:141], v[68:69], -v[8:9]
	v_add_f64 v[6:7], v[6:7], v[176:177]
	v_add_f64 v[4:5], v[4:5], v[8:9]
	s_waitcnt vmcnt(0)
	v_add_f64 v[4:5], v[72:73], -v[4:5]
	v_add_f64 v[6:7], v[74:75], -v[6:7]
	scratch_store_dwordx4 off, v[4:7], off offset:320
	s_and_saveexec_b64 s[0:1], vcc
	s_cbranch_execz .LBB100_199
; %bb.198:
	scratch_load_dwordx4 v[6:9], off, s35
	v_mov_b32_e32 v3, v2
	v_mov_b32_e32 v4, v2
	;; [unrolled: 1-line block ×3, first 2 shown]
	scratch_store_dwordx4 off, v[2:5], off offset:304
	s_waitcnt vmcnt(1)
	ds_write_b128 v1, v[6:9]
.LBB100_199:
	s_or_b64 exec, exec, s[0:1]
	s_waitcnt lgkmcnt(0)
	; wave barrier
	ds_read_b128 v[16:19], v2 offset:896
	ds_read_b128 v[12:15], v2 offset:912
	;; [unrolled: 1-line block ×4, first 2 shown]
	scratch_load_dwordx4 v[20:23], off, off offset:320
	scratch_load_dwordx4 v[40:43], off, off offset:384
	;; [unrolled: 1-line block ×12, first 2 shown]
	v_cmp_lt_u32_e32 vcc, 17, v0
	scratch_load_dwordx4 v[48:51], off, off offset:400
	scratch_load_dwordx4 v[56:59], off, off offset:416
	scratch_load_dwordx4 v[64:67], off, off offset:432
	s_waitcnt vmcnt(14) lgkmcnt(3)
	v_mul_f64 v[24:25], v[16:17], v[22:23]
	v_fmac_f64_e32 v[24:25], v[18:19], v[20:21]
	v_add_f64 v[28:29], v[24:25], 0
	scratch_load_dwordx4 v[24:27], off, off offset:336
	s_waitcnt vmcnt(0) lgkmcnt(2)
	v_mul_f64 v[30:31], v[12:13], v[26:27]
	v_fmac_f64_e32 v[30:31], v[14:15], v[24:25]
	v_add_f64 v[32:33], v[28:29], v[30:31]
	scratch_load_dwordx4 v[28:31], off, off offset:352
	v_mul_f64 v[14:15], v[14:15], v[26:27]
	v_fma_f64 v[12:13], v[12:13], v[24:25], -v[14:15]
	s_waitcnt vmcnt(0) lgkmcnt(1)
	v_mul_f64 v[34:35], v[8:9], v[30:31]
	v_fmac_f64_e32 v[34:35], v[10:11], v[28:29]
	v_add_f64 v[36:37], v[32:33], v[34:35]
	scratch_load_dwordx4 v[32:35], off, off offset:368
	v_mul_f64 v[10:11], v[10:11], v[30:31]
	v_fma_f64 v[8:9], v[8:9], v[28:29], -v[10:11]
	s_waitcnt vmcnt(0) lgkmcnt(0)
	v_mul_f64 v[38:39], v[4:5], v[34:35]
	v_fmac_f64_e32 v[38:39], v[6:7], v[32:33]
	v_add_f64 v[44:45], v[36:37], v[38:39]
	ds_read_b128 v[36:39], v2 offset:960
	v_mul_f64 v[6:7], v[6:7], v[34:35]
	v_fma_f64 v[4:5], v[4:5], v[32:33], -v[6:7]
	s_waitcnt lgkmcnt(0)
	v_mul_f64 v[46:47], v[36:37], v[42:43]
	v_fmac_f64_e32 v[46:47], v[38:39], v[40:41]
	v_add_f64 v[52:53], v[44:45], v[46:47]
	ds_read_b128 v[44:47], v2 offset:976
	s_waitcnt lgkmcnt(0)
	v_mul_f64 v[54:55], v[44:45], v[50:51]
	v_fmac_f64_e32 v[54:55], v[46:47], v[48:49]
	v_add_f64 v[60:61], v[52:53], v[54:55]
	ds_read_b128 v[52:55], v2 offset:992
	;; [unrolled: 5-line block ×13, first 2 shown]
	s_waitcnt lgkmcnt(0)
	v_mul_f64 v[2:3], v[142:143], v[148:149]
	v_fmac_f64_e32 v[2:3], v[144:145], v[146:147]
	v_add_f64 v[80:81], v[80:81], v[2:3]
	v_mul_f64 v[2:3], v[18:19], v[22:23]
	v_fma_f64 v[2:3], v[16:17], v[20:21], -v[2:3]
	v_add_f64 v[2:3], v[2:3], 0
	v_add_f64 v[2:3], v[2:3], v[12:13]
	;; [unrolled: 1-line block ×4, first 2 shown]
	v_mul_f64 v[4:5], v[38:39], v[42:43]
	v_fma_f64 v[4:5], v[36:37], v[40:41], -v[4:5]
	v_add_f64 v[2:3], v[2:3], v[4:5]
	v_mul_f64 v[4:5], v[46:47], v[50:51]
	v_fma_f64 v[4:5], v[44:45], v[48:49], -v[4:5]
	v_add_f64 v[2:3], v[2:3], v[4:5]
	;; [unrolled: 3-line block ×14, first 2 shown]
	scratch_load_dwordx4 v[2:5], off, off offset:304
	s_waitcnt vmcnt(0)
	v_add_f64 v[2:3], v[2:3], -v[6:7]
	v_add_f64 v[4:5], v[4:5], -v[80:81]
	scratch_store_dwordx4 off, v[2:5], off offset:304
	s_and_saveexec_b64 s[0:1], vcc
	s_cbranch_execz .LBB100_201
; %bb.200:
	scratch_load_dwordx4 v[2:5], off, s36
	v_mov_b32_e32 v6, 0
	v_mov_b32_e32 v7, v6
	;; [unrolled: 1-line block ×4, first 2 shown]
	scratch_store_dwordx4 off, v[6:9], off offset:288
	s_waitcnt vmcnt(1)
	ds_write_b128 v1, v[2:5]
.LBB100_201:
	s_or_b64 exec, exec, s[0:1]
	v_mov_b32_e32 v2, 0
	s_waitcnt lgkmcnt(0)
	; wave barrier
	ds_read_b128 v[16:19], v2 offset:880
	ds_read_b128 v[12:15], v2 offset:896
	;; [unrolled: 1-line block ×4, first 2 shown]
	scratch_load_dwordx4 v[20:23], off, off offset:304
	scratch_load_dwordx4 v[40:43], off, off offset:368
	;; [unrolled: 1-line block ×13, first 2 shown]
	v_cmp_lt_u32_e32 vcc, 16, v0
	scratch_load_dwordx4 v[48:51], off, off offset:384
	scratch_load_dwordx4 v[56:59], off, off offset:400
	;; [unrolled: 1-line block ×3, first 2 shown]
	s_waitcnt vmcnt(15) lgkmcnt(3)
	v_mul_f64 v[24:25], v[16:17], v[22:23]
	v_fmac_f64_e32 v[24:25], v[18:19], v[20:21]
	v_add_f64 v[28:29], v[24:25], 0
	scratch_load_dwordx4 v[24:27], off, off offset:320
	v_mul_f64 v[18:19], v[18:19], v[22:23]
	v_fma_f64 v[16:17], v[16:17], v[20:21], -v[18:19]
	v_add_f64 v[16:17], v[16:17], 0
	s_waitcnt vmcnt(0) lgkmcnt(2)
	v_mul_f64 v[30:31], v[12:13], v[26:27]
	v_fmac_f64_e32 v[30:31], v[14:15], v[24:25]
	v_add_f64 v[32:33], v[28:29], v[30:31]
	scratch_load_dwordx4 v[28:31], off, off offset:336
	v_mul_f64 v[14:15], v[14:15], v[26:27]
	v_fma_f64 v[12:13], v[12:13], v[24:25], -v[14:15]
	v_add_f64 v[12:13], v[16:17], v[12:13]
	s_waitcnt vmcnt(0) lgkmcnt(1)
	v_mul_f64 v[34:35], v[8:9], v[30:31]
	v_fmac_f64_e32 v[34:35], v[10:11], v[28:29]
	v_add_f64 v[36:37], v[32:33], v[34:35]
	scratch_load_dwordx4 v[32:35], off, off offset:352
	v_mul_f64 v[10:11], v[10:11], v[30:31]
	v_fma_f64 v[8:9], v[8:9], v[28:29], -v[10:11]
	v_add_f64 v[8:9], v[12:13], v[8:9]
	s_waitcnt vmcnt(0) lgkmcnt(0)
	v_mul_f64 v[38:39], v[4:5], v[34:35]
	v_fmac_f64_e32 v[38:39], v[6:7], v[32:33]
	v_add_f64 v[44:45], v[36:37], v[38:39]
	ds_read_b128 v[36:39], v2 offset:944
	v_mul_f64 v[6:7], v[6:7], v[34:35]
	v_fma_f64 v[4:5], v[4:5], v[32:33], -v[6:7]
	v_add_f64 v[4:5], v[8:9], v[4:5]
	s_waitcnt lgkmcnt(0)
	v_mul_f64 v[46:47], v[36:37], v[42:43]
	v_fmac_f64_e32 v[46:47], v[38:39], v[40:41]
	v_add_f64 v[52:53], v[44:45], v[46:47]
	ds_read_b128 v[44:47], v2 offset:960
	v_mul_f64 v[6:7], v[38:39], v[42:43]
	v_fma_f64 v[6:7], v[36:37], v[40:41], -v[6:7]
	v_add_f64 v[4:5], v[4:5], v[6:7]
	s_waitcnt lgkmcnt(0)
	;; [unrolled: 8-line block ×15, first 2 shown]
	v_mul_f64 v[6:7], v[152:153], v[156:157]
	v_fma_f64 v[6:7], v[150:151], v[154:155], -v[6:7]
	v_add_f64 v[8:9], v[4:5], v[6:7]
	scratch_load_dwordx4 v[4:7], off, off offset:288
	v_mul_f64 v[158:159], v[150:151], v[156:157]
	v_fmac_f64_e32 v[158:159], v[152:153], v[154:155]
	v_add_f64 v[88:89], v[88:89], v[158:159]
	s_waitcnt vmcnt(0)
	v_add_f64 v[4:5], v[4:5], -v[8:9]
	v_add_f64 v[6:7], v[6:7], -v[88:89]
	scratch_store_dwordx4 off, v[4:7], off offset:288
	s_and_saveexec_b64 s[0:1], vcc
	s_cbranch_execz .LBB100_203
; %bb.202:
	scratch_load_dwordx4 v[6:9], off, s37
	v_mov_b32_e32 v3, v2
	v_mov_b32_e32 v4, v2
	v_mov_b32_e32 v5, v2
	scratch_store_dwordx4 off, v[2:5], off offset:272
	s_waitcnt vmcnt(1)
	ds_write_b128 v1, v[6:9]
.LBB100_203:
	s_or_b64 exec, exec, s[0:1]
	s_waitcnt lgkmcnt(0)
	; wave barrier
	ds_read_b128 v[16:19], v2 offset:864
	ds_read_b128 v[12:15], v2 offset:880
	;; [unrolled: 1-line block ×4, first 2 shown]
	scratch_load_dwordx4 v[20:23], off, off offset:288
	scratch_load_dwordx4 v[40:43], off, off offset:352
	;; [unrolled: 1-line block ×14, first 2 shown]
	v_cmp_lt_u32_e32 vcc, 15, v0
	scratch_load_dwordx4 v[48:51], off, off offset:368
	scratch_load_dwordx4 v[56:59], off, off offset:384
	;; [unrolled: 1-line block ×3, first 2 shown]
	s_waitcnt vmcnt(16) lgkmcnt(3)
	v_mul_f64 v[24:25], v[16:17], v[22:23]
	v_fmac_f64_e32 v[24:25], v[18:19], v[20:21]
	v_add_f64 v[28:29], v[24:25], 0
	scratch_load_dwordx4 v[24:27], off, off offset:304
	s_waitcnt vmcnt(0) lgkmcnt(2)
	v_mul_f64 v[30:31], v[12:13], v[26:27]
	v_fmac_f64_e32 v[30:31], v[14:15], v[24:25]
	v_add_f64 v[32:33], v[28:29], v[30:31]
	scratch_load_dwordx4 v[28:31], off, off offset:320
	v_mul_f64 v[14:15], v[14:15], v[26:27]
	v_fma_f64 v[12:13], v[12:13], v[24:25], -v[14:15]
	s_waitcnt vmcnt(0) lgkmcnt(1)
	v_mul_f64 v[34:35], v[8:9], v[30:31]
	v_fmac_f64_e32 v[34:35], v[10:11], v[28:29]
	v_add_f64 v[36:37], v[32:33], v[34:35]
	scratch_load_dwordx4 v[32:35], off, off offset:336
	v_mul_f64 v[10:11], v[10:11], v[30:31]
	v_fma_f64 v[8:9], v[8:9], v[28:29], -v[10:11]
	s_waitcnt vmcnt(0) lgkmcnt(0)
	v_mul_f64 v[38:39], v[4:5], v[34:35]
	v_fmac_f64_e32 v[38:39], v[6:7], v[32:33]
	v_add_f64 v[44:45], v[36:37], v[38:39]
	ds_read_b128 v[36:39], v2 offset:928
	v_mul_f64 v[6:7], v[6:7], v[34:35]
	v_fma_f64 v[4:5], v[4:5], v[32:33], -v[6:7]
	s_waitcnt lgkmcnt(0)
	v_mul_f64 v[46:47], v[36:37], v[42:43]
	v_fmac_f64_e32 v[46:47], v[38:39], v[40:41]
	v_add_f64 v[52:53], v[44:45], v[46:47]
	ds_read_b128 v[44:47], v2 offset:944
	s_waitcnt lgkmcnt(0)
	v_mul_f64 v[54:55], v[44:45], v[50:51]
	v_fmac_f64_e32 v[54:55], v[46:47], v[48:49]
	v_add_f64 v[60:61], v[52:53], v[54:55]
	ds_read_b128 v[52:55], v2 offset:960
	;; [unrolled: 5-line block ×15, first 2 shown]
	s_waitcnt lgkmcnt(0)
	v_mul_f64 v[2:3], v[158:159], v[164:165]
	v_fmac_f64_e32 v[2:3], v[160:161], v[162:163]
	v_add_f64 v[96:97], v[96:97], v[2:3]
	v_mul_f64 v[2:3], v[18:19], v[22:23]
	v_fma_f64 v[2:3], v[16:17], v[20:21], -v[2:3]
	v_add_f64 v[2:3], v[2:3], 0
	v_add_f64 v[2:3], v[2:3], v[12:13]
	;; [unrolled: 1-line block ×4, first 2 shown]
	v_mul_f64 v[4:5], v[38:39], v[42:43]
	v_fma_f64 v[4:5], v[36:37], v[40:41], -v[4:5]
	v_add_f64 v[2:3], v[2:3], v[4:5]
	v_mul_f64 v[4:5], v[46:47], v[50:51]
	v_fma_f64 v[4:5], v[44:45], v[48:49], -v[4:5]
	v_add_f64 v[2:3], v[2:3], v[4:5]
	;; [unrolled: 3-line block ×16, first 2 shown]
	scratch_load_dwordx4 v[2:5], off, off offset:272
	s_waitcnt vmcnt(0)
	v_add_f64 v[2:3], v[2:3], -v[6:7]
	v_add_f64 v[4:5], v[4:5], -v[96:97]
	scratch_store_dwordx4 off, v[2:5], off offset:272
	s_and_saveexec_b64 s[0:1], vcc
	s_cbranch_execz .LBB100_205
; %bb.204:
	scratch_load_dwordx4 v[2:5], off, s38
	v_mov_b32_e32 v6, 0
	v_mov_b32_e32 v7, v6
	;; [unrolled: 1-line block ×4, first 2 shown]
	scratch_store_dwordx4 off, v[6:9], off offset:256
	s_waitcnt vmcnt(1)
	ds_write_b128 v1, v[2:5]
.LBB100_205:
	s_or_b64 exec, exec, s[0:1]
	v_mov_b32_e32 v2, 0
	s_waitcnt lgkmcnt(0)
	; wave barrier
	ds_read_b128 v[16:19], v2 offset:848
	ds_read_b128 v[12:15], v2 offset:864
	;; [unrolled: 1-line block ×4, first 2 shown]
	scratch_load_dwordx4 v[20:23], off, off offset:272
	scratch_load_dwordx4 v[40:43], off, off offset:336
	;; [unrolled: 1-line block ×15, first 2 shown]
	v_cmp_lt_u32_e32 vcc, 14, v0
	scratch_load_dwordx4 v[48:51], off, off offset:352
	scratch_load_dwordx4 v[56:59], off, off offset:368
	;; [unrolled: 1-line block ×3, first 2 shown]
	s_waitcnt vmcnt(17) lgkmcnt(3)
	v_mul_f64 v[24:25], v[16:17], v[22:23]
	v_fmac_f64_e32 v[24:25], v[18:19], v[20:21]
	v_add_f64 v[28:29], v[24:25], 0
	scratch_load_dwordx4 v[24:27], off, off offset:288
	v_mul_f64 v[18:19], v[18:19], v[22:23]
	v_fma_f64 v[16:17], v[16:17], v[20:21], -v[18:19]
	v_add_f64 v[16:17], v[16:17], 0
	s_waitcnt vmcnt(0) lgkmcnt(2)
	v_mul_f64 v[30:31], v[12:13], v[26:27]
	v_fmac_f64_e32 v[30:31], v[14:15], v[24:25]
	v_add_f64 v[32:33], v[28:29], v[30:31]
	scratch_load_dwordx4 v[28:31], off, off offset:304
	v_mul_f64 v[14:15], v[14:15], v[26:27]
	v_fma_f64 v[12:13], v[12:13], v[24:25], -v[14:15]
	v_add_f64 v[12:13], v[16:17], v[12:13]
	;; [unrolled: 8-line block ×3, first 2 shown]
	s_waitcnt vmcnt(0) lgkmcnt(0)
	v_mul_f64 v[38:39], v[4:5], v[34:35]
	v_fmac_f64_e32 v[38:39], v[6:7], v[32:33]
	v_add_f64 v[44:45], v[36:37], v[38:39]
	ds_read_b128 v[36:39], v2 offset:912
	v_mul_f64 v[6:7], v[6:7], v[34:35]
	v_fma_f64 v[4:5], v[4:5], v[32:33], -v[6:7]
	v_add_f64 v[4:5], v[8:9], v[4:5]
	s_waitcnt lgkmcnt(0)
	v_mul_f64 v[46:47], v[36:37], v[42:43]
	v_fmac_f64_e32 v[46:47], v[38:39], v[40:41]
	v_add_f64 v[52:53], v[44:45], v[46:47]
	ds_read_b128 v[44:47], v2 offset:928
	v_mul_f64 v[6:7], v[38:39], v[42:43]
	v_fma_f64 v[6:7], v[36:37], v[40:41], -v[6:7]
	v_add_f64 v[4:5], v[4:5], v[6:7]
	s_waitcnt lgkmcnt(0)
	;; [unrolled: 8-line block ×17, first 2 shown]
	v_mul_f64 v[6:7], v[168:169], v[172:173]
	v_fma_f64 v[6:7], v[166:167], v[170:171], -v[6:7]
	v_add_f64 v[8:9], v[4:5], v[6:7]
	scratch_load_dwordx4 v[4:7], off, off offset:256
	v_mul_f64 v[174:175], v[166:167], v[172:173]
	v_fmac_f64_e32 v[174:175], v[168:169], v[170:171]
	v_add_f64 v[104:105], v[104:105], v[174:175]
	s_waitcnt vmcnt(0)
	v_add_f64 v[4:5], v[4:5], -v[8:9]
	v_add_f64 v[6:7], v[6:7], -v[104:105]
	scratch_store_dwordx4 off, v[4:7], off offset:256
	s_and_saveexec_b64 s[0:1], vcc
	s_cbranch_execz .LBB100_207
; %bb.206:
	scratch_load_dwordx4 v[6:9], off, s39
	v_mov_b32_e32 v3, v2
	v_mov_b32_e32 v4, v2
	;; [unrolled: 1-line block ×3, first 2 shown]
	scratch_store_dwordx4 off, v[2:5], off offset:240
	s_waitcnt vmcnt(1)
	ds_write_b128 v1, v[6:9]
.LBB100_207:
	s_or_b64 exec, exec, s[0:1]
	s_waitcnt lgkmcnt(0)
	; wave barrier
	ds_read_b128 v[16:19], v2 offset:832
	ds_read_b128 v[12:15], v2 offset:848
	;; [unrolled: 1-line block ×4, first 2 shown]
	scratch_load_dwordx4 v[20:23], off, off offset:256
	scratch_load_dwordx4 v[40:43], off, off offset:320
	;; [unrolled: 1-line block ×16, first 2 shown]
	v_cmp_lt_u32_e32 vcc, 13, v0
	scratch_load_dwordx4 v[48:51], off, off offset:336
	scratch_load_dwordx4 v[56:59], off, off offset:352
	;; [unrolled: 1-line block ×3, first 2 shown]
	s_waitcnt vmcnt(18) lgkmcnt(3)
	v_mul_f64 v[24:25], v[16:17], v[22:23]
	v_fmac_f64_e32 v[24:25], v[18:19], v[20:21]
	v_add_f64 v[28:29], v[24:25], 0
	scratch_load_dwordx4 v[24:27], off, off offset:272
	s_waitcnt vmcnt(0) lgkmcnt(2)
	v_mul_f64 v[30:31], v[12:13], v[26:27]
	v_fmac_f64_e32 v[30:31], v[14:15], v[24:25]
	v_add_f64 v[32:33], v[28:29], v[30:31]
	scratch_load_dwordx4 v[28:31], off, off offset:288
	v_mul_f64 v[14:15], v[14:15], v[26:27]
	v_fma_f64 v[12:13], v[12:13], v[24:25], -v[14:15]
	s_waitcnt vmcnt(0) lgkmcnt(1)
	v_mul_f64 v[34:35], v[8:9], v[30:31]
	v_fmac_f64_e32 v[34:35], v[10:11], v[28:29]
	v_add_f64 v[36:37], v[32:33], v[34:35]
	scratch_load_dwordx4 v[32:35], off, off offset:304
	v_mul_f64 v[10:11], v[10:11], v[30:31]
	v_fma_f64 v[8:9], v[8:9], v[28:29], -v[10:11]
	s_waitcnt vmcnt(0) lgkmcnt(0)
	v_mul_f64 v[38:39], v[4:5], v[34:35]
	v_fmac_f64_e32 v[38:39], v[6:7], v[32:33]
	v_add_f64 v[44:45], v[36:37], v[38:39]
	ds_read_b128 v[36:39], v2 offset:896
	v_mul_f64 v[6:7], v[6:7], v[34:35]
	v_fma_f64 v[4:5], v[4:5], v[32:33], -v[6:7]
	s_waitcnt lgkmcnt(0)
	v_mul_f64 v[46:47], v[36:37], v[42:43]
	v_fmac_f64_e32 v[46:47], v[38:39], v[40:41]
	v_add_f64 v[52:53], v[44:45], v[46:47]
	ds_read_b128 v[44:47], v2 offset:912
	s_waitcnt lgkmcnt(0)
	v_mul_f64 v[54:55], v[44:45], v[50:51]
	v_fmac_f64_e32 v[54:55], v[46:47], v[48:49]
	v_add_f64 v[60:61], v[52:53], v[54:55]
	ds_read_b128 v[52:55], v2 offset:928
	;; [unrolled: 5-line block ×17, first 2 shown]
	s_waitcnt lgkmcnt(0)
	v_mul_f64 v[2:3], v[174:175], v[180:181]
	v_fmac_f64_e32 v[2:3], v[176:177], v[178:179]
	v_add_f64 v[120:121], v[120:121], v[2:3]
	v_mul_f64 v[2:3], v[18:19], v[22:23]
	v_fma_f64 v[2:3], v[16:17], v[20:21], -v[2:3]
	v_add_f64 v[2:3], v[2:3], 0
	v_add_f64 v[2:3], v[2:3], v[12:13]
	;; [unrolled: 1-line block ×4, first 2 shown]
	v_mul_f64 v[4:5], v[38:39], v[42:43]
	v_fma_f64 v[4:5], v[36:37], v[40:41], -v[4:5]
	v_add_f64 v[2:3], v[2:3], v[4:5]
	v_mul_f64 v[4:5], v[46:47], v[50:51]
	v_fma_f64 v[4:5], v[44:45], v[48:49], -v[4:5]
	v_add_f64 v[2:3], v[2:3], v[4:5]
	v_mul_f64 v[4:5], v[54:55], v[58:59]
	v_fma_f64 v[4:5], v[52:53], v[56:57], -v[4:5]
	v_add_f64 v[2:3], v[2:3], v[4:5]
	v_mul_f64 v[4:5], v[62:63], v[66:67]
	v_fma_f64 v[4:5], v[60:61], v[64:65], -v[4:5]
	v_add_f64 v[2:3], v[2:3], v[4:5]
	v_mul_f64 v[4:5], v[70:71], v[74:75]
	v_fma_f64 v[4:5], v[68:69], v[72:73], -v[4:5]
	v_add_f64 v[2:3], v[2:3], v[4:5]
	v_mul_f64 v[4:5], v[78:79], v[82:83]
	v_fma_f64 v[4:5], v[76:77], v[80:81], -v[4:5]
	v_add_f64 v[2:3], v[2:3], v[4:5]
	v_mul_f64 v[4:5], v[86:87], v[90:91]
	v_fma_f64 v[4:5], v[84:85], v[88:89], -v[4:5]
	v_add_f64 v[2:3], v[2:3], v[4:5]
	v_mul_f64 v[4:5], v[94:95], v[98:99]
	v_fma_f64 v[4:5], v[92:93], v[96:97], -v[4:5]
	v_add_f64 v[2:3], v[2:3], v[4:5]
	v_mul_f64 v[4:5], v[102:103], v[106:107]
	v_fma_f64 v[4:5], v[100:101], v[104:105], -v[4:5]
	v_add_f64 v[2:3], v[2:3], v[4:5]
	v_mul_f64 v[4:5], v[110:111], v[114:115]
	v_fma_f64 v[4:5], v[108:109], v[112:113], -v[4:5]
	v_add_f64 v[2:3], v[2:3], v[4:5]
	v_mul_f64 v[4:5], v[118:119], v[124:125]
	v_fma_f64 v[4:5], v[116:117], v[122:123], -v[4:5]
	v_add_f64 v[2:3], v[2:3], v[4:5]
	v_mul_f64 v[4:5], v[128:129], v[132:133]
	v_fma_f64 v[4:5], v[126:127], v[130:131], -v[4:5]
	v_add_f64 v[2:3], v[2:3], v[4:5]
	v_mul_f64 v[4:5], v[136:137], v[140:141]
	v_fma_f64 v[4:5], v[134:135], v[138:139], -v[4:5]
	v_add_f64 v[2:3], v[2:3], v[4:5]
	v_mul_f64 v[4:5], v[144:145], v[148:149]
	v_fma_f64 v[4:5], v[142:143], v[146:147], -v[4:5]
	v_add_f64 v[2:3], v[2:3], v[4:5]
	v_mul_f64 v[4:5], v[152:153], v[156:157]
	v_fma_f64 v[4:5], v[150:151], v[154:155], -v[4:5]
	v_add_f64 v[2:3], v[2:3], v[4:5]
	v_mul_f64 v[4:5], v[160:161], v[164:165]
	v_fma_f64 v[4:5], v[158:159], v[162:163], -v[4:5]
	v_add_f64 v[2:3], v[2:3], v[4:5]
	v_mul_f64 v[4:5], v[168:169], v[172:173]
	v_fma_f64 v[4:5], v[166:167], v[170:171], -v[4:5]
	v_add_f64 v[2:3], v[2:3], v[4:5]
	v_mul_f64 v[4:5], v[176:177], v[180:181]
	v_fma_f64 v[4:5], v[174:175], v[178:179], -v[4:5]
	v_add_f64 v[6:7], v[2:3], v[4:5]
	scratch_load_dwordx4 v[2:5], off, off offset:240
	s_waitcnt vmcnt(0)
	v_add_f64 v[2:3], v[2:3], -v[6:7]
	v_add_f64 v[4:5], v[4:5], -v[120:121]
	scratch_store_dwordx4 off, v[2:5], off offset:240
	s_and_saveexec_b64 s[0:1], vcc
	s_cbranch_execz .LBB100_209
; %bb.208:
	scratch_load_dwordx4 v[2:5], off, s40
	v_mov_b32_e32 v6, 0
	v_mov_b32_e32 v7, v6
	;; [unrolled: 1-line block ×4, first 2 shown]
	scratch_store_dwordx4 off, v[6:9], off offset:224
	s_waitcnt vmcnt(1)
	ds_write_b128 v1, v[2:5]
.LBB100_209:
	s_or_b64 exec, exec, s[0:1]
	v_mov_b32_e32 v2, 0
	s_waitcnt lgkmcnt(0)
	; wave barrier
	ds_read_b128 v[16:19], v2 offset:816
	ds_read_b128 v[12:15], v2 offset:832
	;; [unrolled: 1-line block ×4, first 2 shown]
	scratch_load_dwordx4 v[20:23], off, off offset:240
	scratch_load_dwordx4 v[40:43], off, off offset:304
	;; [unrolled: 1-line block ×17, first 2 shown]
	v_cmp_lt_u32_e32 vcc, 12, v0
	scratch_load_dwordx4 v[48:51], off, off offset:320
	scratch_load_dwordx4 v[56:59], off, off offset:336
	;; [unrolled: 1-line block ×3, first 2 shown]
	s_waitcnt vmcnt(19) lgkmcnt(3)
	v_mul_f64 v[24:25], v[16:17], v[22:23]
	v_fmac_f64_e32 v[24:25], v[18:19], v[20:21]
	v_add_f64 v[28:29], v[24:25], 0
	scratch_load_dwordx4 v[24:27], off, off offset:256
	v_mul_f64 v[18:19], v[18:19], v[22:23]
	v_fma_f64 v[16:17], v[16:17], v[20:21], -v[18:19]
	v_add_f64 v[16:17], v[16:17], 0
	s_waitcnt vmcnt(0) lgkmcnt(2)
	v_mul_f64 v[30:31], v[12:13], v[26:27]
	v_fmac_f64_e32 v[30:31], v[14:15], v[24:25]
	v_add_f64 v[32:33], v[28:29], v[30:31]
	scratch_load_dwordx4 v[28:31], off, off offset:272
	v_mul_f64 v[14:15], v[14:15], v[26:27]
	v_fma_f64 v[12:13], v[12:13], v[24:25], -v[14:15]
	v_add_f64 v[12:13], v[16:17], v[12:13]
	;; [unrolled: 8-line block ×3, first 2 shown]
	s_waitcnt vmcnt(0) lgkmcnt(0)
	v_mul_f64 v[38:39], v[4:5], v[34:35]
	v_fmac_f64_e32 v[38:39], v[6:7], v[32:33]
	v_add_f64 v[44:45], v[36:37], v[38:39]
	ds_read_b128 v[36:39], v2 offset:880
	v_mul_f64 v[6:7], v[6:7], v[34:35]
	v_fma_f64 v[4:5], v[4:5], v[32:33], -v[6:7]
	v_add_f64 v[4:5], v[8:9], v[4:5]
	s_waitcnt lgkmcnt(0)
	v_mul_f64 v[46:47], v[36:37], v[42:43]
	v_fmac_f64_e32 v[46:47], v[38:39], v[40:41]
	v_add_f64 v[52:53], v[44:45], v[46:47]
	ds_read_b128 v[44:47], v2 offset:896
	v_mul_f64 v[6:7], v[38:39], v[42:43]
	v_fma_f64 v[6:7], v[36:37], v[40:41], -v[6:7]
	v_add_f64 v[4:5], v[4:5], v[6:7]
	s_waitcnt lgkmcnt(0)
	;; [unrolled: 8-line block ×19, first 2 shown]
	v_mul_f64 v[6:7], v[184:185], v[188:189]
	v_fma_f64 v[6:7], v[182:183], v[186:187], -v[6:7]
	v_add_f64 v[8:9], v[4:5], v[6:7]
	scratch_load_dwordx4 v[4:7], off, off offset:224
	v_mul_f64 v[190:191], v[182:183], v[188:189]
	v_fmac_f64_e32 v[190:191], v[184:185], v[186:187]
	v_add_f64 v[128:129], v[128:129], v[190:191]
	s_waitcnt vmcnt(0)
	v_add_f64 v[4:5], v[4:5], -v[8:9]
	v_add_f64 v[6:7], v[6:7], -v[128:129]
	scratch_store_dwordx4 off, v[4:7], off offset:224
	s_and_saveexec_b64 s[0:1], vcc
	s_cbranch_execz .LBB100_211
; %bb.210:
	scratch_load_dwordx4 v[6:9], off, s41
	v_mov_b32_e32 v3, v2
	v_mov_b32_e32 v4, v2
	;; [unrolled: 1-line block ×3, first 2 shown]
	scratch_store_dwordx4 off, v[2:5], off offset:208
	s_waitcnt vmcnt(1)
	ds_write_b128 v1, v[6:9]
.LBB100_211:
	s_or_b64 exec, exec, s[0:1]
	s_waitcnt lgkmcnt(0)
	; wave barrier
	ds_read_b128 v[16:19], v2 offset:800
	ds_read_b128 v[12:15], v2 offset:816
	;; [unrolled: 1-line block ×4, first 2 shown]
	scratch_load_dwordx4 v[20:23], off, off offset:224
	scratch_load_dwordx4 v[40:43], off, off offset:288
	;; [unrolled: 1-line block ×18, first 2 shown]
	v_cmp_lt_u32_e32 vcc, 11, v0
	scratch_load_dwordx4 v[48:51], off, off offset:304
	scratch_load_dwordx4 v[56:59], off, off offset:320
	;; [unrolled: 1-line block ×3, first 2 shown]
	s_waitcnt vmcnt(20) lgkmcnt(3)
	v_mul_f64 v[24:25], v[16:17], v[22:23]
	v_fmac_f64_e32 v[24:25], v[18:19], v[20:21]
	v_add_f64 v[28:29], v[24:25], 0
	scratch_load_dwordx4 v[24:27], off, off offset:240
	s_waitcnt vmcnt(0) lgkmcnt(2)
	v_mul_f64 v[30:31], v[12:13], v[26:27]
	v_fmac_f64_e32 v[30:31], v[14:15], v[24:25]
	v_add_f64 v[32:33], v[28:29], v[30:31]
	scratch_load_dwordx4 v[28:31], off, off offset:256
	v_mul_f64 v[14:15], v[14:15], v[26:27]
	v_fma_f64 v[12:13], v[12:13], v[24:25], -v[14:15]
	s_waitcnt vmcnt(0) lgkmcnt(1)
	v_mul_f64 v[34:35], v[8:9], v[30:31]
	v_fmac_f64_e32 v[34:35], v[10:11], v[28:29]
	v_add_f64 v[36:37], v[32:33], v[34:35]
	scratch_load_dwordx4 v[32:35], off, off offset:272
	v_mul_f64 v[10:11], v[10:11], v[30:31]
	v_fma_f64 v[8:9], v[8:9], v[28:29], -v[10:11]
	s_waitcnt vmcnt(0) lgkmcnt(0)
	v_mul_f64 v[38:39], v[4:5], v[34:35]
	v_fmac_f64_e32 v[38:39], v[6:7], v[32:33]
	v_add_f64 v[44:45], v[36:37], v[38:39]
	ds_read_b128 v[36:39], v2 offset:864
	v_mul_f64 v[6:7], v[6:7], v[34:35]
	v_fma_f64 v[4:5], v[4:5], v[32:33], -v[6:7]
	s_waitcnt lgkmcnt(0)
	v_mul_f64 v[46:47], v[36:37], v[42:43]
	v_fmac_f64_e32 v[46:47], v[38:39], v[40:41]
	v_add_f64 v[52:53], v[44:45], v[46:47]
	ds_read_b128 v[44:47], v2 offset:880
	s_waitcnt lgkmcnt(0)
	v_mul_f64 v[54:55], v[44:45], v[50:51]
	v_fmac_f64_e32 v[54:55], v[46:47], v[48:49]
	v_add_f64 v[60:61], v[52:53], v[54:55]
	ds_read_b128 v[52:55], v2 offset:896
	;; [unrolled: 5-line block ×19, first 2 shown]
	s_waitcnt lgkmcnt(0)
	v_mul_f64 v[2:3], v[190:191], v[196:197]
	v_fmac_f64_e32 v[2:3], v[192:193], v[194:195]
	v_add_f64 v[148:149], v[148:149], v[2:3]
	v_mul_f64 v[2:3], v[18:19], v[22:23]
	v_fma_f64 v[2:3], v[16:17], v[20:21], -v[2:3]
	v_add_f64 v[2:3], v[2:3], 0
	v_add_f64 v[2:3], v[2:3], v[12:13]
	;; [unrolled: 1-line block ×4, first 2 shown]
	v_mul_f64 v[4:5], v[38:39], v[42:43]
	v_fma_f64 v[4:5], v[36:37], v[40:41], -v[4:5]
	v_add_f64 v[2:3], v[2:3], v[4:5]
	v_mul_f64 v[4:5], v[46:47], v[50:51]
	v_fma_f64 v[4:5], v[44:45], v[48:49], -v[4:5]
	v_add_f64 v[2:3], v[2:3], v[4:5]
	;; [unrolled: 3-line block ×20, first 2 shown]
	scratch_load_dwordx4 v[2:5], off, off offset:208
	s_waitcnt vmcnt(0)
	v_add_f64 v[2:3], v[2:3], -v[6:7]
	v_add_f64 v[4:5], v[4:5], -v[148:149]
	scratch_store_dwordx4 off, v[2:5], off offset:208
	s_and_saveexec_b64 s[0:1], vcc
	s_cbranch_execz .LBB100_213
; %bb.212:
	scratch_load_dwordx4 v[2:5], off, s42
	v_mov_b32_e32 v6, 0
	v_mov_b32_e32 v7, v6
	;; [unrolled: 1-line block ×4, first 2 shown]
	scratch_store_dwordx4 off, v[6:9], off offset:192
	s_waitcnt vmcnt(1)
	ds_write_b128 v1, v[2:5]
.LBB100_213:
	s_or_b64 exec, exec, s[0:1]
	v_mov_b32_e32 v2, 0
	s_waitcnt lgkmcnt(0)
	; wave barrier
	ds_read_b128 v[16:19], v2 offset:784
	ds_read_b128 v[12:15], v2 offset:800
	;; [unrolled: 1-line block ×4, first 2 shown]
	scratch_load_dwordx4 v[20:23], off, off offset:208
	scratch_load_dwordx4 v[40:43], off, off offset:272
	;; [unrolled: 1-line block ×19, first 2 shown]
	v_cmp_lt_u32_e32 vcc, 10, v0
	scratch_load_dwordx4 v[48:51], off, off offset:288
	scratch_load_dwordx4 v[56:59], off, off offset:304
	;; [unrolled: 1-line block ×3, first 2 shown]
	s_waitcnt vmcnt(21) lgkmcnt(3)
	v_mul_f64 v[24:25], v[16:17], v[22:23]
	v_fmac_f64_e32 v[24:25], v[18:19], v[20:21]
	v_add_f64 v[28:29], v[24:25], 0
	scratch_load_dwordx4 v[24:27], off, off offset:224
	v_mul_f64 v[18:19], v[18:19], v[22:23]
	v_fma_f64 v[16:17], v[16:17], v[20:21], -v[18:19]
	v_add_f64 v[16:17], v[16:17], 0
	s_waitcnt vmcnt(0) lgkmcnt(2)
	v_mul_f64 v[30:31], v[12:13], v[26:27]
	v_fmac_f64_e32 v[30:31], v[14:15], v[24:25]
	v_add_f64 v[32:33], v[28:29], v[30:31]
	scratch_load_dwordx4 v[28:31], off, off offset:240
	v_mul_f64 v[14:15], v[14:15], v[26:27]
	v_fma_f64 v[12:13], v[12:13], v[24:25], -v[14:15]
	v_add_f64 v[12:13], v[16:17], v[12:13]
	;; [unrolled: 8-line block ×3, first 2 shown]
	s_waitcnt vmcnt(0) lgkmcnt(0)
	v_mul_f64 v[38:39], v[4:5], v[34:35]
	v_fmac_f64_e32 v[38:39], v[6:7], v[32:33]
	v_add_f64 v[44:45], v[36:37], v[38:39]
	ds_read_b128 v[36:39], v2 offset:848
	v_mul_f64 v[6:7], v[6:7], v[34:35]
	v_fma_f64 v[4:5], v[4:5], v[32:33], -v[6:7]
	v_add_f64 v[4:5], v[8:9], v[4:5]
	s_waitcnt lgkmcnt(0)
	v_mul_f64 v[46:47], v[36:37], v[42:43]
	v_fmac_f64_e32 v[46:47], v[38:39], v[40:41]
	v_add_f64 v[52:53], v[44:45], v[46:47]
	ds_read_b128 v[44:47], v2 offset:864
	v_mul_f64 v[6:7], v[38:39], v[42:43]
	v_fma_f64 v[6:7], v[36:37], v[40:41], -v[6:7]
	v_add_f64 v[4:5], v[4:5], v[6:7]
	s_waitcnt lgkmcnt(0)
	;; [unrolled: 8-line block ×21, first 2 shown]
	v_mul_f64 v[6:7], v[200:201], v[204:205]
	v_fma_f64 v[6:7], v[198:199], v[202:203], -v[6:7]
	v_add_f64 v[8:9], v[4:5], v[6:7]
	scratch_load_dwordx4 v[4:7], off, off offset:192
	v_mul_f64 v[206:207], v[198:199], v[204:205]
	v_fmac_f64_e32 v[206:207], v[200:201], v[202:203]
	v_add_f64 v[144:145], v[144:145], v[206:207]
	s_waitcnt vmcnt(0)
	v_add_f64 v[4:5], v[4:5], -v[8:9]
	v_add_f64 v[6:7], v[6:7], -v[144:145]
	scratch_store_dwordx4 off, v[4:7], off offset:192
	s_and_saveexec_b64 s[0:1], vcc
	s_cbranch_execz .LBB100_215
; %bb.214:
	scratch_load_dwordx4 v[6:9], off, s43
	v_mov_b32_e32 v3, v2
	v_mov_b32_e32 v4, v2
	;; [unrolled: 1-line block ×3, first 2 shown]
	scratch_store_dwordx4 off, v[2:5], off offset:176
	s_waitcnt vmcnt(1)
	ds_write_b128 v1, v[6:9]
.LBB100_215:
	s_or_b64 exec, exec, s[0:1]
	s_waitcnt lgkmcnt(0)
	; wave barrier
	ds_read_b128 v[16:19], v2 offset:768
	ds_read_b128 v[12:15], v2 offset:784
	;; [unrolled: 1-line block ×4, first 2 shown]
	scratch_load_dwordx4 v[20:23], off, off offset:192
	scratch_load_dwordx4 v[40:43], off, off offset:256
	scratch_load_dwordx4 v[72:75], off, off offset:320
	scratch_load_dwordx4 v[80:83], off, off offset:336
	scratch_load_dwordx4 v[88:91], off, off offset:352
	scratch_load_dwordx4 v[96:99], off, off offset:368
	scratch_load_dwordx4 v[104:107], off, off offset:384
	scratch_load_dwordx4 v[112:115], off, off offset:400
	scratch_load_dwordx4 v[120:123], off, off offset:416
	scratch_load_dwordx4 v[128:131], off, off offset:432
	scratch_load_dwordx4 v[136:139], off, off offset:448
	scratch_load_dwordx4 v[144:147], off, off offset:464
	scratch_load_dwordx4 v[152:155], off, off offset:480
	scratch_load_dwordx4 v[160:163], off, off offset:496
	scratch_load_dwordx4 v[170:173], off, off offset:512
	scratch_load_dwordx4 v[178:181], off, off offset:528
	scratch_load_dwordx4 v[186:189], off, off offset:544
	scratch_load_dwordx4 v[194:197], off, off offset:560
	scratch_load_dwordx4 v[202:205], off, off offset:576
	scratch_load_dwordx4 v[210:213], off, off offset:592
	v_cmp_lt_u32_e32 vcc, 9, v0
	scratch_load_dwordx4 v[48:51], off, off offset:272
	scratch_load_dwordx4 v[56:59], off, off offset:288
	;; [unrolled: 1-line block ×3, first 2 shown]
	s_waitcnt vmcnt(22) lgkmcnt(3)
	v_mul_f64 v[24:25], v[16:17], v[22:23]
	v_fmac_f64_e32 v[24:25], v[18:19], v[20:21]
	v_add_f64 v[28:29], v[24:25], 0
	scratch_load_dwordx4 v[24:27], off, off offset:208
	s_waitcnt vmcnt(0) lgkmcnt(2)
	v_mul_f64 v[30:31], v[12:13], v[26:27]
	v_fmac_f64_e32 v[30:31], v[14:15], v[24:25]
	v_add_f64 v[32:33], v[28:29], v[30:31]
	scratch_load_dwordx4 v[28:31], off, off offset:224
	v_mul_f64 v[14:15], v[14:15], v[26:27]
	v_fma_f64 v[12:13], v[12:13], v[24:25], -v[14:15]
	s_waitcnt vmcnt(0) lgkmcnt(1)
	v_mul_f64 v[34:35], v[8:9], v[30:31]
	v_fmac_f64_e32 v[34:35], v[10:11], v[28:29]
	v_add_f64 v[36:37], v[32:33], v[34:35]
	scratch_load_dwordx4 v[32:35], off, off offset:240
	v_mul_f64 v[10:11], v[10:11], v[30:31]
	v_fma_f64 v[8:9], v[8:9], v[28:29], -v[10:11]
	s_waitcnt vmcnt(0) lgkmcnt(0)
	v_mul_f64 v[38:39], v[4:5], v[34:35]
	v_fmac_f64_e32 v[38:39], v[6:7], v[32:33]
	v_add_f64 v[44:45], v[36:37], v[38:39]
	ds_read_b128 v[36:39], v2 offset:832
	v_mul_f64 v[6:7], v[6:7], v[34:35]
	v_fma_f64 v[4:5], v[4:5], v[32:33], -v[6:7]
	s_waitcnt lgkmcnt(0)
	v_mul_f64 v[46:47], v[36:37], v[42:43]
	v_fmac_f64_e32 v[46:47], v[38:39], v[40:41]
	v_add_f64 v[52:53], v[44:45], v[46:47]
	ds_read_b128 v[44:47], v2 offset:848
	s_waitcnt lgkmcnt(0)
	v_mul_f64 v[54:55], v[44:45], v[50:51]
	v_fmac_f64_e32 v[54:55], v[46:47], v[48:49]
	v_add_f64 v[60:61], v[52:53], v[54:55]
	ds_read_b128 v[52:55], v2 offset:864
	;; [unrolled: 5-line block ×21, first 2 shown]
	s_waitcnt lgkmcnt(0)
	v_mul_f64 v[2:3], v[206:207], v[212:213]
	v_fmac_f64_e32 v[2:3], v[208:209], v[210:211]
	v_add_f64 v[168:169], v[168:169], v[2:3]
	v_mul_f64 v[2:3], v[18:19], v[22:23]
	v_fma_f64 v[2:3], v[16:17], v[20:21], -v[2:3]
	v_add_f64 v[2:3], v[2:3], 0
	v_add_f64 v[2:3], v[2:3], v[12:13]
	;; [unrolled: 1-line block ×4, first 2 shown]
	v_mul_f64 v[4:5], v[38:39], v[42:43]
	v_fma_f64 v[4:5], v[36:37], v[40:41], -v[4:5]
	v_add_f64 v[2:3], v[2:3], v[4:5]
	v_mul_f64 v[4:5], v[46:47], v[50:51]
	v_fma_f64 v[4:5], v[44:45], v[48:49], -v[4:5]
	v_add_f64 v[2:3], v[2:3], v[4:5]
	;; [unrolled: 3-line block ×22, first 2 shown]
	scratch_load_dwordx4 v[2:5], off, off offset:176
	s_waitcnt vmcnt(0)
	v_add_f64 v[2:3], v[2:3], -v[6:7]
	v_add_f64 v[4:5], v[4:5], -v[168:169]
	scratch_store_dwordx4 off, v[2:5], off offset:176
	s_and_saveexec_b64 s[0:1], vcc
	s_cbranch_execz .LBB100_217
; %bb.216:
	scratch_load_dwordx4 v[2:5], off, s44
	v_mov_b32_e32 v6, 0
	v_mov_b32_e32 v7, v6
	v_mov_b32_e32 v8, v6
	v_mov_b32_e32 v9, v6
	scratch_store_dwordx4 off, v[6:9], off offset:160
	s_waitcnt vmcnt(1)
	ds_write_b128 v1, v[2:5]
.LBB100_217:
	s_or_b64 exec, exec, s[0:1]
	v_mov_b32_e32 v2, 0
	s_waitcnt lgkmcnt(0)
	; wave barrier
	ds_read_b128 v[16:19], v2 offset:752
	ds_read_b128 v[12:15], v2 offset:768
	;; [unrolled: 1-line block ×4, first 2 shown]
	scratch_load_dwordx4 v[20:23], off, off offset:176
	scratch_load_dwordx4 v[40:43], off, off offset:240
	;; [unrolled: 1-line block ×21, first 2 shown]
	v_cmp_lt_u32_e32 vcc, 8, v0
	scratch_load_dwordx4 v[48:51], off, off offset:256
	scratch_load_dwordx4 v[56:59], off, off offset:272
	;; [unrolled: 1-line block ×3, first 2 shown]
	s_waitcnt vmcnt(23) lgkmcnt(3)
	v_mul_f64 v[24:25], v[16:17], v[22:23]
	v_fmac_f64_e32 v[24:25], v[18:19], v[20:21]
	v_add_f64 v[28:29], v[24:25], 0
	scratch_load_dwordx4 v[24:27], off, off offset:192
	v_mul_f64 v[18:19], v[18:19], v[22:23]
	v_fma_f64 v[16:17], v[16:17], v[20:21], -v[18:19]
	v_add_f64 v[16:17], v[16:17], 0
	s_waitcnt vmcnt(0) lgkmcnt(2)
	v_mul_f64 v[30:31], v[12:13], v[26:27]
	v_fmac_f64_e32 v[30:31], v[14:15], v[24:25]
	v_add_f64 v[32:33], v[28:29], v[30:31]
	scratch_load_dwordx4 v[28:31], off, off offset:208
	v_mul_f64 v[14:15], v[14:15], v[26:27]
	v_fma_f64 v[12:13], v[12:13], v[24:25], -v[14:15]
	v_add_f64 v[12:13], v[16:17], v[12:13]
	;; [unrolled: 8-line block ×3, first 2 shown]
	s_waitcnt vmcnt(0) lgkmcnt(0)
	v_mul_f64 v[38:39], v[4:5], v[34:35]
	v_fmac_f64_e32 v[38:39], v[6:7], v[32:33]
	v_add_f64 v[44:45], v[36:37], v[38:39]
	ds_read_b128 v[36:39], v2 offset:816
	v_mul_f64 v[6:7], v[6:7], v[34:35]
	v_fma_f64 v[4:5], v[4:5], v[32:33], -v[6:7]
	v_add_f64 v[4:5], v[8:9], v[4:5]
	s_waitcnt lgkmcnt(0)
	v_mul_f64 v[46:47], v[36:37], v[42:43]
	v_fmac_f64_e32 v[46:47], v[38:39], v[40:41]
	v_add_f64 v[52:53], v[44:45], v[46:47]
	ds_read_b128 v[44:47], v2 offset:832
	v_mul_f64 v[6:7], v[38:39], v[42:43]
	v_fma_f64 v[6:7], v[36:37], v[40:41], -v[6:7]
	v_add_f64 v[4:5], v[4:5], v[6:7]
	s_waitcnt lgkmcnt(0)
	v_mul_f64 v[54:55], v[44:45], v[50:51]
	v_fmac_f64_e32 v[54:55], v[46:47], v[48:49]
	v_add_f64 v[60:61], v[52:53], v[54:55]
	ds_read_b128 v[52:55], v2 offset:848
	v_mul_f64 v[6:7], v[46:47], v[50:51]
	v_fma_f64 v[6:7], v[44:45], v[48:49], -v[6:7]
	v_add_f64 v[4:5], v[4:5], v[6:7]
	s_waitcnt lgkmcnt(0)
	v_mul_f64 v[62:63], v[52:53], v[58:59]
	v_fmac_f64_e32 v[62:63], v[54:55], v[56:57]
	v_add_f64 v[68:69], v[60:61], v[62:63]
	ds_read_b128 v[60:63], v2 offset:864
	v_mul_f64 v[6:7], v[54:55], v[58:59]
	v_fma_f64 v[6:7], v[52:53], v[56:57], -v[6:7]
	v_add_f64 v[4:5], v[4:5], v[6:7]
	s_waitcnt lgkmcnt(0)
	v_mul_f64 v[70:71], v[60:61], v[66:67]
	v_fmac_f64_e32 v[70:71], v[62:63], v[64:65]
	v_add_f64 v[76:77], v[68:69], v[70:71]
	ds_read_b128 v[68:71], v2 offset:880
	v_mul_f64 v[6:7], v[62:63], v[66:67]
	v_fma_f64 v[6:7], v[60:61], v[64:65], -v[6:7]
	v_add_f64 v[4:5], v[4:5], v[6:7]
	s_waitcnt lgkmcnt(0)
	v_mul_f64 v[78:79], v[68:69], v[74:75]
	v_fmac_f64_e32 v[78:79], v[70:71], v[72:73]
	v_add_f64 v[84:85], v[76:77], v[78:79]
	ds_read_b128 v[76:79], v2 offset:896
	v_mul_f64 v[6:7], v[70:71], v[74:75]
	v_fma_f64 v[6:7], v[68:69], v[72:73], -v[6:7]
	v_add_f64 v[4:5], v[4:5], v[6:7]
	s_waitcnt lgkmcnt(0)
	v_mul_f64 v[86:87], v[76:77], v[82:83]
	v_fmac_f64_e32 v[86:87], v[78:79], v[80:81]
	v_add_f64 v[92:93], v[84:85], v[86:87]
	ds_read_b128 v[84:87], v2 offset:912
	v_mul_f64 v[6:7], v[78:79], v[82:83]
	v_fma_f64 v[6:7], v[76:77], v[80:81], -v[6:7]
	v_add_f64 v[4:5], v[4:5], v[6:7]
	s_waitcnt lgkmcnt(0)
	v_mul_f64 v[94:95], v[84:85], v[90:91]
	v_fmac_f64_e32 v[94:95], v[86:87], v[88:89]
	v_add_f64 v[100:101], v[92:93], v[94:95]
	ds_read_b128 v[92:95], v2 offset:928
	v_mul_f64 v[6:7], v[86:87], v[90:91]
	v_fma_f64 v[6:7], v[84:85], v[88:89], -v[6:7]
	v_add_f64 v[4:5], v[4:5], v[6:7]
	s_waitcnt lgkmcnt(0)
	v_mul_f64 v[102:103], v[92:93], v[98:99]
	v_fmac_f64_e32 v[102:103], v[94:95], v[96:97]
	v_add_f64 v[108:109], v[100:101], v[102:103]
	ds_read_b128 v[100:103], v2 offset:944
	v_mul_f64 v[6:7], v[94:95], v[98:99]
	v_fma_f64 v[6:7], v[92:93], v[96:97], -v[6:7]
	v_add_f64 v[4:5], v[4:5], v[6:7]
	s_waitcnt lgkmcnt(0)
	v_mul_f64 v[110:111], v[100:101], v[106:107]
	v_fmac_f64_e32 v[110:111], v[102:103], v[104:105]
	v_add_f64 v[116:117], v[108:109], v[110:111]
	ds_read_b128 v[108:111], v2 offset:960
	v_mul_f64 v[6:7], v[102:103], v[106:107]
	v_fma_f64 v[6:7], v[100:101], v[104:105], -v[6:7]
	v_add_f64 v[4:5], v[4:5], v[6:7]
	s_waitcnt lgkmcnt(0)
	v_mul_f64 v[118:119], v[108:109], v[114:115]
	v_fmac_f64_e32 v[118:119], v[110:111], v[112:113]
	v_add_f64 v[124:125], v[116:117], v[118:119]
	ds_read_b128 v[116:119], v2 offset:976
	v_mul_f64 v[6:7], v[110:111], v[114:115]
	v_fma_f64 v[6:7], v[108:109], v[112:113], -v[6:7]
	v_add_f64 v[4:5], v[4:5], v[6:7]
	s_waitcnt lgkmcnt(0)
	v_mul_f64 v[126:127], v[116:117], v[122:123]
	v_fmac_f64_e32 v[126:127], v[118:119], v[120:121]
	v_add_f64 v[132:133], v[124:125], v[126:127]
	ds_read_b128 v[124:127], v2 offset:992
	v_mul_f64 v[6:7], v[118:119], v[122:123]
	v_fma_f64 v[6:7], v[116:117], v[120:121], -v[6:7]
	v_add_f64 v[4:5], v[4:5], v[6:7]
	s_waitcnt lgkmcnt(0)
	v_mul_f64 v[134:135], v[124:125], v[130:131]
	v_fmac_f64_e32 v[134:135], v[126:127], v[128:129]
	v_add_f64 v[140:141], v[132:133], v[134:135]
	ds_read_b128 v[132:135], v2 offset:1008
	v_mul_f64 v[6:7], v[126:127], v[130:131]
	v_fma_f64 v[6:7], v[124:125], v[128:129], -v[6:7]
	v_add_f64 v[4:5], v[4:5], v[6:7]
	s_waitcnt lgkmcnt(0)
	v_mul_f64 v[142:143], v[132:133], v[138:139]
	v_fmac_f64_e32 v[142:143], v[134:135], v[136:137]
	v_add_f64 v[148:149], v[140:141], v[142:143]
	ds_read_b128 v[140:143], v2 offset:1024
	v_mul_f64 v[6:7], v[134:135], v[138:139]
	v_fma_f64 v[6:7], v[132:133], v[136:137], -v[6:7]
	v_add_f64 v[4:5], v[4:5], v[6:7]
	s_waitcnt lgkmcnt(0)
	v_mul_f64 v[150:151], v[140:141], v[146:147]
	v_fmac_f64_e32 v[150:151], v[142:143], v[144:145]
	v_add_f64 v[156:157], v[148:149], v[150:151]
	ds_read_b128 v[148:151], v2 offset:1040
	v_mul_f64 v[6:7], v[142:143], v[146:147]
	v_fma_f64 v[6:7], v[140:141], v[144:145], -v[6:7]
	v_add_f64 v[4:5], v[4:5], v[6:7]
	s_waitcnt lgkmcnt(0)
	v_mul_f64 v[158:159], v[148:149], v[154:155]
	v_fmac_f64_e32 v[158:159], v[150:151], v[152:153]
	v_add_f64 v[160:161], v[156:157], v[158:159]
	ds_read_b128 v[156:159], v2 offset:1056
	v_mul_f64 v[6:7], v[150:151], v[154:155]
	v_fma_f64 v[6:7], v[148:149], v[152:153], -v[6:7]
	v_add_f64 v[4:5], v[4:5], v[6:7]
	s_waitcnt lgkmcnt(0)
	v_mul_f64 v[166:167], v[156:157], v[164:165]
	v_fmac_f64_e32 v[166:167], v[158:159], v[162:163]
	v_add_f64 v[160:161], v[160:161], v[166:167]
	ds_read_b128 v[166:169], v2 offset:1072
	v_mul_f64 v[6:7], v[158:159], v[164:165]
	v_fma_f64 v[6:7], v[156:157], v[162:163], -v[6:7]
	v_add_f64 v[4:5], v[4:5], v[6:7]
	s_waitcnt lgkmcnt(0)
	v_mul_f64 v[174:175], v[166:167], v[172:173]
	v_fmac_f64_e32 v[174:175], v[168:169], v[170:171]
	v_add_f64 v[160:161], v[160:161], v[174:175]
	ds_read_b128 v[174:177], v2 offset:1088
	v_mul_f64 v[6:7], v[168:169], v[172:173]
	v_fma_f64 v[6:7], v[166:167], v[170:171], -v[6:7]
	v_add_f64 v[4:5], v[4:5], v[6:7]
	s_waitcnt lgkmcnt(0)
	v_mul_f64 v[182:183], v[174:175], v[180:181]
	v_fmac_f64_e32 v[182:183], v[176:177], v[178:179]
	v_add_f64 v[160:161], v[160:161], v[182:183]
	ds_read_b128 v[182:185], v2 offset:1104
	v_mul_f64 v[6:7], v[176:177], v[180:181]
	v_fma_f64 v[6:7], v[174:175], v[178:179], -v[6:7]
	v_add_f64 v[4:5], v[4:5], v[6:7]
	s_waitcnt lgkmcnt(0)
	v_mul_f64 v[190:191], v[182:183], v[188:189]
	v_fmac_f64_e32 v[190:191], v[184:185], v[186:187]
	v_add_f64 v[160:161], v[160:161], v[190:191]
	ds_read_b128 v[190:193], v2 offset:1120
	v_mul_f64 v[6:7], v[184:185], v[188:189]
	v_fma_f64 v[6:7], v[182:183], v[186:187], -v[6:7]
	v_add_f64 v[4:5], v[4:5], v[6:7]
	s_waitcnt lgkmcnt(0)
	v_mul_f64 v[198:199], v[190:191], v[196:197]
	v_fmac_f64_e32 v[198:199], v[192:193], v[194:195]
	v_add_f64 v[160:161], v[160:161], v[198:199]
	ds_read_b128 v[198:201], v2 offset:1136
	v_mul_f64 v[6:7], v[192:193], v[196:197]
	v_fma_f64 v[6:7], v[190:191], v[194:195], -v[6:7]
	v_add_f64 v[4:5], v[4:5], v[6:7]
	s_waitcnt lgkmcnt(0)
	v_mul_f64 v[206:207], v[198:199], v[204:205]
	v_fmac_f64_e32 v[206:207], v[200:201], v[202:203]
	v_add_f64 v[160:161], v[160:161], v[206:207]
	ds_read_b128 v[206:209], v2 offset:1152
	v_mul_f64 v[6:7], v[200:201], v[204:205]
	v_fma_f64 v[6:7], v[198:199], v[202:203], -v[6:7]
	v_add_f64 v[4:5], v[4:5], v[6:7]
	s_waitcnt lgkmcnt(0)
	v_mul_f64 v[214:215], v[206:207], v[212:213]
	v_fmac_f64_e32 v[214:215], v[208:209], v[210:211]
	v_add_f64 v[160:161], v[160:161], v[214:215]
	ds_read_b128 v[214:217], v2 offset:1168
	v_mul_f64 v[6:7], v[208:209], v[212:213]
	v_fma_f64 v[6:7], v[206:207], v[210:211], -v[6:7]
	v_add_f64 v[4:5], v[4:5], v[6:7]
	s_waitcnt lgkmcnt(0)
	v_mul_f64 v[6:7], v[216:217], v[220:221]
	v_fma_f64 v[6:7], v[214:215], v[218:219], -v[6:7]
	v_add_f64 v[8:9], v[4:5], v[6:7]
	scratch_load_dwordx4 v[4:7], off, off offset:160
	v_mul_f64 v[222:223], v[214:215], v[220:221]
	v_fmac_f64_e32 v[222:223], v[216:217], v[218:219]
	v_add_f64 v[160:161], v[160:161], v[222:223]
	s_waitcnt vmcnt(0)
	v_add_f64 v[4:5], v[4:5], -v[8:9]
	v_add_f64 v[6:7], v[6:7], -v[160:161]
	scratch_store_dwordx4 off, v[4:7], off offset:160
	s_and_saveexec_b64 s[0:1], vcc
	s_cbranch_execz .LBB100_219
; %bb.218:
	scratch_load_dwordx4 v[6:9], off, s45
	v_mov_b32_e32 v3, v2
	v_mov_b32_e32 v4, v2
	;; [unrolled: 1-line block ×3, first 2 shown]
	scratch_store_dwordx4 off, v[2:5], off offset:144
	s_waitcnt vmcnt(1)
	ds_write_b128 v1, v[6:9]
.LBB100_219:
	s_or_b64 exec, exec, s[0:1]
	s_waitcnt lgkmcnt(0)
	; wave barrier
	ds_read_b128 v[16:19], v2 offset:736
	ds_read_b128 v[12:15], v2 offset:752
	;; [unrolled: 1-line block ×4, first 2 shown]
	scratch_load_dwordx4 v[20:23], off, off offset:160
	scratch_load_dwordx4 v[40:43], off, off offset:224
	;; [unrolled: 1-line block ×22, first 2 shown]
	v_cmp_lt_u32_e32 vcc, 7, v0
	scratch_load_dwordx4 v[48:51], off, off offset:240
	scratch_load_dwordx4 v[56:59], off, off offset:256
	;; [unrolled: 1-line block ×3, first 2 shown]
	s_waitcnt vmcnt(24) lgkmcnt(3)
	v_mul_f64 v[24:25], v[16:17], v[22:23]
	v_fmac_f64_e32 v[24:25], v[18:19], v[20:21]
	v_add_f64 v[28:29], v[24:25], 0
	scratch_load_dwordx4 v[24:27], off, off offset:176
	s_waitcnt vmcnt(0) lgkmcnt(2)
	v_mul_f64 v[30:31], v[12:13], v[26:27]
	v_fmac_f64_e32 v[30:31], v[14:15], v[24:25]
	v_add_f64 v[32:33], v[28:29], v[30:31]
	scratch_load_dwordx4 v[28:31], off, off offset:192
	v_mul_f64 v[14:15], v[14:15], v[26:27]
	v_fma_f64 v[12:13], v[12:13], v[24:25], -v[14:15]
	s_waitcnt vmcnt(0) lgkmcnt(1)
	v_mul_f64 v[34:35], v[8:9], v[30:31]
	v_fmac_f64_e32 v[34:35], v[10:11], v[28:29]
	v_add_f64 v[36:37], v[32:33], v[34:35]
	scratch_load_dwordx4 v[32:35], off, off offset:208
	v_mul_f64 v[10:11], v[10:11], v[30:31]
	v_fma_f64 v[8:9], v[8:9], v[28:29], -v[10:11]
	s_waitcnt vmcnt(0) lgkmcnt(0)
	v_mul_f64 v[38:39], v[4:5], v[34:35]
	v_fmac_f64_e32 v[38:39], v[6:7], v[32:33]
	v_add_f64 v[44:45], v[36:37], v[38:39]
	ds_read_b128 v[36:39], v2 offset:800
	v_mul_f64 v[6:7], v[6:7], v[34:35]
	v_fma_f64 v[4:5], v[4:5], v[32:33], -v[6:7]
	s_waitcnt lgkmcnt(0)
	v_mul_f64 v[46:47], v[36:37], v[42:43]
	v_fmac_f64_e32 v[46:47], v[38:39], v[40:41]
	v_add_f64 v[52:53], v[44:45], v[46:47]
	ds_read_b128 v[44:47], v2 offset:816
	s_waitcnt lgkmcnt(0)
	v_mul_f64 v[54:55], v[44:45], v[50:51]
	v_fmac_f64_e32 v[54:55], v[46:47], v[48:49]
	v_add_f64 v[60:61], v[52:53], v[54:55]
	ds_read_b128 v[52:55], v2 offset:832
	;; [unrolled: 5-line block ×23, first 2 shown]
	s_waitcnt lgkmcnt(0)
	v_mul_f64 v[2:3], v[222:223], v[228:229]
	v_fmac_f64_e32 v[2:3], v[224:225], v[226:227]
	v_add_f64 v[176:177], v[176:177], v[2:3]
	v_mul_f64 v[2:3], v[18:19], v[22:23]
	v_fma_f64 v[2:3], v[16:17], v[20:21], -v[2:3]
	v_add_f64 v[2:3], v[2:3], 0
	v_add_f64 v[2:3], v[2:3], v[12:13]
	;; [unrolled: 1-line block ×4, first 2 shown]
	v_mul_f64 v[4:5], v[38:39], v[42:43]
	v_fma_f64 v[4:5], v[36:37], v[40:41], -v[4:5]
	v_add_f64 v[2:3], v[2:3], v[4:5]
	v_mul_f64 v[4:5], v[46:47], v[50:51]
	v_fma_f64 v[4:5], v[44:45], v[48:49], -v[4:5]
	v_add_f64 v[2:3], v[2:3], v[4:5]
	;; [unrolled: 3-line block ×24, first 2 shown]
	scratch_load_dwordx4 v[2:5], off, off offset:144
	s_waitcnt vmcnt(0)
	v_add_f64 v[2:3], v[2:3], -v[6:7]
	v_add_f64 v[4:5], v[4:5], -v[176:177]
	scratch_store_dwordx4 off, v[2:5], off offset:144
	s_and_saveexec_b64 s[0:1], vcc
	s_cbranch_execz .LBB100_221
; %bb.220:
	scratch_load_dwordx4 v[2:5], off, s46
	v_mov_b32_e32 v6, 0
	v_mov_b32_e32 v7, v6
	;; [unrolled: 1-line block ×4, first 2 shown]
	scratch_store_dwordx4 off, v[6:9], off offset:128
	s_waitcnt vmcnt(1)
	ds_write_b128 v1, v[2:5]
.LBB100_221:
	s_or_b64 exec, exec, s[0:1]
	v_mov_b32_e32 v2, 0
	s_waitcnt lgkmcnt(0)
	; wave barrier
	ds_read_b128 v[16:19], v2 offset:720
	ds_read_b128 v[12:15], v2 offset:736
	;; [unrolled: 1-line block ×4, first 2 shown]
	scratch_load_dwordx4 v[20:23], off, off offset:144
	scratch_load_dwordx4 v[40:43], off, off offset:208
	scratch_load_dwordx4 v[72:75], off, off offset:272
	scratch_load_dwordx4 v[80:83], off, off offset:288
	scratch_load_dwordx4 v[88:91], off, off offset:304
	scratch_load_dwordx4 v[96:99], off, off offset:320
	scratch_load_dwordx4 v[104:107], off, off offset:336
	scratch_load_dwordx4 v[112:115], off, off offset:352
	scratch_load_dwordx4 v[120:123], off, off offset:368
	scratch_load_dwordx4 v[128:131], off, off offset:384
	scratch_load_dwordx4 v[136:139], off, off offset:400
	scratch_load_dwordx4 v[144:147], off, off offset:416
	scratch_load_dwordx4 v[152:155], off, off offset:432
	scratch_load_dwordx4 v[160:163], off, off offset:448
	scratch_load_dwordx4 v[168:171], off, off offset:464
	scratch_load_dwordx4 v[178:181], off, off offset:480
	scratch_load_dwordx4 v[186:189], off, off offset:496
	scratch_load_dwordx4 v[194:197], off, off offset:512
	scratch_load_dwordx4 v[202:205], off, off offset:528
	scratch_load_dwordx4 v[210:213], off, off offset:544
	scratch_load_dwordx4 v[218:221], off, off offset:560
	scratch_load_dwordx4 v[226:229], off, off offset:576
	scratch_load_dwordx4 v[234:237], off, off offset:592
	v_cmp_lt_u32_e32 vcc, 6, v0
	scratch_load_dwordx4 v[48:51], off, off offset:224
	scratch_load_dwordx4 v[56:59], off, off offset:240
	;; [unrolled: 1-line block ×3, first 2 shown]
	s_waitcnt vmcnt(25) lgkmcnt(3)
	v_mul_f64 v[24:25], v[16:17], v[22:23]
	v_fmac_f64_e32 v[24:25], v[18:19], v[20:21]
	v_add_f64 v[28:29], v[24:25], 0
	scratch_load_dwordx4 v[24:27], off, off offset:160
	v_mul_f64 v[18:19], v[18:19], v[22:23]
	v_fma_f64 v[16:17], v[16:17], v[20:21], -v[18:19]
	v_add_f64 v[16:17], v[16:17], 0
	s_waitcnt vmcnt(0) lgkmcnt(2)
	v_mul_f64 v[30:31], v[12:13], v[26:27]
	v_fmac_f64_e32 v[30:31], v[14:15], v[24:25]
	v_add_f64 v[32:33], v[28:29], v[30:31]
	scratch_load_dwordx4 v[28:31], off, off offset:176
	v_mul_f64 v[14:15], v[14:15], v[26:27]
	v_fma_f64 v[12:13], v[12:13], v[24:25], -v[14:15]
	v_add_f64 v[12:13], v[16:17], v[12:13]
	;; [unrolled: 8-line block ×3, first 2 shown]
	s_waitcnt vmcnt(0) lgkmcnt(0)
	v_mul_f64 v[38:39], v[4:5], v[34:35]
	v_fmac_f64_e32 v[38:39], v[6:7], v[32:33]
	v_add_f64 v[44:45], v[36:37], v[38:39]
	ds_read_b128 v[36:39], v2 offset:784
	v_mul_f64 v[6:7], v[6:7], v[34:35]
	v_fma_f64 v[4:5], v[4:5], v[32:33], -v[6:7]
	v_add_f64 v[4:5], v[8:9], v[4:5]
	s_waitcnt lgkmcnt(0)
	v_mul_f64 v[46:47], v[36:37], v[42:43]
	v_fmac_f64_e32 v[46:47], v[38:39], v[40:41]
	v_add_f64 v[52:53], v[44:45], v[46:47]
	ds_read_b128 v[44:47], v2 offset:800
	v_mul_f64 v[6:7], v[38:39], v[42:43]
	v_fma_f64 v[6:7], v[36:37], v[40:41], -v[6:7]
	v_add_f64 v[4:5], v[4:5], v[6:7]
	s_waitcnt lgkmcnt(0)
	;; [unrolled: 8-line block ×25, first 2 shown]
	v_mul_f64 v[6:7], v[232:233], v[236:237]
	v_fma_f64 v[6:7], v[230:231], v[234:235], -v[6:7]
	v_add_f64 v[8:9], v[4:5], v[6:7]
	scratch_load_dwordx4 v[4:7], off, off offset:128
	v_mul_f64 v[238:239], v[230:231], v[236:237]
	v_fmac_f64_e32 v[238:239], v[232:233], v[234:235]
	v_add_f64 v[176:177], v[176:177], v[238:239]
	s_waitcnt vmcnt(0)
	v_add_f64 v[4:5], v[4:5], -v[8:9]
	v_add_f64 v[6:7], v[6:7], -v[176:177]
	scratch_store_dwordx4 off, v[4:7], off offset:128
	s_and_saveexec_b64 s[0:1], vcc
	s_cbranch_execz .LBB100_223
; %bb.222:
	scratch_load_dwordx4 v[6:9], off, s47
	v_mov_b32_e32 v3, v2
	v_mov_b32_e32 v4, v2
	;; [unrolled: 1-line block ×3, first 2 shown]
	scratch_store_dwordx4 off, v[2:5], off offset:112
	s_waitcnt vmcnt(1)
	ds_write_b128 v1, v[6:9]
.LBB100_223:
	s_or_b64 exec, exec, s[0:1]
	s_waitcnt lgkmcnt(0)
	; wave barrier
	ds_read_b128 v[16:19], v2 offset:704
	ds_read_b128 v[12:15], v2 offset:720
	ds_read_b128 v[8:11], v2 offset:736
	ds_read_b128 v[4:7], v2 offset:752
	scratch_load_dwordx4 v[20:23], off, off offset:128
	scratch_load_dwordx4 v[40:43], off, off offset:192
	;; [unrolled: 1-line block ×24, first 2 shown]
	v_cmp_lt_u32_e32 vcc, 5, v0
	scratch_load_dwordx4 v[48:51], off, off offset:208
	scratch_load_dwordx4 v[56:59], off, off offset:224
	;; [unrolled: 1-line block ×3, first 2 shown]
	ds_read_b128 v[244:247], v2 offset:1168
	s_waitcnt vmcnt(26) lgkmcnt(4)
	v_mul_f64 v[24:25], v[16:17], v[22:23]
	v_fmac_f64_e32 v[24:25], v[18:19], v[20:21]
	v_add_f64 v[28:29], v[24:25], 0
	scratch_load_dwordx4 v[24:27], off, off offset:144
	s_waitcnt vmcnt(0) lgkmcnt(3)
	v_mul_f64 v[30:31], v[12:13], v[26:27]
	v_fmac_f64_e32 v[30:31], v[14:15], v[24:25]
	v_add_f64 v[32:33], v[28:29], v[30:31]
	scratch_load_dwordx4 v[28:31], off, off offset:160
	v_mul_f64 v[14:15], v[14:15], v[26:27]
	v_fma_f64 v[12:13], v[12:13], v[24:25], -v[14:15]
	s_waitcnt vmcnt(0) lgkmcnt(2)
	v_mul_f64 v[34:35], v[8:9], v[30:31]
	v_fmac_f64_e32 v[34:35], v[10:11], v[28:29]
	v_add_f64 v[36:37], v[32:33], v[34:35]
	scratch_load_dwordx4 v[32:35], off, off offset:176
	v_mul_f64 v[10:11], v[10:11], v[30:31]
	v_fma_f64 v[8:9], v[8:9], v[28:29], -v[10:11]
	s_waitcnt vmcnt(0) lgkmcnt(1)
	v_mul_f64 v[38:39], v[4:5], v[34:35]
	v_fmac_f64_e32 v[38:39], v[6:7], v[32:33]
	v_add_f64 v[44:45], v[36:37], v[38:39]
	ds_read_b128 v[36:39], v2 offset:768
	v_mul_f64 v[6:7], v[6:7], v[34:35]
	v_fma_f64 v[4:5], v[4:5], v[32:33], -v[6:7]
	s_waitcnt lgkmcnt(0)
	v_mul_f64 v[46:47], v[36:37], v[42:43]
	v_fmac_f64_e32 v[46:47], v[38:39], v[40:41]
	v_add_f64 v[52:53], v[44:45], v[46:47]
	ds_read_b128 v[44:47], v2 offset:784
	s_waitcnt lgkmcnt(0)
	v_mul_f64 v[54:55], v[44:45], v[50:51]
	v_fmac_f64_e32 v[54:55], v[46:47], v[48:49]
	v_add_f64 v[60:61], v[52:53], v[54:55]
	ds_read_b128 v[52:55], v2 offset:800
	;; [unrolled: 5-line block ×24, first 2 shown]
	v_mul_f64 v[2:3], v[244:245], v[250:251]
	v_fmac_f64_e32 v[2:3], v[246:247], v[248:249]
	s_waitcnt lgkmcnt(0)
	v_mul_f64 v[238:239], v[230:231], v[236:237]
	v_fmac_f64_e32 v[238:239], v[232:233], v[234:235]
	v_add_f64 v[184:185], v[184:185], v[238:239]
	v_add_f64 v[184:185], v[184:185], v[2:3]
	v_mul_f64 v[2:3], v[18:19], v[22:23]
	v_fma_f64 v[2:3], v[16:17], v[20:21], -v[2:3]
	v_add_f64 v[2:3], v[2:3], 0
	v_add_f64 v[2:3], v[2:3], v[12:13]
	;; [unrolled: 1-line block ×4, first 2 shown]
	v_mul_f64 v[4:5], v[38:39], v[42:43]
	v_fma_f64 v[4:5], v[36:37], v[40:41], -v[4:5]
	v_add_f64 v[2:3], v[2:3], v[4:5]
	v_mul_f64 v[4:5], v[46:47], v[50:51]
	v_fma_f64 v[4:5], v[44:45], v[48:49], -v[4:5]
	v_add_f64 v[2:3], v[2:3], v[4:5]
	;; [unrolled: 3-line block ×26, first 2 shown]
	scratch_load_dwordx4 v[2:5], off, off offset:112
	s_waitcnt vmcnt(0)
	v_add_f64 v[2:3], v[2:3], -v[6:7]
	v_add_f64 v[4:5], v[4:5], -v[184:185]
	scratch_store_dwordx4 off, v[2:5], off offset:112
	s_and_saveexec_b64 s[0:1], vcc
	s_cbranch_execz .LBB100_225
; %bb.224:
	scratch_load_dwordx4 v[2:5], off, s48
	v_mov_b32_e32 v6, 0
	v_mov_b32_e32 v7, v6
	;; [unrolled: 1-line block ×4, first 2 shown]
	scratch_store_dwordx4 off, v[6:9], off offset:96
	s_waitcnt vmcnt(1)
	ds_write_b128 v1, v[2:5]
.LBB100_225:
	s_or_b64 exec, exec, s[0:1]
	s_waitcnt lgkmcnt(0)
	; wave barrier
	scratch_load_dwordx4 v[16:19], off, off offset:112
	scratch_load_dwordx4 v[12:15], off, off offset:128
	;; [unrolled: 1-line block ×32, first 2 shown]
	v_mov_b32_e32 v2, 0
	ds_read_b128 v[132:135], v2 offset:688
	ds_read_b128 v[136:139], v2 offset:704
	;; [unrolled: 1-line block ×17, first 2 shown]
	v_cmp_lt_u32_e32 vcc, 4, v0
	s_waitcnt vmcnt(31) lgkmcnt(14)
	v_mul_f64 v[200:201], v[132:133], v[18:19]
	s_waitcnt vmcnt(30)
	v_mul_f64 v[202:203], v[136:137], v[14:15]
	v_fmac_f64_e32 v[200:201], v[134:135], v[16:17]
	s_waitcnt vmcnt(29)
	v_mul_f64 v[204:205], v[140:141], v[10:11]
	v_fmac_f64_e32 v[202:203], v[138:139], v[12:13]
	v_add_f64 v[200:201], v[200:201], 0
	s_waitcnt vmcnt(28) lgkmcnt(13)
	v_mul_f64 v[206:207], v[144:145], v[6:7]
	v_fmac_f64_e32 v[204:205], v[142:143], v[8:9]
	v_add_f64 v[200:201], v[200:201], v[202:203]
	s_waitcnt vmcnt(27) lgkmcnt(12)
	;; [unrolled: 4-line block ×12, first 2 shown]
	v_mul_f64 v[228:229], v[188:189], v[62:63]
	v_fmac_f64_e32 v[226:227], v[186:187], v[56:57]
	v_add_f64 v[200:201], v[200:201], v[224:225]
	v_fmac_f64_e32 v[228:229], v[190:191], v[60:61]
	v_add_f64 v[200:201], v[200:201], v[226:227]
	s_waitcnt vmcnt(16) lgkmcnt(1)
	v_mul_f64 v[202:203], v[192:193], v[66:67]
	v_add_f64 v[200:201], v[200:201], v[228:229]
	v_fmac_f64_e32 v[202:203], v[194:195], v[64:65]
	s_waitcnt vmcnt(15) lgkmcnt(0)
	v_mul_f64 v[206:207], v[196:197], v[70:71]
	v_add_f64 v[204:205], v[200:201], v[202:203]
	ds_read_b128 v[200:203], v2 offset:960
	v_fmac_f64_e32 v[206:207], v[198:199], v[68:69]
	v_add_f64 v[208:209], v[204:205], v[206:207]
	ds_read_b128 v[204:207], v2 offset:976
	v_mul_f64 v[18:19], v[134:135], v[18:19]
	s_waitcnt vmcnt(14) lgkmcnt(1)
	v_mul_f64 v[210:211], v[200:201], v[74:75]
	v_fmac_f64_e32 v[210:211], v[202:203], v[72:73]
	v_add_f64 v[212:213], v[208:209], v[210:211]
	s_waitcnt vmcnt(13) lgkmcnt(0)
	v_mul_f64 v[214:215], v[204:205], v[78:79]
	ds_read_b128 v[208:211], v2 offset:992
	v_fmac_f64_e32 v[214:215], v[206:207], v[76:77]
	v_add_f64 v[216:217], v[212:213], v[214:215]
	ds_read_b128 v[212:215], v2 offset:1008
	v_fma_f64 v[246:247], v[132:133], v[16:17], -v[18:19]
	s_waitcnt vmcnt(12) lgkmcnt(1)
	v_mul_f64 v[218:219], v[208:209], v[82:83]
	v_fmac_f64_e32 v[218:219], v[210:211], v[80:81]
	v_add_f64 v[220:221], v[216:217], v[218:219]
	s_waitcnt vmcnt(11) lgkmcnt(0)
	v_mul_f64 v[222:223], v[212:213], v[86:87]
	ds_read_b128 v[216:219], v2 offset:1024
	v_fmac_f64_e32 v[222:223], v[214:215], v[84:85]
	v_add_f64 v[224:225], v[220:221], v[222:223]
	ds_read_b128 v[220:223], v2 offset:1040
	ds_read_b128 v[16:19], v2 offset:1120
	s_waitcnt vmcnt(10) lgkmcnt(2)
	v_mul_f64 v[226:227], v[216:217], v[90:91]
	v_fmac_f64_e32 v[226:227], v[218:219], v[88:89]
	v_add_f64 v[228:229], v[224:225], v[226:227]
	s_waitcnt vmcnt(9) lgkmcnt(1)
	v_mul_f64 v[230:231], v[220:221], v[94:95]
	ds_read_b128 v[224:227], v2 offset:1056
	v_fmac_f64_e32 v[230:231], v[222:223], v[92:93]
	v_add_f64 v[232:233], v[228:229], v[230:231]
	ds_read_b128 v[228:231], v2 offset:1072
	v_mul_f64 v[14:15], v[138:139], v[14:15]
	s_waitcnt vmcnt(8) lgkmcnt(1)
	v_mul_f64 v[234:235], v[224:225], v[98:99]
	v_fmac_f64_e32 v[234:235], v[226:227], v[96:97]
	v_add_f64 v[236:237], v[232:233], v[234:235]
	s_waitcnt vmcnt(7) lgkmcnt(0)
	v_mul_f64 v[238:239], v[228:229], v[102:103]
	ds_read_b128 v[232:235], v2 offset:1088
	v_fmac_f64_e32 v[238:239], v[230:231], v[100:101]
	v_add_f64 v[244:245], v[236:237], v[238:239]
	ds_read_b128 v[236:239], v2 offset:1104
	v_fma_f64 v[136:137], v[136:137], v[12:13], -v[14:15]
	s_waitcnt vmcnt(6) lgkmcnt(1)
	v_mul_f64 v[132:133], v[232:233], v[106:107]
	v_fmac_f64_e32 v[132:133], v[234:235], v[104:105]
	v_add_f64 v[132:133], v[244:245], v[132:133]
	s_waitcnt vmcnt(5) lgkmcnt(0)
	v_mul_f64 v[134:135], v[236:237], v[110:111]
	v_fmac_f64_e32 v[134:135], v[238:239], v[108:109]
	v_add_f64 v[132:133], v[132:133], v[134:135]
	ds_read_b128 v[12:15], v2 offset:1136
	s_waitcnt vmcnt(4)
	v_mul_f64 v[134:135], v[16:17], v[114:115]
	v_fmac_f64_e32 v[134:135], v[18:19], v[112:113]
	v_add_f64 v[138:139], v[132:133], v[134:135]
	ds_read_b128 v[132:135], v2 offset:1152
	v_mul_f64 v[10:11], v[142:143], v[10:11]
	v_fma_f64 v[140:141], v[140:141], v[8:9], -v[10:11]
	ds_read_b128 v[8:11], v2 offset:1168
	s_waitcnt vmcnt(3) lgkmcnt(2)
	v_mul_f64 v[142:143], v[12:13], v[118:119]
	v_fmac_f64_e32 v[142:143], v[14:15], v[116:117]
	v_add_f64 v[138:139], v[138:139], v[142:143]
	s_waitcnt vmcnt(2) lgkmcnt(1)
	v_mul_f64 v[142:143], v[132:133], v[122:123]
	v_fmac_f64_e32 v[142:143], v[134:135], v[120:121]
	v_add_f64 v[138:139], v[138:139], v[142:143]
	;; [unrolled: 4-line block ×3, first 2 shown]
	v_add_f64 v[142:143], v[246:247], 0
	v_add_f64 v[136:137], v[142:143], v[136:137]
	v_mul_f64 v[6:7], v[146:147], v[6:7]
	v_add_f64 v[136:137], v[136:137], v[140:141]
	v_fma_f64 v[4:5], v[144:145], v[4:5], -v[6:7]
	v_mul_f64 v[6:7], v[150:151], v[22:23]
	v_add_f64 v[4:5], v[136:137], v[4:5]
	v_fma_f64 v[6:7], v[148:149], v[20:21], -v[6:7]
	v_add_f64 v[4:5], v[4:5], v[6:7]
	v_mul_f64 v[6:7], v[154:155], v[26:27]
	v_fma_f64 v[6:7], v[152:153], v[24:25], -v[6:7]
	v_add_f64 v[4:5], v[4:5], v[6:7]
	v_mul_f64 v[6:7], v[158:159], v[30:31]
	;; [unrolled: 3-line block ×26, first 2 shown]
	v_fma_f64 v[6:7], v[8:9], v[124:125], -v[6:7]
	v_add_f64 v[4:5], v[4:5], v[6:7]
	s_waitcnt vmcnt(0)
	v_add_f64 v[4:5], v[128:129], -v[4:5]
	v_add_f64 v[6:7], v[130:131], -v[138:139]
	scratch_store_dwordx4 off, v[4:7], off offset:96
	s_and_saveexec_b64 s[0:1], vcc
	s_cbranch_execz .LBB100_227
; %bb.226:
	scratch_load_dwordx4 v[6:9], off, s49
	v_mov_b32_e32 v3, v2
	v_mov_b32_e32 v4, v2
	v_mov_b32_e32 v5, v2
	scratch_store_dwordx4 off, v[2:5], off offset:80
	s_waitcnt vmcnt(1)
	ds_write_b128 v1, v[6:9]
.LBB100_227:
	s_or_b64 exec, exec, s[0:1]
	s_waitcnt lgkmcnt(0)
	; wave barrier
	scratch_load_dwordx4 v[140:143], off, off offset:96
	scratch_load_dwordx4 v[148:151], off, off offset:112
	;; [unrolled: 1-line block ×16, first 2 shown]
	ds_read_b128 v[188:191], v2 offset:672
	ds_read_b128 v[184:187], v2 offset:688
	scratch_load_dwordx4 v[56:59], off, off offset:352
	ds_read_b128 v[192:195], v2 offset:704
	ds_read_b128 v[68:71], v2 offset:720
	scratch_load_dwordx4 v[60:63], off, off offset:368
	ds_read_b128 v[88:91], v2 offset:736
	ds_read_b128 v[84:87], v2 offset:752
	;; [unrolled: 1-line block ×4, first 2 shown]
	scratch_load_dwordx4 v[64:67], off, off offset:384
	ds_read_b128 v[100:103], v2 offset:800
	ds_read_b128 v[96:99], v2 offset:816
	scratch_load_dwordx4 v[72:75], off, off offset:400
	ds_read_b128 v[116:119], v2 offset:832
	ds_read_b128 v[112:115], v2 offset:848
	ds_read_b128 v[108:111], v2 offset:864
	ds_read_b128 v[104:107], v2 offset:880
	scratch_load_dwordx4 v[92:95], off, off offset:416
	ds_read_b128 v[132:135], v2 offset:896
	ds_read_b128 v[128:131], v2 offset:912
	;; [unrolled: 1-line block ×3, first 2 shown]
	scratch_load_dwordx4 v[120:123], off, off offset:432
	scratch_load_dwordx4 v[136:139], off, off offset:448
	scratch_load_dwordx4 v[144:147], off, off offset:464
	scratch_load_dwordx4 v[156:159], off, off offset:480
	scratch_load_dwordx4 v[160:163], off, off offset:496
	scratch_load_dwordx4 v[164:167], off, off offset:512
	scratch_load_dwordx4 v[168:171], off, off offset:528
	scratch_load_dwordx4 v[172:175], off, off offset:544
	scratch_load_dwordx4 v[176:179], off, off offset:560
	scratch_load_dwordx4 v[180:183], off, off offset:576
	scratch_load_dwordx4 v[196:199], off, off offset:592
	v_cmp_lt_u32_e32 vcc, 3, v0
	s_waitcnt vmcnt(31) lgkmcnt(14)
	v_mul_f64 v[200:201], v[188:189], v[142:143]
	s_waitcnt vmcnt(30)
	v_mul_f64 v[202:203], v[184:185], v[150:151]
	v_fmac_f64_e32 v[200:201], v[190:191], v[140:141]
	s_waitcnt vmcnt(29)
	v_mul_f64 v[204:205], v[192:193], v[154:155]
	v_fmac_f64_e32 v[202:203], v[186:187], v[148:149]
	v_add_f64 v[200:201], v[200:201], 0
	s_waitcnt vmcnt(28) lgkmcnt(13)
	v_mul_f64 v[206:207], v[68:69], v[6:7]
	v_fmac_f64_e32 v[204:205], v[194:195], v[152:153]
	v_add_f64 v[200:201], v[200:201], v[202:203]
	s_waitcnt vmcnt(27) lgkmcnt(12)
	;; [unrolled: 4-line block ×13, first 2 shown]
	v_mul_f64 v[230:231], v[128:129], v[54:55]
	v_fmac_f64_e32 v[228:229], v[134:135], v[48:49]
	v_add_f64 v[200:201], v[200:201], v[226:227]
	v_add_f64 v[200:201], v[200:201], v[228:229]
	v_fmac_f64_e32 v[230:231], v[130:131], v[52:53]
	v_add_f64 v[204:205], v[200:201], v[230:231]
	ds_read_b128 v[200:203], v2 offset:944
	s_waitcnt vmcnt(15) lgkmcnt(1)
	v_mul_f64 v[206:207], v[124:125], v[58:59]
	v_fmac_f64_e32 v[206:207], v[126:127], v[56:57]
	v_add_f64 v[208:209], v[204:205], v[206:207]
	ds_read_b128 v[204:207], v2 offset:960
	s_waitcnt vmcnt(14) lgkmcnt(1)
	v_mul_f64 v[210:211], v[200:201], v[62:63]
	v_fmac_f64_e32 v[210:211], v[202:203], v[60:61]
	v_add_f64 v[212:213], v[208:209], v[210:211]
	ds_read_b128 v[208:211], v2 offset:976
	s_waitcnt vmcnt(13) lgkmcnt(1)
	v_mul_f64 v[214:215], v[204:205], v[66:67]
	v_fmac_f64_e32 v[214:215], v[206:207], v[64:65]
	v_add_f64 v[216:217], v[212:213], v[214:215]
	ds_read_b128 v[212:215], v2 offset:992
	s_waitcnt vmcnt(12) lgkmcnt(1)
	v_mul_f64 v[218:219], v[208:209], v[74:75]
	v_fmac_f64_e32 v[218:219], v[210:211], v[72:73]
	v_add_f64 v[220:221], v[216:217], v[218:219]
	ds_read_b128 v[216:219], v2 offset:1008
	s_waitcnt vmcnt(11) lgkmcnt(1)
	v_mul_f64 v[222:223], v[212:213], v[94:95]
	v_fmac_f64_e32 v[222:223], v[214:215], v[92:93]
	v_add_f64 v[224:225], v[220:221], v[222:223]
	ds_read_b128 v[220:223], v2 offset:1024
	s_waitcnt vmcnt(10) lgkmcnt(1)
	v_mul_f64 v[226:227], v[216:217], v[122:123]
	v_fmac_f64_e32 v[226:227], v[218:219], v[120:121]
	v_add_f64 v[228:229], v[224:225], v[226:227]
	ds_read_b128 v[224:227], v2 offset:1040
	s_waitcnt vmcnt(9) lgkmcnt(1)
	v_mul_f64 v[230:231], v[220:221], v[138:139]
	v_fmac_f64_e32 v[230:231], v[222:223], v[136:137]
	v_add_f64 v[232:233], v[228:229], v[230:231]
	ds_read_b128 v[228:231], v2 offset:1056
	s_waitcnt vmcnt(8) lgkmcnt(1)
	v_mul_f64 v[234:235], v[224:225], v[146:147]
	v_fmac_f64_e32 v[234:235], v[226:227], v[144:145]
	v_add_f64 v[236:237], v[232:233], v[234:235]
	ds_read_b128 v[232:235], v2 offset:1072
	s_waitcnt vmcnt(7) lgkmcnt(1)
	v_mul_f64 v[238:239], v[228:229], v[158:159]
	v_fmac_f64_e32 v[238:239], v[230:231], v[156:157]
	v_add_f64 v[244:245], v[236:237], v[238:239]
	ds_read_b128 v[236:239], v2 offset:1088
	s_waitcnt vmcnt(6) lgkmcnt(1)
	v_mul_f64 v[246:247], v[232:233], v[162:163]
	v_fmac_f64_e32 v[246:247], v[234:235], v[160:161]
	v_mul_f64 v[142:143], v[190:191], v[142:143]
	v_add_f64 v[246:247], v[244:245], v[246:247]
	v_fma_f64 v[244:245], v[188:189], v[140:141], -v[142:143]
	ds_read_b128 v[140:143], v2 offset:1104
	s_waitcnt vmcnt(5) lgkmcnt(1)
	v_mul_f64 v[188:189], v[236:237], v[166:167]
	v_fmac_f64_e32 v[188:189], v[238:239], v[164:165]
	v_mul_f64 v[150:151], v[186:187], v[150:151]
	v_add_f64 v[188:189], v[246:247], v[188:189]
	v_fma_f64 v[246:247], v[184:185], v[148:149], -v[150:151]
	ds_read_b128 v[148:151], v2 offset:1120
	s_waitcnt vmcnt(4) lgkmcnt(1)
	v_mul_f64 v[184:185], v[140:141], v[170:171]
	v_fmac_f64_e32 v[184:185], v[142:143], v[168:169]
	v_add_f64 v[188:189], v[188:189], v[184:185]
	ds_read_b128 v[184:187], v2 offset:1136
	v_mul_f64 v[154:155], v[194:195], v[154:155]
	s_waitcnt vmcnt(3) lgkmcnt(1)
	v_mul_f64 v[190:191], v[148:149], v[174:175]
	v_fma_f64 v[250:251], v[192:193], v[152:153], -v[154:155]
	ds_read_b128 v[152:155], v2 offset:1152
	v_fmac_f64_e32 v[190:191], v[150:151], v[172:173]
	v_add_f64 v[248:249], v[188:189], v[190:191]
	ds_read_b128 v[188:191], v2 offset:1168
	s_waitcnt vmcnt(2) lgkmcnt(2)
	v_mul_f64 v[192:193], v[184:185], v[178:179]
	v_fmac_f64_e32 v[192:193], v[186:187], v[176:177]
	v_add_f64 v[2:3], v[248:249], v[192:193]
	s_waitcnt vmcnt(1) lgkmcnt(1)
	v_mul_f64 v[192:193], v[152:153], v[182:183]
	v_fmac_f64_e32 v[192:193], v[154:155], v[180:181]
	v_add_f64 v[2:3], v[2:3], v[192:193]
	s_waitcnt vmcnt(0) lgkmcnt(0)
	v_mul_f64 v[192:193], v[188:189], v[198:199]
	v_fmac_f64_e32 v[192:193], v[190:191], v[196:197]
	v_add_f64 v[2:3], v[2:3], v[192:193]
	scratch_load_dwordx4 v[192:195], off, off offset:80
	v_add_f64 v[244:245], v[244:245], 0
	v_add_f64 v[244:245], v[244:245], v[246:247]
	v_mul_f64 v[6:7], v[70:71], v[6:7]
	v_add_f64 v[244:245], v[244:245], v[250:251]
	v_fma_f64 v[4:5], v[68:69], v[4:5], -v[6:7]
	v_mul_f64 v[6:7], v[90:91], v[10:11]
	v_add_f64 v[4:5], v[244:245], v[4:5]
	v_fma_f64 v[6:7], v[88:89], v[8:9], -v[6:7]
	v_add_f64 v[4:5], v[4:5], v[6:7]
	v_mul_f64 v[6:7], v[86:87], v[14:15]
	v_fma_f64 v[6:7], v[84:85], v[12:13], -v[6:7]
	v_add_f64 v[4:5], v[4:5], v[6:7]
	v_mul_f64 v[6:7], v[82:83], v[18:19]
	;; [unrolled: 3-line block ×27, first 2 shown]
	v_fma_f64 v[6:7], v[188:189], v[196:197], -v[6:7]
	v_add_f64 v[4:5], v[4:5], v[6:7]
	s_waitcnt vmcnt(0)
	v_add_f64 v[4:5], v[192:193], -v[4:5]
	v_add_f64 v[6:7], v[194:195], -v[2:3]
	scratch_store_dwordx4 off, v[4:7], off offset:80
	s_and_saveexec_b64 s[0:1], vcc
	s_cbranch_execz .LBB100_229
; %bb.228:
	scratch_load_dwordx4 v[2:5], off, s50
	v_mov_b32_e32 v6, 0
	v_mov_b32_e32 v7, v6
	;; [unrolled: 1-line block ×4, first 2 shown]
	scratch_store_dwordx4 off, v[6:9], off offset:64
	s_waitcnt vmcnt(1)
	ds_write_b128 v1, v[2:5]
.LBB100_229:
	s_or_b64 exec, exec, s[0:1]
	s_waitcnt lgkmcnt(0)
	; wave barrier
	scratch_load_dwordx4 v[108:111], off, off offset:80
	scratch_load_dwordx4 v[116:119], off, off offset:96
	;; [unrolled: 1-line block ×33, first 2 shown]
	v_mov_b32_e32 v2, 0
	ds_read_b128 v[220:223], v2 offset:656
	ds_read_b128 v[224:227], v2 offset:672
	;; [unrolled: 1-line block ×16, first 2 shown]
	v_cmp_lt_u32_e32 vcc, 2, v0
	s_waitcnt vmcnt(32) lgkmcnt(14)
	v_mul_f64 v[180:181], v[220:221], v[110:111]
	s_waitcnt vmcnt(31)
	v_mul_f64 v[182:183], v[224:225], v[118:119]
	v_fmac_f64_e32 v[180:181], v[222:223], v[108:109]
	s_waitcnt vmcnt(30) lgkmcnt(13)
	v_mul_f64 v[184:185], v[234:235], v[122:123]
	v_fmac_f64_e32 v[182:183], v[226:227], v[116:117]
	v_add_f64 v[180:181], v[180:181], 0
	s_waitcnt vmcnt(29) lgkmcnt(12)
	v_mul_f64 v[186:187], v[244:245], v[126:127]
	v_fmac_f64_e32 v[184:185], v[236:237], v[120:121]
	v_add_f64 v[180:181], v[180:181], v[182:183]
	;; [unrolled: 4-line block ×13, first 2 shown]
	v_fmac_f64_e32 v[208:209], v[142:143], v[40:41]
	v_add_f64 v[180:181], v[180:181], v[206:207]
	v_add_f64 v[184:185], v[180:181], v[208:209]
	ds_read_b128 v[180:183], v2 offset:912
	s_waitcnt vmcnt(17) lgkmcnt(1)
	v_mul_f64 v[186:187], v[136:137], v[46:47]
	v_fmac_f64_e32 v[186:187], v[138:139], v[44:45]
	v_add_f64 v[188:189], v[184:185], v[186:187]
	ds_read_b128 v[184:187], v2 offset:928
	s_waitcnt vmcnt(16) lgkmcnt(1)
	v_mul_f64 v[190:191], v[180:181], v[50:51]
	v_fmac_f64_e32 v[190:191], v[182:183], v[48:49]
	;; [unrolled: 5-line block ×10, first 2 shown]
	v_mul_f64 v[110:111], v[222:223], v[110:111]
	v_add_f64 v[228:229], v[228:229], v[230:231]
	v_fma_f64 v[230:231], v[220:221], v[108:109], -v[110:111]
	ds_read_b128 v[108:111], v2 offset:1072
	s_waitcnt vmcnt(7) lgkmcnt(1)
	v_mul_f64 v[220:221], v[216:217], v[86:87]
	v_mul_f64 v[118:119], v[226:227], v[118:119]
	v_fmac_f64_e32 v[220:221], v[218:219], v[84:85]
	v_fma_f64 v[232:233], v[224:225], v[116:117], -v[118:119]
	ds_read_b128 v[116:119], v2 offset:1088
	s_waitcnt vmcnt(6) lgkmcnt(1)
	v_mul_f64 v[222:223], v[108:109], v[90:91]
	v_add_f64 v[220:221], v[228:229], v[220:221]
	v_fmac_f64_e32 v[222:223], v[110:111], v[88:89]
	v_add_f64 v[224:225], v[220:221], v[222:223]
	ds_read_b128 v[220:223], v2 offset:1104
	v_mul_f64 v[122:123], v[236:237], v[122:123]
	v_fma_f64 v[234:235], v[234:235], v[120:121], -v[122:123]
	ds_read_b128 v[120:123], v2 offset:1120
	s_waitcnt vmcnt(5) lgkmcnt(2)
	v_mul_f64 v[226:227], v[116:117], v[94:95]
	v_fmac_f64_e32 v[226:227], v[118:119], v[92:93]
	v_mul_f64 v[126:127], v[246:247], v[126:127]
	v_add_f64 v[224:225], v[224:225], v[226:227]
	s_waitcnt vmcnt(4) lgkmcnt(1)
	v_mul_f64 v[226:227], v[220:221], v[98:99]
	v_fma_f64 v[236:237], v[244:245], v[124:125], -v[126:127]
	ds_read_b128 v[124:127], v2 offset:1136
	v_fmac_f64_e32 v[226:227], v[222:223], v[96:97]
	v_add_f64 v[228:229], v[224:225], v[226:227]
	s_waitcnt vmcnt(3) lgkmcnt(1)
	v_mul_f64 v[238:239], v[120:121], v[102:103]
	ds_read_b128 v[224:227], v2 offset:1152
	v_fmac_f64_e32 v[238:239], v[122:123], v[100:101]
	v_mul_f64 v[130:131], v[250:251], v[130:131]
	v_add_f64 v[228:229], v[228:229], v[238:239]
	v_fma_f64 v[238:239], v[248:249], v[128:129], -v[130:131]
	ds_read_b128 v[128:131], v2 offset:1168
	s_waitcnt vmcnt(2) lgkmcnt(2)
	v_mul_f64 v[244:245], v[124:125], v[106:107]
	v_fmac_f64_e32 v[244:245], v[126:127], v[104:105]
	v_add_f64 v[228:229], v[228:229], v[244:245]
	s_waitcnt vmcnt(1) lgkmcnt(1)
	v_mul_f64 v[244:245], v[224:225], v[114:115]
	v_fmac_f64_e32 v[244:245], v[226:227], v[112:113]
	v_add_f64 v[228:229], v[228:229], v[244:245]
	;; [unrolled: 4-line block ×3, first 2 shown]
	scratch_load_dwordx4 v[244:247], off, off offset:64
	v_add_f64 v[230:231], v[230:231], 0
	v_add_f64 v[230:231], v[230:231], v[232:233]
	;; [unrolled: 1-line block ×4, first 2 shown]
	v_mul_f64 v[6:7], v[178:179], v[6:7]
	v_add_f64 v[230:231], v[230:231], v[238:239]
	v_fma_f64 v[4:5], v[176:177], v[4:5], -v[6:7]
	v_mul_f64 v[6:7], v[174:175], v[10:11]
	v_add_f64 v[4:5], v[230:231], v[4:5]
	v_fma_f64 v[6:7], v[172:173], v[8:9], -v[6:7]
	v_add_f64 v[4:5], v[4:5], v[6:7]
	v_mul_f64 v[6:7], v[170:171], v[14:15]
	v_fma_f64 v[6:7], v[168:169], v[12:13], -v[6:7]
	v_add_f64 v[4:5], v[4:5], v[6:7]
	v_mul_f64 v[6:7], v[166:167], v[18:19]
	;; [unrolled: 3-line block ×26, first 2 shown]
	v_fma_f64 v[6:7], v[128:129], v[132:133], -v[6:7]
	v_add_f64 v[4:5], v[4:5], v[6:7]
	s_waitcnt vmcnt(0)
	v_add_f64 v[4:5], v[244:245], -v[4:5]
	v_add_f64 v[6:7], v[246:247], -v[228:229]
	scratch_store_dwordx4 off, v[4:7], off offset:64
	s_and_saveexec_b64 s[0:1], vcc
	s_cbranch_execz .LBB100_231
; %bb.230:
	scratch_load_dwordx4 v[6:9], off, s51
	v_mov_b32_e32 v3, v2
	v_mov_b32_e32 v4, v2
	;; [unrolled: 1-line block ×3, first 2 shown]
	scratch_store_dwordx4 off, v[2:5], off offset:48
	s_waitcnt vmcnt(1)
	ds_write_b128 v1, v[6:9]
.LBB100_231:
	s_or_b64 exec, exec, s[0:1]
	s_waitcnt lgkmcnt(0)
	; wave barrier
	scratch_load_dwordx4 v[144:147], off, off offset:64
	scratch_load_dwordx4 v[152:155], off, off offset:80
	;; [unrolled: 1-line block ×16, first 2 shown]
	ds_read_b128 v[196:199], v2 offset:640
	ds_read_b128 v[188:191], v2 offset:656
	ds_read_b128 v[180:183], v2 offset:672
	scratch_load_dwordx4 v[48:51], off, off offset:320
	ds_read_b128 v[192:195], v2 offset:688
	ds_read_b128 v[184:187], v2 offset:704
	ds_read_b128 v[64:67], v2 offset:720
	scratch_load_dwordx4 v[52:55], off, off offset:336
	;; [unrolled: 4-line block ×5, first 2 shown]
	ds_read_b128 v[116:119], v2 offset:880
	ds_read_b128 v[112:115], v2 offset:896
	scratch_load_dwordx4 v[108:111], off, off offset:400
	scratch_load_dwordx4 v[120:123], off, off offset:416
	;; [unrolled: 1-line block ×12, first 2 shown]
	v_cmp_lt_u32_e32 vcc, 1, v0
	s_waitcnt vmcnt(32) lgkmcnt(14)
	v_mul_f64 v[204:205], v[196:197], v[146:147]
	s_waitcnt vmcnt(31)
	v_mul_f64 v[206:207], v[188:189], v[154:155]
	v_fmac_f64_e32 v[204:205], v[198:199], v[144:145]
	s_waitcnt vmcnt(30)
	v_mul_f64 v[208:209], v[180:181], v[158:159]
	v_fmac_f64_e32 v[206:207], v[190:191], v[152:153]
	v_add_f64 v[204:205], v[204:205], 0
	s_waitcnt vmcnt(29) lgkmcnt(13)
	v_mul_f64 v[210:211], v[192:193], v[162:163]
	v_fmac_f64_e32 v[208:209], v[182:183], v[156:157]
	v_add_f64 v[204:205], v[204:205], v[206:207]
	s_waitcnt vmcnt(28) lgkmcnt(12)
	v_mul_f64 v[212:213], v[184:185], v[170:171]
	v_fmac_f64_e32 v[210:211], v[194:195], v[160:161]
	v_add_f64 v[204:205], v[204:205], v[208:209]
	s_waitcnt vmcnt(27) lgkmcnt(11)
	v_mul_f64 v[214:215], v[64:65], v[6:7]
	v_fmac_f64_e32 v[212:213], v[186:187], v[168:169]
	v_add_f64 v[204:205], v[204:205], v[210:211]
	s_waitcnt vmcnt(26) lgkmcnt(10)
	v_mul_f64 v[216:217], v[76:77], v[10:11]
	v_fmac_f64_e32 v[214:215], v[66:67], v[4:5]
	v_add_f64 v[204:205], v[204:205], v[212:213]
	s_waitcnt vmcnt(25) lgkmcnt(9)
	v_mul_f64 v[218:219], v[72:73], v[14:15]
	v_fmac_f64_e32 v[216:217], v[78:79], v[8:9]
	v_add_f64 v[204:205], v[204:205], v[214:215]
	s_waitcnt vmcnt(24) lgkmcnt(8)
	v_mul_f64 v[220:221], v[68:69], v[18:19]
	v_fmac_f64_e32 v[218:219], v[74:75], v[12:13]
	v_add_f64 v[204:205], v[204:205], v[216:217]
	s_waitcnt vmcnt(23) lgkmcnt(7)
	v_mul_f64 v[222:223], v[88:89], v[22:23]
	v_fmac_f64_e32 v[220:221], v[70:71], v[16:17]
	v_add_f64 v[204:205], v[204:205], v[218:219]
	s_waitcnt vmcnt(22) lgkmcnt(6)
	v_mul_f64 v[224:225], v[84:85], v[26:27]
	v_fmac_f64_e32 v[222:223], v[90:91], v[20:21]
	v_add_f64 v[204:205], v[204:205], v[220:221]
	s_waitcnt vmcnt(21) lgkmcnt(5)
	v_mul_f64 v[226:227], v[80:81], v[30:31]
	v_fmac_f64_e32 v[224:225], v[86:87], v[24:25]
	v_add_f64 v[204:205], v[204:205], v[222:223]
	s_waitcnt vmcnt(20) lgkmcnt(4)
	v_mul_f64 v[228:229], v[104:105], v[34:35]
	v_fmac_f64_e32 v[226:227], v[82:83], v[28:29]
	v_add_f64 v[204:205], v[204:205], v[224:225]
	s_waitcnt vmcnt(19) lgkmcnt(3)
	v_mul_f64 v[230:231], v[100:101], v[38:39]
	v_fmac_f64_e32 v[228:229], v[106:107], v[32:33]
	v_add_f64 v[204:205], v[204:205], v[226:227]
	s_waitcnt vmcnt(18) lgkmcnt(2)
	v_mul_f64 v[232:233], v[96:97], v[42:43]
	v_fmac_f64_e32 v[230:231], v[102:103], v[36:37]
	v_add_f64 v[204:205], v[204:205], v[228:229]
	v_fmac_f64_e32 v[232:233], v[98:99], v[40:41]
	v_add_f64 v[204:205], v[204:205], v[230:231]
	s_waitcnt vmcnt(17) lgkmcnt(1)
	v_mul_f64 v[206:207], v[116:117], v[46:47]
	v_add_f64 v[204:205], v[204:205], v[232:233]
	v_fmac_f64_e32 v[206:207], v[118:119], v[44:45]
	s_waitcnt vmcnt(16) lgkmcnt(0)
	v_mul_f64 v[210:211], v[112:113], v[50:51]
	v_add_f64 v[208:209], v[204:205], v[206:207]
	ds_read_b128 v[204:207], v2 offset:912
	v_fmac_f64_e32 v[210:211], v[114:115], v[48:49]
	v_add_f64 v[212:213], v[208:209], v[210:211]
	ds_read_b128 v[208:211], v2 offset:928
	v_mul_f64 v[146:147], v[198:199], v[146:147]
	s_waitcnt vmcnt(15) lgkmcnt(1)
	v_mul_f64 v[214:215], v[204:205], v[54:55]
	v_fmac_f64_e32 v[214:215], v[206:207], v[52:53]
	v_add_f64 v[216:217], v[212:213], v[214:215]
	s_waitcnt vmcnt(14) lgkmcnt(0)
	v_mul_f64 v[218:219], v[208:209], v[58:59]
	ds_read_b128 v[212:215], v2 offset:944
	v_fmac_f64_e32 v[218:219], v[210:211], v[56:57]
	v_add_f64 v[220:221], v[216:217], v[218:219]
	ds_read_b128 v[216:219], v2 offset:960
	v_mul_f64 v[154:155], v[190:191], v[154:155]
	s_waitcnt vmcnt(13) lgkmcnt(1)
	v_mul_f64 v[222:223], v[212:213], v[62:63]
	v_fmac_f64_e32 v[222:223], v[214:215], v[60:61]
	v_add_f64 v[224:225], v[220:221], v[222:223]
	s_waitcnt vmcnt(12) lgkmcnt(0)
	v_mul_f64 v[226:227], v[216:217], v[94:95]
	ds_read_b128 v[220:223], v2 offset:976
	v_fmac_f64_e32 v[226:227], v[218:219], v[92:93]
	v_add_f64 v[228:229], v[224:225], v[226:227]
	ds_read_b128 v[224:227], v2 offset:992
	v_fma_f64 v[248:249], v[188:189], v[152:153], -v[154:155]
	s_waitcnt vmcnt(11) lgkmcnt(1)
	v_mul_f64 v[230:231], v[220:221], v[110:111]
	v_fmac_f64_e32 v[230:231], v[222:223], v[108:109]
	v_add_f64 v[232:233], v[228:229], v[230:231]
	s_waitcnt vmcnt(10) lgkmcnt(0)
	v_mul_f64 v[234:235], v[224:225], v[122:123]
	ds_read_b128 v[228:231], v2 offset:1008
	v_fmac_f64_e32 v[234:235], v[226:227], v[120:121]
	v_add_f64 v[236:237], v[232:233], v[234:235]
	ds_read_b128 v[232:235], v2 offset:1024
	ds_read_b128 v[152:155], v2 offset:1072
	s_waitcnt vmcnt(9) lgkmcnt(2)
	v_mul_f64 v[238:239], v[228:229], v[126:127]
	v_fmac_f64_e32 v[238:239], v[230:231], v[124:125]
	v_add_f64 v[244:245], v[236:237], v[238:239]
	s_waitcnt vmcnt(8) lgkmcnt(1)
	v_mul_f64 v[246:247], v[232:233], v[130:131]
	ds_read_b128 v[236:239], v2 offset:1040
	v_fmac_f64_e32 v[246:247], v[234:235], v[128:129]
	v_add_f64 v[244:245], v[244:245], v[246:247]
	v_fma_f64 v[246:247], v[196:197], v[144:145], -v[146:147]
	ds_read_b128 v[144:147], v2 offset:1056
	s_waitcnt vmcnt(7) lgkmcnt(1)
	v_mul_f64 v[196:197], v[236:237], v[134:135]
	v_fmac_f64_e32 v[196:197], v[238:239], v[132:133]
	v_add_f64 v[188:189], v[244:245], v[196:197]
	v_mul_f64 v[158:159], v[182:183], v[158:159]
	s_waitcnt vmcnt(6) lgkmcnt(0)
	v_mul_f64 v[190:191], v[144:145], v[138:139]
	v_fmac_f64_e32 v[190:191], v[146:147], v[136:137]
	v_add_f64 v[196:197], v[188:189], v[190:191]
	ds_read_b128 v[188:191], v2 offset:1088
	v_fma_f64 v[244:245], v[180:181], v[156:157], -v[158:159]
	ds_read_b128 v[156:159], v2 offset:1104
	s_waitcnt vmcnt(5)
	v_mul_f64 v[198:199], v[152:153], v[142:143]
	v_fmac_f64_e32 v[198:199], v[154:155], v[140:141]
	s_waitcnt vmcnt(4) lgkmcnt(1)
	v_mul_f64 v[180:181], v[188:189], v[150:151]
	v_add_f64 v[196:197], v[196:197], v[198:199]
	v_fmac_f64_e32 v[180:181], v[190:191], v[148:149]
	v_mul_f64 v[162:163], v[194:195], v[162:163]
	v_add_f64 v[198:199], v[196:197], v[180:181]
	v_fma_f64 v[196:197], v[192:193], v[160:161], -v[162:163]
	ds_read_b128 v[160:163], v2 offset:1120
	s_waitcnt vmcnt(3) lgkmcnt(1)
	v_mul_f64 v[192:193], v[156:157], v[166:167]
	ds_read_b128 v[180:183], v2 offset:1136
	v_fmac_f64_e32 v[192:193], v[158:159], v[164:165]
	v_mul_f64 v[170:171], v[186:187], v[170:171]
	v_add_f64 v[192:193], v[198:199], v[192:193]
	v_fma_f64 v[198:199], v[184:185], v[168:169], -v[170:171]
	ds_read_b128 v[168:171], v2 offset:1152
	s_waitcnt vmcnt(2) lgkmcnt(2)
	v_mul_f64 v[184:185], v[160:161], v[174:175]
	v_fmac_f64_e32 v[184:185], v[162:163], v[172:173]
	s_waitcnt vmcnt(1) lgkmcnt(1)
	v_mul_f64 v[186:187], v[180:181], v[178:179]
	v_add_f64 v[184:185], v[192:193], v[184:185]
	v_fmac_f64_e32 v[186:187], v[182:183], v[176:177]
	v_add_f64 v[184:185], v[184:185], v[186:187]
	s_waitcnt vmcnt(0) lgkmcnt(0)
	v_mul_f64 v[186:187], v[168:169], v[202:203]
	v_fmac_f64_e32 v[186:187], v[170:171], v[200:201]
	v_add_f64 v[250:251], v[184:185], v[186:187]
	scratch_load_dwordx4 v[184:187], off, off offset:592
	v_add_f64 v[246:247], v[246:247], 0
	v_add_f64 v[246:247], v[246:247], v[248:249]
	;; [unrolled: 1-line block ×3, first 2 shown]
	scratch_load_dwordx4 v[246:249], off, off offset:48
	v_add_f64 v[196:197], v[244:245], v[196:197]
	v_mul_f64 v[6:7], v[66:67], v[6:7]
	v_add_f64 v[196:197], v[196:197], v[198:199]
	v_fma_f64 v[4:5], v[64:65], v[4:5], -v[6:7]
	v_mul_f64 v[6:7], v[78:79], v[10:11]
	v_add_f64 v[4:5], v[196:197], v[4:5]
	v_fma_f64 v[6:7], v[76:77], v[8:9], -v[6:7]
	v_add_f64 v[4:5], v[4:5], v[6:7]
	v_mul_f64 v[6:7], v[74:75], v[14:15]
	v_fma_f64 v[6:7], v[72:73], v[12:13], -v[6:7]
	v_add_f64 v[4:5], v[4:5], v[6:7]
	v_mul_f64 v[6:7], v[70:71], v[18:19]
	;; [unrolled: 3-line block ×24, first 2 shown]
	ds_read_b128 v[192:195], v2 offset:1168
	v_fma_f64 v[6:7], v[160:161], v[172:173], -v[6:7]
	v_add_f64 v[4:5], v[4:5], v[6:7]
	v_mul_f64 v[6:7], v[182:183], v[178:179]
	v_fma_f64 v[6:7], v[180:181], v[176:177], -v[6:7]
	v_add_f64 v[4:5], v[4:5], v[6:7]
	v_mul_f64 v[6:7], v[170:171], v[202:203]
	v_fma_f64 v[6:7], v[168:169], v[200:201], -v[6:7]
	s_waitcnt vmcnt(1) lgkmcnt(0)
	v_mul_f64 v[2:3], v[192:193], v[186:187]
	v_add_f64 v[4:5], v[4:5], v[6:7]
	v_mul_f64 v[6:7], v[194:195], v[186:187]
	v_fmac_f64_e32 v[2:3], v[194:195], v[184:185]
	v_fma_f64 v[6:7], v[192:193], v[184:185], -v[6:7]
	v_add_f64 v[2:3], v[250:251], v[2:3]
	v_add_f64 v[4:5], v[4:5], v[6:7]
	s_waitcnt vmcnt(0)
	v_add_f64 v[4:5], v[246:247], -v[4:5]
	v_add_f64 v[6:7], v[248:249], -v[2:3]
	scratch_store_dwordx4 off, v[4:7], off offset:48
	s_and_saveexec_b64 s[0:1], vcc
	s_cbranch_execz .LBB100_233
; %bb.232:
	scratch_load_dwordx4 v[2:5], off, s52
	v_mov_b32_e32 v6, 0
	v_mov_b32_e32 v7, v6
	;; [unrolled: 1-line block ×4, first 2 shown]
	scratch_store_dwordx4 off, v[6:9], off offset:32
	s_waitcnt vmcnt(1)
	ds_write_b128 v1, v[2:5]
.LBB100_233:
	s_or_b64 exec, exec, s[0:1]
	s_waitcnt lgkmcnt(0)
	; wave barrier
	scratch_load_dwordx4 v[184:187], off, off offset:48
	scratch_load_dwordx4 v[188:191], off, off offset:64
	;; [unrolled: 1-line block ×32, first 2 shown]
	v_mov_b32_e32 v2, 0
	ds_read_b128 v[192:195], v2 offset:624
	ds_read_b128 v[204:207], v2 offset:640
	;; [unrolled: 1-line block ×16, first 2 shown]
	v_cmp_ne_u32_e32 vcc, 0, v0
	s_waitcnt vmcnt(31) lgkmcnt(14)
	v_mul_f64 v[104:105], v[192:193], v[186:187]
	s_waitcnt vmcnt(30)
	v_mul_f64 v[106:107], v[204:205], v[190:191]
	v_fmac_f64_e32 v[104:105], v[194:195], v[184:185]
	s_waitcnt vmcnt(29) lgkmcnt(13)
	v_mul_f64 v[112:113], v[216:217], v[198:199]
	v_fmac_f64_e32 v[106:107], v[206:207], v[188:189]
	v_add_f64 v[104:105], v[104:105], 0
	s_waitcnt vmcnt(28) lgkmcnt(12)
	v_mul_f64 v[114:115], v[224:225], v[202:203]
	v_fmac_f64_e32 v[112:113], v[218:219], v[196:197]
	v_add_f64 v[104:105], v[104:105], v[106:107]
	;; [unrolled: 4-line block ×10, first 2 shown]
	ds_read_b128 v[152:155], v2 offset:880
	ds_read_b128 v[156:159], v2 offset:896
	s_waitcnt vmcnt(19) lgkmcnt(5)
	v_mul_f64 v[164:165], v[124:125], v[26:27]
	v_fmac_f64_e32 v[162:163], v[134:135], v[20:21]
	v_add_f64 v[104:105], v[104:105], v[160:161]
	s_waitcnt vmcnt(18) lgkmcnt(4)
	v_mul_f64 v[166:167], v[120:121], v[30:31]
	v_fmac_f64_e32 v[164:165], v[126:127], v[24:25]
	v_add_f64 v[104:105], v[104:105], v[162:163]
	;; [unrolled: 4-line block ×4, first 2 shown]
	v_add_f64 v[112:113], v[104:105], v[168:169]
	v_fmac_f64_e32 v[170:171], v[110:111], v[36:37]
	scratch_load_dwordx4 v[104:107], off, off offset:560
	s_waitcnt vmcnt(16) lgkmcnt(1)
	v_mul_f64 v[114:115], v[152:153], v[42:43]
	v_add_f64 v[112:113], v[112:113], v[170:171]
	v_fmac_f64_e32 v[114:115], v[154:155], v[40:41]
	v_add_f64 v[128:129], v[112:113], v[114:115]
	scratch_load_dwordx4 v[112:115], off, off offset:576
	s_waitcnt vmcnt(16) lgkmcnt(0)
	v_mul_f64 v[130:131], v[156:157], v[46:47]
	v_fmac_f64_e32 v[130:131], v[158:159], v[44:45]
	v_add_f64 v[168:169], v[128:129], v[130:131]
	scratch_load_dwordx4 v[128:131], off, off offset:592
	ds_read_b128 v[160:163], v2 offset:912
	ds_read_b128 v[164:167], v2 offset:928
	v_mul_f64 v[186:187], v[194:195], v[186:187]
	v_fma_f64 v[252:253], v[192:193], v[184:185], -v[186:187]
	ds_read_b128 v[184:187], v2 offset:1008
	s_waitcnt vmcnt(16) lgkmcnt(2)
	v_mul_f64 v[170:171], v[160:161], v[50:51]
	v_fmac_f64_e32 v[170:171], v[162:163], v[48:49]
	s_waitcnt vmcnt(15) lgkmcnt(1)
	v_mul_f64 v[174:175], v[164:165], v[54:55]
	v_add_f64 v[172:173], v[168:169], v[170:171]
	ds_read_b128 v[168:171], v2 offset:944
	v_fmac_f64_e32 v[174:175], v[166:167], v[52:53]
	v_add_f64 v[176:177], v[172:173], v[174:175]
	ds_read_b128 v[172:175], v2 offset:960
	v_mul_f64 v[190:191], v[206:207], v[190:191]
	s_waitcnt vmcnt(14) lgkmcnt(1)
	v_mul_f64 v[178:179], v[168:169], v[58:59]
	v_fmac_f64_e32 v[178:179], v[170:171], v[56:57]
	v_add_f64 v[180:181], v[176:177], v[178:179]
	s_waitcnt vmcnt(13) lgkmcnt(0)
	v_mul_f64 v[182:183], v[172:173], v[62:63]
	ds_read_b128 v[176:179], v2 offset:976
	v_fmac_f64_e32 v[182:183], v[174:175], v[60:61]
	v_add_f64 v[232:233], v[180:181], v[182:183]
	ds_read_b128 v[180:183], v2 offset:992
	v_fma_f64 v[254:255], v[204:205], v[188:189], -v[190:191]
	s_waitcnt vmcnt(12) lgkmcnt(1)
	v_mul_f64 v[234:235], v[176:177], v[66:67]
	v_fmac_f64_e32 v[234:235], v[178:179], v[64:65]
	v_add_f64 v[232:233], v[232:233], v[234:235]
	s_waitcnt vmcnt(11) lgkmcnt(0)
	v_mul_f64 v[192:193], v[180:181], v[70:71]
	v_fmac_f64_e32 v[192:193], v[182:183], v[68:69]
	ds_read_b128 v[188:191], v2 offset:1024
	s_waitcnt vmcnt(10)
	v_mul_f64 v[194:195], v[184:185], v[74:75]
	v_add_f64 v[192:193], v[232:233], v[192:193]
	v_fmac_f64_e32 v[194:195], v[186:187], v[72:73]
	v_add_f64 v[204:205], v[192:193], v[194:195]
	ds_read_b128 v[192:195], v2 offset:1040
	v_mul_f64 v[198:199], v[218:219], v[198:199]
	v_fma_f64 v[242:243], v[216:217], v[196:197], -v[198:199]
	ds_read_b128 v[196:199], v2 offset:1056
	s_waitcnt vmcnt(9) lgkmcnt(2)
	v_mul_f64 v[206:207], v[188:189], v[78:79]
	v_fmac_f64_e32 v[206:207], v[190:191], v[76:77]
	v_add_f64 v[204:205], v[204:205], v[206:207]
	s_waitcnt vmcnt(8) lgkmcnt(1)
	v_mul_f64 v[206:207], v[192:193], v[82:83]
	v_fmac_f64_e32 v[206:207], v[194:195], v[80:81]
	v_mul_f64 v[202:203], v[226:227], v[202:203]
	v_add_f64 v[204:205], v[204:205], v[206:207]
	v_fma_f64 v[234:235], v[224:225], v[200:201], -v[202:203]
	ds_read_b128 v[200:203], v2 offset:1072
	s_waitcnt vmcnt(7) lgkmcnt(1)
	v_mul_f64 v[206:207], v[196:197], v[86:87]
	v_fmac_f64_e32 v[206:207], v[198:199], v[84:85]
	v_add_f64 v[216:217], v[204:205], v[206:207]
	ds_read_b128 v[204:207], v2 offset:1088
	v_mul_f64 v[210:211], v[230:231], v[210:211]
	v_fma_f64 v[236:237], v[228:229], v[208:209], -v[210:211]
	ds_read_b128 v[208:211], v2 offset:1104
	s_waitcnt vmcnt(6) lgkmcnt(2)
	v_mul_f64 v[218:219], v[200:201], v[90:91]
	v_fmac_f64_e32 v[218:219], v[202:203], v[88:89]
	v_add_f64 v[216:217], v[216:217], v[218:219]
	s_waitcnt vmcnt(5) lgkmcnt(1)
	v_mul_f64 v[218:219], v[204:205], v[94:95]
	v_fmac_f64_e32 v[218:219], v[206:207], v[92:93]
	v_mul_f64 v[214:215], v[246:247], v[214:215]
	v_fma_f64 v[238:239], v[244:245], v[212:213], -v[214:215]
	ds_read_b128 v[212:215], v2 offset:1120
	v_add_f64 v[216:217], v[216:217], v[218:219]
	s_waitcnt vmcnt(4) lgkmcnt(1)
	v_mul_f64 v[218:219], v[208:209], v[102:103]
	v_fmac_f64_e32 v[218:219], v[210:211], v[100:101]
	v_add_f64 v[224:225], v[216:217], v[218:219]
	ds_read_b128 v[216:219], v2 offset:1136
	v_mul_f64 v[222:223], v[250:251], v[222:223]
	v_fma_f64 v[244:245], v[248:249], v[220:221], -v[222:223]
	ds_read_b128 v[220:223], v2 offset:1152
	s_waitcnt vmcnt(3) lgkmcnt(2)
	v_mul_f64 v[226:227], v[212:213], v[98:99]
	v_fmac_f64_e32 v[226:227], v[214:215], v[96:97]
	v_add_f64 v[224:225], v[224:225], v[226:227]
	s_waitcnt vmcnt(2) lgkmcnt(1)
	v_mul_f64 v[226:227], v[216:217], v[106:107]
	v_fmac_f64_e32 v[226:227], v[218:219], v[104:105]
	v_add_f64 v[224:225], v[224:225], v[226:227]
	s_waitcnt vmcnt(1) lgkmcnt(0)
	v_mul_f64 v[226:227], v[220:221], v[114:115]
	v_fmac_f64_e32 v[226:227], v[222:223], v[112:113]
	v_add_f64 v[228:229], v[224:225], v[226:227]
	ds_read_b128 v[224:227], v2 offset:1168
	v_mul_f64 v[6:7], v[150:151], v[6:7]
	v_fma_f64 v[4:5], v[148:149], v[4:5], -v[6:7]
	v_mul_f64 v[6:7], v[146:147], v[10:11]
	v_fma_f64 v[6:7], v[144:145], v[8:9], -v[6:7]
	s_waitcnt vmcnt(0) lgkmcnt(0)
	v_mul_f64 v[230:231], v[224:225], v[130:131]
	v_fmac_f64_e32 v[230:231], v[226:227], v[128:129]
	v_add_f64 v[232:233], v[228:229], v[230:231]
	v_add_f64 v[228:229], v[252:253], 0
	v_add_f64 v[228:229], v[228:229], v[254:255]
	v_add_f64 v[246:247], v[228:229], v[242:243]
	scratch_load_dwordx4 v[228:231], off, off offset:32
	v_add_f64 v[234:235], v[246:247], v[234:235]
	v_add_f64 v[234:235], v[234:235], v[236:237]
	;; [unrolled: 1-line block ×6, first 2 shown]
	v_mul_f64 v[6:7], v[142:143], v[14:15]
	v_fma_f64 v[6:7], v[140:141], v[12:13], -v[6:7]
	v_add_f64 v[4:5], v[4:5], v[6:7]
	v_mul_f64 v[6:7], v[138:139], v[18:19]
	v_fma_f64 v[6:7], v[136:137], v[16:17], -v[6:7]
	v_add_f64 v[4:5], v[4:5], v[6:7]
	;; [unrolled: 3-line block ×26, first 2 shown]
	s_waitcnt vmcnt(0)
	v_add_f64 v[4:5], v[228:229], -v[4:5]
	v_add_f64 v[6:7], v[230:231], -v[232:233]
	scratch_store_dwordx4 off, v[4:7], off offset:32
	s_and_saveexec_b64 s[0:1], vcc
	s_cbranch_execz .LBB100_235
; %bb.234:
	scratch_load_dwordx4 v[6:9], off, off offset:16
	v_mov_b32_e32 v3, v2
	v_mov_b32_e32 v4, v2
	;; [unrolled: 1-line block ×3, first 2 shown]
	scratch_store_dwordx4 off, v[2:5], off offset:16
	s_waitcnt vmcnt(1)
	ds_write_b128 v1, v[6:9]
.LBB100_235:
	s_or_b64 exec, exec, s[0:1]
	s_waitcnt lgkmcnt(0)
	; wave barrier
	scratch_load_dwordx4 v[140:143], off, off offset:32
	scratch_load_dwordx4 v[144:147], off, off offset:48
	scratch_load_dwordx4 v[148:151], off, off offset:64
	scratch_load_dwordx4 v[152:155], off, off offset:80
	scratch_load_dwordx4 v[156:159], off, off offset:96
	scratch_load_dwordx4 v[160:163], off, off offset:112
	scratch_load_dwordx4 v[164:167], off, off offset:128
	scratch_load_dwordx4 v[4:7], off, off offset:144
	scratch_load_dwordx4 v[8:11], off, off offset:160
	scratch_load_dwordx4 v[12:15], off, off offset:176
	scratch_load_dwordx4 v[16:19], off, off offset:192
	scratch_load_dwordx4 v[20:23], off, off offset:208
	scratch_load_dwordx4 v[24:27], off, off offset:224
	scratch_load_dwordx4 v[28:31], off, off offset:240
	scratch_load_dwordx4 v[32:35], off, off offset:256
	scratch_load_dwordx4 v[36:39], off, off offset:272
	ds_read_b128 v[192:195], v2 offset:608
	ds_read_b128 v[184:187], v2 offset:624
	;; [unrolled: 1-line block ×3, first 2 shown]
	scratch_load_dwordx4 v[40:43], off, off offset:288
	ds_read_b128 v[188:191], v2 offset:656
	ds_read_b128 v[176:179], v2 offset:672
	;; [unrolled: 1-line block ×3, first 2 shown]
	scratch_load_dwordx4 v[44:47], off, off offset:304
	ds_read_b128 v[180:183], v2 offset:704
	ds_read_b128 v[64:67], v2 offset:720
	;; [unrolled: 1-line block ×5, first 2 shown]
	scratch_load_dwordx4 v[48:51], off, off offset:320
	ds_read_b128 v[80:83], v2 offset:784
	ds_read_b128 v[76:79], v2 offset:800
	ds_read_b128 v[72:75], v2 offset:816
	scratch_load_dwordx4 v[68:71], off, off offset:336
	ds_read_b128 v[92:95], v2 offset:832
	ds_read_b128 v[88:91], v2 offset:848
	scratch_load_dwordx4 v[84:87], off, off offset:352
	scratch_load_dwordx4 v[96:99], off, off offset:368
	;; [unrolled: 1-line block ×12, first 2 shown]
	ds_read_b128 v[196:199], v2 offset:864
	s_and_b64 vcc, exec, s[10:11]
	ds_read_b128 v[236:239], v2 offset:976
	s_waitcnt vmcnt(31) lgkmcnt(14)
	v_mul_f64 v[0:1], v[192:193], v[142:143]
	s_waitcnt vmcnt(30)
	v_mul_f64 v[200:201], v[184:185], v[146:147]
	v_fmac_f64_e32 v[0:1], v[194:195], v[140:141]
	s_waitcnt vmcnt(29)
	v_mul_f64 v[202:203], v[172:173], v[150:151]
	v_fmac_f64_e32 v[200:201], v[186:187], v[144:145]
	v_add_f64 v[0:1], v[0:1], 0
	s_waitcnt vmcnt(28)
	v_mul_f64 v[204:205], v[188:189], v[154:155]
	v_fmac_f64_e32 v[202:203], v[174:175], v[148:149]
	v_add_f64 v[0:1], v[0:1], v[200:201]
	s_waitcnt vmcnt(27) lgkmcnt(13)
	v_mul_f64 v[206:207], v[176:177], v[158:159]
	v_fmac_f64_e32 v[204:205], v[190:191], v[152:153]
	v_add_f64 v[0:1], v[0:1], v[202:203]
	s_waitcnt vmcnt(26) lgkmcnt(12)
	;; [unrolled: 4-line block ×8, first 2 shown]
	v_mul_f64 v[220:221], v[80:81], v[22:23]
	v_fmac_f64_e32 v[218:219], v[54:55], v[16:17]
	v_add_f64 v[0:1], v[0:1], v[216:217]
	scratch_load_dwordx4 v[200:203], off, off offset:544
	s_waitcnt vmcnt(20) lgkmcnt(5)
	v_mul_f64 v[222:223], v[76:77], v[26:27]
	v_fmac_f64_e32 v[220:221], v[82:83], v[20:21]
	v_add_f64 v[0:1], v[0:1], v[218:219]
	s_waitcnt vmcnt(19) lgkmcnt(4)
	v_mul_f64 v[224:225], v[72:73], v[30:31]
	v_fmac_f64_e32 v[222:223], v[78:79], v[24:25]
	v_add_f64 v[0:1], v[0:1], v[220:221]
	ds_read_b128 v[212:215], v2 offset:880
	scratch_load_dwordx4 v[204:207], off, off offset:560
	s_waitcnt vmcnt(19) lgkmcnt(4)
	v_mul_f64 v[226:227], v[92:93], v[34:35]
	v_fmac_f64_e32 v[224:225], v[74:75], v[28:29]
	v_add_f64 v[0:1], v[0:1], v[222:223]
	s_waitcnt vmcnt(18) lgkmcnt(3)
	v_mul_f64 v[228:229], v[88:89], v[38:39]
	v_fmac_f64_e32 v[226:227], v[94:95], v[32:33]
	v_add_f64 v[0:1], v[0:1], v[224:225]
	v_add_f64 v[0:1], v[0:1], v[226:227]
	v_fmac_f64_e32 v[228:229], v[90:91], v[36:37]
	s_waitcnt vmcnt(17) lgkmcnt(2)
	v_mul_f64 v[208:209], v[196:197], v[42:43]
	v_add_f64 v[0:1], v[0:1], v[228:229]
	v_fmac_f64_e32 v[208:209], v[198:199], v[40:41]
	v_add_f64 v[0:1], v[0:1], v[208:209]
	s_waitcnt vmcnt(16) lgkmcnt(0)
	v_mul_f64 v[208:209], v[212:213], v[46:47]
	v_fmac_f64_e32 v[208:209], v[214:215], v[44:45]
	v_add_f64 v[0:1], v[0:1], v[208:209]
	scratch_load_dwordx4 v[208:211], off, off offset:576
	ds_read_b128 v[216:219], v2 offset:896
	ds_read_b128 v[220:223], v2 offset:912
	v_mul_f64 v[142:143], v[194:195], v[142:143]
	v_fma_f64 v[194:195], v[192:193], v[140:141], -v[142:143]
	ds_read_b128 v[140:143], v2 offset:992
	s_waitcnt vmcnt(16) lgkmcnt(2)
	v_mul_f64 v[224:225], v[216:217], v[50:51]
	v_fmac_f64_e32 v[224:225], v[218:219], v[48:49]
	v_add_f64 v[0:1], v[0:1], v[224:225]
	ds_read_b128 v[224:227], v2 offset:928
	s_waitcnt vmcnt(15) lgkmcnt(2)
	v_mul_f64 v[228:229], v[220:221], v[70:71]
	v_fmac_f64_e32 v[228:229], v[222:223], v[68:69]
	v_add_f64 v[0:1], v[0:1], v[228:229]
	;; [unrolled: 5-line block ×4, first 2 shown]
	s_waitcnt vmcnt(11)
	v_mul_f64 v[192:193], v[236:237], v[106:107]
	s_waitcnt lgkmcnt(0)
	v_mul_f64 v[242:243], v[232:233], v[102:103]
	v_fmac_f64_e32 v[242:243], v[234:235], v[100:101]
	v_mul_f64 v[146:147], v[186:187], v[146:147]
	v_add_f64 v[0:1], v[0:1], v[242:243]
	v_fmac_f64_e32 v[192:193], v[238:239], v[104:105]
	v_fma_f64 v[242:243], v[184:185], v[144:145], -v[146:147]
	ds_read_b128 v[144:147], v2 offset:1008
	s_waitcnt vmcnt(10)
	v_mul_f64 v[184:185], v[140:141], v[110:111]
	v_add_f64 v[0:1], v[0:1], v[192:193]
	v_fmac_f64_e32 v[184:185], v[142:143], v[108:109]
	v_add_f64 v[0:1], v[0:1], v[184:185]
	ds_read_b128 v[184:187], v2 offset:1024
	v_mul_f64 v[150:151], v[174:175], v[150:151]
	s_waitcnt vmcnt(9) lgkmcnt(1)
	v_mul_f64 v[192:193], v[144:145], v[114:115]
	v_fma_f64 v[244:245], v[172:173], v[148:149], -v[150:151]
	ds_read_b128 v[148:151], v2 offset:1040
	v_fmac_f64_e32 v[192:193], v[146:147], v[112:113]
	s_waitcnt vmcnt(8) lgkmcnt(1)
	v_mul_f64 v[172:173], v[184:185], v[118:119]
	v_mul_f64 v[154:155], v[190:191], v[154:155]
	v_add_f64 v[0:1], v[0:1], v[192:193]
	v_fmac_f64_e32 v[172:173], v[186:187], v[116:117]
	v_fma_f64 v[246:247], v[188:189], v[152:153], -v[154:155]
	ds_read_b128 v[152:155], v2 offset:1056
	v_add_f64 v[0:1], v[0:1], v[172:173]
	ds_read_b128 v[172:175], v2 offset:1072
	v_mul_f64 v[158:159], v[178:179], v[158:159]
	v_fma_f64 v[248:249], v[176:177], v[156:157], -v[158:159]
	ds_read_b128 v[156:159], v2 offset:1088
	s_waitcnt vmcnt(7) lgkmcnt(3)
	v_mul_f64 v[188:189], v[148:149], v[122:123]
	v_fmac_f64_e32 v[188:189], v[150:151], v[120:121]
	v_add_f64 v[0:1], v[0:1], v[188:189]
	s_waitcnt vmcnt(6) lgkmcnt(2)
	v_mul_f64 v[188:189], v[152:153], v[126:127]
	v_fmac_f64_e32 v[188:189], v[154:155], v[124:125]
	s_waitcnt vmcnt(5) lgkmcnt(1)
	v_mul_f64 v[176:177], v[172:173], v[130:131]
	v_mul_f64 v[162:163], v[170:171], v[162:163]
	v_add_f64 v[0:1], v[0:1], v[188:189]
	v_fmac_f64_e32 v[176:177], v[174:175], v[128:129]
	v_fma_f64 v[190:191], v[168:169], v[160:161], -v[162:163]
	ds_read_b128 v[160:163], v2 offset:1104
	s_waitcnt vmcnt(4) lgkmcnt(1)
	v_mul_f64 v[168:169], v[156:157], v[134:135]
	v_add_f64 v[0:1], v[0:1], v[176:177]
	v_fmac_f64_e32 v[168:169], v[158:159], v[132:133]
	v_add_f64 v[0:1], v[0:1], v[168:169]
	ds_read_b128 v[168:171], v2 offset:1120
	v_mul_f64 v[166:167], v[182:183], v[166:167]
	v_fma_f64 v[192:193], v[180:181], v[164:165], -v[166:167]
	ds_read_b128 v[164:167], v2 offset:1136
	v_add_f64 v[194:195], v[194:195], 0
	s_waitcnt vmcnt(3) lgkmcnt(2)
	v_mul_f64 v[176:177], v[160:161], v[138:139]
	v_add_f64 v[194:195], v[194:195], v[242:243]
	v_fmac_f64_e32 v[176:177], v[162:163], v[136:137]
	v_add_f64 v[194:195], v[194:195], v[244:245]
	v_add_f64 v[0:1], v[0:1], v[176:177]
	;; [unrolled: 1-line block ×3, first 2 shown]
	scratch_load_dwordx4 v[244:247], off, off offset:16
	s_waitcnt vmcnt(3) lgkmcnt(1)
	v_mul_f64 v[176:177], v[168:169], v[202:203]
	v_fmac_f64_e32 v[176:177], v[170:171], v[200:201]
	v_add_f64 v[0:1], v[0:1], v[176:177]
	s_waitcnt vmcnt(2) lgkmcnt(0)
	v_mul_f64 v[176:177], v[164:165], v[206:207]
	v_fmac_f64_e32 v[176:177], v[166:167], v[204:205]
	v_add_f64 v[0:1], v[0:1], v[176:177]
	ds_read_b128 v[176:179], v2 offset:1152
	v_add_f64 v[194:195], v[194:195], v[248:249]
	v_add_f64 v[190:191], v[194:195], v[190:191]
	v_mul_f64 v[6:7], v[66:67], v[6:7]
	v_add_f64 v[190:191], v[190:191], v[192:193]
	s_waitcnt vmcnt(1) lgkmcnt(0)
	v_mul_f64 v[180:181], v[176:177], v[210:211]
	v_fmac_f64_e32 v[180:181], v[178:179], v[208:209]
	v_add_f64 v[188:189], v[0:1], v[180:181]
	scratch_load_dwordx4 v[180:183], off, off offset:592
	v_fma_f64 v[4:5], v[64:65], v[4:5], -v[6:7]
	v_mul_f64 v[6:7], v[62:63], v[10:11]
	v_add_f64 v[4:5], v[190:191], v[4:5]
	v_fma_f64 v[6:7], v[60:61], v[8:9], -v[6:7]
	v_add_f64 v[4:5], v[4:5], v[6:7]
	v_mul_f64 v[6:7], v[58:59], v[14:15]
	v_fma_f64 v[6:7], v[56:57], v[12:13], -v[6:7]
	v_add_f64 v[4:5], v[4:5], v[6:7]
	v_mul_f64 v[6:7], v[54:55], v[18:19]
	;; [unrolled: 3-line block ×23, first 2 shown]
	ds_read_b128 v[0:3], v2 offset:1168
	v_fma_f64 v[6:7], v[160:161], v[136:137], -v[6:7]
	v_add_f64 v[4:5], v[4:5], v[6:7]
	v_mul_f64 v[6:7], v[170:171], v[202:203]
	v_fma_f64 v[6:7], v[168:169], v[200:201], -v[6:7]
	v_add_f64 v[4:5], v[4:5], v[6:7]
	v_mul_f64 v[6:7], v[166:167], v[206:207]
	v_fma_f64 v[6:7], v[164:165], v[204:205], -v[6:7]
	s_waitcnt vmcnt(0) lgkmcnt(0)
	v_mul_f64 v[250:251], v[0:1], v[182:183]
	v_add_f64 v[4:5], v[4:5], v[6:7]
	v_mul_f64 v[6:7], v[178:179], v[210:211]
	v_fmac_f64_e32 v[250:251], v[2:3], v[180:181]
	v_fma_f64 v[6:7], v[176:177], v[208:209], -v[6:7]
	v_mul_f64 v[2:3], v[2:3], v[182:183]
	v_add_f64 v[4:5], v[4:5], v[6:7]
	v_fma_f64 v[0:1], v[0:1], v[180:181], -v[2:3]
	v_add_f64 v[188:189], v[188:189], v[250:251]
	v_add_f64 v[0:1], v[4:5], v[0:1]
	v_add_f64 v[0:1], v[244:245], -v[0:1]
	v_add_f64 v[2:3], v[246:247], -v[188:189]
	scratch_store_dwordx4 off, v[0:3], off offset:16
	s_cbranch_vccz .LBB100_308
; %bb.236:
	s_nop 0
	v_mov_b32_e32 v0, 0
	global_load_dword v1, v0, s[8:9] offset:140
	s_waitcnt vmcnt(0)
	v_readfirstlane_b32 s0, v1
	s_add_i32 s0, s0, -1
	s_cmp_lg_u32 s0, 35
	s_cbranch_scc0 .LBB100_238
; %bb.237:
	s_lshl_b32 s0, s0, 4
	s_add_i32 s0, s0, 16
	scratch_load_dwordx4 v[2:5], off, s0
	scratch_load_dwordx4 v[6:9], off, s17
	s_waitcnt vmcnt(1)
	scratch_store_dwordx4 off, v[2:5], s17
	s_waitcnt vmcnt(1)
	scratch_store_dwordx4 off, v[6:9], s0
.LBB100_238:
	global_load_dword v0, v0, s[8:9] offset:136
	s_waitcnt vmcnt(0)
	v_readfirstlane_b32 s0, v0
	s_add_i32 s0, s0, -1
	s_cmp_eq_u32 s0, 34
	s_cbranch_scc1 .LBB100_240
; %bb.239:
	s_lshl_b32 s0, s0, 4
	s_add_i32 s0, s0, 16
	scratch_load_dwordx4 v[0:3], off, s0
	scratch_load_dwordx4 v[4:7], off, s18
	s_waitcnt vmcnt(1)
	scratch_store_dwordx4 off, v[0:3], s18
	s_waitcnt vmcnt(1)
	scratch_store_dwordx4 off, v[4:7], s0
.LBB100_240:
	v_mov_b32_e32 v0, 0
	global_load_dword v1, v0, s[8:9] offset:132
	s_waitcnt vmcnt(0)
	v_readfirstlane_b32 s0, v1
	s_add_i32 s0, s0, -1
	s_cmp_eq_u32 s0, 33
	s_cbranch_scc1 .LBB100_242
; %bb.241:
	s_lshl_b32 s0, s0, 4
	s_add_i32 s0, s0, 16
	scratch_load_dwordx4 v[2:5], off, s0
	scratch_load_dwordx4 v[6:9], off, s19
	s_waitcnt vmcnt(1)
	scratch_store_dwordx4 off, v[2:5], s19
	s_waitcnt vmcnt(1)
	scratch_store_dwordx4 off, v[6:9], s0
.LBB100_242:
	global_load_dword v0, v0, s[8:9] offset:128
	s_waitcnt vmcnt(0)
	v_readfirstlane_b32 s0, v0
	s_add_i32 s0, s0, -1
	s_cmp_eq_u32 s0, 32
	s_cbranch_scc1 .LBB100_244
; %bb.243:
	s_lshl_b32 s0, s0, 4
	s_add_i32 s0, s0, 16
	scratch_load_dwordx4 v[0:3], off, s0
	scratch_load_dwordx4 v[4:7], off, s20
	s_waitcnt vmcnt(1)
	scratch_store_dwordx4 off, v[0:3], s20
	s_waitcnt vmcnt(1)
	scratch_store_dwordx4 off, v[4:7], s0
.LBB100_244:
	v_mov_b32_e32 v0, 0
	global_load_dword v1, v0, s[8:9] offset:124
	s_waitcnt vmcnt(0)
	v_readfirstlane_b32 s0, v1
	s_add_i32 s0, s0, -1
	s_cmp_eq_u32 s0, 31
	s_cbranch_scc1 .LBB100_246
; %bb.245:
	s_lshl_b32 s0, s0, 4
	s_add_i32 s0, s0, 16
	scratch_load_dwordx4 v[2:5], off, s0
	scratch_load_dwordx4 v[6:9], off, s21
	s_waitcnt vmcnt(1)
	scratch_store_dwordx4 off, v[2:5], s21
	s_waitcnt vmcnt(1)
	scratch_store_dwordx4 off, v[6:9], s0
.LBB100_246:
	global_load_dword v0, v0, s[8:9] offset:120
	s_waitcnt vmcnt(0)
	v_readfirstlane_b32 s0, v0
	s_add_i32 s0, s0, -1
	s_cmp_eq_u32 s0, 30
	s_cbranch_scc1 .LBB100_248
; %bb.247:
	s_lshl_b32 s0, s0, 4
	s_add_i32 s0, s0, 16
	scratch_load_dwordx4 v[0:3], off, s0
	scratch_load_dwordx4 v[4:7], off, s22
	s_waitcnt vmcnt(1)
	scratch_store_dwordx4 off, v[0:3], s22
	s_waitcnt vmcnt(1)
	scratch_store_dwordx4 off, v[4:7], s0
.LBB100_248:
	v_mov_b32_e32 v0, 0
	global_load_dword v1, v0, s[8:9] offset:116
	s_waitcnt vmcnt(0)
	v_readfirstlane_b32 s0, v1
	s_add_i32 s0, s0, -1
	s_cmp_eq_u32 s0, 29
	s_cbranch_scc1 .LBB100_250
; %bb.249:
	s_lshl_b32 s0, s0, 4
	s_add_i32 s0, s0, 16
	scratch_load_dwordx4 v[2:5], off, s0
	scratch_load_dwordx4 v[6:9], off, s23
	s_waitcnt vmcnt(1)
	scratch_store_dwordx4 off, v[2:5], s23
	s_waitcnt vmcnt(1)
	scratch_store_dwordx4 off, v[6:9], s0
.LBB100_250:
	global_load_dword v0, v0, s[8:9] offset:112
	s_waitcnt vmcnt(0)
	v_readfirstlane_b32 s0, v0
	s_add_i32 s0, s0, -1
	s_cmp_eq_u32 s0, 28
	s_cbranch_scc1 .LBB100_252
; %bb.251:
	s_lshl_b32 s0, s0, 4
	s_add_i32 s0, s0, 16
	scratch_load_dwordx4 v[0:3], off, s0
	scratch_load_dwordx4 v[4:7], off, s24
	s_waitcnt vmcnt(1)
	scratch_store_dwordx4 off, v[0:3], s24
	s_waitcnt vmcnt(1)
	scratch_store_dwordx4 off, v[4:7], s0
.LBB100_252:
	v_mov_b32_e32 v0, 0
	global_load_dword v1, v0, s[8:9] offset:108
	s_waitcnt vmcnt(0)
	v_readfirstlane_b32 s0, v1
	s_add_i32 s0, s0, -1
	s_cmp_eq_u32 s0, 27
	s_cbranch_scc1 .LBB100_254
; %bb.253:
	s_lshl_b32 s0, s0, 4
	s_add_i32 s0, s0, 16
	scratch_load_dwordx4 v[2:5], off, s0
	scratch_load_dwordx4 v[6:9], off, s25
	s_waitcnt vmcnt(1)
	scratch_store_dwordx4 off, v[2:5], s25
	s_waitcnt vmcnt(1)
	scratch_store_dwordx4 off, v[6:9], s0
.LBB100_254:
	global_load_dword v0, v0, s[8:9] offset:104
	s_waitcnt vmcnt(0)
	v_readfirstlane_b32 s0, v0
	s_add_i32 s0, s0, -1
	s_cmp_eq_u32 s0, 26
	s_cbranch_scc1 .LBB100_256
; %bb.255:
	s_lshl_b32 s0, s0, 4
	s_add_i32 s0, s0, 16
	scratch_load_dwordx4 v[0:3], off, s0
	scratch_load_dwordx4 v[4:7], off, s26
	s_waitcnt vmcnt(1)
	scratch_store_dwordx4 off, v[0:3], s26
	s_waitcnt vmcnt(1)
	scratch_store_dwordx4 off, v[4:7], s0
.LBB100_256:
	v_mov_b32_e32 v0, 0
	global_load_dword v1, v0, s[8:9] offset:100
	s_waitcnt vmcnt(0)
	v_readfirstlane_b32 s0, v1
	s_add_i32 s0, s0, -1
	s_cmp_eq_u32 s0, 25
	s_cbranch_scc1 .LBB100_258
; %bb.257:
	s_lshl_b32 s0, s0, 4
	s_add_i32 s0, s0, 16
	scratch_load_dwordx4 v[2:5], off, s0
	scratch_load_dwordx4 v[6:9], off, s27
	s_waitcnt vmcnt(1)
	scratch_store_dwordx4 off, v[2:5], s27
	s_waitcnt vmcnt(1)
	scratch_store_dwordx4 off, v[6:9], s0
.LBB100_258:
	global_load_dword v0, v0, s[8:9] offset:96
	s_waitcnt vmcnt(0)
	v_readfirstlane_b32 s0, v0
	s_add_i32 s0, s0, -1
	s_cmp_eq_u32 s0, 24
	s_cbranch_scc1 .LBB100_260
; %bb.259:
	s_lshl_b32 s0, s0, 4
	s_add_i32 s0, s0, 16
	scratch_load_dwordx4 v[0:3], off, s0
	scratch_load_dwordx4 v[4:7], off, s28
	s_waitcnt vmcnt(1)
	scratch_store_dwordx4 off, v[0:3], s28
	s_waitcnt vmcnt(1)
	scratch_store_dwordx4 off, v[4:7], s0
.LBB100_260:
	v_mov_b32_e32 v0, 0
	global_load_dword v1, v0, s[8:9] offset:92
	s_waitcnt vmcnt(0)
	v_readfirstlane_b32 s0, v1
	s_add_i32 s0, s0, -1
	s_cmp_eq_u32 s0, 23
	s_cbranch_scc1 .LBB100_262
; %bb.261:
	s_lshl_b32 s0, s0, 4
	s_add_i32 s0, s0, 16
	scratch_load_dwordx4 v[2:5], off, s0
	scratch_load_dwordx4 v[6:9], off, s29
	s_waitcnt vmcnt(1)
	scratch_store_dwordx4 off, v[2:5], s29
	s_waitcnt vmcnt(1)
	scratch_store_dwordx4 off, v[6:9], s0
.LBB100_262:
	global_load_dword v0, v0, s[8:9] offset:88
	s_waitcnt vmcnt(0)
	v_readfirstlane_b32 s0, v0
	s_add_i32 s0, s0, -1
	s_cmp_eq_u32 s0, 22
	s_cbranch_scc1 .LBB100_264
; %bb.263:
	s_lshl_b32 s0, s0, 4
	s_add_i32 s0, s0, 16
	scratch_load_dwordx4 v[0:3], off, s0
	scratch_load_dwordx4 v[4:7], off, s30
	s_waitcnt vmcnt(1)
	scratch_store_dwordx4 off, v[0:3], s30
	s_waitcnt vmcnt(1)
	scratch_store_dwordx4 off, v[4:7], s0
.LBB100_264:
	v_mov_b32_e32 v0, 0
	global_load_dword v1, v0, s[8:9] offset:84
	s_waitcnt vmcnt(0)
	v_readfirstlane_b32 s0, v1
	s_add_i32 s0, s0, -1
	s_cmp_eq_u32 s0, 21
	s_cbranch_scc1 .LBB100_266
; %bb.265:
	s_lshl_b32 s0, s0, 4
	s_add_i32 s0, s0, 16
	scratch_load_dwordx4 v[2:5], off, s0
	scratch_load_dwordx4 v[6:9], off, s31
	s_waitcnt vmcnt(1)
	scratch_store_dwordx4 off, v[2:5], s31
	s_waitcnt vmcnt(1)
	scratch_store_dwordx4 off, v[6:9], s0
.LBB100_266:
	global_load_dword v0, v0, s[8:9] offset:80
	s_waitcnt vmcnt(0)
	v_readfirstlane_b32 s0, v0
	s_add_i32 s0, s0, -1
	s_cmp_eq_u32 s0, 20
	s_cbranch_scc1 .LBB100_268
; %bb.267:
	s_lshl_b32 s0, s0, 4
	s_add_i32 s0, s0, 16
	scratch_load_dwordx4 v[0:3], off, s0
	scratch_load_dwordx4 v[4:7], off, s33
	s_waitcnt vmcnt(1)
	scratch_store_dwordx4 off, v[0:3], s33
	s_waitcnt vmcnt(1)
	scratch_store_dwordx4 off, v[4:7], s0
.LBB100_268:
	v_mov_b32_e32 v0, 0
	global_load_dword v1, v0, s[8:9] offset:76
	s_waitcnt vmcnt(0)
	v_readfirstlane_b32 s0, v1
	s_add_i32 s0, s0, -1
	s_cmp_eq_u32 s0, 19
	s_cbranch_scc1 .LBB100_270
; %bb.269:
	s_lshl_b32 s0, s0, 4
	s_add_i32 s0, s0, 16
	scratch_load_dwordx4 v[2:5], off, s0
	scratch_load_dwordx4 v[6:9], off, s34
	s_waitcnt vmcnt(1)
	scratch_store_dwordx4 off, v[2:5], s34
	s_waitcnt vmcnt(1)
	scratch_store_dwordx4 off, v[6:9], s0
.LBB100_270:
	global_load_dword v0, v0, s[8:9] offset:72
	s_waitcnt vmcnt(0)
	v_readfirstlane_b32 s0, v0
	s_add_i32 s0, s0, -1
	s_cmp_eq_u32 s0, 18
	s_cbranch_scc1 .LBB100_272
; %bb.271:
	s_lshl_b32 s0, s0, 4
	s_add_i32 s0, s0, 16
	scratch_load_dwordx4 v[0:3], off, s0
	scratch_load_dwordx4 v[4:7], off, s35
	s_waitcnt vmcnt(1)
	scratch_store_dwordx4 off, v[0:3], s35
	s_waitcnt vmcnt(1)
	scratch_store_dwordx4 off, v[4:7], s0
.LBB100_272:
	v_mov_b32_e32 v0, 0
	global_load_dword v1, v0, s[8:9] offset:68
	s_waitcnt vmcnt(0)
	v_readfirstlane_b32 s0, v1
	s_add_i32 s0, s0, -1
	s_cmp_eq_u32 s0, 17
	s_cbranch_scc1 .LBB100_274
; %bb.273:
	s_lshl_b32 s0, s0, 4
	s_add_i32 s0, s0, 16
	scratch_load_dwordx4 v[2:5], off, s0
	scratch_load_dwordx4 v[6:9], off, s36
	s_waitcnt vmcnt(1)
	scratch_store_dwordx4 off, v[2:5], s36
	s_waitcnt vmcnt(1)
	scratch_store_dwordx4 off, v[6:9], s0
.LBB100_274:
	global_load_dword v0, v0, s[8:9] offset:64
	s_waitcnt vmcnt(0)
	v_readfirstlane_b32 s0, v0
	s_add_i32 s0, s0, -1
	s_cmp_eq_u32 s0, 16
	s_cbranch_scc1 .LBB100_276
; %bb.275:
	s_lshl_b32 s0, s0, 4
	s_add_i32 s0, s0, 16
	scratch_load_dwordx4 v[0:3], off, s0
	scratch_load_dwordx4 v[4:7], off, s37
	s_waitcnt vmcnt(1)
	scratch_store_dwordx4 off, v[0:3], s37
	s_waitcnt vmcnt(1)
	scratch_store_dwordx4 off, v[4:7], s0
.LBB100_276:
	v_mov_b32_e32 v0, 0
	global_load_dword v1, v0, s[8:9] offset:60
	s_waitcnt vmcnt(0)
	v_readfirstlane_b32 s0, v1
	s_add_i32 s0, s0, -1
	s_cmp_eq_u32 s0, 15
	s_cbranch_scc1 .LBB100_278
; %bb.277:
	s_lshl_b32 s0, s0, 4
	s_add_i32 s0, s0, 16
	scratch_load_dwordx4 v[2:5], off, s0
	scratch_load_dwordx4 v[6:9], off, s38
	s_waitcnt vmcnt(1)
	scratch_store_dwordx4 off, v[2:5], s38
	s_waitcnt vmcnt(1)
	scratch_store_dwordx4 off, v[6:9], s0
.LBB100_278:
	global_load_dword v0, v0, s[8:9] offset:56
	s_waitcnt vmcnt(0)
	v_readfirstlane_b32 s0, v0
	s_add_i32 s0, s0, -1
	s_cmp_eq_u32 s0, 14
	s_cbranch_scc1 .LBB100_280
; %bb.279:
	s_lshl_b32 s0, s0, 4
	s_add_i32 s0, s0, 16
	scratch_load_dwordx4 v[0:3], off, s0
	scratch_load_dwordx4 v[4:7], off, s39
	s_waitcnt vmcnt(1)
	scratch_store_dwordx4 off, v[0:3], s39
	s_waitcnt vmcnt(1)
	scratch_store_dwordx4 off, v[4:7], s0
.LBB100_280:
	v_mov_b32_e32 v0, 0
	global_load_dword v1, v0, s[8:9] offset:52
	s_waitcnt vmcnt(0)
	v_readfirstlane_b32 s0, v1
	s_add_i32 s0, s0, -1
	s_cmp_eq_u32 s0, 13
	s_cbranch_scc1 .LBB100_282
; %bb.281:
	s_lshl_b32 s0, s0, 4
	s_add_i32 s0, s0, 16
	scratch_load_dwordx4 v[2:5], off, s0
	scratch_load_dwordx4 v[6:9], off, s40
	s_waitcnt vmcnt(1)
	scratch_store_dwordx4 off, v[2:5], s40
	s_waitcnt vmcnt(1)
	scratch_store_dwordx4 off, v[6:9], s0
.LBB100_282:
	global_load_dword v0, v0, s[8:9] offset:48
	s_waitcnt vmcnt(0)
	v_readfirstlane_b32 s0, v0
	s_add_i32 s0, s0, -1
	s_cmp_eq_u32 s0, 12
	s_cbranch_scc1 .LBB100_284
; %bb.283:
	s_lshl_b32 s0, s0, 4
	s_add_i32 s0, s0, 16
	scratch_load_dwordx4 v[0:3], off, s0
	scratch_load_dwordx4 v[4:7], off, s41
	s_waitcnt vmcnt(1)
	scratch_store_dwordx4 off, v[0:3], s41
	s_waitcnt vmcnt(1)
	scratch_store_dwordx4 off, v[4:7], s0
.LBB100_284:
	v_mov_b32_e32 v0, 0
	global_load_dword v1, v0, s[8:9] offset:44
	s_waitcnt vmcnt(0)
	v_readfirstlane_b32 s0, v1
	s_add_i32 s0, s0, -1
	s_cmp_eq_u32 s0, 11
	s_cbranch_scc1 .LBB100_286
; %bb.285:
	s_lshl_b32 s0, s0, 4
	s_add_i32 s0, s0, 16
	scratch_load_dwordx4 v[2:5], off, s0
	scratch_load_dwordx4 v[6:9], off, s42
	s_waitcnt vmcnt(1)
	scratch_store_dwordx4 off, v[2:5], s42
	s_waitcnt vmcnt(1)
	scratch_store_dwordx4 off, v[6:9], s0
.LBB100_286:
	global_load_dword v0, v0, s[8:9] offset:40
	s_waitcnt vmcnt(0)
	v_readfirstlane_b32 s0, v0
	s_add_i32 s0, s0, -1
	s_cmp_eq_u32 s0, 10
	s_cbranch_scc1 .LBB100_288
; %bb.287:
	s_lshl_b32 s0, s0, 4
	s_add_i32 s0, s0, 16
	scratch_load_dwordx4 v[0:3], off, s0
	scratch_load_dwordx4 v[4:7], off, s43
	s_waitcnt vmcnt(1)
	scratch_store_dwordx4 off, v[0:3], s43
	s_waitcnt vmcnt(1)
	scratch_store_dwordx4 off, v[4:7], s0
.LBB100_288:
	v_mov_b32_e32 v0, 0
	global_load_dword v1, v0, s[8:9] offset:36
	s_waitcnt vmcnt(0)
	v_readfirstlane_b32 s0, v1
	s_add_i32 s0, s0, -1
	s_cmp_eq_u32 s0, 9
	s_cbranch_scc1 .LBB100_290
; %bb.289:
	s_lshl_b32 s0, s0, 4
	s_add_i32 s0, s0, 16
	scratch_load_dwordx4 v[2:5], off, s0
	scratch_load_dwordx4 v[6:9], off, s44
	s_waitcnt vmcnt(1)
	scratch_store_dwordx4 off, v[2:5], s44
	s_waitcnt vmcnt(1)
	scratch_store_dwordx4 off, v[6:9], s0
.LBB100_290:
	global_load_dword v0, v0, s[8:9] offset:32
	s_waitcnt vmcnt(0)
	v_readfirstlane_b32 s0, v0
	s_add_i32 s0, s0, -1
	s_cmp_eq_u32 s0, 8
	s_cbranch_scc1 .LBB100_292
; %bb.291:
	s_lshl_b32 s0, s0, 4
	s_add_i32 s0, s0, 16
	scratch_load_dwordx4 v[0:3], off, s0
	scratch_load_dwordx4 v[4:7], off, s45
	s_waitcnt vmcnt(1)
	scratch_store_dwordx4 off, v[0:3], s45
	s_waitcnt vmcnt(1)
	scratch_store_dwordx4 off, v[4:7], s0
.LBB100_292:
	v_mov_b32_e32 v0, 0
	global_load_dword v1, v0, s[8:9] offset:28
	s_waitcnt vmcnt(0)
	v_readfirstlane_b32 s0, v1
	s_add_i32 s0, s0, -1
	s_cmp_eq_u32 s0, 7
	s_cbranch_scc1 .LBB100_294
; %bb.293:
	s_lshl_b32 s0, s0, 4
	s_add_i32 s0, s0, 16
	scratch_load_dwordx4 v[2:5], off, s0
	scratch_load_dwordx4 v[6:9], off, s46
	s_waitcnt vmcnt(1)
	scratch_store_dwordx4 off, v[2:5], s46
	s_waitcnt vmcnt(1)
	scratch_store_dwordx4 off, v[6:9], s0
.LBB100_294:
	global_load_dword v0, v0, s[8:9] offset:24
	s_waitcnt vmcnt(0)
	v_readfirstlane_b32 s0, v0
	s_add_i32 s0, s0, -1
	s_cmp_eq_u32 s0, 6
	s_cbranch_scc1 .LBB100_296
; %bb.295:
	s_lshl_b32 s0, s0, 4
	s_add_i32 s0, s0, 16
	scratch_load_dwordx4 v[0:3], off, s0
	scratch_load_dwordx4 v[4:7], off, s47
	s_waitcnt vmcnt(1)
	scratch_store_dwordx4 off, v[0:3], s47
	s_waitcnt vmcnt(1)
	scratch_store_dwordx4 off, v[4:7], s0
.LBB100_296:
	v_mov_b32_e32 v0, 0
	global_load_dword v1, v0, s[8:9] offset:20
	s_waitcnt vmcnt(0)
	v_readfirstlane_b32 s0, v1
	s_add_i32 s0, s0, -1
	s_cmp_eq_u32 s0, 5
	s_cbranch_scc1 .LBB100_298
; %bb.297:
	s_lshl_b32 s0, s0, 4
	s_add_i32 s0, s0, 16
	scratch_load_dwordx4 v[2:5], off, s0
	scratch_load_dwordx4 v[6:9], off, s48
	s_waitcnt vmcnt(1)
	scratch_store_dwordx4 off, v[2:5], s48
	s_waitcnt vmcnt(1)
	scratch_store_dwordx4 off, v[6:9], s0
.LBB100_298:
	global_load_dword v0, v0, s[8:9] offset:16
	s_waitcnt vmcnt(0)
	v_readfirstlane_b32 s0, v0
	s_add_i32 s0, s0, -1
	s_cmp_eq_u32 s0, 4
	s_cbranch_scc1 .LBB100_300
; %bb.299:
	s_lshl_b32 s0, s0, 4
	s_add_i32 s0, s0, 16
	scratch_load_dwordx4 v[0:3], off, s0
	scratch_load_dwordx4 v[4:7], off, s49
	s_waitcnt vmcnt(1)
	scratch_store_dwordx4 off, v[0:3], s49
	s_waitcnt vmcnt(1)
	scratch_store_dwordx4 off, v[4:7], s0
.LBB100_300:
	v_mov_b32_e32 v0, 0
	global_load_dword v1, v0, s[8:9] offset:12
	s_waitcnt vmcnt(0)
	v_readfirstlane_b32 s0, v1
	s_add_i32 s0, s0, -1
	s_cmp_eq_u32 s0, 3
	s_cbranch_scc1 .LBB100_302
; %bb.301:
	s_lshl_b32 s0, s0, 4
	s_add_i32 s0, s0, 16
	scratch_load_dwordx4 v[2:5], off, s0
	scratch_load_dwordx4 v[6:9], off, s50
	s_waitcnt vmcnt(1)
	scratch_store_dwordx4 off, v[2:5], s50
	s_waitcnt vmcnt(1)
	scratch_store_dwordx4 off, v[6:9], s0
.LBB100_302:
	global_load_dword v0, v0, s[8:9] offset:8
	s_waitcnt vmcnt(0)
	v_readfirstlane_b32 s0, v0
	s_add_i32 s0, s0, -1
	s_cmp_eq_u32 s0, 2
	s_cbranch_scc1 .LBB100_304
; %bb.303:
	s_lshl_b32 s0, s0, 4
	s_add_i32 s0, s0, 16
	scratch_load_dwordx4 v[0:3], off, s0
	scratch_load_dwordx4 v[4:7], off, s51
	s_waitcnt vmcnt(1)
	scratch_store_dwordx4 off, v[0:3], s51
	s_waitcnt vmcnt(1)
	scratch_store_dwordx4 off, v[4:7], s0
.LBB100_304:
	v_mov_b32_e32 v0, 0
	global_load_dword v1, v0, s[8:9] offset:4
	s_waitcnt vmcnt(0)
	v_readfirstlane_b32 s0, v1
	s_add_i32 s0, s0, -1
	s_cmp_eq_u32 s0, 1
	s_cbranch_scc1 .LBB100_306
; %bb.305:
	s_lshl_b32 s0, s0, 4
	s_add_i32 s0, s0, 16
	scratch_load_dwordx4 v[2:5], off, s0
	scratch_load_dwordx4 v[6:9], off, s52
	s_waitcnt vmcnt(1)
	scratch_store_dwordx4 off, v[2:5], s52
	s_waitcnt vmcnt(1)
	scratch_store_dwordx4 off, v[6:9], s0
.LBB100_306:
	global_load_dword v0, v0, s[8:9]
	s_waitcnt vmcnt(0)
	v_readfirstlane_b32 s0, v0
	s_add_i32 s0, s0, -1
	s_cmp_eq_u32 s0, 0
	s_cbranch_scc1 .LBB100_308
; %bb.307:
	s_lshl_b32 s0, s0, 4
	s_add_i32 s0, s0, 16
	scratch_load_dwordx4 v[0:3], off, s0
	scratch_load_dwordx4 v[4:7], off, off offset:16
	s_waitcnt vmcnt(1)
	scratch_store_dwordx4 off, v[0:3], off offset:16
	s_waitcnt vmcnt(1)
	scratch_store_dwordx4 off, v[4:7], s0
.LBB100_308:
	scratch_load_dwordx4 v[0:3], off, off offset:16
	s_nop 0
	v_accvgpr_read_b32 v5, a1
	v_accvgpr_read_b32 v4, a0
	s_waitcnt vmcnt(0)
	flat_store_dwordx4 v[240:241], v[0:3]
	scratch_load_dwordx4 v[0:3], off, s52
	s_waitcnt vmcnt(0)
	flat_store_dwordx4 v[4:5], v[0:3]
	scratch_load_dwordx4 v[0:3], off, s51
	v_accvgpr_read_b32 v5, a3
	v_accvgpr_read_b32 v4, a2
	s_waitcnt vmcnt(0)
	flat_store_dwordx4 v[4:5], v[0:3]
	scratch_load_dwordx4 v[0:3], off, s50
	v_accvgpr_read_b32 v4, a4
	v_accvgpr_read_b32 v5, a5
	;; [unrolled: 5-line block ×35, first 2 shown]
	s_waitcnt vmcnt(0)
	flat_store_dwordx4 v[4:5], v[0:3]
	s_endpgm
	.section	.rodata,"a",@progbits
	.p2align	6, 0x0
	.amdhsa_kernel _ZN9rocsolver6v33100L18getri_kernel_smallILi37E19rocblas_complex_numIdEPKPS3_EEvT1_iilPiilS8_bb
		.amdhsa_group_segment_fixed_size 1192
		.amdhsa_private_segment_fixed_size 624
		.amdhsa_kernarg_size 60
		.amdhsa_user_sgpr_count 2
		.amdhsa_user_sgpr_dispatch_ptr 0
		.amdhsa_user_sgpr_queue_ptr 0
		.amdhsa_user_sgpr_kernarg_segment_ptr 1
		.amdhsa_user_sgpr_dispatch_id 0
		.amdhsa_user_sgpr_kernarg_preload_length 0
		.amdhsa_user_sgpr_kernarg_preload_offset 0
		.amdhsa_user_sgpr_private_segment_size 0
		.amdhsa_uses_dynamic_stack 0
		.amdhsa_enable_private_segment 1
		.amdhsa_system_sgpr_workgroup_id_x 1
		.amdhsa_system_sgpr_workgroup_id_y 0
		.amdhsa_system_sgpr_workgroup_id_z 0
		.amdhsa_system_sgpr_workgroup_info 0
		.amdhsa_system_vgpr_workitem_id 0
		.amdhsa_next_free_vgpr 328
		.amdhsa_next_free_sgpr 65
		.amdhsa_accum_offset 256
		.amdhsa_reserve_vcc 1
		.amdhsa_float_round_mode_32 0
		.amdhsa_float_round_mode_16_64 0
		.amdhsa_float_denorm_mode_32 3
		.amdhsa_float_denorm_mode_16_64 3
		.amdhsa_dx10_clamp 1
		.amdhsa_ieee_mode 1
		.amdhsa_fp16_overflow 0
		.amdhsa_tg_split 0
		.amdhsa_exception_fp_ieee_invalid_op 0
		.amdhsa_exception_fp_denorm_src 0
		.amdhsa_exception_fp_ieee_div_zero 0
		.amdhsa_exception_fp_ieee_overflow 0
		.amdhsa_exception_fp_ieee_underflow 0
		.amdhsa_exception_fp_ieee_inexact 0
		.amdhsa_exception_int_div_zero 0
	.end_amdhsa_kernel
	.section	.text._ZN9rocsolver6v33100L18getri_kernel_smallILi37E19rocblas_complex_numIdEPKPS3_EEvT1_iilPiilS8_bb,"axG",@progbits,_ZN9rocsolver6v33100L18getri_kernel_smallILi37E19rocblas_complex_numIdEPKPS3_EEvT1_iilPiilS8_bb,comdat
.Lfunc_end100:
	.size	_ZN9rocsolver6v33100L18getri_kernel_smallILi37E19rocblas_complex_numIdEPKPS3_EEvT1_iilPiilS8_bb, .Lfunc_end100-_ZN9rocsolver6v33100L18getri_kernel_smallILi37E19rocblas_complex_numIdEPKPS3_EEvT1_iilPiilS8_bb
                                        ; -- End function
	.set _ZN9rocsolver6v33100L18getri_kernel_smallILi37E19rocblas_complex_numIdEPKPS3_EEvT1_iilPiilS8_bb.num_vgpr, 256
	.set _ZN9rocsolver6v33100L18getri_kernel_smallILi37E19rocblas_complex_numIdEPKPS3_EEvT1_iilPiilS8_bb.num_agpr, 72
	.set _ZN9rocsolver6v33100L18getri_kernel_smallILi37E19rocblas_complex_numIdEPKPS3_EEvT1_iilPiilS8_bb.numbered_sgpr, 65
	.set _ZN9rocsolver6v33100L18getri_kernel_smallILi37E19rocblas_complex_numIdEPKPS3_EEvT1_iilPiilS8_bb.num_named_barrier, 0
	.set _ZN9rocsolver6v33100L18getri_kernel_smallILi37E19rocblas_complex_numIdEPKPS3_EEvT1_iilPiilS8_bb.private_seg_size, 624
	.set _ZN9rocsolver6v33100L18getri_kernel_smallILi37E19rocblas_complex_numIdEPKPS3_EEvT1_iilPiilS8_bb.uses_vcc, 1
	.set _ZN9rocsolver6v33100L18getri_kernel_smallILi37E19rocblas_complex_numIdEPKPS3_EEvT1_iilPiilS8_bb.uses_flat_scratch, 0
	.set _ZN9rocsolver6v33100L18getri_kernel_smallILi37E19rocblas_complex_numIdEPKPS3_EEvT1_iilPiilS8_bb.has_dyn_sized_stack, 0
	.set _ZN9rocsolver6v33100L18getri_kernel_smallILi37E19rocblas_complex_numIdEPKPS3_EEvT1_iilPiilS8_bb.has_recursion, 0
	.set _ZN9rocsolver6v33100L18getri_kernel_smallILi37E19rocblas_complex_numIdEPKPS3_EEvT1_iilPiilS8_bb.has_indirect_call, 0
	.section	.AMDGPU.csdata,"",@progbits
; Kernel info:
; codeLenInByte = 61240
; TotalNumSgprs: 71
; NumVgprs: 256
; NumAgprs: 72
; TotalNumVgprs: 328
; ScratchSize: 624
; MemoryBound: 0
; FloatMode: 240
; IeeeMode: 1
; LDSByteSize: 1192 bytes/workgroup (compile time only)
; SGPRBlocks: 8
; VGPRBlocks: 40
; NumSGPRsForWavesPerEU: 71
; NumVGPRsForWavesPerEU: 328
; AccumOffset: 256
; Occupancy: 1
; WaveLimiterHint : 1
; COMPUTE_PGM_RSRC2:SCRATCH_EN: 1
; COMPUTE_PGM_RSRC2:USER_SGPR: 2
; COMPUTE_PGM_RSRC2:TRAP_HANDLER: 0
; COMPUTE_PGM_RSRC2:TGID_X_EN: 1
; COMPUTE_PGM_RSRC2:TGID_Y_EN: 0
; COMPUTE_PGM_RSRC2:TGID_Z_EN: 0
; COMPUTE_PGM_RSRC2:TIDIG_COMP_CNT: 0
; COMPUTE_PGM_RSRC3_GFX90A:ACCUM_OFFSET: 63
; COMPUTE_PGM_RSRC3_GFX90A:TG_SPLIT: 0
	.section	.text._ZN9rocsolver6v33100L18getri_kernel_smallILi38E19rocblas_complex_numIdEPKPS3_EEvT1_iilPiilS8_bb,"axG",@progbits,_ZN9rocsolver6v33100L18getri_kernel_smallILi38E19rocblas_complex_numIdEPKPS3_EEvT1_iilPiilS8_bb,comdat
	.globl	_ZN9rocsolver6v33100L18getri_kernel_smallILi38E19rocblas_complex_numIdEPKPS3_EEvT1_iilPiilS8_bb ; -- Begin function _ZN9rocsolver6v33100L18getri_kernel_smallILi38E19rocblas_complex_numIdEPKPS3_EEvT1_iilPiilS8_bb
	.p2align	8
	.type	_ZN9rocsolver6v33100L18getri_kernel_smallILi38E19rocblas_complex_numIdEPKPS3_EEvT1_iilPiilS8_bb,@function
_ZN9rocsolver6v33100L18getri_kernel_smallILi38E19rocblas_complex_numIdEPKPS3_EEvT1_iilPiilS8_bb: ; @_ZN9rocsolver6v33100L18getri_kernel_smallILi38E19rocblas_complex_numIdEPKPS3_EEvT1_iilPiilS8_bb
; %bb.0:
	v_cmp_gt_u32_e32 vcc, 38, v0
	s_and_saveexec_b64 s[4:5], vcc
	s_cbranch_execz .LBB101_166
; %bb.1:
	s_load_dword s14, s[0:1], 0x38
	s_load_dwordx2 s[8:9], s[0:1], 0x0
	s_load_dwordx4 s[4:7], s[0:1], 0x28
	s_waitcnt lgkmcnt(0)
	s_bitcmp1_b32 s14, 8
	s_cselect_b64 s[10:11], -1, 0
	s_ashr_i32 s3, s2, 31
	s_lshl_b64 s[12:13], s[2:3], 3
	s_add_u32 s8, s8, s12
	s_addc_u32 s9, s9, s13
	s_load_dwordx2 s[12:13], s[8:9], 0x0
	s_bfe_u32 s8, s14, 0x10008
	s_cmp_eq_u32 s8, 0
                                        ; implicit-def: $sgpr8_sgpr9
	s_cbranch_scc1 .LBB101_3
; %bb.2:
	s_load_dword s8, s[0:1], 0x20
	s_load_dwordx2 s[14:15], s[0:1], 0x18
	s_mul_i32 s9, s4, s3
	s_mul_hi_u32 s16, s4, s2
	s_add_i32 s16, s16, s9
	s_mul_i32 s5, s5, s2
	s_add_i32 s5, s16, s5
	s_mul_i32 s4, s4, s2
	s_waitcnt lgkmcnt(0)
	s_ashr_i32 s9, s8, 31
	s_lshl_b64 s[4:5], s[4:5], 2
	s_add_u32 s14, s14, s4
	s_addc_u32 s15, s15, s5
	s_lshl_b64 s[4:5], s[8:9], 2
	s_add_u32 s8, s14, s4
	s_addc_u32 s9, s15, s5
.LBB101_3:
	s_load_dwordx2 s[4:5], s[0:1], 0x8
	s_load_dword s14, s[0:1], 0x38
	v_lshlrev_b32_e32 v14, 4, v0
	v_mov_b32_e32 v15, 0
	s_movk_i32 s15, 0xb0
	s_waitcnt lgkmcnt(0)
	s_ashr_i32 s1, s4, 31
	s_mov_b32 s0, s4
	s_lshl_b64 s[0:1], s[0:1], 4
	s_add_u32 s0, s12, s0
	s_addc_u32 s1, s13, s1
	v_lshl_add_u64 v[6:7], s[0:1], 0, v[14:15]
	flat_load_dwordx4 v[2:5], v[6:7]
	s_mov_b32 s12, s5
	s_ashr_i32 s13, s5, 31
	v_accvgpr_write_b32 a0, v6
	v_accvgpr_write_b32 a1, v7
	v_lshl_add_u64 v[6:7], s[12:13], 4, v[6:7]
	v_accvgpr_write_b32 a2, v6
	s_add_i32 s4, s5, s5
	v_accvgpr_write_b32 a3, v7
	s_movk_i32 s12, 0x90
	s_movk_i32 s13, 0xa0
	;; [unrolled: 1-line block ×28, first 2 shown]
	s_add_i32 s45, s12, 16
	s_add_i32 s44, s13, 16
	;; [unrolled: 1-line block ×29, first 2 shown]
	s_mov_b32 s53, 32
	s_mov_b32 s52, 48
	;; [unrolled: 1-line block ×3, first 2 shown]
	s_movk_i32 s50, 0x50
	s_waitcnt vmcnt(0) lgkmcnt(0)
	scratch_store_dwordx4 off, v[2:5], off offset:16
	flat_load_dwordx4 v[2:5], v[6:7]
	v_add_u32_e32 v6, s4, v0
	v_ashrrev_i32_e32 v7, 31, v6
	v_lshl_add_u64 v[8:9], v[6:7], 4, s[0:1]
	v_add_u32_e32 v6, s5, v6
	v_accvgpr_write_b32 a4, v8
	v_ashrrev_i32_e32 v7, 31, v6
	v_accvgpr_write_b32 a5, v9
	s_movk_i32 s4, 0x70
	s_add_i32 s47, s4, 16
	s_waitcnt vmcnt(0) lgkmcnt(0)
	scratch_store_dwordx4 off, v[2:5], off offset:32
	flat_load_dwordx4 v[2:5], v[8:9]
	v_lshl_add_u64 v[8:9], v[6:7], 4, s[0:1]
	v_add_u32_e32 v6, s5, v6
	v_accvgpr_write_b32 a6, v8
	v_ashrrev_i32_e32 v7, 31, v6
	v_accvgpr_write_b32 a7, v9
	s_waitcnt vmcnt(0) lgkmcnt(0)
	scratch_store_dwordx4 off, v[2:5], off offset:48
	flat_load_dwordx4 v[2:5], v[8:9]
	v_lshl_add_u64 v[8:9], v[6:7], 4, s[0:1]
	v_add_u32_e32 v6, s5, v6
	v_accvgpr_write_b32 a8, v8
	v_ashrrev_i32_e32 v7, 31, v6
	v_accvgpr_write_b32 a9, v9
	;; [unrolled: 8-line block ×33, first 2 shown]
	s_waitcnt vmcnt(0) lgkmcnt(0)
	scratch_store_dwordx4 off, v[2:5], off offset:560
	flat_load_dwordx4 v[2:5], v[8:9]
	v_lshl_add_u64 v[8:9], v[6:7], 4, s[0:1]
	v_add_u32_e32 v6, s5, v6
	v_ashrrev_i32_e32 v7, 31, v6
	v_lshl_add_u64 v[6:7], v[6:7], 4, s[0:1]
	s_movk_i32 s0, 0x50
	s_movk_i32 s1, 0x60
	;; [unrolled: 1-line block ×3, first 2 shown]
	v_accvgpr_write_b32 a73, v9
	v_accvgpr_write_b32 a75, v7
	s_add_i32 s49, s0, 16
	s_add_i32 s48, s1, 16
	;; [unrolled: 1-line block ×3, first 2 shown]
	v_accvgpr_write_b32 a72, v8
	v_accvgpr_write_b32 a74, v6
	s_bitcmp0_b32 s14, 0
	s_mov_b64 s[4:5], -1
	s_waitcnt vmcnt(0) lgkmcnt(0)
	scratch_store_dwordx4 off, v[2:5], off offset:576
	flat_load_dwordx4 v[2:5], v[8:9]
	s_waitcnt vmcnt(0) lgkmcnt(0)
	scratch_store_dwordx4 off, v[2:5], off offset:592
	flat_load_dwordx4 v[2:5], v[6:7]
	s_waitcnt vmcnt(0) lgkmcnt(0)
	scratch_store_dwordx4 off, v[2:5], off offset:608
	s_cbranch_scc1 .LBB101_164
; %bb.4:
	v_cmp_eq_u32_e64 s[0:1], 0, v0
	s_and_saveexec_b64 s[4:5], s[0:1]
; %bb.5:
	v_mov_b32_e32 v1, 0
	ds_write_b32 v1, v1 offset:1216
; %bb.6:
	s_or_b64 exec, exec, s[4:5]
	s_waitcnt lgkmcnt(0)
	; wave barrier
	scratch_load_dwordx4 v[2:5], v14, off offset:16
	s_waitcnt vmcnt(0)
	v_cmp_eq_f64_e32 vcc, 0, v[2:3]
	v_cmp_eq_f64_e64 s[4:5], 0, v[4:5]
	s_and_b64 s[4:5], vcc, s[4:5]
	s_and_saveexec_b64 s[12:13], s[4:5]
	s_cbranch_execz .LBB101_10
; %bb.7:
	v_mov_b32_e32 v1, 0
	ds_read_b32 v3, v1 offset:1216
	v_add_u32_e32 v2, 1, v0
	s_waitcnt lgkmcnt(0)
	v_readfirstlane_b32 s4, v3
	s_cmp_eq_u32 s4, 0
	s_cselect_b64 s[14:15], -1, 0
	v_cmp_gt_i32_e32 vcc, s4, v2
	s_or_b64 s[14:15], s[14:15], vcc
	s_and_b64 exec, exec, s[14:15]
	s_cbranch_execz .LBB101_10
; %bb.8:
	s_mov_b64 s[14:15], 0
	v_mov_b32_e32 v3, s4
.LBB101_9:                              ; =>This Inner Loop Header: Depth=1
	ds_cmpst_rtn_b32 v3, v1, v3, v2 offset:1216
	s_waitcnt lgkmcnt(0)
	v_cmp_ne_u32_e32 vcc, 0, v3
	v_cmp_le_i32_e64 s[4:5], v3, v2
	s_and_b64 s[4:5], vcc, s[4:5]
	s_and_b64 s[4:5], exec, s[4:5]
	s_or_b64 s[14:15], s[4:5], s[14:15]
	s_andn2_b64 exec, exec, s[14:15]
	s_cbranch_execnz .LBB101_9
.LBB101_10:
	s_or_b64 exec, exec, s[12:13]
	v_mov_b32_e32 v2, 0
	; wave barrier
	ds_read_b32 v1, v2 offset:1216
	s_and_saveexec_b64 s[4:5], s[0:1]
	s_cbranch_execz .LBB101_12
; %bb.11:
	s_lshl_b64 s[12:13], s[2:3], 2
	s_add_u32 s12, s6, s12
	s_addc_u32 s13, s7, s13
	s_waitcnt lgkmcnt(0)
	global_store_dword v2, v1, s[12:13]
.LBB101_12:
	s_or_b64 exec, exec, s[4:5]
	s_waitcnt lgkmcnt(0)
	v_cmp_ne_u32_e32 vcc, 0, v1
	s_mov_b64 s[4:5], 0
	s_cbranch_vccnz .LBB101_164
; %bb.13:
	v_add_u32_e32 v15, 16, v14
	scratch_load_dwordx4 v[2:5], v15, off
                                        ; implicit-def: $vgpr6_vgpr7
                                        ; implicit-def: $vgpr10_vgpr11
	s_waitcnt vmcnt(0)
	v_cmp_ngt_f64_e64 s[4:5], |v[2:3]|, |v[4:5]|
	s_and_saveexec_b64 s[12:13], s[4:5]
	s_xor_b64 s[4:5], exec, s[12:13]
	s_cbranch_execz .LBB101_15
; %bb.14:
	v_div_scale_f64 v[6:7], s[12:13], v[4:5], v[4:5], v[2:3]
	v_rcp_f64_e32 v[8:9], v[6:7]
	v_div_scale_f64 v[10:11], vcc, v[2:3], v[4:5], v[2:3]
	v_fma_f64 v[12:13], -v[6:7], v[8:9], 1.0
	v_fmac_f64_e32 v[8:9], v[8:9], v[12:13]
	v_fma_f64 v[12:13], -v[6:7], v[8:9], 1.0
	v_fmac_f64_e32 v[8:9], v[8:9], v[12:13]
	v_mul_f64 v[12:13], v[10:11], v[8:9]
	v_fma_f64 v[6:7], -v[6:7], v[12:13], v[10:11]
	v_div_fmas_f64 v[6:7], v[6:7], v[8:9], v[12:13]
	v_div_fixup_f64 v[6:7], v[6:7], v[4:5], v[2:3]
	v_fmac_f64_e32 v[4:5], v[2:3], v[6:7]
	v_div_scale_f64 v[2:3], s[12:13], v[4:5], v[4:5], 1.0
	v_rcp_f64_e32 v[8:9], v[2:3]
	s_nop 0
	v_fma_f64 v[10:11], -v[2:3], v[8:9], 1.0
	v_fmac_f64_e32 v[8:9], v[8:9], v[10:11]
	v_fma_f64 v[10:11], -v[2:3], v[8:9], 1.0
	v_fmac_f64_e32 v[8:9], v[8:9], v[10:11]
	v_div_scale_f64 v[10:11], vcc, 1.0, v[4:5], 1.0
	v_mul_f64 v[12:13], v[10:11], v[8:9]
	v_fma_f64 v[2:3], -v[2:3], v[12:13], v[10:11]
	s_nop 1
	v_div_fmas_f64 v[2:3], v[2:3], v[8:9], v[12:13]
	v_div_fixup_f64 v[8:9], v[2:3], v[4:5], 1.0
	v_mul_f64 v[6:7], v[6:7], v[8:9]
	v_xor_b32_e32 v9, 0x80000000, v9
	v_xor_b32_e32 v11, 0x80000000, v7
	v_mov_b32_e32 v10, v6
                                        ; implicit-def: $vgpr2_vgpr3
.LBB101_15:
	s_andn2_saveexec_b64 s[4:5], s[4:5]
	s_cbranch_execz .LBB101_17
; %bb.16:
	v_div_scale_f64 v[6:7], s[12:13], v[2:3], v[2:3], v[4:5]
	v_rcp_f64_e32 v[8:9], v[6:7]
	v_div_scale_f64 v[10:11], vcc, v[4:5], v[2:3], v[4:5]
	v_fma_f64 v[12:13], -v[6:7], v[8:9], 1.0
	v_fmac_f64_e32 v[8:9], v[8:9], v[12:13]
	v_fma_f64 v[12:13], -v[6:7], v[8:9], 1.0
	v_fmac_f64_e32 v[8:9], v[8:9], v[12:13]
	v_mul_f64 v[12:13], v[10:11], v[8:9]
	v_fma_f64 v[6:7], -v[6:7], v[12:13], v[10:11]
	v_div_fmas_f64 v[6:7], v[6:7], v[8:9], v[12:13]
	v_div_fixup_f64 v[8:9], v[6:7], v[2:3], v[4:5]
	v_fmac_f64_e32 v[2:3], v[4:5], v[8:9]
	v_div_scale_f64 v[4:5], s[12:13], v[2:3], v[2:3], 1.0
	v_rcp_f64_e32 v[6:7], v[4:5]
	s_nop 0
	v_fma_f64 v[10:11], -v[4:5], v[6:7], 1.0
	v_fmac_f64_e32 v[6:7], v[6:7], v[10:11]
	v_fma_f64 v[10:11], -v[4:5], v[6:7], 1.0
	v_fmac_f64_e32 v[6:7], v[6:7], v[10:11]
	v_div_scale_f64 v[10:11], vcc, 1.0, v[2:3], 1.0
	v_mul_f64 v[12:13], v[10:11], v[6:7]
	v_fma_f64 v[4:5], -v[4:5], v[12:13], v[10:11]
	s_nop 1
	v_div_fmas_f64 v[4:5], v[4:5], v[6:7], v[12:13]
	v_div_fixup_f64 v[6:7], v[4:5], v[2:3], 1.0
	v_xor_b32_e32 v11, 0x80000000, v7
	v_mov_b32_e32 v10, v6
	v_mul_f64 v[8:9], v[8:9], -v[6:7]
.LBB101_17:
	s_or_b64 exec, exec, s[4:5]
	scratch_store_dwordx4 v15, v[6:9], off
	scratch_load_dwordx4 v[2:5], off, s53
	v_xor_b32_e32 v13, 0x80000000, v9
	v_mov_b32_e32 v12, v8
	v_add_u32_e32 v1, 0x260, v14
	ds_write_b128 v14, v[10:13]
	s_waitcnt vmcnt(0)
	ds_write_b128 v14, v[2:5] offset:608
	s_waitcnt lgkmcnt(0)
	; wave barrier
	s_and_saveexec_b64 s[4:5], s[0:1]
	s_cbranch_execz .LBB101_19
; %bb.18:
	scratch_load_dwordx4 v[2:5], v15, off
	ds_read_b128 v[6:9], v1
	v_mov_b32_e32 v10, 0
	ds_read_b128 v[10:13], v10 offset:16
	s_waitcnt vmcnt(0) lgkmcnt(1)
	v_mul_f64 v[16:17], v[8:9], v[4:5]
	v_mul_f64 v[4:5], v[6:7], v[4:5]
	v_fma_f64 v[6:7], v[6:7], v[2:3], -v[16:17]
	v_fmac_f64_e32 v[4:5], v[8:9], v[2:3]
	v_add_f64 v[2:3], v[6:7], 0
	v_add_f64 v[6:7], v[4:5], 0
	s_waitcnt lgkmcnt(0)
	v_mul_f64 v[8:9], v[6:7], v[12:13]
	v_mul_f64 v[4:5], v[2:3], v[12:13]
	v_fma_f64 v[2:3], v[2:3], v[10:11], -v[8:9]
	v_fmac_f64_e32 v[4:5], v[6:7], v[10:11]
	scratch_store_dwordx4 off, v[2:5], off offset:32
.LBB101_19:
	s_or_b64 exec, exec, s[4:5]
	; wave barrier
	scratch_load_dwordx4 v[2:5], off, s52
	v_cmp_gt_u32_e32 vcc, 2, v0
	s_waitcnt vmcnt(0)
	ds_write_b128 v1, v[2:5]
	s_waitcnt lgkmcnt(0)
	; wave barrier
	s_and_saveexec_b64 s[4:5], vcc
	s_cbranch_execz .LBB101_23
; %bb.20:
	scratch_load_dwordx4 v[2:5], v15, off
	ds_read_b128 v[6:9], v1
	s_waitcnt vmcnt(0) lgkmcnt(0)
	v_mul_f64 v[10:11], v[8:9], v[4:5]
	v_mul_f64 v[12:13], v[6:7], v[4:5]
	v_fma_f64 v[4:5], v[6:7], v[2:3], -v[10:11]
	v_fmac_f64_e32 v[12:13], v[8:9], v[2:3]
	v_add_f64 v[4:5], v[4:5], 0
	v_add_f64 v[2:3], v[12:13], 0
	s_and_saveexec_b64 s[12:13], s[0:1]
	s_cbranch_execz .LBB101_22
; %bb.21:
	scratch_load_dwordx4 v[6:9], off, off offset:32
	v_mov_b32_e32 v10, 0
	ds_read_b128 v[10:13], v10 offset:624
	s_waitcnt vmcnt(0) lgkmcnt(0)
	v_mul_f64 v[16:17], v[10:11], v[8:9]
	v_mul_f64 v[8:9], v[12:13], v[8:9]
	v_fmac_f64_e32 v[16:17], v[12:13], v[6:7]
	v_fma_f64 v[6:7], v[10:11], v[6:7], -v[8:9]
	v_add_f64 v[2:3], v[2:3], v[16:17]
	v_add_f64 v[4:5], v[4:5], v[6:7]
.LBB101_22:
	s_or_b64 exec, exec, s[12:13]
	v_mov_b32_e32 v6, 0
	ds_read_b128 v[6:9], v6 offset:32
	s_waitcnt lgkmcnt(0)
	v_mul_f64 v[12:13], v[2:3], v[8:9]
	v_mul_f64 v[10:11], v[4:5], v[8:9]
	v_fma_f64 v[8:9], v[4:5], v[6:7], -v[12:13]
	v_fmac_f64_e32 v[10:11], v[2:3], v[6:7]
	scratch_store_dwordx4 off, v[8:11], off offset:48
.LBB101_23:
	s_or_b64 exec, exec, s[4:5]
	; wave barrier
	scratch_load_dwordx4 v[2:5], off, s51
	v_cmp_gt_u32_e32 vcc, 3, v0
	v_add_u32_e32 v6, -1, v0
	s_waitcnt vmcnt(0)
	ds_write_b128 v1, v[2:5]
	s_waitcnt lgkmcnt(0)
	; wave barrier
	s_and_saveexec_b64 s[0:1], vcc
	s_cbranch_execz .LBB101_27
; %bb.24:
	v_add_u32_e32 v7, -1, v0
	v_add_u32_e32 v8, 0x260, v14
	v_add_u32_e32 v9, 16, v14
	v_mov_b64_e32 v[2:3], 0
	s_mov_b64 s[4:5], 0
	v_mov_b64_e32 v[4:5], 0
.LBB101_25:                             ; =>This Inner Loop Header: Depth=1
	scratch_load_dwordx4 v[10:13], v9, off
	ds_read_b128 v[16:19], v8
	v_add_u32_e32 v7, 1, v7
	v_cmp_lt_u32_e32 vcc, 1, v7
	v_add_u32_e32 v8, 16, v8
	v_add_u32_e32 v9, 16, v9
	s_or_b64 s[4:5], vcc, s[4:5]
	s_waitcnt vmcnt(0) lgkmcnt(0)
	v_mul_f64 v[20:21], v[18:19], v[12:13]
	v_mul_f64 v[12:13], v[16:17], v[12:13]
	v_fma_f64 v[16:17], v[16:17], v[10:11], -v[20:21]
	v_fmac_f64_e32 v[12:13], v[18:19], v[10:11]
	v_add_f64 v[4:5], v[4:5], v[16:17]
	v_add_f64 v[2:3], v[2:3], v[12:13]
	s_andn2_b64 exec, exec, s[4:5]
	s_cbranch_execnz .LBB101_25
; %bb.26:
	s_or_b64 exec, exec, s[4:5]
	v_mov_b32_e32 v7, 0
	ds_read_b128 v[8:11], v7 offset:48
	s_waitcnt lgkmcnt(0)
	v_mul_f64 v[16:17], v[2:3], v[10:11]
	v_mul_f64 v[12:13], v[4:5], v[10:11]
	v_fma_f64 v[10:11], v[4:5], v[8:9], -v[16:17]
	v_fmac_f64_e32 v[12:13], v[2:3], v[8:9]
	scratch_store_dwordx4 off, v[10:13], off offset:64
.LBB101_27:
	s_or_b64 exec, exec, s[0:1]
	; wave barrier
	scratch_load_dwordx4 v[2:5], off, s50
	v_cmp_gt_u32_e32 vcc, 4, v0
	s_waitcnt vmcnt(0)
	ds_write_b128 v1, v[2:5]
	s_waitcnt lgkmcnt(0)
	; wave barrier
	s_and_saveexec_b64 s[0:1], vcc
	s_cbranch_execz .LBB101_31
; %bb.28:
	v_add_u32_e32 v7, -1, v0
	v_add_u32_e32 v8, 0x260, v14
	v_add_u32_e32 v9, 16, v14
	v_mov_b64_e32 v[2:3], 0
	s_mov_b64 s[4:5], 0
	v_mov_b64_e32 v[4:5], 0
.LBB101_29:                             ; =>This Inner Loop Header: Depth=1
	scratch_load_dwordx4 v[10:13], v9, off
	ds_read_b128 v[16:19], v8
	v_add_u32_e32 v7, 1, v7
	v_cmp_lt_u32_e32 vcc, 2, v7
	v_add_u32_e32 v8, 16, v8
	v_add_u32_e32 v9, 16, v9
	s_or_b64 s[4:5], vcc, s[4:5]
	s_waitcnt vmcnt(0) lgkmcnt(0)
	v_mul_f64 v[20:21], v[18:19], v[12:13]
	v_mul_f64 v[12:13], v[16:17], v[12:13]
	v_fma_f64 v[16:17], v[16:17], v[10:11], -v[20:21]
	v_fmac_f64_e32 v[12:13], v[18:19], v[10:11]
	v_add_f64 v[4:5], v[4:5], v[16:17]
	v_add_f64 v[2:3], v[2:3], v[12:13]
	s_andn2_b64 exec, exec, s[4:5]
	s_cbranch_execnz .LBB101_29
; %bb.30:
	s_or_b64 exec, exec, s[4:5]
	v_mov_b32_e32 v7, 0
	ds_read_b128 v[8:11], v7 offset:64
	s_waitcnt lgkmcnt(0)
	v_mul_f64 v[16:17], v[2:3], v[10:11]
	v_mul_f64 v[12:13], v[4:5], v[10:11]
	v_fma_f64 v[10:11], v[4:5], v[8:9], -v[16:17]
	v_fmac_f64_e32 v[12:13], v[2:3], v[8:9]
	scratch_store_dwordx4 off, v[10:13], off offset:80
.LBB101_31:
	s_or_b64 exec, exec, s[0:1]
	; wave barrier
	scratch_load_dwordx4 v[2:5], off, s49
	v_cmp_gt_u32_e32 vcc, 5, v0
	;; [unrolled: 45-line block ×19, first 2 shown]
	s_waitcnt vmcnt(0)
	ds_write_b128 v1, v[2:5]
	s_waitcnt lgkmcnt(0)
	; wave barrier
	s_and_saveexec_b64 s[0:1], vcc
	s_cbranch_execz .LBB101_103
; %bb.100:
	v_add_u32_e32 v7, -1, v0
	v_add_u32_e32 v8, 0x260, v14
	v_add_u32_e32 v9, 16, v14
	v_mov_b64_e32 v[2:3], 0
	s_mov_b64 s[4:5], 0
	v_mov_b64_e32 v[4:5], 0
.LBB101_101:                            ; =>This Inner Loop Header: Depth=1
	scratch_load_dwordx4 v[10:13], v9, off
	ds_read_b128 v[16:19], v8
	v_add_u32_e32 v7, 1, v7
	v_cmp_lt_u32_e32 vcc, 20, v7
	v_add_u32_e32 v8, 16, v8
	v_add_u32_e32 v9, 16, v9
	s_or_b64 s[4:5], vcc, s[4:5]
	s_waitcnt vmcnt(0) lgkmcnt(0)
	v_mul_f64 v[20:21], v[18:19], v[12:13]
	v_mul_f64 v[12:13], v[16:17], v[12:13]
	v_fma_f64 v[16:17], v[16:17], v[10:11], -v[20:21]
	v_fmac_f64_e32 v[12:13], v[18:19], v[10:11]
	v_add_f64 v[4:5], v[4:5], v[16:17]
	v_add_f64 v[2:3], v[2:3], v[12:13]
	s_andn2_b64 exec, exec, s[4:5]
	s_cbranch_execnz .LBB101_101
; %bb.102:
	s_or_b64 exec, exec, s[4:5]
	v_mov_b32_e32 v7, 0
	ds_read_b128 v[8:11], v7 offset:352
	s_waitcnt lgkmcnt(0)
	v_mul_f64 v[16:17], v[2:3], v[10:11]
	v_mul_f64 v[12:13], v[4:5], v[10:11]
	v_fma_f64 v[10:11], v[4:5], v[8:9], -v[16:17]
	v_fmac_f64_e32 v[12:13], v[2:3], v[8:9]
	scratch_store_dwordx4 off, v[10:13], off offset:368
.LBB101_103:
	s_or_b64 exec, exec, s[0:1]
	; wave barrier
	scratch_load_dwordx4 v[2:5], off, s30
	v_cmp_gt_u32_e32 vcc, 23, v0
	s_waitcnt vmcnt(0)
	ds_write_b128 v1, v[2:5]
	s_waitcnt lgkmcnt(0)
	; wave barrier
	s_and_saveexec_b64 s[0:1], vcc
	s_cbranch_execz .LBB101_107
; %bb.104:
	v_add_u32_e32 v7, -1, v0
	v_add_u32_e32 v8, 0x260, v14
	v_add_u32_e32 v9, 16, v14
	v_mov_b64_e32 v[2:3], 0
	s_mov_b64 s[4:5], 0
	v_mov_b64_e32 v[4:5], 0
.LBB101_105:                            ; =>This Inner Loop Header: Depth=1
	scratch_load_dwordx4 v[10:13], v9, off
	ds_read_b128 v[16:19], v8
	v_add_u32_e32 v7, 1, v7
	v_cmp_lt_u32_e32 vcc, 21, v7
	v_add_u32_e32 v8, 16, v8
	v_add_u32_e32 v9, 16, v9
	s_or_b64 s[4:5], vcc, s[4:5]
	s_waitcnt vmcnt(0) lgkmcnt(0)
	v_mul_f64 v[20:21], v[18:19], v[12:13]
	v_mul_f64 v[12:13], v[16:17], v[12:13]
	v_fma_f64 v[16:17], v[16:17], v[10:11], -v[20:21]
	v_fmac_f64_e32 v[12:13], v[18:19], v[10:11]
	v_add_f64 v[4:5], v[4:5], v[16:17]
	v_add_f64 v[2:3], v[2:3], v[12:13]
	s_andn2_b64 exec, exec, s[4:5]
	s_cbranch_execnz .LBB101_105
; %bb.106:
	s_or_b64 exec, exec, s[4:5]
	v_mov_b32_e32 v7, 0
	ds_read_b128 v[8:11], v7 offset:368
	s_waitcnt lgkmcnt(0)
	v_mul_f64 v[16:17], v[2:3], v[10:11]
	v_mul_f64 v[12:13], v[4:5], v[10:11]
	v_fma_f64 v[10:11], v[4:5], v[8:9], -v[16:17]
	v_fmac_f64_e32 v[12:13], v[2:3], v[8:9]
	scratch_store_dwordx4 off, v[10:13], off offset:384
.LBB101_107:
	s_or_b64 exec, exec, s[0:1]
	; wave barrier
	scratch_load_dwordx4 v[2:5], off, s29
	v_cmp_gt_u32_e32 vcc, 24, v0
	;; [unrolled: 45-line block ×14, first 2 shown]
	s_waitcnt vmcnt(0)
	ds_write_b128 v1, v[2:5]
	s_waitcnt lgkmcnt(0)
	; wave barrier
	s_and_saveexec_b64 s[0:1], vcc
	s_cbranch_execz .LBB101_159
; %bb.156:
	v_add_u32_e32 v7, -1, v0
	v_add_u32_e32 v8, 0x260, v14
	v_add_u32_e32 v9, 16, v14
	v_mov_b64_e32 v[2:3], 0
	s_mov_b64 s[4:5], 0
	v_mov_b64_e32 v[4:5], 0
.LBB101_157:                            ; =>This Inner Loop Header: Depth=1
	scratch_load_dwordx4 v[10:13], v9, off
	ds_read_b128 v[16:19], v8
	v_add_u32_e32 v7, 1, v7
	v_cmp_lt_u32_e32 vcc, 34, v7
	v_add_u32_e32 v8, 16, v8
	v_add_u32_e32 v9, 16, v9
	s_or_b64 s[4:5], vcc, s[4:5]
	s_waitcnt vmcnt(0) lgkmcnt(0)
	v_mul_f64 v[20:21], v[18:19], v[12:13]
	v_mul_f64 v[12:13], v[16:17], v[12:13]
	v_fma_f64 v[16:17], v[16:17], v[10:11], -v[20:21]
	v_fmac_f64_e32 v[12:13], v[18:19], v[10:11]
	v_add_f64 v[4:5], v[4:5], v[16:17]
	v_add_f64 v[2:3], v[2:3], v[12:13]
	s_andn2_b64 exec, exec, s[4:5]
	s_cbranch_execnz .LBB101_157
; %bb.158:
	s_or_b64 exec, exec, s[4:5]
	v_mov_b32_e32 v7, 0
	ds_read_b128 v[8:11], v7 offset:576
	s_waitcnt lgkmcnt(0)
	v_mul_f64 v[16:17], v[2:3], v[10:11]
	v_mul_f64 v[12:13], v[4:5], v[10:11]
	v_fma_f64 v[10:11], v[4:5], v[8:9], -v[16:17]
	v_fmac_f64_e32 v[12:13], v[2:3], v[8:9]
	scratch_store_dwordx4 off, v[10:13], off offset:592
.LBB101_159:
	s_or_b64 exec, exec, s[0:1]
	; wave barrier
	scratch_load_dwordx4 v[2:5], off, s16
	v_cmp_ne_u32_e32 vcc, 37, v0
	s_waitcnt vmcnt(0)
	ds_write_b128 v1, v[2:5]
	s_waitcnt lgkmcnt(0)
	; wave barrier
	s_and_saveexec_b64 s[0:1], vcc
	s_cbranch_execz .LBB101_163
; %bb.160:
	v_add_u32_e32 v1, 0x260, v14
	v_add_u32_e32 v7, 16, v14
	v_mov_b64_e32 v[2:3], 0
	s_mov_b64 s[4:5], 0
	v_mov_b64_e32 v[4:5], 0
.LBB101_161:                            ; =>This Inner Loop Header: Depth=1
	scratch_load_dwordx4 v[8:11], v7, off
	ds_read_b128 v[12:15], v1
	v_add_u32_e32 v6, 1, v6
	v_cmp_lt_u32_e32 vcc, 35, v6
	v_add_u32_e32 v1, 16, v1
	v_add_u32_e32 v7, 16, v7
	s_or_b64 s[4:5], vcc, s[4:5]
	s_waitcnt vmcnt(0) lgkmcnt(0)
	v_mul_f64 v[16:17], v[14:15], v[10:11]
	v_mul_f64 v[10:11], v[12:13], v[10:11]
	v_fma_f64 v[12:13], v[12:13], v[8:9], -v[16:17]
	v_fmac_f64_e32 v[10:11], v[14:15], v[8:9]
	v_add_f64 v[4:5], v[4:5], v[12:13]
	v_add_f64 v[2:3], v[2:3], v[10:11]
	s_andn2_b64 exec, exec, s[4:5]
	s_cbranch_execnz .LBB101_161
; %bb.162:
	s_or_b64 exec, exec, s[4:5]
	v_mov_b32_e32 v1, 0
	ds_read_b128 v[6:9], v1 offset:592
	s_waitcnt lgkmcnt(0)
	v_mul_f64 v[12:13], v[2:3], v[8:9]
	v_mul_f64 v[10:11], v[4:5], v[8:9]
	v_fma_f64 v[8:9], v[4:5], v[6:7], -v[12:13]
	v_fmac_f64_e32 v[10:11], v[2:3], v[6:7]
	scratch_store_dwordx4 off, v[8:11], off offset:608
.LBB101_163:
	s_or_b64 exec, exec, s[0:1]
	s_mov_b64 s[4:5], -1
	; wave barrier
.LBB101_164:
	s_and_b64 vcc, exec, s[4:5]
	s_cbranch_vccz .LBB101_166
; %bb.165:
	s_lshl_b64 s[0:1], s[2:3], 2
	s_add_u32 s0, s6, s0
	s_addc_u32 s1, s7, s1
	v_mov_b32_e32 v1, 0
	global_load_dword v1, v1, s[0:1]
	s_waitcnt vmcnt(0)
	v_cmp_ne_u32_e32 vcc, 0, v1
	s_cbranch_vccz .LBB101_167
.LBB101_166:
	s_endpgm
.LBB101_167:
	v_mov_b32_e32 v1, 0x260
	v_lshl_add_u32 v1, v0, 4, v1
	v_cmp_eq_u32_e32 vcc, 37, v0
	s_and_saveexec_b64 s[0:1], vcc
	s_cbranch_execz .LBB101_169
; %bb.168:
	scratch_load_dwordx4 v[2:5], off, s17
	v_mov_b32_e32 v6, 0
	v_mov_b32_e32 v7, v6
	;; [unrolled: 1-line block ×4, first 2 shown]
	scratch_store_dwordx4 off, v[6:9], off offset:592
	s_waitcnt vmcnt(1)
	ds_write_b128 v1, v[2:5]
.LBB101_169:
	s_or_b64 exec, exec, s[0:1]
	s_waitcnt lgkmcnt(0)
	; wave barrier
	scratch_load_dwordx4 v[4:7], off, off offset:608
	scratch_load_dwordx4 v[8:11], off, off offset:592
	v_mov_b32_e32 v2, 0
	ds_read_b128 v[12:15], v2 offset:1200
	v_cmp_lt_u32_e32 vcc, 35, v0
	s_waitcnt vmcnt(1) lgkmcnt(0)
	v_mul_f64 v[16:17], v[12:13], v[6:7]
	v_mul_f64 v[6:7], v[14:15], v[6:7]
	v_fmac_f64_e32 v[16:17], v[14:15], v[4:5]
	v_fma_f64 v[4:5], v[12:13], v[4:5], -v[6:7]
	v_add_f64 v[6:7], v[16:17], 0
	v_add_f64 v[4:5], v[4:5], 0
	s_waitcnt vmcnt(0)
	v_add_f64 v[4:5], v[8:9], -v[4:5]
	v_add_f64 v[6:7], v[10:11], -v[6:7]
	scratch_store_dwordx4 off, v[4:7], off offset:592
	s_and_saveexec_b64 s[0:1], vcc
	s_cbranch_execz .LBB101_171
; %bb.170:
	scratch_load_dwordx4 v[6:9], off, s18
	v_mov_b32_e32 v3, v2
	v_mov_b32_e32 v4, v2
	;; [unrolled: 1-line block ×3, first 2 shown]
	scratch_store_dwordx4 off, v[2:5], off offset:576
	s_waitcnt vmcnt(1)
	ds_write_b128 v1, v[6:9]
.LBB101_171:
	s_or_b64 exec, exec, s[0:1]
	s_waitcnt lgkmcnt(0)
	; wave barrier
	scratch_load_dwordx4 v[4:7], off, off offset:592
	scratch_load_dwordx4 v[8:11], off, off offset:608
	;; [unrolled: 1-line block ×3, first 2 shown]
	ds_read_b128 v[16:19], v2 offset:1184
	ds_read_b128 v[20:23], v2 offset:1200
	v_cmp_lt_u32_e32 vcc, 34, v0
	s_waitcnt vmcnt(2) lgkmcnt(1)
	v_mul_f64 v[2:3], v[16:17], v[6:7]
	v_mul_f64 v[6:7], v[18:19], v[6:7]
	s_waitcnt vmcnt(1) lgkmcnt(0)
	v_mul_f64 v[24:25], v[20:21], v[10:11]
	v_mul_f64 v[10:11], v[22:23], v[10:11]
	v_fmac_f64_e32 v[2:3], v[18:19], v[4:5]
	v_fma_f64 v[4:5], v[16:17], v[4:5], -v[6:7]
	v_fmac_f64_e32 v[24:25], v[22:23], v[8:9]
	v_fma_f64 v[6:7], v[20:21], v[8:9], -v[10:11]
	v_add_f64 v[2:3], v[2:3], 0
	v_add_f64 v[4:5], v[4:5], 0
	;; [unrolled: 1-line block ×4, first 2 shown]
	s_waitcnt vmcnt(0)
	v_add_f64 v[2:3], v[12:13], -v[2:3]
	v_add_f64 v[4:5], v[14:15], -v[8:9]
	scratch_store_dwordx4 off, v[2:5], off offset:576
	s_and_saveexec_b64 s[0:1], vcc
	s_cbranch_execz .LBB101_173
; %bb.172:
	scratch_load_dwordx4 v[2:5], off, s19
	v_mov_b32_e32 v6, 0
	v_mov_b32_e32 v7, v6
	;; [unrolled: 1-line block ×4, first 2 shown]
	scratch_store_dwordx4 off, v[6:9], off offset:560
	s_waitcnt vmcnt(1)
	ds_write_b128 v1, v[2:5]
.LBB101_173:
	s_or_b64 exec, exec, s[0:1]
	s_waitcnt lgkmcnt(0)
	; wave barrier
	scratch_load_dwordx4 v[4:7], off, off offset:576
	scratch_load_dwordx4 v[8:11], off, off offset:592
	;; [unrolled: 1-line block ×4, first 2 shown]
	v_mov_b32_e32 v2, 0
	ds_read_b128 v[20:23], v2 offset:1168
	ds_read_b128 v[24:27], v2 offset:1184
	;; [unrolled: 1-line block ×3, first 2 shown]
	v_cmp_lt_u32_e32 vcc, 33, v0
	s_waitcnt vmcnt(3) lgkmcnt(2)
	v_mul_f64 v[32:33], v[20:21], v[6:7]
	v_mul_f64 v[6:7], v[22:23], v[6:7]
	s_waitcnt vmcnt(2) lgkmcnt(1)
	v_mul_f64 v[34:35], v[24:25], v[10:11]
	v_mul_f64 v[10:11], v[26:27], v[10:11]
	v_fmac_f64_e32 v[32:33], v[22:23], v[4:5]
	v_fma_f64 v[4:5], v[20:21], v[4:5], -v[6:7]
	s_waitcnt vmcnt(1) lgkmcnt(0)
	v_mul_f64 v[36:37], v[28:29], v[14:15]
	v_mul_f64 v[14:15], v[30:31], v[14:15]
	v_fmac_f64_e32 v[34:35], v[26:27], v[8:9]
	v_fma_f64 v[6:7], v[24:25], v[8:9], -v[10:11]
	v_add_f64 v[10:11], v[32:33], 0
	v_add_f64 v[4:5], v[4:5], 0
	v_fmac_f64_e32 v[36:37], v[30:31], v[12:13]
	v_fma_f64 v[8:9], v[28:29], v[12:13], -v[14:15]
	v_add_f64 v[10:11], v[10:11], v[34:35]
	v_add_f64 v[4:5], v[4:5], v[6:7]
	;; [unrolled: 1-line block ×4, first 2 shown]
	s_waitcnt vmcnt(0)
	v_add_f64 v[4:5], v[16:17], -v[4:5]
	v_add_f64 v[6:7], v[18:19], -v[6:7]
	scratch_store_dwordx4 off, v[4:7], off offset:560
	s_and_saveexec_b64 s[0:1], vcc
	s_cbranch_execz .LBB101_175
; %bb.174:
	scratch_load_dwordx4 v[6:9], off, s20
	v_mov_b32_e32 v3, v2
	v_mov_b32_e32 v4, v2
	;; [unrolled: 1-line block ×3, first 2 shown]
	scratch_store_dwordx4 off, v[2:5], off offset:544
	s_waitcnt vmcnt(1)
	ds_write_b128 v1, v[6:9]
.LBB101_175:
	s_or_b64 exec, exec, s[0:1]
	s_waitcnt lgkmcnt(0)
	; wave barrier
	scratch_load_dwordx4 v[4:7], off, off offset:560
	scratch_load_dwordx4 v[8:11], off, off offset:576
	;; [unrolled: 1-line block ×5, first 2 shown]
	ds_read_b128 v[24:27], v2 offset:1152
	ds_read_b128 v[28:31], v2 offset:1168
	ds_read_b128 v[32:35], v2 offset:1184
	ds_read_b128 v[36:39], v2 offset:1200
	v_cmp_lt_u32_e32 vcc, 32, v0
	s_waitcnt vmcnt(4) lgkmcnt(3)
	v_mul_f64 v[2:3], v[24:25], v[6:7]
	v_mul_f64 v[6:7], v[26:27], v[6:7]
	s_waitcnt vmcnt(3) lgkmcnt(2)
	v_mul_f64 v[40:41], v[28:29], v[10:11]
	v_mul_f64 v[10:11], v[30:31], v[10:11]
	v_fmac_f64_e32 v[2:3], v[26:27], v[4:5]
	v_fma_f64 v[4:5], v[24:25], v[4:5], -v[6:7]
	s_waitcnt vmcnt(2) lgkmcnt(1)
	v_mul_f64 v[42:43], v[32:33], v[14:15]
	v_mul_f64 v[14:15], v[34:35], v[14:15]
	v_fmac_f64_e32 v[40:41], v[30:31], v[8:9]
	v_fma_f64 v[6:7], v[28:29], v[8:9], -v[10:11]
	v_add_f64 v[2:3], v[2:3], 0
	v_add_f64 v[4:5], v[4:5], 0
	s_waitcnt vmcnt(1) lgkmcnt(0)
	v_mul_f64 v[44:45], v[36:37], v[18:19]
	v_mul_f64 v[18:19], v[38:39], v[18:19]
	v_fmac_f64_e32 v[42:43], v[34:35], v[12:13]
	v_fma_f64 v[8:9], v[32:33], v[12:13], -v[14:15]
	v_add_f64 v[2:3], v[2:3], v[40:41]
	v_add_f64 v[4:5], v[4:5], v[6:7]
	v_fmac_f64_e32 v[44:45], v[38:39], v[16:17]
	v_fma_f64 v[10:11], v[36:37], v[16:17], -v[18:19]
	v_add_f64 v[2:3], v[2:3], v[42:43]
	v_add_f64 v[4:5], v[4:5], v[8:9]
	;; [unrolled: 1-line block ×4, first 2 shown]
	s_waitcnt vmcnt(0)
	v_add_f64 v[2:3], v[20:21], -v[2:3]
	v_add_f64 v[4:5], v[22:23], -v[6:7]
	scratch_store_dwordx4 off, v[2:5], off offset:544
	s_and_saveexec_b64 s[0:1], vcc
	s_cbranch_execz .LBB101_177
; %bb.176:
	scratch_load_dwordx4 v[2:5], off, s21
	v_mov_b32_e32 v6, 0
	v_mov_b32_e32 v7, v6
	;; [unrolled: 1-line block ×4, first 2 shown]
	scratch_store_dwordx4 off, v[6:9], off offset:528
	s_waitcnt vmcnt(1)
	ds_write_b128 v1, v[2:5]
.LBB101_177:
	s_or_b64 exec, exec, s[0:1]
	v_mov_b32_e32 v2, 0
	s_waitcnt lgkmcnt(0)
	; wave barrier
	ds_read_b128 v[4:7], v2 offset:1136
	ds_read_b128 v[8:11], v2 offset:1152
	;; [unrolled: 1-line block ×4, first 2 shown]
	scratch_load_dwordx4 v[20:23], off, off offset:544
	scratch_load_dwordx4 v[40:43], off, off offset:608
	v_cmp_lt_u32_e32 vcc, 31, v0
	s_waitcnt vmcnt(1) lgkmcnt(3)
	v_mul_f64 v[24:25], v[4:5], v[22:23]
	v_fmac_f64_e32 v[24:25], v[6:7], v[20:21]
	v_add_f64 v[28:29], v[24:25], 0
	scratch_load_dwordx4 v[24:27], off, off offset:560
	v_mul_f64 v[6:7], v[6:7], v[22:23]
	v_fma_f64 v[4:5], v[4:5], v[20:21], -v[6:7]
	v_add_f64 v[4:5], v[4:5], 0
	s_waitcnt vmcnt(0) lgkmcnt(2)
	v_mul_f64 v[30:31], v[8:9], v[26:27]
	v_fmac_f64_e32 v[30:31], v[10:11], v[24:25]
	v_add_f64 v[32:33], v[28:29], v[30:31]
	scratch_load_dwordx4 v[28:31], off, off offset:576
	v_mul_f64 v[6:7], v[10:11], v[26:27]
	v_fma_f64 v[6:7], v[8:9], v[24:25], -v[6:7]
	v_add_f64 v[4:5], v[4:5], v[6:7]
	;; [unrolled: 8-line block ×3, first 2 shown]
	s_waitcnt vmcnt(0) lgkmcnt(0)
	v_mul_f64 v[38:39], v[16:17], v[34:35]
	v_fmac_f64_e32 v[38:39], v[18:19], v[32:33]
	v_add_f64 v[44:45], v[36:37], v[38:39]
	ds_read_b128 v[36:39], v2 offset:1200
	v_mul_f64 v[6:7], v[18:19], v[34:35]
	v_fma_f64 v[6:7], v[16:17], v[32:33], -v[6:7]
	v_add_f64 v[4:5], v[4:5], v[6:7]
	s_waitcnt lgkmcnt(0)
	v_mul_f64 v[6:7], v[38:39], v[42:43]
	v_fma_f64 v[6:7], v[36:37], v[40:41], -v[6:7]
	v_add_f64 v[8:9], v[4:5], v[6:7]
	scratch_load_dwordx4 v[4:7], off, off offset:528
	v_mul_f64 v[46:47], v[36:37], v[42:43]
	v_fmac_f64_e32 v[46:47], v[38:39], v[40:41]
	v_add_f64 v[44:45], v[44:45], v[46:47]
	s_waitcnt vmcnt(0)
	v_add_f64 v[4:5], v[4:5], -v[8:9]
	v_add_f64 v[6:7], v[6:7], -v[44:45]
	scratch_store_dwordx4 off, v[4:7], off offset:528
	s_and_saveexec_b64 s[0:1], vcc
	s_cbranch_execz .LBB101_179
; %bb.178:
	scratch_load_dwordx4 v[6:9], off, s22
	v_mov_b32_e32 v3, v2
	v_mov_b32_e32 v4, v2
	;; [unrolled: 1-line block ×3, first 2 shown]
	scratch_store_dwordx4 off, v[2:5], off offset:512
	s_waitcnt vmcnt(1)
	ds_write_b128 v1, v[6:9]
.LBB101_179:
	s_or_b64 exec, exec, s[0:1]
	s_waitcnt lgkmcnt(0)
	; wave barrier
	scratch_load_dwordx4 v[4:7], off, off offset:528
	scratch_load_dwordx4 v[8:11], off, off offset:544
	;; [unrolled: 1-line block ×7, first 2 shown]
	ds_read_b128 v[32:35], v2 offset:1120
	ds_read_b128 v[36:39], v2 offset:1136
	;; [unrolled: 1-line block ×6, first 2 shown]
	v_cmp_lt_u32_e32 vcc, 30, v0
	s_waitcnt vmcnt(6) lgkmcnt(5)
	v_mul_f64 v[2:3], v[32:33], v[6:7]
	v_mul_f64 v[6:7], v[34:35], v[6:7]
	s_waitcnt vmcnt(5) lgkmcnt(4)
	v_mul_f64 v[56:57], v[36:37], v[10:11]
	v_mul_f64 v[10:11], v[38:39], v[10:11]
	v_fmac_f64_e32 v[2:3], v[34:35], v[4:5]
	v_fma_f64 v[4:5], v[32:33], v[4:5], -v[6:7]
	s_waitcnt vmcnt(4) lgkmcnt(3)
	v_mul_f64 v[58:59], v[40:41], v[14:15]
	v_mul_f64 v[14:15], v[42:43], v[14:15]
	v_fmac_f64_e32 v[56:57], v[38:39], v[8:9]
	v_fma_f64 v[6:7], v[36:37], v[8:9], -v[10:11]
	v_add_f64 v[2:3], v[2:3], 0
	v_add_f64 v[4:5], v[4:5], 0
	s_waitcnt vmcnt(3) lgkmcnt(2)
	v_mul_f64 v[60:61], v[44:45], v[18:19]
	v_mul_f64 v[18:19], v[46:47], v[18:19]
	v_fmac_f64_e32 v[58:59], v[42:43], v[12:13]
	v_fma_f64 v[8:9], v[40:41], v[12:13], -v[14:15]
	v_add_f64 v[2:3], v[2:3], v[56:57]
	v_add_f64 v[4:5], v[4:5], v[6:7]
	;; [unrolled: 7-line block ×4, first 2 shown]
	v_fmac_f64_e32 v[64:65], v[54:55], v[24:25]
	v_fma_f64 v[14:15], v[52:53], v[24:25], -v[26:27]
	v_add_f64 v[2:3], v[2:3], v[62:63]
	v_add_f64 v[4:5], v[4:5], v[12:13]
	;; [unrolled: 1-line block ×4, first 2 shown]
	s_waitcnt vmcnt(0)
	v_add_f64 v[2:3], v[28:29], -v[2:3]
	v_add_f64 v[4:5], v[30:31], -v[6:7]
	scratch_store_dwordx4 off, v[2:5], off offset:512
	s_and_saveexec_b64 s[0:1], vcc
	s_cbranch_execz .LBB101_181
; %bb.180:
	scratch_load_dwordx4 v[2:5], off, s23
	v_mov_b32_e32 v6, 0
	v_mov_b32_e32 v7, v6
	;; [unrolled: 1-line block ×4, first 2 shown]
	scratch_store_dwordx4 off, v[6:9], off offset:496
	s_waitcnt vmcnt(1)
	ds_write_b128 v1, v[2:5]
.LBB101_181:
	s_or_b64 exec, exec, s[0:1]
	s_waitcnt lgkmcnt(0)
	; wave barrier
	scratch_load_dwordx4 v[4:7], off, off offset:512
	scratch_load_dwordx4 v[8:11], off, off offset:528
	;; [unrolled: 1-line block ×8, first 2 shown]
	v_mov_b32_e32 v2, 0
	ds_read_b128 v[36:39], v2 offset:1104
	ds_read_b128 v[40:43], v2 offset:1120
	;; [unrolled: 1-line block ×7, first 2 shown]
	v_cmp_lt_u32_e32 vcc, 29, v0
	s_waitcnt vmcnt(7) lgkmcnt(6)
	v_mul_f64 v[64:65], v[36:37], v[6:7]
	v_mul_f64 v[6:7], v[38:39], v[6:7]
	s_waitcnt vmcnt(6) lgkmcnt(5)
	v_mul_f64 v[66:67], v[40:41], v[10:11]
	s_waitcnt vmcnt(4) lgkmcnt(3)
	v_mul_f64 v[70:71], v[48:49], v[18:19]
	v_mul_f64 v[10:11], v[42:43], v[10:11]
	;; [unrolled: 1-line block ×3, first 2 shown]
	v_fmac_f64_e32 v[64:65], v[38:39], v[4:5]
	v_fma_f64 v[4:5], v[36:37], v[4:5], -v[6:7]
	v_mul_f64 v[68:69], v[44:45], v[14:15]
	v_mul_f64 v[14:15], v[46:47], v[14:15]
	v_fmac_f64_e32 v[66:67], v[42:43], v[8:9]
	v_fma_f64 v[6:7], v[40:41], v[8:9], -v[10:11]
	v_fma_f64 v[10:11], v[48:49], v[16:17], -v[18:19]
	v_add_f64 v[18:19], v[64:65], 0
	v_add_f64 v[4:5], v[4:5], 0
	v_fmac_f64_e32 v[68:69], v[46:47], v[12:13]
	v_fma_f64 v[8:9], v[44:45], v[12:13], -v[14:15]
	v_add_f64 v[18:19], v[18:19], v[66:67]
	v_add_f64 v[4:5], v[4:5], v[6:7]
	s_waitcnt vmcnt(3) lgkmcnt(2)
	v_mul_f64 v[72:73], v[52:53], v[22:23]
	v_mul_f64 v[22:23], v[54:55], v[22:23]
	v_fmac_f64_e32 v[70:71], v[50:51], v[16:17]
	v_add_f64 v[6:7], v[18:19], v[68:69]
	v_add_f64 v[4:5], v[4:5], v[8:9]
	s_waitcnt vmcnt(2) lgkmcnt(1)
	v_mul_f64 v[74:75], v[56:57], v[26:27]
	v_mul_f64 v[26:27], v[58:59], v[26:27]
	v_fmac_f64_e32 v[72:73], v[54:55], v[20:21]
	v_fma_f64 v[12:13], v[52:53], v[20:21], -v[22:23]
	v_add_f64 v[6:7], v[6:7], v[70:71]
	v_add_f64 v[4:5], v[4:5], v[10:11]
	s_waitcnt vmcnt(1) lgkmcnt(0)
	v_mul_f64 v[76:77], v[60:61], v[30:31]
	v_mul_f64 v[30:31], v[62:63], v[30:31]
	v_fmac_f64_e32 v[74:75], v[58:59], v[24:25]
	v_fma_f64 v[14:15], v[56:57], v[24:25], -v[26:27]
	v_add_f64 v[6:7], v[6:7], v[72:73]
	v_add_f64 v[4:5], v[4:5], v[12:13]
	v_fmac_f64_e32 v[76:77], v[62:63], v[28:29]
	v_fma_f64 v[16:17], v[60:61], v[28:29], -v[30:31]
	v_add_f64 v[6:7], v[6:7], v[74:75]
	v_add_f64 v[4:5], v[4:5], v[14:15]
	;; [unrolled: 1-line block ×4, first 2 shown]
	s_waitcnt vmcnt(0)
	v_add_f64 v[4:5], v[32:33], -v[4:5]
	v_add_f64 v[6:7], v[34:35], -v[6:7]
	scratch_store_dwordx4 off, v[4:7], off offset:496
	s_and_saveexec_b64 s[0:1], vcc
	s_cbranch_execz .LBB101_183
; %bb.182:
	scratch_load_dwordx4 v[6:9], off, s24
	v_mov_b32_e32 v3, v2
	v_mov_b32_e32 v4, v2
	;; [unrolled: 1-line block ×3, first 2 shown]
	scratch_store_dwordx4 off, v[2:5], off offset:480
	s_waitcnt vmcnt(1)
	ds_write_b128 v1, v[6:9]
.LBB101_183:
	s_or_b64 exec, exec, s[0:1]
	s_waitcnt lgkmcnt(0)
	; wave barrier
	scratch_load_dwordx4 v[4:7], off, off offset:496
	scratch_load_dwordx4 v[8:11], off, off offset:512
	;; [unrolled: 1-line block ×9, first 2 shown]
	ds_read_b128 v[40:43], v2 offset:1088
	ds_read_b128 v[44:47], v2 offset:1104
	;; [unrolled: 1-line block ×8, first 2 shown]
	v_cmp_lt_u32_e32 vcc, 28, v0
	s_waitcnt vmcnt(8) lgkmcnt(7)
	v_mul_f64 v[2:3], v[40:41], v[6:7]
	v_mul_f64 v[6:7], v[42:43], v[6:7]
	s_waitcnt vmcnt(7) lgkmcnt(6)
	v_mul_f64 v[72:73], v[44:45], v[10:11]
	v_mul_f64 v[10:11], v[46:47], v[10:11]
	v_fmac_f64_e32 v[2:3], v[42:43], v[4:5]
	v_fma_f64 v[4:5], v[40:41], v[4:5], -v[6:7]
	s_waitcnt vmcnt(6) lgkmcnt(5)
	v_mul_f64 v[74:75], v[48:49], v[14:15]
	v_mul_f64 v[14:15], v[50:51], v[14:15]
	v_fmac_f64_e32 v[72:73], v[46:47], v[8:9]
	v_fma_f64 v[6:7], v[44:45], v[8:9], -v[10:11]
	v_add_f64 v[2:3], v[2:3], 0
	v_add_f64 v[4:5], v[4:5], 0
	s_waitcnt vmcnt(5) lgkmcnt(4)
	v_mul_f64 v[76:77], v[52:53], v[18:19]
	v_mul_f64 v[18:19], v[54:55], v[18:19]
	v_fmac_f64_e32 v[74:75], v[50:51], v[12:13]
	v_fma_f64 v[8:9], v[48:49], v[12:13], -v[14:15]
	v_add_f64 v[2:3], v[2:3], v[72:73]
	v_add_f64 v[4:5], v[4:5], v[6:7]
	;; [unrolled: 7-line block ×6, first 2 shown]
	v_fmac_f64_e32 v[84:85], v[70:71], v[32:33]
	v_fma_f64 v[18:19], v[68:69], v[32:33], -v[34:35]
	v_add_f64 v[2:3], v[2:3], v[82:83]
	v_add_f64 v[4:5], v[4:5], v[16:17]
	;; [unrolled: 1-line block ×4, first 2 shown]
	s_waitcnt vmcnt(0)
	v_add_f64 v[2:3], v[36:37], -v[2:3]
	v_add_f64 v[4:5], v[38:39], -v[6:7]
	scratch_store_dwordx4 off, v[2:5], off offset:480
	s_and_saveexec_b64 s[0:1], vcc
	s_cbranch_execz .LBB101_185
; %bb.184:
	scratch_load_dwordx4 v[2:5], off, s25
	v_mov_b32_e32 v6, 0
	v_mov_b32_e32 v7, v6
	;; [unrolled: 1-line block ×4, first 2 shown]
	scratch_store_dwordx4 off, v[6:9], off offset:464
	s_waitcnt vmcnt(1)
	ds_write_b128 v1, v[2:5]
.LBB101_185:
	s_or_b64 exec, exec, s[0:1]
	v_mov_b32_e32 v2, 0
	s_waitcnt lgkmcnt(0)
	; wave barrier
	ds_read_b128 v[4:7], v2 offset:1072
	ds_read_b128 v[8:11], v2 offset:1088
	;; [unrolled: 1-line block ×4, first 2 shown]
	scratch_load_dwordx4 v[20:23], off, off offset:480
	scratch_load_dwordx4 v[40:43], off, off offset:544
	;; [unrolled: 1-line block ×3, first 2 shown]
	v_cmp_lt_u32_e32 vcc, 27, v0
	scratch_load_dwordx4 v[48:51], off, off offset:560
	scratch_load_dwordx4 v[56:59], off, off offset:576
	;; [unrolled: 1-line block ×3, first 2 shown]
	s_waitcnt vmcnt(5) lgkmcnt(3)
	v_mul_f64 v[24:25], v[4:5], v[22:23]
	v_fmac_f64_e32 v[24:25], v[6:7], v[20:21]
	v_add_f64 v[28:29], v[24:25], 0
	scratch_load_dwordx4 v[24:27], off, off offset:496
	v_mul_f64 v[6:7], v[6:7], v[22:23]
	v_fma_f64 v[4:5], v[4:5], v[20:21], -v[6:7]
	v_add_f64 v[4:5], v[4:5], 0
	s_waitcnt vmcnt(0) lgkmcnt(2)
	v_mul_f64 v[30:31], v[8:9], v[26:27]
	v_fmac_f64_e32 v[30:31], v[10:11], v[24:25]
	v_add_f64 v[32:33], v[28:29], v[30:31]
	scratch_load_dwordx4 v[28:31], off, off offset:512
	v_mul_f64 v[6:7], v[10:11], v[26:27]
	v_fma_f64 v[6:7], v[8:9], v[24:25], -v[6:7]
	v_add_f64 v[4:5], v[4:5], v[6:7]
	s_waitcnt vmcnt(0) lgkmcnt(1)
	v_mul_f64 v[34:35], v[12:13], v[30:31]
	v_fmac_f64_e32 v[34:35], v[14:15], v[28:29]
	v_add_f64 v[36:37], v[32:33], v[34:35]
	scratch_load_dwordx4 v[32:35], off, off offset:528
	v_mul_f64 v[6:7], v[14:15], v[30:31]
	v_fma_f64 v[6:7], v[12:13], v[28:29], -v[6:7]
	v_add_f64 v[4:5], v[4:5], v[6:7]
	s_waitcnt vmcnt(0) lgkmcnt(0)
	v_mul_f64 v[38:39], v[16:17], v[34:35]
	v_fmac_f64_e32 v[38:39], v[18:19], v[32:33]
	v_add_f64 v[44:45], v[36:37], v[38:39]
	ds_read_b128 v[36:39], v2 offset:1136
	v_mul_f64 v[6:7], v[18:19], v[34:35]
	v_fma_f64 v[6:7], v[16:17], v[32:33], -v[6:7]
	v_add_f64 v[4:5], v[4:5], v[6:7]
	s_waitcnt lgkmcnt(0)
	v_mul_f64 v[46:47], v[36:37], v[42:43]
	v_fmac_f64_e32 v[46:47], v[38:39], v[40:41]
	v_add_f64 v[52:53], v[44:45], v[46:47]
	ds_read_b128 v[44:47], v2 offset:1152
	v_mul_f64 v[6:7], v[38:39], v[42:43]
	v_fma_f64 v[6:7], v[36:37], v[40:41], -v[6:7]
	v_add_f64 v[4:5], v[4:5], v[6:7]
	s_waitcnt lgkmcnt(0)
	;; [unrolled: 8-line block ×5, first 2 shown]
	v_mul_f64 v[6:7], v[70:71], v[74:75]
	v_fma_f64 v[6:7], v[68:69], v[72:73], -v[6:7]
	v_add_f64 v[8:9], v[4:5], v[6:7]
	scratch_load_dwordx4 v[4:7], off, off offset:464
	v_mul_f64 v[78:79], v[68:69], v[74:75]
	v_fmac_f64_e32 v[78:79], v[70:71], v[72:73]
	v_add_f64 v[76:77], v[76:77], v[78:79]
	s_waitcnt vmcnt(0)
	v_add_f64 v[4:5], v[4:5], -v[8:9]
	v_add_f64 v[6:7], v[6:7], -v[76:77]
	scratch_store_dwordx4 off, v[4:7], off offset:464
	s_and_saveexec_b64 s[0:1], vcc
	s_cbranch_execz .LBB101_187
; %bb.186:
	scratch_load_dwordx4 v[6:9], off, s26
	v_mov_b32_e32 v3, v2
	v_mov_b32_e32 v4, v2
	;; [unrolled: 1-line block ×3, first 2 shown]
	scratch_store_dwordx4 off, v[2:5], off offset:448
	s_waitcnt vmcnt(1)
	ds_write_b128 v1, v[6:9]
.LBB101_187:
	s_or_b64 exec, exec, s[0:1]
	s_waitcnt lgkmcnt(0)
	; wave barrier
	ds_read_b128 v[4:7], v2 offset:1056
	ds_read_b128 v[8:11], v2 offset:1072
	;; [unrolled: 1-line block ×4, first 2 shown]
	scratch_load_dwordx4 v[20:23], off, off offset:464
	scratch_load_dwordx4 v[40:43], off, off offset:528
	;; [unrolled: 1-line block ×4, first 2 shown]
	v_cmp_lt_u32_e32 vcc, 26, v0
	scratch_load_dwordx4 v[48:51], off, off offset:544
	scratch_load_dwordx4 v[56:59], off, off offset:560
	scratch_load_dwordx4 v[64:67], off, off offset:576
	s_waitcnt vmcnt(6) lgkmcnt(3)
	v_mul_f64 v[24:25], v[4:5], v[22:23]
	v_fmac_f64_e32 v[24:25], v[6:7], v[20:21]
	v_add_f64 v[28:29], v[24:25], 0
	scratch_load_dwordx4 v[24:27], off, off offset:480
	s_waitcnt vmcnt(0) lgkmcnt(2)
	v_mul_f64 v[30:31], v[8:9], v[26:27]
	v_fmac_f64_e32 v[30:31], v[10:11], v[24:25]
	v_add_f64 v[32:33], v[28:29], v[30:31]
	scratch_load_dwordx4 v[28:31], off, off offset:496
	;; [unrolled: 5-line block ×3, first 2 shown]
	s_waitcnt vmcnt(0) lgkmcnt(0)
	v_mul_f64 v[38:39], v[16:17], v[34:35]
	v_fmac_f64_e32 v[38:39], v[18:19], v[32:33]
	v_add_f64 v[44:45], v[36:37], v[38:39]
	ds_read_b128 v[36:39], v2 offset:1120
	s_waitcnt lgkmcnt(0)
	v_mul_f64 v[46:47], v[36:37], v[42:43]
	v_fmac_f64_e32 v[46:47], v[38:39], v[40:41]
	v_add_f64 v[52:53], v[44:45], v[46:47]
	ds_read_b128 v[44:47], v2 offset:1136
	s_waitcnt lgkmcnt(0)
	;; [unrolled: 5-line block ×6, first 2 shown]
	v_mul_f64 v[2:3], v[76:77], v[82:83]
	v_fmac_f64_e32 v[2:3], v[78:79], v[80:81]
	v_add_f64 v[84:85], v[84:85], v[2:3]
	v_mul_f64 v[2:3], v[6:7], v[22:23]
	v_fma_f64 v[2:3], v[4:5], v[20:21], -v[2:3]
	v_mul_f64 v[4:5], v[10:11], v[26:27]
	v_add_f64 v[2:3], v[2:3], 0
	v_fma_f64 v[4:5], v[8:9], v[24:25], -v[4:5]
	v_add_f64 v[2:3], v[2:3], v[4:5]
	v_mul_f64 v[4:5], v[14:15], v[30:31]
	v_fma_f64 v[4:5], v[12:13], v[28:29], -v[4:5]
	v_add_f64 v[2:3], v[2:3], v[4:5]
	v_mul_f64 v[4:5], v[18:19], v[34:35]
	v_fma_f64 v[4:5], v[16:17], v[32:33], -v[4:5]
	v_add_f64 v[2:3], v[2:3], v[4:5]
	v_mul_f64 v[4:5], v[38:39], v[42:43]
	v_fma_f64 v[4:5], v[36:37], v[40:41], -v[4:5]
	v_add_f64 v[2:3], v[2:3], v[4:5]
	v_mul_f64 v[4:5], v[46:47], v[50:51]
	v_fma_f64 v[4:5], v[44:45], v[48:49], -v[4:5]
	v_add_f64 v[2:3], v[2:3], v[4:5]
	v_mul_f64 v[4:5], v[54:55], v[58:59]
	v_fma_f64 v[4:5], v[52:53], v[56:57], -v[4:5]
	v_add_f64 v[2:3], v[2:3], v[4:5]
	v_mul_f64 v[4:5], v[62:63], v[66:67]
	v_fma_f64 v[4:5], v[60:61], v[64:65], -v[4:5]
	v_add_f64 v[2:3], v[2:3], v[4:5]
	v_mul_f64 v[4:5], v[70:71], v[74:75]
	v_fma_f64 v[4:5], v[68:69], v[72:73], -v[4:5]
	v_add_f64 v[2:3], v[2:3], v[4:5]
	v_mul_f64 v[4:5], v[78:79], v[82:83]
	v_fma_f64 v[4:5], v[76:77], v[80:81], -v[4:5]
	v_add_f64 v[6:7], v[2:3], v[4:5]
	scratch_load_dwordx4 v[2:5], off, off offset:448
	s_waitcnt vmcnt(0)
	v_add_f64 v[2:3], v[2:3], -v[6:7]
	v_add_f64 v[4:5], v[4:5], -v[84:85]
	scratch_store_dwordx4 off, v[2:5], off offset:448
	s_and_saveexec_b64 s[0:1], vcc
	s_cbranch_execz .LBB101_189
; %bb.188:
	scratch_load_dwordx4 v[2:5], off, s27
	v_mov_b32_e32 v6, 0
	v_mov_b32_e32 v7, v6
	;; [unrolled: 1-line block ×4, first 2 shown]
	scratch_store_dwordx4 off, v[6:9], off offset:432
	s_waitcnt vmcnt(1)
	ds_write_b128 v1, v[2:5]
.LBB101_189:
	s_or_b64 exec, exec, s[0:1]
	s_waitcnt lgkmcnt(0)
	; wave barrier
	scratch_load_dwordx4 v[4:7], off, off offset:448
	scratch_load_dwordx4 v[8:11], off, off offset:464
	;; [unrolled: 1-line block ×12, first 2 shown]
	v_mov_b32_e32 v2, 0
	ds_read_b128 v[52:55], v2 offset:1040
	ds_read_b128 v[56:59], v2 offset:1056
	;; [unrolled: 1-line block ×11, first 2 shown]
	v_cmp_lt_u32_e32 vcc, 25, v0
	s_waitcnt vmcnt(11) lgkmcnt(10)
	v_mul_f64 v[96:97], v[52:53], v[6:7]
	v_mul_f64 v[6:7], v[54:55], v[6:7]
	s_waitcnt vmcnt(10) lgkmcnt(9)
	v_mul_f64 v[98:99], v[56:57], v[10:11]
	s_waitcnt vmcnt(9) lgkmcnt(8)
	v_mul_f64 v[100:101], v[60:61], v[14:15]
	v_mul_f64 v[10:11], v[58:59], v[10:11]
	s_waitcnt vmcnt(6) lgkmcnt(5)
	v_mul_f64 v[106:107], v[72:73], v[26:27]
	v_mul_f64 v[14:15], v[62:63], v[14:15]
	;; [unrolled: 1-line block ×3, first 2 shown]
	v_fmac_f64_e32 v[96:97], v[54:55], v[4:5]
	v_fma_f64 v[4:5], v[52:53], v[4:5], -v[6:7]
	v_fmac_f64_e32 v[98:99], v[58:59], v[8:9]
	v_fma_f64 v[6:7], v[56:57], v[8:9], -v[10:11]
	v_fma_f64 v[8:9], v[60:61], v[12:13], -v[14:15]
	;; [unrolled: 1-line block ×3, first 2 shown]
	v_add_f64 v[26:27], v[96:97], 0
	v_add_f64 v[4:5], v[4:5], 0
	v_mul_f64 v[102:103], v[64:65], v[18:19]
	v_mul_f64 v[18:19], v[66:67], v[18:19]
	v_fmac_f64_e32 v[100:101], v[62:63], v[12:13]
	v_add_f64 v[26:27], v[26:27], v[98:99]
	v_add_f64 v[4:5], v[4:5], v[6:7]
	v_mul_f64 v[104:105], v[68:69], v[22:23]
	v_mul_f64 v[22:23], v[70:71], v[22:23]
	v_fmac_f64_e32 v[102:103], v[66:67], v[16:17]
	v_fma_f64 v[10:11], v[64:65], v[16:17], -v[18:19]
	v_add_f64 v[6:7], v[26:27], v[100:101]
	v_add_f64 v[4:5], v[4:5], v[8:9]
	v_fmac_f64_e32 v[104:105], v[70:71], v[20:21]
	v_fma_f64 v[12:13], v[68:69], v[20:21], -v[22:23]
	v_add_f64 v[6:7], v[6:7], v[102:103]
	v_add_f64 v[4:5], v[4:5], v[10:11]
	s_waitcnt vmcnt(5) lgkmcnt(4)
	v_mul_f64 v[108:109], v[76:77], v[30:31]
	v_mul_f64 v[30:31], v[78:79], v[30:31]
	v_fmac_f64_e32 v[106:107], v[74:75], v[24:25]
	v_add_f64 v[6:7], v[6:7], v[104:105]
	v_add_f64 v[4:5], v[4:5], v[12:13]
	s_waitcnt vmcnt(4) lgkmcnt(3)
	v_mul_f64 v[110:111], v[80:81], v[34:35]
	v_mul_f64 v[34:35], v[82:83], v[34:35]
	v_fmac_f64_e32 v[108:109], v[78:79], v[28:29]
	v_fma_f64 v[16:17], v[76:77], v[28:29], -v[30:31]
	v_add_f64 v[6:7], v[6:7], v[106:107]
	v_add_f64 v[4:5], v[4:5], v[14:15]
	s_waitcnt vmcnt(3) lgkmcnt(2)
	v_mul_f64 v[112:113], v[84:85], v[38:39]
	v_mul_f64 v[38:39], v[86:87], v[38:39]
	v_fmac_f64_e32 v[110:111], v[82:83], v[32:33]
	v_fma_f64 v[18:19], v[80:81], v[32:33], -v[34:35]
	;; [unrolled: 7-line block ×4, first 2 shown]
	v_add_f64 v[6:7], v[6:7], v[112:113]
	v_add_f64 v[4:5], v[4:5], v[20:21]
	v_fmac_f64_e32 v[116:117], v[94:95], v[44:45]
	v_fma_f64 v[24:25], v[92:93], v[44:45], -v[46:47]
	v_add_f64 v[6:7], v[6:7], v[114:115]
	v_add_f64 v[4:5], v[4:5], v[22:23]
	;; [unrolled: 1-line block ×4, first 2 shown]
	s_waitcnt vmcnt(0)
	v_add_f64 v[4:5], v[48:49], -v[4:5]
	v_add_f64 v[6:7], v[50:51], -v[6:7]
	scratch_store_dwordx4 off, v[4:7], off offset:432
	s_and_saveexec_b64 s[0:1], vcc
	s_cbranch_execz .LBB101_191
; %bb.190:
	scratch_load_dwordx4 v[6:9], off, s28
	v_mov_b32_e32 v3, v2
	v_mov_b32_e32 v4, v2
	;; [unrolled: 1-line block ×3, first 2 shown]
	scratch_store_dwordx4 off, v[2:5], off offset:416
	s_waitcnt vmcnt(1)
	ds_write_b128 v1, v[6:9]
.LBB101_191:
	s_or_b64 exec, exec, s[0:1]
	s_waitcnt lgkmcnt(0)
	; wave barrier
	scratch_load_dwordx4 v[4:7], off, off offset:432
	scratch_load_dwordx4 v[8:11], off, off offset:448
	;; [unrolled: 1-line block ×12, first 2 shown]
	ds_read_b128 v[52:55], v2 offset:1024
	ds_read_b128 v[56:59], v2 offset:1040
	;; [unrolled: 1-line block ×4, first 2 shown]
	scratch_load_dwordx4 v[68:71], off, off offset:416
	ds_read_b128 v[72:75], v2 offset:1088
	ds_read_b128 v[76:79], v2 offset:1104
	;; [unrolled: 1-line block ×8, first 2 shown]
	v_cmp_lt_u32_e32 vcc, 24, v0
	s_waitcnt vmcnt(12) lgkmcnt(11)
	v_mul_f64 v[2:3], v[52:53], v[6:7]
	s_waitcnt vmcnt(11) lgkmcnt(10)
	v_mul_f64 v[104:105], v[56:57], v[10:11]
	v_fmac_f64_e32 v[2:3], v[54:55], v[4:5]
	s_waitcnt vmcnt(10) lgkmcnt(9)
	v_mul_f64 v[106:107], v[60:61], v[14:15]
	v_mul_f64 v[6:7], v[54:55], v[6:7]
	v_fmac_f64_e32 v[104:105], v[58:59], v[8:9]
	v_add_f64 v[2:3], v[2:3], 0
	s_waitcnt vmcnt(9) lgkmcnt(8)
	v_mul_f64 v[108:109], v[64:65], v[18:19]
	v_mul_f64 v[10:11], v[58:59], v[10:11]
	v_fmac_f64_e32 v[106:107], v[62:63], v[12:13]
	v_fma_f64 v[4:5], v[52:53], v[4:5], -v[6:7]
	v_add_f64 v[2:3], v[2:3], v[104:105]
	s_waitcnt vmcnt(8) lgkmcnt(7)
	v_mul_f64 v[110:111], v[72:73], v[22:23]
	v_mul_f64 v[14:15], v[62:63], v[14:15]
	v_fmac_f64_e32 v[108:109], v[66:67], v[16:17]
	v_fma_f64 v[6:7], v[56:57], v[8:9], -v[10:11]
	v_add_f64 v[4:5], v[4:5], 0
	v_add_f64 v[2:3], v[2:3], v[106:107]
	s_waitcnt vmcnt(7) lgkmcnt(6)
	v_mul_f64 v[112:113], v[76:77], v[26:27]
	v_mul_f64 v[18:19], v[66:67], v[18:19]
	v_fmac_f64_e32 v[110:111], v[74:75], v[20:21]
	v_fma_f64 v[8:9], v[60:61], v[12:13], -v[14:15]
	v_add_f64 v[4:5], v[4:5], v[6:7]
	v_add_f64 v[2:3], v[2:3], v[108:109]
	s_waitcnt vmcnt(6) lgkmcnt(5)
	v_mul_f64 v[114:115], v[80:81], v[30:31]
	v_mul_f64 v[22:23], v[74:75], v[22:23]
	v_fmac_f64_e32 v[112:113], v[78:79], v[24:25]
	v_fma_f64 v[10:11], v[64:65], v[16:17], -v[18:19]
	v_add_f64 v[4:5], v[4:5], v[8:9]
	v_add_f64 v[2:3], v[2:3], v[110:111]
	s_waitcnt vmcnt(5) lgkmcnt(4)
	v_mul_f64 v[116:117], v[84:85], v[34:35]
	v_mul_f64 v[26:27], v[78:79], v[26:27]
	v_fmac_f64_e32 v[114:115], v[82:83], v[28:29]
	v_fma_f64 v[12:13], v[72:73], v[20:21], -v[22:23]
	v_add_f64 v[4:5], v[4:5], v[10:11]
	v_add_f64 v[2:3], v[2:3], v[112:113]
	s_waitcnt vmcnt(4) lgkmcnt(3)
	v_mul_f64 v[118:119], v[88:89], v[38:39]
	v_mul_f64 v[30:31], v[82:83], v[30:31]
	v_fmac_f64_e32 v[116:117], v[86:87], v[32:33]
	v_fma_f64 v[14:15], v[76:77], v[24:25], -v[26:27]
	v_add_f64 v[4:5], v[4:5], v[12:13]
	v_add_f64 v[2:3], v[2:3], v[114:115]
	s_waitcnt vmcnt(3) lgkmcnt(2)
	v_mul_f64 v[120:121], v[92:93], v[42:43]
	v_mul_f64 v[34:35], v[86:87], v[34:35]
	v_fmac_f64_e32 v[118:119], v[90:91], v[36:37]
	v_fma_f64 v[16:17], v[80:81], v[28:29], -v[30:31]
	v_add_f64 v[4:5], v[4:5], v[14:15]
	v_add_f64 v[2:3], v[2:3], v[116:117]
	s_waitcnt vmcnt(2) lgkmcnt(1)
	v_mul_f64 v[122:123], v[96:97], v[46:47]
	v_mul_f64 v[38:39], v[90:91], v[38:39]
	v_fmac_f64_e32 v[120:121], v[94:95], v[40:41]
	v_fma_f64 v[18:19], v[84:85], v[32:33], -v[34:35]
	v_add_f64 v[4:5], v[4:5], v[16:17]
	v_add_f64 v[2:3], v[2:3], v[118:119]
	s_waitcnt vmcnt(1) lgkmcnt(0)
	v_mul_f64 v[124:125], v[100:101], v[50:51]
	v_mul_f64 v[42:43], v[94:95], v[42:43]
	v_fmac_f64_e32 v[122:123], v[98:99], v[44:45]
	v_fma_f64 v[20:21], v[88:89], v[36:37], -v[38:39]
	v_add_f64 v[4:5], v[4:5], v[18:19]
	v_add_f64 v[2:3], v[2:3], v[120:121]
	v_mul_f64 v[46:47], v[98:99], v[46:47]
	v_fmac_f64_e32 v[124:125], v[102:103], v[48:49]
	v_fma_f64 v[22:23], v[92:93], v[40:41], -v[42:43]
	v_add_f64 v[4:5], v[4:5], v[20:21]
	v_add_f64 v[2:3], v[2:3], v[122:123]
	;; [unrolled: 1-line block ×4, first 2 shown]
	v_fma_f64 v[2:3], v[96:97], v[44:45], -v[46:47]
	v_add_f64 v[2:3], v[4:5], v[2:3]
	v_mul_f64 v[4:5], v[102:103], v[50:51]
	v_fma_f64 v[4:5], v[100:101], v[48:49], -v[4:5]
	v_add_f64 v[2:3], v[2:3], v[4:5]
	s_waitcnt vmcnt(0)
	v_add_f64 v[2:3], v[68:69], -v[2:3]
	v_add_f64 v[4:5], v[70:71], -v[6:7]
	scratch_store_dwordx4 off, v[2:5], off offset:416
	s_and_saveexec_b64 s[0:1], vcc
	s_cbranch_execz .LBB101_193
; %bb.192:
	scratch_load_dwordx4 v[2:5], off, s29
	v_mov_b32_e32 v6, 0
	v_mov_b32_e32 v7, v6
	;; [unrolled: 1-line block ×4, first 2 shown]
	scratch_store_dwordx4 off, v[6:9], off offset:400
	s_waitcnt vmcnt(1)
	ds_write_b128 v1, v[2:5]
.LBB101_193:
	s_or_b64 exec, exec, s[0:1]
	s_waitcnt lgkmcnt(0)
	; wave barrier
	scratch_load_dwordx4 v[4:7], off, off offset:416
	scratch_load_dwordx4 v[8:11], off, off offset:432
	;; [unrolled: 1-line block ×14, first 2 shown]
	v_mov_b32_e32 v2, 0
	ds_read_b128 v[60:63], v2 offset:1008
	ds_read_b128 v[64:67], v2 offset:1024
	;; [unrolled: 1-line block ×13, first 2 shown]
	v_cmp_lt_u32_e32 vcc, 23, v0
	s_waitcnt vmcnt(13) lgkmcnt(12)
	v_mul_f64 v[112:113], v[60:61], v[6:7]
	v_mul_f64 v[6:7], v[62:63], v[6:7]
	s_waitcnt vmcnt(12) lgkmcnt(11)
	v_mul_f64 v[114:115], v[64:65], v[10:11]
	v_mul_f64 v[10:11], v[66:67], v[10:11]
	v_fmac_f64_e32 v[112:113], v[62:63], v[4:5]
	v_fma_f64 v[4:5], v[60:61], v[4:5], -v[6:7]
	s_waitcnt vmcnt(11) lgkmcnt(10)
	v_mul_f64 v[116:117], v[68:69], v[14:15]
	v_mul_f64 v[14:15], v[70:71], v[14:15]
	v_fma_f64 v[6:7], v[64:65], v[8:9], -v[10:11]
	v_add_f64 v[4:5], v[4:5], 0
	s_waitcnt vmcnt(10) lgkmcnt(9)
	v_mul_f64 v[118:119], v[72:73], v[18:19]
	v_mul_f64 v[18:19], v[74:75], v[18:19]
	v_fmac_f64_e32 v[114:115], v[66:67], v[8:9]
	v_fma_f64 v[8:9], v[68:69], v[12:13], -v[14:15]
	v_add_f64 v[4:5], v[4:5], v[6:7]
	s_waitcnt vmcnt(9) lgkmcnt(8)
	v_mul_f64 v[120:121], v[76:77], v[22:23]
	v_mul_f64 v[22:23], v[78:79], v[22:23]
	v_fma_f64 v[10:11], v[72:73], v[16:17], -v[18:19]
	v_add_f64 v[4:5], v[4:5], v[8:9]
	s_waitcnt vmcnt(8) lgkmcnt(7)
	v_mul_f64 v[122:123], v[80:81], v[26:27]
	v_mul_f64 v[26:27], v[82:83], v[26:27]
	v_fmac_f64_e32 v[116:117], v[70:71], v[12:13]
	v_fma_f64 v[12:13], v[76:77], v[20:21], -v[22:23]
	v_add_f64 v[22:23], v[112:113], 0
	v_add_f64 v[4:5], v[4:5], v[10:11]
	s_waitcnt vmcnt(7) lgkmcnt(6)
	v_mul_f64 v[124:125], v[84:85], v[30:31]
	v_mul_f64 v[30:31], v[86:87], v[30:31]
	v_fma_f64 v[14:15], v[80:81], v[24:25], -v[26:27]
	v_add_f64 v[22:23], v[22:23], v[114:115]
	v_add_f64 v[4:5], v[4:5], v[12:13]
	s_waitcnt vmcnt(6) lgkmcnt(5)
	v_mul_f64 v[126:127], v[88:89], v[34:35]
	v_mul_f64 v[34:35], v[90:91], v[34:35]
	v_fmac_f64_e32 v[118:119], v[74:75], v[16:17]
	v_fma_f64 v[16:17], v[84:85], v[28:29], -v[30:31]
	v_add_f64 v[6:7], v[22:23], v[116:117]
	v_add_f64 v[4:5], v[4:5], v[14:15]
	s_waitcnt vmcnt(5) lgkmcnt(4)
	v_mul_f64 v[128:129], v[92:93], v[38:39]
	v_mul_f64 v[38:39], v[94:95], v[38:39]
	v_fmac_f64_e32 v[120:121], v[78:79], v[20:21]
	v_fma_f64 v[18:19], v[88:89], v[32:33], -v[34:35]
	v_add_f64 v[6:7], v[6:7], v[118:119]
	v_add_f64 v[4:5], v[4:5], v[16:17]
	v_fmac_f64_e32 v[122:123], v[82:83], v[24:25]
	v_fma_f64 v[20:21], v[92:93], v[36:37], -v[38:39]
	v_add_f64 v[6:7], v[6:7], v[120:121]
	v_add_f64 v[4:5], v[4:5], v[18:19]
	s_waitcnt vmcnt(4) lgkmcnt(3)
	v_mul_f64 v[8:9], v[98:99], v[42:43]
	v_fmac_f64_e32 v[124:125], v[86:87], v[28:29]
	v_add_f64 v[6:7], v[6:7], v[122:123]
	v_add_f64 v[4:5], v[4:5], v[20:21]
	v_fma_f64 v[8:9], v[96:97], v[40:41], -v[8:9]
	v_fmac_f64_e32 v[126:127], v[90:91], v[32:33]
	v_add_f64 v[6:7], v[6:7], v[124:125]
	v_add_f64 v[4:5], v[4:5], v[8:9]
	s_waitcnt vmcnt(3) lgkmcnt(2)
	v_mul_f64 v[8:9], v[102:103], v[46:47]
	v_mul_f64 v[130:131], v[96:97], v[42:43]
	v_fmac_f64_e32 v[128:129], v[94:95], v[36:37]
	v_add_f64 v[6:7], v[6:7], v[126:127]
	v_fma_f64 v[8:9], v[100:101], v[44:45], -v[8:9]
	v_mul_f64 v[132:133], v[100:101], v[46:47]
	v_fmac_f64_e32 v[130:131], v[98:99], v[40:41]
	v_add_f64 v[6:7], v[6:7], v[128:129]
	v_add_f64 v[4:5], v[4:5], v[8:9]
	s_waitcnt vmcnt(2) lgkmcnt(1)
	v_mul_f64 v[8:9], v[106:107], v[50:51]
	v_mul_f64 v[134:135], v[104:105], v[50:51]
	v_fmac_f64_e32 v[132:133], v[102:103], v[44:45]
	v_add_f64 v[6:7], v[6:7], v[130:131]
	v_fma_f64 v[8:9], v[104:105], v[48:49], -v[8:9]
	s_waitcnt vmcnt(1) lgkmcnt(0)
	v_mul_f64 v[136:137], v[108:109], v[54:55]
	v_fmac_f64_e32 v[134:135], v[106:107], v[48:49]
	v_add_f64 v[6:7], v[6:7], v[132:133]
	v_add_f64 v[4:5], v[4:5], v[8:9]
	v_mul_f64 v[8:9], v[110:111], v[54:55]
	v_fmac_f64_e32 v[136:137], v[110:111], v[52:53]
	v_add_f64 v[6:7], v[6:7], v[134:135]
	v_fma_f64 v[8:9], v[108:109], v[52:53], -v[8:9]
	v_add_f64 v[6:7], v[6:7], v[136:137]
	v_add_f64 v[4:5], v[4:5], v[8:9]
	s_waitcnt vmcnt(0)
	v_add_f64 v[4:5], v[56:57], -v[4:5]
	v_add_f64 v[6:7], v[58:59], -v[6:7]
	scratch_store_dwordx4 off, v[4:7], off offset:400
	s_and_saveexec_b64 s[0:1], vcc
	s_cbranch_execz .LBB101_195
; %bb.194:
	scratch_load_dwordx4 v[6:9], off, s30
	v_mov_b32_e32 v3, v2
	v_mov_b32_e32 v4, v2
	;; [unrolled: 1-line block ×3, first 2 shown]
	scratch_store_dwordx4 off, v[2:5], off offset:384
	s_waitcnt vmcnt(1)
	ds_write_b128 v1, v[6:9]
.LBB101_195:
	s_or_b64 exec, exec, s[0:1]
	s_waitcnt lgkmcnt(0)
	; wave barrier
	scratch_load_dwordx4 v[4:7], off, off offset:400
	scratch_load_dwordx4 v[8:11], off, off offset:416
	;; [unrolled: 1-line block ×14, first 2 shown]
	ds_read_b128 v[60:63], v2 offset:992
	ds_read_b128 v[64:67], v2 offset:1008
	;; [unrolled: 1-line block ×14, first 2 shown]
	scratch_load_dwordx4 v[116:119], off, off offset:384
	v_cmp_lt_u32_e32 vcc, 22, v0
	s_waitcnt vmcnt(14) lgkmcnt(13)
	v_mul_f64 v[2:3], v[60:61], v[6:7]
	s_waitcnt vmcnt(13) lgkmcnt(12)
	v_mul_f64 v[120:121], v[64:65], v[10:11]
	v_fmac_f64_e32 v[2:3], v[62:63], v[4:5]
	s_waitcnt vmcnt(12) lgkmcnt(11)
	v_mul_f64 v[122:123], v[68:69], v[14:15]
	v_fmac_f64_e32 v[120:121], v[66:67], v[8:9]
	v_add_f64 v[2:3], v[2:3], 0
	s_waitcnt vmcnt(11) lgkmcnt(10)
	v_mul_f64 v[124:125], v[72:73], v[18:19]
	v_fmac_f64_e32 v[122:123], v[70:71], v[12:13]
	v_add_f64 v[2:3], v[2:3], v[120:121]
	;; [unrolled: 4-line block ×4, first 2 shown]
	s_waitcnt vmcnt(8) lgkmcnt(7)
	v_mul_f64 v[130:131], v[84:85], v[30:31]
	v_mul_f64 v[6:7], v[62:63], v[6:7]
	v_fmac_f64_e32 v[128:129], v[82:83], v[24:25]
	v_add_f64 v[2:3], v[2:3], v[126:127]
	s_waitcnt vmcnt(7) lgkmcnt(6)
	v_mul_f64 v[132:133], v[88:89], v[34:35]
	v_mul_f64 v[10:11], v[66:67], v[10:11]
	v_fmac_f64_e32 v[130:131], v[86:87], v[28:29]
	v_fma_f64 v[4:5], v[60:61], v[4:5], -v[6:7]
	v_add_f64 v[2:3], v[2:3], v[128:129]
	s_waitcnt vmcnt(6) lgkmcnt(5)
	v_mul_f64 v[134:135], v[92:93], v[38:39]
	v_mul_f64 v[14:15], v[70:71], v[14:15]
	v_fmac_f64_e32 v[132:133], v[90:91], v[32:33]
	v_fma_f64 v[6:7], v[64:65], v[8:9], -v[10:11]
	v_add_f64 v[4:5], v[4:5], 0
	v_add_f64 v[2:3], v[2:3], v[130:131]
	s_waitcnt vmcnt(5) lgkmcnt(4)
	v_mul_f64 v[136:137], v[96:97], v[42:43]
	v_mul_f64 v[18:19], v[74:75], v[18:19]
	v_fmac_f64_e32 v[134:135], v[94:95], v[36:37]
	v_fma_f64 v[8:9], v[68:69], v[12:13], -v[14:15]
	v_add_f64 v[4:5], v[4:5], v[6:7]
	;; [unrolled: 7-line block ×6, first 2 shown]
	v_add_f64 v[2:3], v[2:3], v[140:141]
	v_fmac_f64_e32 v[144:145], v[114:115], v[56:57]
	v_fma_f64 v[18:19], v[88:89], v[32:33], -v[34:35]
	v_add_f64 v[4:5], v[4:5], v[16:17]
	v_add_f64 v[2:3], v[2:3], v[142:143]
	;; [unrolled: 1-line block ×4, first 2 shown]
	v_mul_f64 v[4:5], v[94:95], v[38:39]
	v_fma_f64 v[4:5], v[92:93], v[36:37], -v[4:5]
	v_add_f64 v[2:3], v[2:3], v[4:5]
	v_mul_f64 v[4:5], v[98:99], v[42:43]
	v_fma_f64 v[4:5], v[96:97], v[40:41], -v[4:5]
	v_add_f64 v[2:3], v[2:3], v[4:5]
	;; [unrolled: 3-line block ×6, first 2 shown]
	s_waitcnt vmcnt(0)
	v_add_f64 v[2:3], v[116:117], -v[2:3]
	v_add_f64 v[4:5], v[118:119], -v[6:7]
	scratch_store_dwordx4 off, v[2:5], off offset:384
	s_and_saveexec_b64 s[0:1], vcc
	s_cbranch_execz .LBB101_197
; %bb.196:
	scratch_load_dwordx4 v[2:5], off, s31
	v_mov_b32_e32 v6, 0
	v_mov_b32_e32 v7, v6
	v_mov_b32_e32 v8, v6
	v_mov_b32_e32 v9, v6
	scratch_store_dwordx4 off, v[6:9], off offset:368
	s_waitcnt vmcnt(1)
	ds_write_b128 v1, v[2:5]
.LBB101_197:
	s_or_b64 exec, exec, s[0:1]
	s_waitcnt lgkmcnt(0)
	; wave barrier
	scratch_load_dwordx4 v[4:7], off, off offset:384
	scratch_load_dwordx4 v[8:11], off, off offset:400
	scratch_load_dwordx4 v[12:15], off, off offset:416
	scratch_load_dwordx4 v[16:19], off, off offset:432
	scratch_load_dwordx4 v[20:23], off, off offset:448
	scratch_load_dwordx4 v[24:27], off, off offset:464
	scratch_load_dwordx4 v[28:31], off, off offset:480
	scratch_load_dwordx4 v[32:35], off, off offset:496
	scratch_load_dwordx4 v[36:39], off, off offset:512
	scratch_load_dwordx4 v[40:43], off, off offset:528
	scratch_load_dwordx4 v[44:47], off, off offset:544
	scratch_load_dwordx4 v[48:51], off, off offset:560
	scratch_load_dwordx4 v[52:55], off, off offset:576
	scratch_load_dwordx4 v[56:59], off, off offset:592
	scratch_load_dwordx4 v[60:63], off, off offset:608
	scratch_load_dwordx4 v[64:67], off, off offset:368
	v_mov_b32_e32 v2, 0
	ds_read_b128 v[68:71], v2 offset:976
	ds_read_b128 v[72:75], v2 offset:992
	;; [unrolled: 1-line block ×15, first 2 shown]
	v_cmp_lt_u32_e32 vcc, 21, v0
	s_waitcnt vmcnt(15) lgkmcnt(14)
	v_mul_f64 v[128:129], v[68:69], v[6:7]
	v_mul_f64 v[6:7], v[70:71], v[6:7]
	s_waitcnt vmcnt(14) lgkmcnt(13)
	v_mul_f64 v[130:131], v[72:73], v[10:11]
	v_mul_f64 v[10:11], v[74:75], v[10:11]
	v_fmac_f64_e32 v[128:129], v[70:71], v[4:5]
	v_fma_f64 v[4:5], v[68:69], v[4:5], -v[6:7]
	s_waitcnt vmcnt(13) lgkmcnt(12)
	v_mul_f64 v[132:133], v[76:77], v[14:15]
	v_mul_f64 v[14:15], v[78:79], v[14:15]
	v_fma_f64 v[6:7], v[72:73], v[8:9], -v[10:11]
	v_add_f64 v[4:5], v[4:5], 0
	s_waitcnt vmcnt(12) lgkmcnt(11)
	v_mul_f64 v[134:135], v[80:81], v[18:19]
	v_mul_f64 v[18:19], v[82:83], v[18:19]
	v_fmac_f64_e32 v[130:131], v[74:75], v[8:9]
	v_fma_f64 v[8:9], v[76:77], v[12:13], -v[14:15]
	v_add_f64 v[4:5], v[4:5], v[6:7]
	s_waitcnt vmcnt(11) lgkmcnt(10)
	v_mul_f64 v[136:137], v[84:85], v[22:23]
	v_mul_f64 v[22:23], v[86:87], v[22:23]
	v_fma_f64 v[10:11], v[80:81], v[16:17], -v[18:19]
	v_add_f64 v[4:5], v[4:5], v[8:9]
	s_waitcnt vmcnt(10) lgkmcnt(9)
	v_mul_f64 v[138:139], v[88:89], v[26:27]
	v_mul_f64 v[26:27], v[90:91], v[26:27]
	v_fmac_f64_e32 v[132:133], v[78:79], v[12:13]
	v_fma_f64 v[12:13], v[84:85], v[20:21], -v[22:23]
	v_add_f64 v[4:5], v[4:5], v[10:11]
	v_fma_f64 v[14:15], v[88:89], v[24:25], -v[26:27]
	v_add_f64 v[4:5], v[4:5], v[12:13]
	s_waitcnt vmcnt(9) lgkmcnt(8)
	v_mul_f64 v[8:9], v[94:95], v[30:31]
	v_add_f64 v[4:5], v[4:5], v[14:15]
	v_fma_f64 v[8:9], v[92:93], v[28:29], -v[8:9]
	v_add_f64 v[4:5], v[4:5], v[8:9]
	s_waitcnt vmcnt(8) lgkmcnt(7)
	v_mul_f64 v[8:9], v[98:99], v[34:35]
	v_fma_f64 v[8:9], v[96:97], v[32:33], -v[8:9]
	v_fmac_f64_e32 v[134:135], v[82:83], v[16:17]
	v_add_f64 v[16:17], v[128:129], 0
	v_add_f64 v[4:5], v[4:5], v[8:9]
	s_waitcnt vmcnt(7) lgkmcnt(6)
	v_mul_f64 v[8:9], v[102:103], v[38:39]
	v_add_f64 v[16:17], v[16:17], v[130:131]
	v_fma_f64 v[8:9], v[100:101], v[36:37], -v[8:9]
	v_add_f64 v[6:7], v[16:17], v[132:133]
	v_add_f64 v[4:5], v[4:5], v[8:9]
	s_waitcnt vmcnt(6) lgkmcnt(5)
	v_mul_f64 v[8:9], v[106:107], v[42:43]
	v_fmac_f64_e32 v[136:137], v[86:87], v[20:21]
	v_add_f64 v[6:7], v[6:7], v[134:135]
	v_fma_f64 v[8:9], v[104:105], v[40:41], -v[8:9]
	v_mul_f64 v[140:141], v[92:93], v[30:31]
	v_fmac_f64_e32 v[138:139], v[90:91], v[24:25]
	v_add_f64 v[6:7], v[6:7], v[136:137]
	v_add_f64 v[4:5], v[4:5], v[8:9]
	s_waitcnt vmcnt(5) lgkmcnt(4)
	v_mul_f64 v[8:9], v[110:111], v[46:47]
	v_mul_f64 v[142:143], v[96:97], v[34:35]
	v_fmac_f64_e32 v[140:141], v[94:95], v[28:29]
	v_add_f64 v[6:7], v[6:7], v[138:139]
	v_fma_f64 v[8:9], v[108:109], v[44:45], -v[8:9]
	v_mul_f64 v[144:145], v[100:101], v[38:39]
	v_fmac_f64_e32 v[142:143], v[98:99], v[32:33]
	v_add_f64 v[6:7], v[6:7], v[140:141]
	v_add_f64 v[4:5], v[4:5], v[8:9]
	s_waitcnt vmcnt(4) lgkmcnt(3)
	v_mul_f64 v[8:9], v[114:115], v[50:51]
	v_mul_f64 v[146:147], v[104:105], v[42:43]
	v_fmac_f64_e32 v[144:145], v[102:103], v[36:37]
	v_add_f64 v[6:7], v[6:7], v[142:143]
	v_fma_f64 v[8:9], v[112:113], v[48:49], -v[8:9]
	v_mul_f64 v[148:149], v[108:109], v[46:47]
	v_fmac_f64_e32 v[146:147], v[106:107], v[40:41]
	v_add_f64 v[6:7], v[6:7], v[144:145]
	v_add_f64 v[4:5], v[4:5], v[8:9]
	s_waitcnt vmcnt(3) lgkmcnt(2)
	v_mul_f64 v[8:9], v[118:119], v[54:55]
	v_mul_f64 v[150:151], v[112:113], v[50:51]
	v_fmac_f64_e32 v[148:149], v[110:111], v[44:45]
	v_add_f64 v[6:7], v[6:7], v[146:147]
	v_fma_f64 v[8:9], v[116:117], v[52:53], -v[8:9]
	v_mul_f64 v[152:153], v[116:117], v[54:55]
	v_fmac_f64_e32 v[150:151], v[114:115], v[48:49]
	v_add_f64 v[6:7], v[6:7], v[148:149]
	v_add_f64 v[4:5], v[4:5], v[8:9]
	s_waitcnt vmcnt(2) lgkmcnt(1)
	v_mul_f64 v[8:9], v[122:123], v[58:59]
	v_mul_f64 v[154:155], v[120:121], v[58:59]
	v_fmac_f64_e32 v[152:153], v[118:119], v[52:53]
	v_add_f64 v[6:7], v[6:7], v[150:151]
	v_fma_f64 v[8:9], v[120:121], v[56:57], -v[8:9]
	s_waitcnt vmcnt(1) lgkmcnt(0)
	v_mul_f64 v[156:157], v[124:125], v[62:63]
	v_fmac_f64_e32 v[154:155], v[122:123], v[56:57]
	v_add_f64 v[6:7], v[6:7], v[152:153]
	v_add_f64 v[4:5], v[4:5], v[8:9]
	v_mul_f64 v[8:9], v[126:127], v[62:63]
	v_fmac_f64_e32 v[156:157], v[126:127], v[60:61]
	v_add_f64 v[6:7], v[6:7], v[154:155]
	v_fma_f64 v[8:9], v[124:125], v[60:61], -v[8:9]
	v_add_f64 v[6:7], v[6:7], v[156:157]
	v_add_f64 v[4:5], v[4:5], v[8:9]
	s_waitcnt vmcnt(0)
	v_add_f64 v[4:5], v[64:65], -v[4:5]
	v_add_f64 v[6:7], v[66:67], -v[6:7]
	scratch_store_dwordx4 off, v[4:7], off offset:368
	s_and_saveexec_b64 s[0:1], vcc
	s_cbranch_execz .LBB101_199
; %bb.198:
	scratch_load_dwordx4 v[6:9], off, s33
	v_mov_b32_e32 v3, v2
	v_mov_b32_e32 v4, v2
	;; [unrolled: 1-line block ×3, first 2 shown]
	scratch_store_dwordx4 off, v[2:5], off offset:352
	s_waitcnt vmcnt(1)
	ds_write_b128 v1, v[6:9]
.LBB101_199:
	s_or_b64 exec, exec, s[0:1]
	s_waitcnt lgkmcnt(0)
	; wave barrier
	scratch_load_dwordx4 v[4:7], off, off offset:368
	scratch_load_dwordx4 v[8:11], off, off offset:384
	scratch_load_dwordx4 v[12:15], off, off offset:400
	scratch_load_dwordx4 v[16:19], off, off offset:416
	scratch_load_dwordx4 v[24:27], off, off offset:432
	scratch_load_dwordx4 v[20:23], off, off offset:448
	scratch_load_dwordx4 v[28:31], off, off offset:464
	scratch_load_dwordx4 v[32:35], off, off offset:480
	scratch_load_dwordx4 v[36:39], off, off offset:496
	scratch_load_dwordx4 v[40:43], off, off offset:512
	scratch_load_dwordx4 v[44:47], off, off offset:528
	scratch_load_dwordx4 v[48:51], off, off offset:544
	scratch_load_dwordx4 v[52:55], off, off offset:560
	scratch_load_dwordx4 v[56:59], off, off offset:576
	scratch_load_dwordx4 v[60:63], off, off offset:592
	scratch_load_dwordx4 v[64:67], off, off offset:608
	ds_read_b128 v[68:71], v2 offset:960
	ds_read_b128 v[72:75], v2 offset:976
	;; [unrolled: 1-line block ×16, first 2 shown]
	scratch_load_dwordx4 v[132:135], off, off offset:352
	v_cmp_lt_u32_e32 vcc, 20, v0
	s_waitcnt vmcnt(16) lgkmcnt(14)
	v_mul_f64 v[2:3], v[68:69], v[6:7]
	s_waitcnt vmcnt(15)
	v_mul_f64 v[136:137], v[72:73], v[10:11]
	v_fmac_f64_e32 v[2:3], v[70:71], v[4:5]
	s_waitcnt vmcnt(14) lgkmcnt(13)
	v_mul_f64 v[138:139], v[76:77], v[14:15]
	v_fmac_f64_e32 v[136:137], v[74:75], v[8:9]
	v_add_f64 v[2:3], v[2:3], 0
	s_waitcnt vmcnt(13) lgkmcnt(12)
	v_mul_f64 v[140:141], v[80:81], v[18:19]
	v_fmac_f64_e32 v[138:139], v[78:79], v[12:13]
	v_add_f64 v[2:3], v[2:3], v[136:137]
	;; [unrolled: 4-line block ×10, first 2 shown]
	s_waitcnt vmcnt(4) lgkmcnt(3)
	v_mul_f64 v[158:159], v[116:117], v[54:55]
	v_mul_f64 v[6:7], v[70:71], v[6:7]
	v_fmac_f64_e32 v[156:157], v[114:115], v[48:49]
	v_add_f64 v[2:3], v[2:3], v[154:155]
	s_waitcnt vmcnt(3) lgkmcnt(2)
	v_mul_f64 v[160:161], v[120:121], v[58:59]
	v_mul_f64 v[10:11], v[74:75], v[10:11]
	v_fmac_f64_e32 v[158:159], v[118:119], v[52:53]
	v_fma_f64 v[4:5], v[68:69], v[4:5], -v[6:7]
	v_add_f64 v[2:3], v[2:3], v[156:157]
	s_waitcnt vmcnt(2) lgkmcnt(1)
	v_mul_f64 v[162:163], v[124:125], v[62:63]
	v_mul_f64 v[14:15], v[78:79], v[14:15]
	v_fmac_f64_e32 v[160:161], v[122:123], v[56:57]
	v_fma_f64 v[6:7], v[72:73], v[8:9], -v[10:11]
	v_add_f64 v[4:5], v[4:5], 0
	v_add_f64 v[2:3], v[2:3], v[158:159]
	s_waitcnt vmcnt(1) lgkmcnt(0)
	v_mul_f64 v[164:165], v[128:129], v[66:67]
	v_mul_f64 v[18:19], v[82:83], v[18:19]
	v_fmac_f64_e32 v[162:163], v[126:127], v[60:61]
	v_fma_f64 v[8:9], v[76:77], v[12:13], -v[14:15]
	v_add_f64 v[4:5], v[4:5], v[6:7]
	v_add_f64 v[2:3], v[2:3], v[160:161]
	v_mul_f64 v[26:27], v[86:87], v[26:27]
	v_fmac_f64_e32 v[164:165], v[130:131], v[64:65]
	v_fma_f64 v[10:11], v[80:81], v[16:17], -v[18:19]
	v_add_f64 v[4:5], v[4:5], v[8:9]
	v_add_f64 v[2:3], v[2:3], v[162:163]
	v_fma_f64 v[12:13], v[84:85], v[24:25], -v[26:27]
	v_add_f64 v[4:5], v[4:5], v[10:11]
	v_add_f64 v[6:7], v[2:3], v[164:165]
	v_mul_f64 v[2:3], v[90:91], v[22:23]
	v_add_f64 v[4:5], v[4:5], v[12:13]
	v_fma_f64 v[2:3], v[88:89], v[20:21], -v[2:3]
	v_add_f64 v[2:3], v[4:5], v[2:3]
	v_mul_f64 v[4:5], v[94:95], v[30:31]
	v_fma_f64 v[4:5], v[92:93], v[28:29], -v[4:5]
	v_add_f64 v[2:3], v[2:3], v[4:5]
	v_mul_f64 v[4:5], v[98:99], v[34:35]
	;; [unrolled: 3-line block ×10, first 2 shown]
	v_fma_f64 v[4:5], v[128:129], v[64:65], -v[4:5]
	v_add_f64 v[2:3], v[2:3], v[4:5]
	s_waitcnt vmcnt(0)
	v_add_f64 v[2:3], v[132:133], -v[2:3]
	v_add_f64 v[4:5], v[134:135], -v[6:7]
	scratch_store_dwordx4 off, v[2:5], off offset:352
	s_and_saveexec_b64 s[0:1], vcc
	s_cbranch_execz .LBB101_201
; %bb.200:
	scratch_load_dwordx4 v[2:5], off, s34
	v_mov_b32_e32 v6, 0
	v_mov_b32_e32 v7, v6
	;; [unrolled: 1-line block ×4, first 2 shown]
	scratch_store_dwordx4 off, v[6:9], off offset:336
	s_waitcnt vmcnt(1)
	ds_write_b128 v1, v[2:5]
.LBB101_201:
	s_or_b64 exec, exec, s[0:1]
	s_waitcnt lgkmcnt(0)
	; wave barrier
	scratch_load_dwordx4 v[4:7], off, off offset:352
	scratch_load_dwordx4 v[8:11], off, off offset:368
	;; [unrolled: 1-line block ×18, first 2 shown]
	v_mov_b32_e32 v2, 0
	ds_read_b128 v[76:79], v2 offset:944
	ds_read_b128 v[80:83], v2 offset:960
	;; [unrolled: 1-line block ×17, first 2 shown]
	v_cmp_lt_u32_e32 vcc, 19, v0
	s_waitcnt vmcnt(17) lgkmcnt(14)
	v_mul_f64 v[144:145], v[76:77], v[6:7]
	v_mul_f64 v[6:7], v[78:79], v[6:7]
	s_waitcnt vmcnt(16)
	v_mul_f64 v[146:147], v[80:81], v[10:11]
	v_mul_f64 v[10:11], v[82:83], v[10:11]
	v_fmac_f64_e32 v[144:145], v[78:79], v[4:5]
	v_fma_f64 v[4:5], v[76:77], v[4:5], -v[6:7]
	s_waitcnt vmcnt(15)
	v_mul_f64 v[148:149], v[84:85], v[18:19]
	v_mul_f64 v[18:19], v[86:87], v[18:19]
	v_fma_f64 v[6:7], v[80:81], v[8:9], -v[10:11]
	v_add_f64 v[4:5], v[4:5], 0
	s_waitcnt vmcnt(14) lgkmcnt(13)
	v_mul_f64 v[150:151], v[88:89], v[14:15]
	v_mul_f64 v[14:15], v[90:91], v[14:15]
	v_fmac_f64_e32 v[146:147], v[82:83], v[8:9]
	v_fma_f64 v[8:9], v[84:85], v[16:17], -v[18:19]
	v_add_f64 v[4:5], v[4:5], v[6:7]
	v_add_f64 v[4:5], v[4:5], v[8:9]
	v_fma_f64 v[8:9], v[88:89], v[12:13], -v[14:15]
	v_add_f64 v[4:5], v[4:5], v[8:9]
	s_waitcnt vmcnt(13) lgkmcnt(12)
	v_mul_f64 v[8:9], v[94:95], v[22:23]
	v_fma_f64 v[8:9], v[92:93], v[20:21], -v[8:9]
	v_add_f64 v[4:5], v[4:5], v[8:9]
	s_waitcnt vmcnt(12) lgkmcnt(11)
	v_mul_f64 v[8:9], v[98:99], v[26:27]
	;; [unrolled: 4-line block ×5, first 2 shown]
	v_fma_f64 v[8:9], v[108:109], v[36:37], -v[8:9]
	v_add_f64 v[10:11], v[144:145], 0
	v_add_f64 v[4:5], v[4:5], v[8:9]
	s_waitcnt vmcnt(8) lgkmcnt(7)
	v_mul_f64 v[8:9], v[114:115], v[42:43]
	v_fmac_f64_e32 v[148:149], v[86:87], v[16:17]
	v_add_f64 v[10:11], v[10:11], v[146:147]
	v_fma_f64 v[8:9], v[112:113], v[40:41], -v[8:9]
	v_mul_f64 v[152:153], v[92:93], v[22:23]
	v_fmac_f64_e32 v[150:151], v[90:91], v[12:13]
	v_add_f64 v[6:7], v[10:11], v[148:149]
	v_add_f64 v[4:5], v[4:5], v[8:9]
	s_waitcnt vmcnt(7) lgkmcnt(6)
	v_mul_f64 v[8:9], v[118:119], v[46:47]
	v_mul_f64 v[154:155], v[96:97], v[26:27]
	v_fmac_f64_e32 v[152:153], v[94:95], v[20:21]
	v_add_f64 v[6:7], v[6:7], v[150:151]
	v_fma_f64 v[8:9], v[116:117], v[44:45], -v[8:9]
	v_mul_f64 v[156:157], v[100:101], v[30:31]
	v_fmac_f64_e32 v[154:155], v[98:99], v[24:25]
	v_add_f64 v[6:7], v[6:7], v[152:153]
	v_add_f64 v[4:5], v[4:5], v[8:9]
	s_waitcnt vmcnt(6) lgkmcnt(5)
	v_mul_f64 v[8:9], v[122:123], v[50:51]
	;; [unrolled: 10-line block ×6, first 2 shown]
	v_mul_f64 v[174:175], v[136:137], v[66:67]
	v_fmac_f64_e32 v[172:173], v[134:135], v[60:61]
	v_add_f64 v[6:7], v[6:7], v[170:171]
	v_fma_f64 v[8:9], v[136:137], v[64:65], -v[8:9]
	s_waitcnt vmcnt(1) lgkmcnt(0)
	v_mul_f64 v[176:177], v[140:141], v[70:71]
	v_fmac_f64_e32 v[174:175], v[138:139], v[64:65]
	v_add_f64 v[6:7], v[6:7], v[172:173]
	v_add_f64 v[4:5], v[4:5], v[8:9]
	v_mul_f64 v[8:9], v[142:143], v[70:71]
	v_fmac_f64_e32 v[176:177], v[142:143], v[68:69]
	v_add_f64 v[6:7], v[6:7], v[174:175]
	v_fma_f64 v[8:9], v[140:141], v[68:69], -v[8:9]
	v_add_f64 v[6:7], v[6:7], v[176:177]
	v_add_f64 v[4:5], v[4:5], v[8:9]
	s_waitcnt vmcnt(0)
	v_add_f64 v[4:5], v[72:73], -v[4:5]
	v_add_f64 v[6:7], v[74:75], -v[6:7]
	scratch_store_dwordx4 off, v[4:7], off offset:336
	s_and_saveexec_b64 s[0:1], vcc
	s_cbranch_execz .LBB101_203
; %bb.202:
	scratch_load_dwordx4 v[6:9], off, s35
	v_mov_b32_e32 v3, v2
	v_mov_b32_e32 v4, v2
	;; [unrolled: 1-line block ×3, first 2 shown]
	scratch_store_dwordx4 off, v[2:5], off offset:320
	s_waitcnt vmcnt(1)
	ds_write_b128 v1, v[6:9]
.LBB101_203:
	s_or_b64 exec, exec, s[0:1]
	s_waitcnt lgkmcnt(0)
	; wave barrier
	ds_read_b128 v[16:19], v2 offset:928
	ds_read_b128 v[12:15], v2 offset:944
	ds_read_b128 v[8:11], v2 offset:960
	ds_read_b128 v[4:7], v2 offset:976
	scratch_load_dwordx4 v[20:23], off, off offset:336
	scratch_load_dwordx4 v[40:43], off, off offset:400
	;; [unrolled: 1-line block ×12, first 2 shown]
	v_cmp_lt_u32_e32 vcc, 18, v0
	scratch_load_dwordx4 v[48:51], off, off offset:416
	scratch_load_dwordx4 v[56:59], off, off offset:432
	;; [unrolled: 1-line block ×3, first 2 shown]
	s_waitcnt vmcnt(14) lgkmcnt(3)
	v_mul_f64 v[24:25], v[16:17], v[22:23]
	v_fmac_f64_e32 v[24:25], v[18:19], v[20:21]
	v_add_f64 v[28:29], v[24:25], 0
	scratch_load_dwordx4 v[24:27], off, off offset:352
	s_waitcnt vmcnt(0) lgkmcnt(2)
	v_mul_f64 v[30:31], v[12:13], v[26:27]
	v_fmac_f64_e32 v[30:31], v[14:15], v[24:25]
	v_add_f64 v[32:33], v[28:29], v[30:31]
	scratch_load_dwordx4 v[28:31], off, off offset:368
	v_mul_f64 v[14:15], v[14:15], v[26:27]
	v_fma_f64 v[12:13], v[12:13], v[24:25], -v[14:15]
	s_waitcnt vmcnt(0) lgkmcnt(1)
	v_mul_f64 v[34:35], v[8:9], v[30:31]
	v_fmac_f64_e32 v[34:35], v[10:11], v[28:29]
	v_add_f64 v[36:37], v[32:33], v[34:35]
	scratch_load_dwordx4 v[32:35], off, off offset:384
	v_mul_f64 v[10:11], v[10:11], v[30:31]
	v_fma_f64 v[8:9], v[8:9], v[28:29], -v[10:11]
	s_waitcnt vmcnt(0) lgkmcnt(0)
	v_mul_f64 v[38:39], v[4:5], v[34:35]
	v_fmac_f64_e32 v[38:39], v[6:7], v[32:33]
	v_add_f64 v[44:45], v[36:37], v[38:39]
	ds_read_b128 v[36:39], v2 offset:992
	v_mul_f64 v[6:7], v[6:7], v[34:35]
	v_fma_f64 v[4:5], v[4:5], v[32:33], -v[6:7]
	s_waitcnt lgkmcnt(0)
	v_mul_f64 v[46:47], v[36:37], v[42:43]
	v_fmac_f64_e32 v[46:47], v[38:39], v[40:41]
	v_add_f64 v[52:53], v[44:45], v[46:47]
	ds_read_b128 v[44:47], v2 offset:1008
	s_waitcnt lgkmcnt(0)
	v_mul_f64 v[54:55], v[44:45], v[50:51]
	v_fmac_f64_e32 v[54:55], v[46:47], v[48:49]
	v_add_f64 v[60:61], v[52:53], v[54:55]
	ds_read_b128 v[52:55], v2 offset:1024
	;; [unrolled: 5-line block ×13, first 2 shown]
	s_waitcnt lgkmcnt(0)
	v_mul_f64 v[2:3], v[142:143], v[148:149]
	v_fmac_f64_e32 v[2:3], v[144:145], v[146:147]
	v_add_f64 v[80:81], v[80:81], v[2:3]
	v_mul_f64 v[2:3], v[18:19], v[22:23]
	v_fma_f64 v[2:3], v[16:17], v[20:21], -v[2:3]
	v_add_f64 v[2:3], v[2:3], 0
	v_add_f64 v[2:3], v[2:3], v[12:13]
	;; [unrolled: 1-line block ×4, first 2 shown]
	v_mul_f64 v[4:5], v[38:39], v[42:43]
	v_fma_f64 v[4:5], v[36:37], v[40:41], -v[4:5]
	v_add_f64 v[2:3], v[2:3], v[4:5]
	v_mul_f64 v[4:5], v[46:47], v[50:51]
	v_fma_f64 v[4:5], v[44:45], v[48:49], -v[4:5]
	v_add_f64 v[2:3], v[2:3], v[4:5]
	;; [unrolled: 3-line block ×14, first 2 shown]
	scratch_load_dwordx4 v[2:5], off, off offset:320
	s_waitcnt vmcnt(0)
	v_add_f64 v[2:3], v[2:3], -v[6:7]
	v_add_f64 v[4:5], v[4:5], -v[80:81]
	scratch_store_dwordx4 off, v[2:5], off offset:320
	s_and_saveexec_b64 s[0:1], vcc
	s_cbranch_execz .LBB101_205
; %bb.204:
	scratch_load_dwordx4 v[2:5], off, s36
	v_mov_b32_e32 v6, 0
	v_mov_b32_e32 v7, v6
	;; [unrolled: 1-line block ×4, first 2 shown]
	scratch_store_dwordx4 off, v[6:9], off offset:304
	s_waitcnt vmcnt(1)
	ds_write_b128 v1, v[2:5]
.LBB101_205:
	s_or_b64 exec, exec, s[0:1]
	v_mov_b32_e32 v2, 0
	s_waitcnt lgkmcnt(0)
	; wave barrier
	ds_read_b128 v[16:19], v2 offset:912
	ds_read_b128 v[12:15], v2 offset:928
	;; [unrolled: 1-line block ×4, first 2 shown]
	scratch_load_dwordx4 v[20:23], off, off offset:320
	scratch_load_dwordx4 v[40:43], off, off offset:384
	;; [unrolled: 1-line block ×13, first 2 shown]
	v_cmp_lt_u32_e32 vcc, 17, v0
	scratch_load_dwordx4 v[48:51], off, off offset:400
	scratch_load_dwordx4 v[56:59], off, off offset:416
	;; [unrolled: 1-line block ×3, first 2 shown]
	s_waitcnt vmcnt(15) lgkmcnt(3)
	v_mul_f64 v[24:25], v[16:17], v[22:23]
	v_fmac_f64_e32 v[24:25], v[18:19], v[20:21]
	v_add_f64 v[28:29], v[24:25], 0
	scratch_load_dwordx4 v[24:27], off, off offset:336
	v_mul_f64 v[18:19], v[18:19], v[22:23]
	v_fma_f64 v[16:17], v[16:17], v[20:21], -v[18:19]
	v_add_f64 v[16:17], v[16:17], 0
	s_waitcnt vmcnt(0) lgkmcnt(2)
	v_mul_f64 v[30:31], v[12:13], v[26:27]
	v_fmac_f64_e32 v[30:31], v[14:15], v[24:25]
	v_add_f64 v[32:33], v[28:29], v[30:31]
	scratch_load_dwordx4 v[28:31], off, off offset:352
	v_mul_f64 v[14:15], v[14:15], v[26:27]
	v_fma_f64 v[12:13], v[12:13], v[24:25], -v[14:15]
	v_add_f64 v[12:13], v[16:17], v[12:13]
	;; [unrolled: 8-line block ×3, first 2 shown]
	s_waitcnt vmcnt(0) lgkmcnt(0)
	v_mul_f64 v[38:39], v[4:5], v[34:35]
	v_fmac_f64_e32 v[38:39], v[6:7], v[32:33]
	v_add_f64 v[44:45], v[36:37], v[38:39]
	ds_read_b128 v[36:39], v2 offset:976
	v_mul_f64 v[6:7], v[6:7], v[34:35]
	v_fma_f64 v[4:5], v[4:5], v[32:33], -v[6:7]
	v_add_f64 v[4:5], v[8:9], v[4:5]
	s_waitcnt lgkmcnt(0)
	v_mul_f64 v[46:47], v[36:37], v[42:43]
	v_fmac_f64_e32 v[46:47], v[38:39], v[40:41]
	v_add_f64 v[52:53], v[44:45], v[46:47]
	ds_read_b128 v[44:47], v2 offset:992
	v_mul_f64 v[6:7], v[38:39], v[42:43]
	v_fma_f64 v[6:7], v[36:37], v[40:41], -v[6:7]
	v_add_f64 v[4:5], v[4:5], v[6:7]
	s_waitcnt lgkmcnt(0)
	;; [unrolled: 8-line block ×15, first 2 shown]
	v_mul_f64 v[6:7], v[152:153], v[156:157]
	v_fma_f64 v[6:7], v[150:151], v[154:155], -v[6:7]
	v_add_f64 v[8:9], v[4:5], v[6:7]
	scratch_load_dwordx4 v[4:7], off, off offset:304
	v_mul_f64 v[158:159], v[150:151], v[156:157]
	v_fmac_f64_e32 v[158:159], v[152:153], v[154:155]
	v_add_f64 v[88:89], v[88:89], v[158:159]
	s_waitcnt vmcnt(0)
	v_add_f64 v[4:5], v[4:5], -v[8:9]
	v_add_f64 v[6:7], v[6:7], -v[88:89]
	scratch_store_dwordx4 off, v[4:7], off offset:304
	s_and_saveexec_b64 s[0:1], vcc
	s_cbranch_execz .LBB101_207
; %bb.206:
	scratch_load_dwordx4 v[6:9], off, s37
	v_mov_b32_e32 v3, v2
	v_mov_b32_e32 v4, v2
	;; [unrolled: 1-line block ×3, first 2 shown]
	scratch_store_dwordx4 off, v[2:5], off offset:288
	s_waitcnt vmcnt(1)
	ds_write_b128 v1, v[6:9]
.LBB101_207:
	s_or_b64 exec, exec, s[0:1]
	s_waitcnt lgkmcnt(0)
	; wave barrier
	ds_read_b128 v[16:19], v2 offset:896
	ds_read_b128 v[12:15], v2 offset:912
	;; [unrolled: 1-line block ×4, first 2 shown]
	scratch_load_dwordx4 v[20:23], off, off offset:304
	scratch_load_dwordx4 v[40:43], off, off offset:368
	;; [unrolled: 1-line block ×14, first 2 shown]
	v_cmp_lt_u32_e32 vcc, 16, v0
	scratch_load_dwordx4 v[48:51], off, off offset:384
	scratch_load_dwordx4 v[56:59], off, off offset:400
	;; [unrolled: 1-line block ×3, first 2 shown]
	s_waitcnt vmcnt(16) lgkmcnt(3)
	v_mul_f64 v[24:25], v[16:17], v[22:23]
	v_fmac_f64_e32 v[24:25], v[18:19], v[20:21]
	v_add_f64 v[28:29], v[24:25], 0
	scratch_load_dwordx4 v[24:27], off, off offset:320
	s_waitcnt vmcnt(0) lgkmcnt(2)
	v_mul_f64 v[30:31], v[12:13], v[26:27]
	v_fmac_f64_e32 v[30:31], v[14:15], v[24:25]
	v_add_f64 v[32:33], v[28:29], v[30:31]
	scratch_load_dwordx4 v[28:31], off, off offset:336
	v_mul_f64 v[14:15], v[14:15], v[26:27]
	v_fma_f64 v[12:13], v[12:13], v[24:25], -v[14:15]
	s_waitcnt vmcnt(0) lgkmcnt(1)
	v_mul_f64 v[34:35], v[8:9], v[30:31]
	v_fmac_f64_e32 v[34:35], v[10:11], v[28:29]
	v_add_f64 v[36:37], v[32:33], v[34:35]
	scratch_load_dwordx4 v[32:35], off, off offset:352
	v_mul_f64 v[10:11], v[10:11], v[30:31]
	v_fma_f64 v[8:9], v[8:9], v[28:29], -v[10:11]
	s_waitcnt vmcnt(0) lgkmcnt(0)
	v_mul_f64 v[38:39], v[4:5], v[34:35]
	v_fmac_f64_e32 v[38:39], v[6:7], v[32:33]
	v_add_f64 v[44:45], v[36:37], v[38:39]
	ds_read_b128 v[36:39], v2 offset:960
	v_mul_f64 v[6:7], v[6:7], v[34:35]
	v_fma_f64 v[4:5], v[4:5], v[32:33], -v[6:7]
	s_waitcnt lgkmcnt(0)
	v_mul_f64 v[46:47], v[36:37], v[42:43]
	v_fmac_f64_e32 v[46:47], v[38:39], v[40:41]
	v_add_f64 v[52:53], v[44:45], v[46:47]
	ds_read_b128 v[44:47], v2 offset:976
	s_waitcnt lgkmcnt(0)
	v_mul_f64 v[54:55], v[44:45], v[50:51]
	v_fmac_f64_e32 v[54:55], v[46:47], v[48:49]
	v_add_f64 v[60:61], v[52:53], v[54:55]
	ds_read_b128 v[52:55], v2 offset:992
	;; [unrolled: 5-line block ×15, first 2 shown]
	s_waitcnt lgkmcnt(0)
	v_mul_f64 v[2:3], v[158:159], v[164:165]
	v_fmac_f64_e32 v[2:3], v[160:161], v[162:163]
	v_add_f64 v[96:97], v[96:97], v[2:3]
	v_mul_f64 v[2:3], v[18:19], v[22:23]
	v_fma_f64 v[2:3], v[16:17], v[20:21], -v[2:3]
	v_add_f64 v[2:3], v[2:3], 0
	v_add_f64 v[2:3], v[2:3], v[12:13]
	;; [unrolled: 1-line block ×4, first 2 shown]
	v_mul_f64 v[4:5], v[38:39], v[42:43]
	v_fma_f64 v[4:5], v[36:37], v[40:41], -v[4:5]
	v_add_f64 v[2:3], v[2:3], v[4:5]
	v_mul_f64 v[4:5], v[46:47], v[50:51]
	v_fma_f64 v[4:5], v[44:45], v[48:49], -v[4:5]
	v_add_f64 v[2:3], v[2:3], v[4:5]
	;; [unrolled: 3-line block ×16, first 2 shown]
	scratch_load_dwordx4 v[2:5], off, off offset:288
	s_waitcnt vmcnt(0)
	v_add_f64 v[2:3], v[2:3], -v[6:7]
	v_add_f64 v[4:5], v[4:5], -v[96:97]
	scratch_store_dwordx4 off, v[2:5], off offset:288
	s_and_saveexec_b64 s[0:1], vcc
	s_cbranch_execz .LBB101_209
; %bb.208:
	scratch_load_dwordx4 v[2:5], off, s38
	v_mov_b32_e32 v6, 0
	v_mov_b32_e32 v7, v6
	;; [unrolled: 1-line block ×4, first 2 shown]
	scratch_store_dwordx4 off, v[6:9], off offset:272
	s_waitcnt vmcnt(1)
	ds_write_b128 v1, v[2:5]
.LBB101_209:
	s_or_b64 exec, exec, s[0:1]
	v_mov_b32_e32 v2, 0
	s_waitcnt lgkmcnt(0)
	; wave barrier
	ds_read_b128 v[16:19], v2 offset:880
	ds_read_b128 v[12:15], v2 offset:896
	;; [unrolled: 1-line block ×4, first 2 shown]
	scratch_load_dwordx4 v[20:23], off, off offset:288
	scratch_load_dwordx4 v[40:43], off, off offset:352
	;; [unrolled: 1-line block ×15, first 2 shown]
	v_cmp_lt_u32_e32 vcc, 15, v0
	scratch_load_dwordx4 v[48:51], off, off offset:368
	scratch_load_dwordx4 v[56:59], off, off offset:384
	;; [unrolled: 1-line block ×3, first 2 shown]
	s_waitcnt vmcnt(17) lgkmcnt(3)
	v_mul_f64 v[24:25], v[16:17], v[22:23]
	v_fmac_f64_e32 v[24:25], v[18:19], v[20:21]
	v_add_f64 v[28:29], v[24:25], 0
	scratch_load_dwordx4 v[24:27], off, off offset:304
	v_mul_f64 v[18:19], v[18:19], v[22:23]
	v_fma_f64 v[16:17], v[16:17], v[20:21], -v[18:19]
	v_add_f64 v[16:17], v[16:17], 0
	s_waitcnt vmcnt(0) lgkmcnt(2)
	v_mul_f64 v[30:31], v[12:13], v[26:27]
	v_fmac_f64_e32 v[30:31], v[14:15], v[24:25]
	v_add_f64 v[32:33], v[28:29], v[30:31]
	scratch_load_dwordx4 v[28:31], off, off offset:320
	v_mul_f64 v[14:15], v[14:15], v[26:27]
	v_fma_f64 v[12:13], v[12:13], v[24:25], -v[14:15]
	v_add_f64 v[12:13], v[16:17], v[12:13]
	;; [unrolled: 8-line block ×3, first 2 shown]
	s_waitcnt vmcnt(0) lgkmcnt(0)
	v_mul_f64 v[38:39], v[4:5], v[34:35]
	v_fmac_f64_e32 v[38:39], v[6:7], v[32:33]
	v_add_f64 v[44:45], v[36:37], v[38:39]
	ds_read_b128 v[36:39], v2 offset:944
	v_mul_f64 v[6:7], v[6:7], v[34:35]
	v_fma_f64 v[4:5], v[4:5], v[32:33], -v[6:7]
	v_add_f64 v[4:5], v[8:9], v[4:5]
	s_waitcnt lgkmcnt(0)
	v_mul_f64 v[46:47], v[36:37], v[42:43]
	v_fmac_f64_e32 v[46:47], v[38:39], v[40:41]
	v_add_f64 v[52:53], v[44:45], v[46:47]
	ds_read_b128 v[44:47], v2 offset:960
	v_mul_f64 v[6:7], v[38:39], v[42:43]
	v_fma_f64 v[6:7], v[36:37], v[40:41], -v[6:7]
	v_add_f64 v[4:5], v[4:5], v[6:7]
	s_waitcnt lgkmcnt(0)
	;; [unrolled: 8-line block ×17, first 2 shown]
	v_mul_f64 v[6:7], v[168:169], v[172:173]
	v_fma_f64 v[6:7], v[166:167], v[170:171], -v[6:7]
	v_add_f64 v[8:9], v[4:5], v[6:7]
	scratch_load_dwordx4 v[4:7], off, off offset:272
	v_mul_f64 v[174:175], v[166:167], v[172:173]
	v_fmac_f64_e32 v[174:175], v[168:169], v[170:171]
	v_add_f64 v[104:105], v[104:105], v[174:175]
	s_waitcnt vmcnt(0)
	v_add_f64 v[4:5], v[4:5], -v[8:9]
	v_add_f64 v[6:7], v[6:7], -v[104:105]
	scratch_store_dwordx4 off, v[4:7], off offset:272
	s_and_saveexec_b64 s[0:1], vcc
	s_cbranch_execz .LBB101_211
; %bb.210:
	scratch_load_dwordx4 v[6:9], off, s39
	v_mov_b32_e32 v3, v2
	v_mov_b32_e32 v4, v2
	v_mov_b32_e32 v5, v2
	scratch_store_dwordx4 off, v[2:5], off offset:256
	s_waitcnt vmcnt(1)
	ds_write_b128 v1, v[6:9]
.LBB101_211:
	s_or_b64 exec, exec, s[0:1]
	s_waitcnt lgkmcnt(0)
	; wave barrier
	ds_read_b128 v[16:19], v2 offset:864
	ds_read_b128 v[12:15], v2 offset:880
	;; [unrolled: 1-line block ×4, first 2 shown]
	scratch_load_dwordx4 v[20:23], off, off offset:272
	scratch_load_dwordx4 v[40:43], off, off offset:336
	;; [unrolled: 1-line block ×16, first 2 shown]
	v_cmp_lt_u32_e32 vcc, 14, v0
	scratch_load_dwordx4 v[48:51], off, off offset:352
	scratch_load_dwordx4 v[56:59], off, off offset:368
	;; [unrolled: 1-line block ×3, first 2 shown]
	s_waitcnt vmcnt(18) lgkmcnt(3)
	v_mul_f64 v[24:25], v[16:17], v[22:23]
	v_fmac_f64_e32 v[24:25], v[18:19], v[20:21]
	v_add_f64 v[28:29], v[24:25], 0
	scratch_load_dwordx4 v[24:27], off, off offset:288
	s_waitcnt vmcnt(0) lgkmcnt(2)
	v_mul_f64 v[30:31], v[12:13], v[26:27]
	v_fmac_f64_e32 v[30:31], v[14:15], v[24:25]
	v_add_f64 v[32:33], v[28:29], v[30:31]
	scratch_load_dwordx4 v[28:31], off, off offset:304
	v_mul_f64 v[14:15], v[14:15], v[26:27]
	v_fma_f64 v[12:13], v[12:13], v[24:25], -v[14:15]
	s_waitcnt vmcnt(0) lgkmcnt(1)
	v_mul_f64 v[34:35], v[8:9], v[30:31]
	v_fmac_f64_e32 v[34:35], v[10:11], v[28:29]
	v_add_f64 v[36:37], v[32:33], v[34:35]
	scratch_load_dwordx4 v[32:35], off, off offset:320
	v_mul_f64 v[10:11], v[10:11], v[30:31]
	v_fma_f64 v[8:9], v[8:9], v[28:29], -v[10:11]
	s_waitcnt vmcnt(0) lgkmcnt(0)
	v_mul_f64 v[38:39], v[4:5], v[34:35]
	v_fmac_f64_e32 v[38:39], v[6:7], v[32:33]
	v_add_f64 v[44:45], v[36:37], v[38:39]
	ds_read_b128 v[36:39], v2 offset:928
	v_mul_f64 v[6:7], v[6:7], v[34:35]
	v_fma_f64 v[4:5], v[4:5], v[32:33], -v[6:7]
	s_waitcnt lgkmcnt(0)
	v_mul_f64 v[46:47], v[36:37], v[42:43]
	v_fmac_f64_e32 v[46:47], v[38:39], v[40:41]
	v_add_f64 v[52:53], v[44:45], v[46:47]
	ds_read_b128 v[44:47], v2 offset:944
	s_waitcnt lgkmcnt(0)
	v_mul_f64 v[54:55], v[44:45], v[50:51]
	v_fmac_f64_e32 v[54:55], v[46:47], v[48:49]
	v_add_f64 v[60:61], v[52:53], v[54:55]
	ds_read_b128 v[52:55], v2 offset:960
	s_waitcnt lgkmcnt(0)
	v_mul_f64 v[62:63], v[52:53], v[58:59]
	v_fmac_f64_e32 v[62:63], v[54:55], v[56:57]
	v_add_f64 v[68:69], v[60:61], v[62:63]
	ds_read_b128 v[60:63], v2 offset:976
	s_waitcnt lgkmcnt(0)
	v_mul_f64 v[70:71], v[60:61], v[66:67]
	v_fmac_f64_e32 v[70:71], v[62:63], v[64:65]
	v_add_f64 v[76:77], v[68:69], v[70:71]
	ds_read_b128 v[68:71], v2 offset:992
	s_waitcnt lgkmcnt(0)
	v_mul_f64 v[78:79], v[68:69], v[74:75]
	v_fmac_f64_e32 v[78:79], v[70:71], v[72:73]
	v_add_f64 v[84:85], v[76:77], v[78:79]
	ds_read_b128 v[76:79], v2 offset:1008
	s_waitcnt lgkmcnt(0)
	v_mul_f64 v[86:87], v[76:77], v[82:83]
	v_fmac_f64_e32 v[86:87], v[78:79], v[80:81]
	v_add_f64 v[92:93], v[84:85], v[86:87]
	ds_read_b128 v[84:87], v2 offset:1024
	s_waitcnt lgkmcnt(0)
	v_mul_f64 v[94:95], v[84:85], v[90:91]
	v_fmac_f64_e32 v[94:95], v[86:87], v[88:89]
	v_add_f64 v[100:101], v[92:93], v[94:95]
	ds_read_b128 v[92:95], v2 offset:1040
	s_waitcnt lgkmcnt(0)
	v_mul_f64 v[102:103], v[92:93], v[98:99]
	v_fmac_f64_e32 v[102:103], v[94:95], v[96:97]
	v_add_f64 v[108:109], v[100:101], v[102:103]
	ds_read_b128 v[100:103], v2 offset:1056
	s_waitcnt lgkmcnt(0)
	v_mul_f64 v[110:111], v[100:101], v[106:107]
	v_fmac_f64_e32 v[110:111], v[102:103], v[104:105]
	v_add_f64 v[116:117], v[108:109], v[110:111]
	ds_read_b128 v[108:111], v2 offset:1072
	s_waitcnt lgkmcnt(0)
	v_mul_f64 v[118:119], v[108:109], v[114:115]
	v_fmac_f64_e32 v[118:119], v[110:111], v[112:113]
	v_add_f64 v[120:121], v[116:117], v[118:119]
	ds_read_b128 v[116:119], v2 offset:1088
	s_waitcnt lgkmcnt(0)
	v_mul_f64 v[126:127], v[116:117], v[124:125]
	v_fmac_f64_e32 v[126:127], v[118:119], v[122:123]
	v_add_f64 v[120:121], v[120:121], v[126:127]
	ds_read_b128 v[126:129], v2 offset:1104
	s_waitcnt lgkmcnt(0)
	v_mul_f64 v[134:135], v[126:127], v[132:133]
	v_fmac_f64_e32 v[134:135], v[128:129], v[130:131]
	v_add_f64 v[120:121], v[120:121], v[134:135]
	ds_read_b128 v[134:137], v2 offset:1120
	s_waitcnt lgkmcnt(0)
	v_mul_f64 v[142:143], v[134:135], v[140:141]
	v_fmac_f64_e32 v[142:143], v[136:137], v[138:139]
	v_add_f64 v[120:121], v[120:121], v[142:143]
	ds_read_b128 v[142:145], v2 offset:1136
	s_waitcnt lgkmcnt(0)
	v_mul_f64 v[150:151], v[142:143], v[148:149]
	v_fmac_f64_e32 v[150:151], v[144:145], v[146:147]
	v_add_f64 v[120:121], v[120:121], v[150:151]
	ds_read_b128 v[150:153], v2 offset:1152
	s_waitcnt lgkmcnt(0)
	v_mul_f64 v[158:159], v[150:151], v[156:157]
	v_fmac_f64_e32 v[158:159], v[152:153], v[154:155]
	v_add_f64 v[120:121], v[120:121], v[158:159]
	ds_read_b128 v[158:161], v2 offset:1168
	s_waitcnt lgkmcnt(0)
	v_mul_f64 v[166:167], v[158:159], v[164:165]
	v_fmac_f64_e32 v[166:167], v[160:161], v[162:163]
	v_add_f64 v[120:121], v[120:121], v[166:167]
	ds_read_b128 v[166:169], v2 offset:1184
	s_waitcnt lgkmcnt(0)
	v_mul_f64 v[174:175], v[166:167], v[172:173]
	v_fmac_f64_e32 v[174:175], v[168:169], v[170:171]
	v_add_f64 v[120:121], v[120:121], v[174:175]
	ds_read_b128 v[174:177], v2 offset:1200
	s_waitcnt lgkmcnt(0)
	v_mul_f64 v[2:3], v[174:175], v[180:181]
	v_fmac_f64_e32 v[2:3], v[176:177], v[178:179]
	v_add_f64 v[120:121], v[120:121], v[2:3]
	v_mul_f64 v[2:3], v[18:19], v[22:23]
	v_fma_f64 v[2:3], v[16:17], v[20:21], -v[2:3]
	v_add_f64 v[2:3], v[2:3], 0
	v_add_f64 v[2:3], v[2:3], v[12:13]
	;; [unrolled: 1-line block ×4, first 2 shown]
	v_mul_f64 v[4:5], v[38:39], v[42:43]
	v_fma_f64 v[4:5], v[36:37], v[40:41], -v[4:5]
	v_add_f64 v[2:3], v[2:3], v[4:5]
	v_mul_f64 v[4:5], v[46:47], v[50:51]
	v_fma_f64 v[4:5], v[44:45], v[48:49], -v[4:5]
	v_add_f64 v[2:3], v[2:3], v[4:5]
	;; [unrolled: 3-line block ×18, first 2 shown]
	scratch_load_dwordx4 v[2:5], off, off offset:256
	s_waitcnt vmcnt(0)
	v_add_f64 v[2:3], v[2:3], -v[6:7]
	v_add_f64 v[4:5], v[4:5], -v[120:121]
	scratch_store_dwordx4 off, v[2:5], off offset:256
	s_and_saveexec_b64 s[0:1], vcc
	s_cbranch_execz .LBB101_213
; %bb.212:
	scratch_load_dwordx4 v[2:5], off, s40
	v_mov_b32_e32 v6, 0
	v_mov_b32_e32 v7, v6
	;; [unrolled: 1-line block ×4, first 2 shown]
	scratch_store_dwordx4 off, v[6:9], off offset:240
	s_waitcnt vmcnt(1)
	ds_write_b128 v1, v[2:5]
.LBB101_213:
	s_or_b64 exec, exec, s[0:1]
	v_mov_b32_e32 v2, 0
	s_waitcnt lgkmcnt(0)
	; wave barrier
	ds_read_b128 v[16:19], v2 offset:848
	ds_read_b128 v[12:15], v2 offset:864
	;; [unrolled: 1-line block ×4, first 2 shown]
	scratch_load_dwordx4 v[20:23], off, off offset:256
	scratch_load_dwordx4 v[40:43], off, off offset:320
	;; [unrolled: 1-line block ×17, first 2 shown]
	v_cmp_lt_u32_e32 vcc, 13, v0
	scratch_load_dwordx4 v[48:51], off, off offset:336
	scratch_load_dwordx4 v[56:59], off, off offset:352
	;; [unrolled: 1-line block ×3, first 2 shown]
	s_waitcnt vmcnt(19) lgkmcnt(3)
	v_mul_f64 v[24:25], v[16:17], v[22:23]
	v_fmac_f64_e32 v[24:25], v[18:19], v[20:21]
	v_add_f64 v[28:29], v[24:25], 0
	scratch_load_dwordx4 v[24:27], off, off offset:272
	v_mul_f64 v[18:19], v[18:19], v[22:23]
	v_fma_f64 v[16:17], v[16:17], v[20:21], -v[18:19]
	v_add_f64 v[16:17], v[16:17], 0
	s_waitcnt vmcnt(0) lgkmcnt(2)
	v_mul_f64 v[30:31], v[12:13], v[26:27]
	v_fmac_f64_e32 v[30:31], v[14:15], v[24:25]
	v_add_f64 v[32:33], v[28:29], v[30:31]
	scratch_load_dwordx4 v[28:31], off, off offset:288
	v_mul_f64 v[14:15], v[14:15], v[26:27]
	v_fma_f64 v[12:13], v[12:13], v[24:25], -v[14:15]
	v_add_f64 v[12:13], v[16:17], v[12:13]
	;; [unrolled: 8-line block ×3, first 2 shown]
	s_waitcnt vmcnt(0) lgkmcnt(0)
	v_mul_f64 v[38:39], v[4:5], v[34:35]
	v_fmac_f64_e32 v[38:39], v[6:7], v[32:33]
	v_add_f64 v[44:45], v[36:37], v[38:39]
	ds_read_b128 v[36:39], v2 offset:912
	v_mul_f64 v[6:7], v[6:7], v[34:35]
	v_fma_f64 v[4:5], v[4:5], v[32:33], -v[6:7]
	v_add_f64 v[4:5], v[8:9], v[4:5]
	s_waitcnt lgkmcnt(0)
	v_mul_f64 v[46:47], v[36:37], v[42:43]
	v_fmac_f64_e32 v[46:47], v[38:39], v[40:41]
	v_add_f64 v[52:53], v[44:45], v[46:47]
	ds_read_b128 v[44:47], v2 offset:928
	v_mul_f64 v[6:7], v[38:39], v[42:43]
	v_fma_f64 v[6:7], v[36:37], v[40:41], -v[6:7]
	v_add_f64 v[4:5], v[4:5], v[6:7]
	s_waitcnt lgkmcnt(0)
	;; [unrolled: 8-line block ×19, first 2 shown]
	v_mul_f64 v[6:7], v[184:185], v[188:189]
	v_fma_f64 v[6:7], v[182:183], v[186:187], -v[6:7]
	v_add_f64 v[8:9], v[4:5], v[6:7]
	scratch_load_dwordx4 v[4:7], off, off offset:240
	v_mul_f64 v[190:191], v[182:183], v[188:189]
	v_fmac_f64_e32 v[190:191], v[184:185], v[186:187]
	v_add_f64 v[128:129], v[128:129], v[190:191]
	s_waitcnt vmcnt(0)
	v_add_f64 v[4:5], v[4:5], -v[8:9]
	v_add_f64 v[6:7], v[6:7], -v[128:129]
	scratch_store_dwordx4 off, v[4:7], off offset:240
	s_and_saveexec_b64 s[0:1], vcc
	s_cbranch_execz .LBB101_215
; %bb.214:
	scratch_load_dwordx4 v[6:9], off, s41
	v_mov_b32_e32 v3, v2
	v_mov_b32_e32 v4, v2
	;; [unrolled: 1-line block ×3, first 2 shown]
	scratch_store_dwordx4 off, v[2:5], off offset:224
	s_waitcnt vmcnt(1)
	ds_write_b128 v1, v[6:9]
.LBB101_215:
	s_or_b64 exec, exec, s[0:1]
	s_waitcnt lgkmcnt(0)
	; wave barrier
	ds_read_b128 v[16:19], v2 offset:832
	ds_read_b128 v[12:15], v2 offset:848
	;; [unrolled: 1-line block ×4, first 2 shown]
	scratch_load_dwordx4 v[20:23], off, off offset:240
	scratch_load_dwordx4 v[40:43], off, off offset:304
	;; [unrolled: 1-line block ×18, first 2 shown]
	v_cmp_lt_u32_e32 vcc, 12, v0
	scratch_load_dwordx4 v[48:51], off, off offset:320
	scratch_load_dwordx4 v[56:59], off, off offset:336
	;; [unrolled: 1-line block ×3, first 2 shown]
	s_waitcnt vmcnt(20) lgkmcnt(3)
	v_mul_f64 v[24:25], v[16:17], v[22:23]
	v_fmac_f64_e32 v[24:25], v[18:19], v[20:21]
	v_add_f64 v[28:29], v[24:25], 0
	scratch_load_dwordx4 v[24:27], off, off offset:256
	s_waitcnt vmcnt(0) lgkmcnt(2)
	v_mul_f64 v[30:31], v[12:13], v[26:27]
	v_fmac_f64_e32 v[30:31], v[14:15], v[24:25]
	v_add_f64 v[32:33], v[28:29], v[30:31]
	scratch_load_dwordx4 v[28:31], off, off offset:272
	v_mul_f64 v[14:15], v[14:15], v[26:27]
	v_fma_f64 v[12:13], v[12:13], v[24:25], -v[14:15]
	s_waitcnt vmcnt(0) lgkmcnt(1)
	v_mul_f64 v[34:35], v[8:9], v[30:31]
	v_fmac_f64_e32 v[34:35], v[10:11], v[28:29]
	v_add_f64 v[36:37], v[32:33], v[34:35]
	scratch_load_dwordx4 v[32:35], off, off offset:288
	v_mul_f64 v[10:11], v[10:11], v[30:31]
	v_fma_f64 v[8:9], v[8:9], v[28:29], -v[10:11]
	s_waitcnt vmcnt(0) lgkmcnt(0)
	v_mul_f64 v[38:39], v[4:5], v[34:35]
	v_fmac_f64_e32 v[38:39], v[6:7], v[32:33]
	v_add_f64 v[44:45], v[36:37], v[38:39]
	ds_read_b128 v[36:39], v2 offset:896
	v_mul_f64 v[6:7], v[6:7], v[34:35]
	v_fma_f64 v[4:5], v[4:5], v[32:33], -v[6:7]
	s_waitcnt lgkmcnt(0)
	v_mul_f64 v[46:47], v[36:37], v[42:43]
	v_fmac_f64_e32 v[46:47], v[38:39], v[40:41]
	v_add_f64 v[52:53], v[44:45], v[46:47]
	ds_read_b128 v[44:47], v2 offset:912
	s_waitcnt lgkmcnt(0)
	v_mul_f64 v[54:55], v[44:45], v[50:51]
	v_fmac_f64_e32 v[54:55], v[46:47], v[48:49]
	v_add_f64 v[60:61], v[52:53], v[54:55]
	ds_read_b128 v[52:55], v2 offset:928
	;; [unrolled: 5-line block ×19, first 2 shown]
	s_waitcnt lgkmcnt(0)
	v_mul_f64 v[2:3], v[190:191], v[196:197]
	v_fmac_f64_e32 v[2:3], v[192:193], v[194:195]
	v_add_f64 v[148:149], v[148:149], v[2:3]
	v_mul_f64 v[2:3], v[18:19], v[22:23]
	v_fma_f64 v[2:3], v[16:17], v[20:21], -v[2:3]
	v_add_f64 v[2:3], v[2:3], 0
	v_add_f64 v[2:3], v[2:3], v[12:13]
	;; [unrolled: 1-line block ×4, first 2 shown]
	v_mul_f64 v[4:5], v[38:39], v[42:43]
	v_fma_f64 v[4:5], v[36:37], v[40:41], -v[4:5]
	v_add_f64 v[2:3], v[2:3], v[4:5]
	v_mul_f64 v[4:5], v[46:47], v[50:51]
	v_fma_f64 v[4:5], v[44:45], v[48:49], -v[4:5]
	v_add_f64 v[2:3], v[2:3], v[4:5]
	;; [unrolled: 3-line block ×20, first 2 shown]
	scratch_load_dwordx4 v[2:5], off, off offset:224
	s_waitcnt vmcnt(0)
	v_add_f64 v[2:3], v[2:3], -v[6:7]
	v_add_f64 v[4:5], v[4:5], -v[148:149]
	scratch_store_dwordx4 off, v[2:5], off offset:224
	s_and_saveexec_b64 s[0:1], vcc
	s_cbranch_execz .LBB101_217
; %bb.216:
	scratch_load_dwordx4 v[2:5], off, s42
	v_mov_b32_e32 v6, 0
	v_mov_b32_e32 v7, v6
	;; [unrolled: 1-line block ×4, first 2 shown]
	scratch_store_dwordx4 off, v[6:9], off offset:208
	s_waitcnt vmcnt(1)
	ds_write_b128 v1, v[2:5]
.LBB101_217:
	s_or_b64 exec, exec, s[0:1]
	v_mov_b32_e32 v2, 0
	s_waitcnt lgkmcnt(0)
	; wave barrier
	ds_read_b128 v[16:19], v2 offset:816
	ds_read_b128 v[12:15], v2 offset:832
	;; [unrolled: 1-line block ×4, first 2 shown]
	scratch_load_dwordx4 v[20:23], off, off offset:224
	scratch_load_dwordx4 v[40:43], off, off offset:288
	;; [unrolled: 1-line block ×19, first 2 shown]
	v_cmp_lt_u32_e32 vcc, 11, v0
	scratch_load_dwordx4 v[48:51], off, off offset:304
	scratch_load_dwordx4 v[56:59], off, off offset:320
	;; [unrolled: 1-line block ×3, first 2 shown]
	s_waitcnt vmcnt(21) lgkmcnt(3)
	v_mul_f64 v[24:25], v[16:17], v[22:23]
	v_fmac_f64_e32 v[24:25], v[18:19], v[20:21]
	v_add_f64 v[28:29], v[24:25], 0
	scratch_load_dwordx4 v[24:27], off, off offset:240
	v_mul_f64 v[18:19], v[18:19], v[22:23]
	v_fma_f64 v[16:17], v[16:17], v[20:21], -v[18:19]
	v_add_f64 v[16:17], v[16:17], 0
	s_waitcnt vmcnt(0) lgkmcnt(2)
	v_mul_f64 v[30:31], v[12:13], v[26:27]
	v_fmac_f64_e32 v[30:31], v[14:15], v[24:25]
	v_add_f64 v[32:33], v[28:29], v[30:31]
	scratch_load_dwordx4 v[28:31], off, off offset:256
	v_mul_f64 v[14:15], v[14:15], v[26:27]
	v_fma_f64 v[12:13], v[12:13], v[24:25], -v[14:15]
	v_add_f64 v[12:13], v[16:17], v[12:13]
	;; [unrolled: 8-line block ×3, first 2 shown]
	s_waitcnt vmcnt(0) lgkmcnt(0)
	v_mul_f64 v[38:39], v[4:5], v[34:35]
	v_fmac_f64_e32 v[38:39], v[6:7], v[32:33]
	v_add_f64 v[44:45], v[36:37], v[38:39]
	ds_read_b128 v[36:39], v2 offset:880
	v_mul_f64 v[6:7], v[6:7], v[34:35]
	v_fma_f64 v[4:5], v[4:5], v[32:33], -v[6:7]
	v_add_f64 v[4:5], v[8:9], v[4:5]
	s_waitcnt lgkmcnt(0)
	v_mul_f64 v[46:47], v[36:37], v[42:43]
	v_fmac_f64_e32 v[46:47], v[38:39], v[40:41]
	v_add_f64 v[52:53], v[44:45], v[46:47]
	ds_read_b128 v[44:47], v2 offset:896
	v_mul_f64 v[6:7], v[38:39], v[42:43]
	v_fma_f64 v[6:7], v[36:37], v[40:41], -v[6:7]
	v_add_f64 v[4:5], v[4:5], v[6:7]
	s_waitcnt lgkmcnt(0)
	;; [unrolled: 8-line block ×21, first 2 shown]
	v_mul_f64 v[6:7], v[200:201], v[204:205]
	v_fma_f64 v[6:7], v[198:199], v[202:203], -v[6:7]
	v_add_f64 v[8:9], v[4:5], v[6:7]
	scratch_load_dwordx4 v[4:7], off, off offset:208
	v_mul_f64 v[206:207], v[198:199], v[204:205]
	v_fmac_f64_e32 v[206:207], v[200:201], v[202:203]
	v_add_f64 v[144:145], v[144:145], v[206:207]
	s_waitcnt vmcnt(0)
	v_add_f64 v[4:5], v[4:5], -v[8:9]
	v_add_f64 v[6:7], v[6:7], -v[144:145]
	scratch_store_dwordx4 off, v[4:7], off offset:208
	s_and_saveexec_b64 s[0:1], vcc
	s_cbranch_execz .LBB101_219
; %bb.218:
	scratch_load_dwordx4 v[6:9], off, s43
	v_mov_b32_e32 v3, v2
	v_mov_b32_e32 v4, v2
	;; [unrolled: 1-line block ×3, first 2 shown]
	scratch_store_dwordx4 off, v[2:5], off offset:192
	s_waitcnt vmcnt(1)
	ds_write_b128 v1, v[6:9]
.LBB101_219:
	s_or_b64 exec, exec, s[0:1]
	s_waitcnt lgkmcnt(0)
	; wave barrier
	ds_read_b128 v[16:19], v2 offset:800
	ds_read_b128 v[12:15], v2 offset:816
	;; [unrolled: 1-line block ×4, first 2 shown]
	scratch_load_dwordx4 v[20:23], off, off offset:208
	scratch_load_dwordx4 v[40:43], off, off offset:272
	;; [unrolled: 1-line block ×20, first 2 shown]
	v_cmp_lt_u32_e32 vcc, 10, v0
	scratch_load_dwordx4 v[48:51], off, off offset:288
	scratch_load_dwordx4 v[56:59], off, off offset:304
	;; [unrolled: 1-line block ×3, first 2 shown]
	s_waitcnt vmcnt(22) lgkmcnt(3)
	v_mul_f64 v[24:25], v[16:17], v[22:23]
	v_fmac_f64_e32 v[24:25], v[18:19], v[20:21]
	v_add_f64 v[28:29], v[24:25], 0
	scratch_load_dwordx4 v[24:27], off, off offset:224
	s_waitcnt vmcnt(0) lgkmcnt(2)
	v_mul_f64 v[30:31], v[12:13], v[26:27]
	v_fmac_f64_e32 v[30:31], v[14:15], v[24:25]
	v_add_f64 v[32:33], v[28:29], v[30:31]
	scratch_load_dwordx4 v[28:31], off, off offset:240
	v_mul_f64 v[14:15], v[14:15], v[26:27]
	v_fma_f64 v[12:13], v[12:13], v[24:25], -v[14:15]
	s_waitcnt vmcnt(0) lgkmcnt(1)
	v_mul_f64 v[34:35], v[8:9], v[30:31]
	v_fmac_f64_e32 v[34:35], v[10:11], v[28:29]
	v_add_f64 v[36:37], v[32:33], v[34:35]
	scratch_load_dwordx4 v[32:35], off, off offset:256
	v_mul_f64 v[10:11], v[10:11], v[30:31]
	v_fma_f64 v[8:9], v[8:9], v[28:29], -v[10:11]
	s_waitcnt vmcnt(0) lgkmcnt(0)
	v_mul_f64 v[38:39], v[4:5], v[34:35]
	v_fmac_f64_e32 v[38:39], v[6:7], v[32:33]
	v_add_f64 v[44:45], v[36:37], v[38:39]
	ds_read_b128 v[36:39], v2 offset:864
	v_mul_f64 v[6:7], v[6:7], v[34:35]
	v_fma_f64 v[4:5], v[4:5], v[32:33], -v[6:7]
	s_waitcnt lgkmcnt(0)
	v_mul_f64 v[46:47], v[36:37], v[42:43]
	v_fmac_f64_e32 v[46:47], v[38:39], v[40:41]
	v_add_f64 v[52:53], v[44:45], v[46:47]
	ds_read_b128 v[44:47], v2 offset:880
	s_waitcnt lgkmcnt(0)
	v_mul_f64 v[54:55], v[44:45], v[50:51]
	v_fmac_f64_e32 v[54:55], v[46:47], v[48:49]
	v_add_f64 v[60:61], v[52:53], v[54:55]
	ds_read_b128 v[52:55], v2 offset:896
	;; [unrolled: 5-line block ×21, first 2 shown]
	s_waitcnt lgkmcnt(0)
	v_mul_f64 v[2:3], v[206:207], v[212:213]
	v_fmac_f64_e32 v[2:3], v[208:209], v[210:211]
	v_add_f64 v[168:169], v[168:169], v[2:3]
	v_mul_f64 v[2:3], v[18:19], v[22:23]
	v_fma_f64 v[2:3], v[16:17], v[20:21], -v[2:3]
	v_add_f64 v[2:3], v[2:3], 0
	v_add_f64 v[2:3], v[2:3], v[12:13]
	;; [unrolled: 1-line block ×4, first 2 shown]
	v_mul_f64 v[4:5], v[38:39], v[42:43]
	v_fma_f64 v[4:5], v[36:37], v[40:41], -v[4:5]
	v_add_f64 v[2:3], v[2:3], v[4:5]
	v_mul_f64 v[4:5], v[46:47], v[50:51]
	v_fma_f64 v[4:5], v[44:45], v[48:49], -v[4:5]
	v_add_f64 v[2:3], v[2:3], v[4:5]
	;; [unrolled: 3-line block ×22, first 2 shown]
	scratch_load_dwordx4 v[2:5], off, off offset:192
	s_waitcnt vmcnt(0)
	v_add_f64 v[2:3], v[2:3], -v[6:7]
	v_add_f64 v[4:5], v[4:5], -v[168:169]
	scratch_store_dwordx4 off, v[2:5], off offset:192
	s_and_saveexec_b64 s[0:1], vcc
	s_cbranch_execz .LBB101_221
; %bb.220:
	scratch_load_dwordx4 v[2:5], off, s44
	v_mov_b32_e32 v6, 0
	v_mov_b32_e32 v7, v6
	v_mov_b32_e32 v8, v6
	v_mov_b32_e32 v9, v6
	scratch_store_dwordx4 off, v[6:9], off offset:176
	s_waitcnt vmcnt(1)
	ds_write_b128 v1, v[2:5]
.LBB101_221:
	s_or_b64 exec, exec, s[0:1]
	v_mov_b32_e32 v2, 0
	s_waitcnt lgkmcnt(0)
	; wave barrier
	ds_read_b128 v[16:19], v2 offset:784
	ds_read_b128 v[12:15], v2 offset:800
	;; [unrolled: 1-line block ×4, first 2 shown]
	scratch_load_dwordx4 v[20:23], off, off offset:192
	scratch_load_dwordx4 v[40:43], off, off offset:256
	;; [unrolled: 1-line block ×21, first 2 shown]
	v_cmp_lt_u32_e32 vcc, 9, v0
	scratch_load_dwordx4 v[48:51], off, off offset:272
	scratch_load_dwordx4 v[56:59], off, off offset:288
	;; [unrolled: 1-line block ×3, first 2 shown]
	s_waitcnt vmcnt(23) lgkmcnt(3)
	v_mul_f64 v[24:25], v[16:17], v[22:23]
	v_fmac_f64_e32 v[24:25], v[18:19], v[20:21]
	v_add_f64 v[28:29], v[24:25], 0
	scratch_load_dwordx4 v[24:27], off, off offset:208
	v_mul_f64 v[18:19], v[18:19], v[22:23]
	v_fma_f64 v[16:17], v[16:17], v[20:21], -v[18:19]
	v_add_f64 v[16:17], v[16:17], 0
	s_waitcnt vmcnt(0) lgkmcnt(2)
	v_mul_f64 v[30:31], v[12:13], v[26:27]
	v_fmac_f64_e32 v[30:31], v[14:15], v[24:25]
	v_add_f64 v[32:33], v[28:29], v[30:31]
	scratch_load_dwordx4 v[28:31], off, off offset:224
	v_mul_f64 v[14:15], v[14:15], v[26:27]
	v_fma_f64 v[12:13], v[12:13], v[24:25], -v[14:15]
	v_add_f64 v[12:13], v[16:17], v[12:13]
	;; [unrolled: 8-line block ×3, first 2 shown]
	s_waitcnt vmcnt(0) lgkmcnt(0)
	v_mul_f64 v[38:39], v[4:5], v[34:35]
	v_fmac_f64_e32 v[38:39], v[6:7], v[32:33]
	v_add_f64 v[44:45], v[36:37], v[38:39]
	ds_read_b128 v[36:39], v2 offset:848
	v_mul_f64 v[6:7], v[6:7], v[34:35]
	v_fma_f64 v[4:5], v[4:5], v[32:33], -v[6:7]
	v_add_f64 v[4:5], v[8:9], v[4:5]
	s_waitcnt lgkmcnt(0)
	v_mul_f64 v[46:47], v[36:37], v[42:43]
	v_fmac_f64_e32 v[46:47], v[38:39], v[40:41]
	v_add_f64 v[52:53], v[44:45], v[46:47]
	ds_read_b128 v[44:47], v2 offset:864
	v_mul_f64 v[6:7], v[38:39], v[42:43]
	v_fma_f64 v[6:7], v[36:37], v[40:41], -v[6:7]
	v_add_f64 v[4:5], v[4:5], v[6:7]
	s_waitcnt lgkmcnt(0)
	;; [unrolled: 8-line block ×23, first 2 shown]
	v_mul_f64 v[6:7], v[216:217], v[220:221]
	v_fma_f64 v[6:7], v[214:215], v[218:219], -v[6:7]
	v_add_f64 v[8:9], v[4:5], v[6:7]
	scratch_load_dwordx4 v[4:7], off, off offset:176
	v_mul_f64 v[222:223], v[214:215], v[220:221]
	v_fmac_f64_e32 v[222:223], v[216:217], v[218:219]
	v_add_f64 v[160:161], v[160:161], v[222:223]
	s_waitcnt vmcnt(0)
	v_add_f64 v[4:5], v[4:5], -v[8:9]
	v_add_f64 v[6:7], v[6:7], -v[160:161]
	scratch_store_dwordx4 off, v[4:7], off offset:176
	s_and_saveexec_b64 s[0:1], vcc
	s_cbranch_execz .LBB101_223
; %bb.222:
	scratch_load_dwordx4 v[6:9], off, s45
	v_mov_b32_e32 v3, v2
	v_mov_b32_e32 v4, v2
	;; [unrolled: 1-line block ×3, first 2 shown]
	scratch_store_dwordx4 off, v[2:5], off offset:160
	s_waitcnt vmcnt(1)
	ds_write_b128 v1, v[6:9]
.LBB101_223:
	s_or_b64 exec, exec, s[0:1]
	s_waitcnt lgkmcnt(0)
	; wave barrier
	ds_read_b128 v[16:19], v2 offset:768
	ds_read_b128 v[12:15], v2 offset:784
	;; [unrolled: 1-line block ×4, first 2 shown]
	scratch_load_dwordx4 v[20:23], off, off offset:176
	scratch_load_dwordx4 v[40:43], off, off offset:240
	;; [unrolled: 1-line block ×22, first 2 shown]
	v_cmp_lt_u32_e32 vcc, 8, v0
	scratch_load_dwordx4 v[48:51], off, off offset:256
	scratch_load_dwordx4 v[56:59], off, off offset:272
	;; [unrolled: 1-line block ×3, first 2 shown]
	s_waitcnt vmcnt(24) lgkmcnt(3)
	v_mul_f64 v[24:25], v[16:17], v[22:23]
	v_fmac_f64_e32 v[24:25], v[18:19], v[20:21]
	v_add_f64 v[28:29], v[24:25], 0
	scratch_load_dwordx4 v[24:27], off, off offset:192
	s_waitcnt vmcnt(0) lgkmcnt(2)
	v_mul_f64 v[30:31], v[12:13], v[26:27]
	v_fmac_f64_e32 v[30:31], v[14:15], v[24:25]
	v_add_f64 v[32:33], v[28:29], v[30:31]
	scratch_load_dwordx4 v[28:31], off, off offset:208
	v_mul_f64 v[14:15], v[14:15], v[26:27]
	v_fma_f64 v[12:13], v[12:13], v[24:25], -v[14:15]
	s_waitcnt vmcnt(0) lgkmcnt(1)
	v_mul_f64 v[34:35], v[8:9], v[30:31]
	v_fmac_f64_e32 v[34:35], v[10:11], v[28:29]
	v_add_f64 v[36:37], v[32:33], v[34:35]
	scratch_load_dwordx4 v[32:35], off, off offset:224
	v_mul_f64 v[10:11], v[10:11], v[30:31]
	v_fma_f64 v[8:9], v[8:9], v[28:29], -v[10:11]
	s_waitcnt vmcnt(0) lgkmcnt(0)
	v_mul_f64 v[38:39], v[4:5], v[34:35]
	v_fmac_f64_e32 v[38:39], v[6:7], v[32:33]
	v_add_f64 v[44:45], v[36:37], v[38:39]
	ds_read_b128 v[36:39], v2 offset:832
	v_mul_f64 v[6:7], v[6:7], v[34:35]
	v_fma_f64 v[4:5], v[4:5], v[32:33], -v[6:7]
	s_waitcnt lgkmcnt(0)
	v_mul_f64 v[46:47], v[36:37], v[42:43]
	v_fmac_f64_e32 v[46:47], v[38:39], v[40:41]
	v_add_f64 v[52:53], v[44:45], v[46:47]
	ds_read_b128 v[44:47], v2 offset:848
	s_waitcnt lgkmcnt(0)
	v_mul_f64 v[54:55], v[44:45], v[50:51]
	v_fmac_f64_e32 v[54:55], v[46:47], v[48:49]
	v_add_f64 v[60:61], v[52:53], v[54:55]
	ds_read_b128 v[52:55], v2 offset:864
	;; [unrolled: 5-line block ×23, first 2 shown]
	s_waitcnt lgkmcnt(0)
	v_mul_f64 v[2:3], v[222:223], v[228:229]
	v_fmac_f64_e32 v[2:3], v[224:225], v[226:227]
	v_add_f64 v[176:177], v[176:177], v[2:3]
	v_mul_f64 v[2:3], v[18:19], v[22:23]
	v_fma_f64 v[2:3], v[16:17], v[20:21], -v[2:3]
	v_add_f64 v[2:3], v[2:3], 0
	v_add_f64 v[2:3], v[2:3], v[12:13]
	;; [unrolled: 1-line block ×4, first 2 shown]
	v_mul_f64 v[4:5], v[38:39], v[42:43]
	v_fma_f64 v[4:5], v[36:37], v[40:41], -v[4:5]
	v_add_f64 v[2:3], v[2:3], v[4:5]
	v_mul_f64 v[4:5], v[46:47], v[50:51]
	v_fma_f64 v[4:5], v[44:45], v[48:49], -v[4:5]
	v_add_f64 v[2:3], v[2:3], v[4:5]
	;; [unrolled: 3-line block ×24, first 2 shown]
	scratch_load_dwordx4 v[2:5], off, off offset:160
	s_waitcnt vmcnt(0)
	v_add_f64 v[2:3], v[2:3], -v[6:7]
	v_add_f64 v[4:5], v[4:5], -v[176:177]
	scratch_store_dwordx4 off, v[2:5], off offset:160
	s_and_saveexec_b64 s[0:1], vcc
	s_cbranch_execz .LBB101_225
; %bb.224:
	scratch_load_dwordx4 v[2:5], off, s46
	v_mov_b32_e32 v6, 0
	v_mov_b32_e32 v7, v6
	;; [unrolled: 1-line block ×4, first 2 shown]
	scratch_store_dwordx4 off, v[6:9], off offset:144
	s_waitcnt vmcnt(1)
	ds_write_b128 v1, v[2:5]
.LBB101_225:
	s_or_b64 exec, exec, s[0:1]
	v_mov_b32_e32 v2, 0
	s_waitcnt lgkmcnt(0)
	; wave barrier
	ds_read_b128 v[16:19], v2 offset:752
	ds_read_b128 v[12:15], v2 offset:768
	ds_read_b128 v[8:11], v2 offset:784
	ds_read_b128 v[4:7], v2 offset:800
	scratch_load_dwordx4 v[20:23], off, off offset:160
	scratch_load_dwordx4 v[40:43], off, off offset:224
	;; [unrolled: 1-line block ×23, first 2 shown]
	v_cmp_lt_u32_e32 vcc, 7, v0
	scratch_load_dwordx4 v[48:51], off, off offset:240
	scratch_load_dwordx4 v[56:59], off, off offset:256
	;; [unrolled: 1-line block ×3, first 2 shown]
	s_waitcnt vmcnt(25) lgkmcnt(3)
	v_mul_f64 v[24:25], v[16:17], v[22:23]
	v_fmac_f64_e32 v[24:25], v[18:19], v[20:21]
	v_add_f64 v[28:29], v[24:25], 0
	scratch_load_dwordx4 v[24:27], off, off offset:176
	v_mul_f64 v[18:19], v[18:19], v[22:23]
	v_fma_f64 v[16:17], v[16:17], v[20:21], -v[18:19]
	v_add_f64 v[16:17], v[16:17], 0
	s_waitcnt vmcnt(0) lgkmcnt(2)
	v_mul_f64 v[30:31], v[12:13], v[26:27]
	v_fmac_f64_e32 v[30:31], v[14:15], v[24:25]
	v_add_f64 v[32:33], v[28:29], v[30:31]
	scratch_load_dwordx4 v[28:31], off, off offset:192
	v_mul_f64 v[14:15], v[14:15], v[26:27]
	v_fma_f64 v[12:13], v[12:13], v[24:25], -v[14:15]
	v_add_f64 v[12:13], v[16:17], v[12:13]
	;; [unrolled: 8-line block ×3, first 2 shown]
	s_waitcnt vmcnt(0) lgkmcnt(0)
	v_mul_f64 v[38:39], v[4:5], v[34:35]
	v_fmac_f64_e32 v[38:39], v[6:7], v[32:33]
	v_add_f64 v[44:45], v[36:37], v[38:39]
	ds_read_b128 v[36:39], v2 offset:816
	v_mul_f64 v[6:7], v[6:7], v[34:35]
	v_fma_f64 v[4:5], v[4:5], v[32:33], -v[6:7]
	v_add_f64 v[4:5], v[8:9], v[4:5]
	s_waitcnt lgkmcnt(0)
	v_mul_f64 v[46:47], v[36:37], v[42:43]
	v_fmac_f64_e32 v[46:47], v[38:39], v[40:41]
	v_add_f64 v[52:53], v[44:45], v[46:47]
	ds_read_b128 v[44:47], v2 offset:832
	v_mul_f64 v[6:7], v[38:39], v[42:43]
	v_fma_f64 v[6:7], v[36:37], v[40:41], -v[6:7]
	v_add_f64 v[4:5], v[4:5], v[6:7]
	s_waitcnt lgkmcnt(0)
	;; [unrolled: 8-line block ×25, first 2 shown]
	v_mul_f64 v[6:7], v[232:233], v[236:237]
	v_fma_f64 v[6:7], v[230:231], v[234:235], -v[6:7]
	v_add_f64 v[8:9], v[4:5], v[6:7]
	scratch_load_dwordx4 v[4:7], off, off offset:144
	v_mul_f64 v[238:239], v[230:231], v[236:237]
	v_fmac_f64_e32 v[238:239], v[232:233], v[234:235]
	v_add_f64 v[176:177], v[176:177], v[238:239]
	s_waitcnt vmcnt(0)
	v_add_f64 v[4:5], v[4:5], -v[8:9]
	v_add_f64 v[6:7], v[6:7], -v[176:177]
	scratch_store_dwordx4 off, v[4:7], off offset:144
	s_and_saveexec_b64 s[0:1], vcc
	s_cbranch_execz .LBB101_227
; %bb.226:
	scratch_load_dwordx4 v[6:9], off, s47
	v_mov_b32_e32 v3, v2
	v_mov_b32_e32 v4, v2
	;; [unrolled: 1-line block ×3, first 2 shown]
	scratch_store_dwordx4 off, v[2:5], off offset:128
	s_waitcnt vmcnt(1)
	ds_write_b128 v1, v[6:9]
.LBB101_227:
	s_or_b64 exec, exec, s[0:1]
	s_waitcnt lgkmcnt(0)
	; wave barrier
	ds_read_b128 v[16:19], v2 offset:736
	ds_read_b128 v[12:15], v2 offset:752
	;; [unrolled: 1-line block ×4, first 2 shown]
	scratch_load_dwordx4 v[20:23], off, off offset:144
	scratch_load_dwordx4 v[40:43], off, off offset:208
	;; [unrolled: 1-line block ×24, first 2 shown]
	v_cmp_lt_u32_e32 vcc, 6, v0
	scratch_load_dwordx4 v[48:51], off, off offset:224
	scratch_load_dwordx4 v[56:59], off, off offset:240
	;; [unrolled: 1-line block ×3, first 2 shown]
	ds_read_b128 v[246:249], v2 offset:1200
	s_waitcnt vmcnt(26) lgkmcnt(4)
	v_mul_f64 v[24:25], v[16:17], v[22:23]
	v_fmac_f64_e32 v[24:25], v[18:19], v[20:21]
	v_add_f64 v[28:29], v[24:25], 0
	scratch_load_dwordx4 v[24:27], off, off offset:160
	s_waitcnt vmcnt(0) lgkmcnt(3)
	v_mul_f64 v[30:31], v[12:13], v[26:27]
	v_fmac_f64_e32 v[30:31], v[14:15], v[24:25]
	v_add_f64 v[32:33], v[28:29], v[30:31]
	scratch_load_dwordx4 v[28:31], off, off offset:176
	v_mul_f64 v[14:15], v[14:15], v[26:27]
	v_fma_f64 v[12:13], v[12:13], v[24:25], -v[14:15]
	s_waitcnt vmcnt(0) lgkmcnt(2)
	v_mul_f64 v[34:35], v[8:9], v[30:31]
	v_fmac_f64_e32 v[34:35], v[10:11], v[28:29]
	v_add_f64 v[36:37], v[32:33], v[34:35]
	scratch_load_dwordx4 v[32:35], off, off offset:192
	v_mul_f64 v[10:11], v[10:11], v[30:31]
	v_fma_f64 v[8:9], v[8:9], v[28:29], -v[10:11]
	s_waitcnt vmcnt(0) lgkmcnt(1)
	v_mul_f64 v[38:39], v[4:5], v[34:35]
	v_fmac_f64_e32 v[38:39], v[6:7], v[32:33]
	v_add_f64 v[44:45], v[36:37], v[38:39]
	ds_read_b128 v[36:39], v2 offset:800
	v_mul_f64 v[6:7], v[6:7], v[34:35]
	v_fma_f64 v[4:5], v[4:5], v[32:33], -v[6:7]
	s_waitcnt lgkmcnt(0)
	v_mul_f64 v[46:47], v[36:37], v[42:43]
	v_fmac_f64_e32 v[46:47], v[38:39], v[40:41]
	v_add_f64 v[52:53], v[44:45], v[46:47]
	ds_read_b128 v[44:47], v2 offset:816
	s_waitcnt lgkmcnt(0)
	v_mul_f64 v[54:55], v[44:45], v[50:51]
	v_fmac_f64_e32 v[54:55], v[46:47], v[48:49]
	v_add_f64 v[60:61], v[52:53], v[54:55]
	ds_read_b128 v[52:55], v2 offset:832
	s_waitcnt lgkmcnt(0)
	v_mul_f64 v[62:63], v[52:53], v[58:59]
	v_fmac_f64_e32 v[62:63], v[54:55], v[56:57]
	v_add_f64 v[68:69], v[60:61], v[62:63]
	ds_read_b128 v[60:63], v2 offset:848
	s_waitcnt lgkmcnt(0)
	v_mul_f64 v[70:71], v[60:61], v[66:67]
	v_fmac_f64_e32 v[70:71], v[62:63], v[64:65]
	v_add_f64 v[76:77], v[68:69], v[70:71]
	ds_read_b128 v[68:71], v2 offset:864
	s_waitcnt lgkmcnt(0)
	v_mul_f64 v[78:79], v[68:69], v[74:75]
	v_fmac_f64_e32 v[78:79], v[70:71], v[72:73]
	v_add_f64 v[84:85], v[76:77], v[78:79]
	ds_read_b128 v[76:79], v2 offset:880
	s_waitcnt lgkmcnt(0)
	v_mul_f64 v[86:87], v[76:77], v[82:83]
	v_fmac_f64_e32 v[86:87], v[78:79], v[80:81]
	v_add_f64 v[92:93], v[84:85], v[86:87]
	ds_read_b128 v[84:87], v2 offset:896
	s_waitcnt lgkmcnt(0)
	v_mul_f64 v[94:95], v[84:85], v[90:91]
	v_fmac_f64_e32 v[94:95], v[86:87], v[88:89]
	v_add_f64 v[100:101], v[92:93], v[94:95]
	ds_read_b128 v[92:95], v2 offset:912
	s_waitcnt lgkmcnt(0)
	v_mul_f64 v[102:103], v[92:93], v[98:99]
	v_fmac_f64_e32 v[102:103], v[94:95], v[96:97]
	v_add_f64 v[108:109], v[100:101], v[102:103]
	ds_read_b128 v[100:103], v2 offset:928
	s_waitcnt lgkmcnt(0)
	v_mul_f64 v[110:111], v[100:101], v[106:107]
	v_fmac_f64_e32 v[110:111], v[102:103], v[104:105]
	v_add_f64 v[116:117], v[108:109], v[110:111]
	ds_read_b128 v[108:111], v2 offset:944
	s_waitcnt lgkmcnt(0)
	v_mul_f64 v[118:119], v[108:109], v[114:115]
	v_fmac_f64_e32 v[118:119], v[110:111], v[112:113]
	v_add_f64 v[124:125], v[116:117], v[118:119]
	ds_read_b128 v[116:119], v2 offset:960
	s_waitcnt lgkmcnt(0)
	v_mul_f64 v[126:127], v[116:117], v[122:123]
	v_fmac_f64_e32 v[126:127], v[118:119], v[120:121]
	v_add_f64 v[132:133], v[124:125], v[126:127]
	ds_read_b128 v[124:127], v2 offset:976
	s_waitcnt lgkmcnt(0)
	v_mul_f64 v[134:135], v[124:125], v[130:131]
	v_fmac_f64_e32 v[134:135], v[126:127], v[128:129]
	v_add_f64 v[140:141], v[132:133], v[134:135]
	ds_read_b128 v[132:135], v2 offset:992
	s_waitcnt lgkmcnt(0)
	v_mul_f64 v[142:143], v[132:133], v[138:139]
	v_fmac_f64_e32 v[142:143], v[134:135], v[136:137]
	v_add_f64 v[148:149], v[140:141], v[142:143]
	ds_read_b128 v[140:143], v2 offset:1008
	s_waitcnt lgkmcnt(0)
	v_mul_f64 v[150:151], v[140:141], v[146:147]
	v_fmac_f64_e32 v[150:151], v[142:143], v[144:145]
	v_add_f64 v[156:157], v[148:149], v[150:151]
	ds_read_b128 v[148:151], v2 offset:1024
	s_waitcnt lgkmcnt(0)
	v_mul_f64 v[158:159], v[148:149], v[154:155]
	v_fmac_f64_e32 v[158:159], v[150:151], v[152:153]
	v_add_f64 v[164:165], v[156:157], v[158:159]
	ds_read_b128 v[156:159], v2 offset:1040
	s_waitcnt lgkmcnt(0)
	v_mul_f64 v[166:167], v[156:157], v[162:163]
	v_fmac_f64_e32 v[166:167], v[158:159], v[160:161]
	v_add_f64 v[172:173], v[164:165], v[166:167]
	ds_read_b128 v[164:167], v2 offset:1056
	s_waitcnt lgkmcnt(0)
	v_mul_f64 v[174:175], v[164:165], v[170:171]
	v_fmac_f64_e32 v[174:175], v[166:167], v[168:169]
	v_add_f64 v[180:181], v[172:173], v[174:175]
	ds_read_b128 v[172:175], v2 offset:1072
	s_waitcnt lgkmcnt(0)
	v_mul_f64 v[182:183], v[172:173], v[178:179]
	v_fmac_f64_e32 v[182:183], v[174:175], v[176:177]
	v_add_f64 v[184:185], v[180:181], v[182:183]
	ds_read_b128 v[180:183], v2 offset:1088
	s_waitcnt lgkmcnt(0)
	v_mul_f64 v[190:191], v[180:181], v[188:189]
	v_fmac_f64_e32 v[190:191], v[182:183], v[186:187]
	v_add_f64 v[184:185], v[184:185], v[190:191]
	ds_read_b128 v[190:193], v2 offset:1104
	s_waitcnt lgkmcnt(0)
	v_mul_f64 v[198:199], v[190:191], v[196:197]
	v_fmac_f64_e32 v[198:199], v[192:193], v[194:195]
	v_add_f64 v[184:185], v[184:185], v[198:199]
	ds_read_b128 v[198:201], v2 offset:1120
	s_waitcnt lgkmcnt(0)
	v_mul_f64 v[206:207], v[198:199], v[204:205]
	v_fmac_f64_e32 v[206:207], v[200:201], v[202:203]
	v_add_f64 v[184:185], v[184:185], v[206:207]
	ds_read_b128 v[206:209], v2 offset:1136
	s_waitcnt lgkmcnt(0)
	v_mul_f64 v[214:215], v[206:207], v[212:213]
	v_fmac_f64_e32 v[214:215], v[208:209], v[210:211]
	v_add_f64 v[184:185], v[184:185], v[214:215]
	ds_read_b128 v[214:217], v2 offset:1152
	s_waitcnt lgkmcnt(0)
	v_mul_f64 v[222:223], v[214:215], v[220:221]
	v_fmac_f64_e32 v[222:223], v[216:217], v[218:219]
	v_add_f64 v[184:185], v[184:185], v[222:223]
	ds_read_b128 v[222:225], v2 offset:1168
	s_waitcnt lgkmcnt(0)
	v_mul_f64 v[230:231], v[222:223], v[228:229]
	v_fmac_f64_e32 v[230:231], v[224:225], v[226:227]
	v_add_f64 v[184:185], v[184:185], v[230:231]
	ds_read_b128 v[230:233], v2 offset:1184
	v_mul_f64 v[2:3], v[246:247], v[252:253]
	v_fmac_f64_e32 v[2:3], v[248:249], v[250:251]
	s_waitcnt lgkmcnt(0)
	v_mul_f64 v[238:239], v[230:231], v[236:237]
	v_fmac_f64_e32 v[238:239], v[232:233], v[234:235]
	v_add_f64 v[184:185], v[184:185], v[238:239]
	v_add_f64 v[184:185], v[184:185], v[2:3]
	v_mul_f64 v[2:3], v[18:19], v[22:23]
	v_fma_f64 v[2:3], v[16:17], v[20:21], -v[2:3]
	v_add_f64 v[2:3], v[2:3], 0
	v_add_f64 v[2:3], v[2:3], v[12:13]
	;; [unrolled: 1-line block ×4, first 2 shown]
	v_mul_f64 v[4:5], v[38:39], v[42:43]
	v_fma_f64 v[4:5], v[36:37], v[40:41], -v[4:5]
	v_add_f64 v[2:3], v[2:3], v[4:5]
	v_mul_f64 v[4:5], v[46:47], v[50:51]
	v_fma_f64 v[4:5], v[44:45], v[48:49], -v[4:5]
	v_add_f64 v[2:3], v[2:3], v[4:5]
	;; [unrolled: 3-line block ×26, first 2 shown]
	scratch_load_dwordx4 v[2:5], off, off offset:128
	s_waitcnt vmcnt(0)
	v_add_f64 v[2:3], v[2:3], -v[6:7]
	v_add_f64 v[4:5], v[4:5], -v[184:185]
	scratch_store_dwordx4 off, v[2:5], off offset:128
	s_and_saveexec_b64 s[0:1], vcc
	s_cbranch_execz .LBB101_229
; %bb.228:
	scratch_load_dwordx4 v[2:5], off, s48
	v_mov_b32_e32 v6, 0
	v_mov_b32_e32 v7, v6
	;; [unrolled: 1-line block ×4, first 2 shown]
	scratch_store_dwordx4 off, v[6:9], off offset:112
	s_waitcnt vmcnt(1)
	ds_write_b128 v1, v[2:5]
.LBB101_229:
	s_or_b64 exec, exec, s[0:1]
	s_waitcnt lgkmcnt(0)
	; wave barrier
	scratch_load_dwordx4 v[16:19], off, off offset:128
	scratch_load_dwordx4 v[12:15], off, off offset:144
	;; [unrolled: 1-line block ×32, first 2 shown]
	v_mov_b32_e32 v2, 0
	ds_read_b128 v[132:135], v2 offset:720
	ds_read_b128 v[136:139], v2 offset:736
	;; [unrolled: 1-line block ×17, first 2 shown]
	v_cmp_lt_u32_e32 vcc, 5, v0
	s_waitcnt vmcnt(31) lgkmcnt(14)
	v_mul_f64 v[200:201], v[132:133], v[18:19]
	s_waitcnt vmcnt(30)
	v_mul_f64 v[202:203], v[136:137], v[14:15]
	v_fmac_f64_e32 v[200:201], v[134:135], v[16:17]
	s_waitcnt vmcnt(29)
	v_mul_f64 v[204:205], v[140:141], v[10:11]
	v_fmac_f64_e32 v[202:203], v[138:139], v[12:13]
	v_add_f64 v[200:201], v[200:201], 0
	s_waitcnt vmcnt(28) lgkmcnt(13)
	v_mul_f64 v[206:207], v[144:145], v[6:7]
	v_fmac_f64_e32 v[204:205], v[142:143], v[8:9]
	v_add_f64 v[200:201], v[200:201], v[202:203]
	s_waitcnt vmcnt(27) lgkmcnt(12)
	;; [unrolled: 4-line block ×12, first 2 shown]
	v_mul_f64 v[228:229], v[188:189], v[62:63]
	v_fmac_f64_e32 v[226:227], v[186:187], v[56:57]
	v_add_f64 v[200:201], v[200:201], v[224:225]
	v_fmac_f64_e32 v[228:229], v[190:191], v[60:61]
	v_add_f64 v[200:201], v[200:201], v[226:227]
	s_waitcnt vmcnt(16) lgkmcnt(1)
	v_mul_f64 v[202:203], v[192:193], v[66:67]
	v_add_f64 v[200:201], v[200:201], v[228:229]
	v_fmac_f64_e32 v[202:203], v[194:195], v[64:65]
	s_waitcnt vmcnt(15) lgkmcnt(0)
	v_mul_f64 v[206:207], v[196:197], v[70:71]
	v_add_f64 v[204:205], v[200:201], v[202:203]
	ds_read_b128 v[200:203], v2 offset:992
	v_fmac_f64_e32 v[206:207], v[198:199], v[68:69]
	v_add_f64 v[208:209], v[204:205], v[206:207]
	ds_read_b128 v[204:207], v2 offset:1008
	v_mul_f64 v[18:19], v[134:135], v[18:19]
	s_waitcnt vmcnt(14) lgkmcnt(1)
	v_mul_f64 v[210:211], v[200:201], v[74:75]
	v_fmac_f64_e32 v[210:211], v[202:203], v[72:73]
	v_add_f64 v[212:213], v[208:209], v[210:211]
	s_waitcnt vmcnt(13) lgkmcnt(0)
	v_mul_f64 v[214:215], v[204:205], v[78:79]
	ds_read_b128 v[208:211], v2 offset:1024
	v_fmac_f64_e32 v[214:215], v[206:207], v[76:77]
	v_add_f64 v[216:217], v[212:213], v[214:215]
	ds_read_b128 v[212:215], v2 offset:1040
	v_fma_f64 v[248:249], v[132:133], v[16:17], -v[18:19]
	s_waitcnt vmcnt(12) lgkmcnt(1)
	v_mul_f64 v[218:219], v[208:209], v[82:83]
	v_fmac_f64_e32 v[218:219], v[210:211], v[80:81]
	v_add_f64 v[220:221], v[216:217], v[218:219]
	s_waitcnt vmcnt(11) lgkmcnt(0)
	v_mul_f64 v[222:223], v[212:213], v[86:87]
	ds_read_b128 v[216:219], v2 offset:1056
	v_fmac_f64_e32 v[222:223], v[214:215], v[84:85]
	v_add_f64 v[224:225], v[220:221], v[222:223]
	ds_read_b128 v[220:223], v2 offset:1072
	ds_read_b128 v[16:19], v2 offset:1152
	s_waitcnt vmcnt(10) lgkmcnt(2)
	v_mul_f64 v[226:227], v[216:217], v[90:91]
	v_fmac_f64_e32 v[226:227], v[218:219], v[88:89]
	v_add_f64 v[228:229], v[224:225], v[226:227]
	s_waitcnt vmcnt(9) lgkmcnt(1)
	v_mul_f64 v[230:231], v[220:221], v[94:95]
	ds_read_b128 v[224:227], v2 offset:1088
	v_fmac_f64_e32 v[230:231], v[222:223], v[92:93]
	v_add_f64 v[232:233], v[228:229], v[230:231]
	ds_read_b128 v[228:231], v2 offset:1104
	v_mul_f64 v[14:15], v[138:139], v[14:15]
	s_waitcnt vmcnt(8) lgkmcnt(1)
	v_mul_f64 v[234:235], v[224:225], v[98:99]
	v_fmac_f64_e32 v[234:235], v[226:227], v[96:97]
	v_add_f64 v[236:237], v[232:233], v[234:235]
	s_waitcnt vmcnt(7) lgkmcnt(0)
	v_mul_f64 v[238:239], v[228:229], v[102:103]
	ds_read_b128 v[232:235], v2 offset:1120
	v_fmac_f64_e32 v[238:239], v[230:231], v[100:101]
	v_add_f64 v[246:247], v[236:237], v[238:239]
	ds_read_b128 v[236:239], v2 offset:1136
	v_fma_f64 v[136:137], v[136:137], v[12:13], -v[14:15]
	s_waitcnt vmcnt(6) lgkmcnt(1)
	v_mul_f64 v[132:133], v[232:233], v[106:107]
	v_fmac_f64_e32 v[132:133], v[234:235], v[104:105]
	v_add_f64 v[132:133], v[246:247], v[132:133]
	s_waitcnt vmcnt(5) lgkmcnt(0)
	v_mul_f64 v[134:135], v[236:237], v[110:111]
	v_fmac_f64_e32 v[134:135], v[238:239], v[108:109]
	v_add_f64 v[132:133], v[132:133], v[134:135]
	ds_read_b128 v[12:15], v2 offset:1168
	s_waitcnt vmcnt(4)
	v_mul_f64 v[134:135], v[16:17], v[114:115]
	v_fmac_f64_e32 v[134:135], v[18:19], v[112:113]
	v_add_f64 v[138:139], v[132:133], v[134:135]
	ds_read_b128 v[132:135], v2 offset:1184
	v_mul_f64 v[10:11], v[142:143], v[10:11]
	v_fma_f64 v[140:141], v[140:141], v[8:9], -v[10:11]
	ds_read_b128 v[8:11], v2 offset:1200
	s_waitcnt vmcnt(3) lgkmcnt(2)
	v_mul_f64 v[142:143], v[12:13], v[118:119]
	v_fmac_f64_e32 v[142:143], v[14:15], v[116:117]
	v_add_f64 v[138:139], v[138:139], v[142:143]
	s_waitcnt vmcnt(2) lgkmcnt(1)
	v_mul_f64 v[142:143], v[132:133], v[122:123]
	v_fmac_f64_e32 v[142:143], v[134:135], v[120:121]
	v_add_f64 v[138:139], v[138:139], v[142:143]
	;; [unrolled: 4-line block ×3, first 2 shown]
	v_add_f64 v[142:143], v[248:249], 0
	v_add_f64 v[136:137], v[142:143], v[136:137]
	v_mul_f64 v[6:7], v[146:147], v[6:7]
	v_add_f64 v[136:137], v[136:137], v[140:141]
	v_fma_f64 v[4:5], v[144:145], v[4:5], -v[6:7]
	v_mul_f64 v[6:7], v[150:151], v[22:23]
	v_add_f64 v[4:5], v[136:137], v[4:5]
	v_fma_f64 v[6:7], v[148:149], v[20:21], -v[6:7]
	v_add_f64 v[4:5], v[4:5], v[6:7]
	v_mul_f64 v[6:7], v[154:155], v[26:27]
	v_fma_f64 v[6:7], v[152:153], v[24:25], -v[6:7]
	v_add_f64 v[4:5], v[4:5], v[6:7]
	v_mul_f64 v[6:7], v[158:159], v[30:31]
	;; [unrolled: 3-line block ×26, first 2 shown]
	v_fma_f64 v[6:7], v[8:9], v[124:125], -v[6:7]
	v_add_f64 v[4:5], v[4:5], v[6:7]
	s_waitcnt vmcnt(0)
	v_add_f64 v[4:5], v[128:129], -v[4:5]
	v_add_f64 v[6:7], v[130:131], -v[138:139]
	scratch_store_dwordx4 off, v[4:7], off offset:112
	s_and_saveexec_b64 s[0:1], vcc
	s_cbranch_execz .LBB101_231
; %bb.230:
	scratch_load_dwordx4 v[6:9], off, s49
	v_mov_b32_e32 v3, v2
	v_mov_b32_e32 v4, v2
	;; [unrolled: 1-line block ×3, first 2 shown]
	scratch_store_dwordx4 off, v[2:5], off offset:96
	s_waitcnt vmcnt(1)
	ds_write_b128 v1, v[6:9]
.LBB101_231:
	s_or_b64 exec, exec, s[0:1]
	s_waitcnt lgkmcnt(0)
	; wave barrier
	scratch_load_dwordx4 v[140:143], off, off offset:112
	scratch_load_dwordx4 v[148:151], off, off offset:128
	;; [unrolled: 1-line block ×16, first 2 shown]
	ds_read_b128 v[188:191], v2 offset:704
	ds_read_b128 v[184:187], v2 offset:720
	scratch_load_dwordx4 v[56:59], off, off offset:368
	ds_read_b128 v[192:195], v2 offset:736
	ds_read_b128 v[68:71], v2 offset:752
	scratch_load_dwordx4 v[60:63], off, off offset:384
	ds_read_b128 v[88:91], v2 offset:768
	ds_read_b128 v[84:87], v2 offset:784
	;; [unrolled: 1-line block ×4, first 2 shown]
	scratch_load_dwordx4 v[64:67], off, off offset:400
	ds_read_b128 v[100:103], v2 offset:832
	ds_read_b128 v[96:99], v2 offset:848
	scratch_load_dwordx4 v[72:75], off, off offset:416
	ds_read_b128 v[116:119], v2 offset:864
	ds_read_b128 v[112:115], v2 offset:880
	;; [unrolled: 1-line block ×4, first 2 shown]
	scratch_load_dwordx4 v[92:95], off, off offset:432
	ds_read_b128 v[132:135], v2 offset:928
	ds_read_b128 v[128:131], v2 offset:944
	;; [unrolled: 1-line block ×3, first 2 shown]
	scratch_load_dwordx4 v[120:123], off, off offset:448
	scratch_load_dwordx4 v[136:139], off, off offset:464
	;; [unrolled: 1-line block ×11, first 2 shown]
	v_cmp_lt_u32_e32 vcc, 4, v0
	s_waitcnt vmcnt(31) lgkmcnt(14)
	v_mul_f64 v[200:201], v[188:189], v[142:143]
	s_waitcnt vmcnt(30)
	v_mul_f64 v[202:203], v[184:185], v[150:151]
	v_fmac_f64_e32 v[200:201], v[190:191], v[140:141]
	s_waitcnt vmcnt(29)
	v_mul_f64 v[204:205], v[192:193], v[154:155]
	v_fmac_f64_e32 v[202:203], v[186:187], v[148:149]
	v_add_f64 v[200:201], v[200:201], 0
	s_waitcnt vmcnt(28) lgkmcnt(13)
	v_mul_f64 v[206:207], v[68:69], v[6:7]
	v_fmac_f64_e32 v[204:205], v[194:195], v[152:153]
	v_add_f64 v[200:201], v[200:201], v[202:203]
	s_waitcnt vmcnt(27) lgkmcnt(12)
	v_mul_f64 v[208:209], v[88:89], v[10:11]
	v_fmac_f64_e32 v[206:207], v[70:71], v[4:5]
	v_add_f64 v[200:201], v[200:201], v[204:205]
	s_waitcnt vmcnt(26) lgkmcnt(11)
	v_mul_f64 v[210:211], v[84:85], v[14:15]
	v_fmac_f64_e32 v[208:209], v[90:91], v[8:9]
	v_add_f64 v[200:201], v[200:201], v[206:207]
	s_waitcnt vmcnt(25) lgkmcnt(10)
	v_mul_f64 v[212:213], v[80:81], v[18:19]
	v_fmac_f64_e32 v[210:211], v[86:87], v[12:13]
	v_add_f64 v[200:201], v[200:201], v[208:209]
	s_waitcnt vmcnt(24) lgkmcnt(9)
	v_mul_f64 v[214:215], v[76:77], v[22:23]
	v_fmac_f64_e32 v[212:213], v[82:83], v[16:17]
	v_add_f64 v[200:201], v[200:201], v[210:211]
	s_waitcnt vmcnt(23) lgkmcnt(8)
	v_mul_f64 v[216:217], v[100:101], v[26:27]
	v_fmac_f64_e32 v[214:215], v[78:79], v[20:21]
	v_add_f64 v[200:201], v[200:201], v[212:213]
	s_waitcnt vmcnt(22) lgkmcnt(7)
	v_mul_f64 v[218:219], v[96:97], v[30:31]
	v_fmac_f64_e32 v[216:217], v[102:103], v[24:25]
	v_add_f64 v[200:201], v[200:201], v[214:215]
	s_waitcnt vmcnt(21) lgkmcnt(6)
	v_mul_f64 v[220:221], v[116:117], v[34:35]
	v_fmac_f64_e32 v[218:219], v[98:99], v[28:29]
	v_add_f64 v[200:201], v[200:201], v[216:217]
	s_waitcnt vmcnt(20) lgkmcnt(5)
	v_mul_f64 v[222:223], v[112:113], v[38:39]
	v_fmac_f64_e32 v[220:221], v[118:119], v[32:33]
	v_add_f64 v[200:201], v[200:201], v[218:219]
	s_waitcnt vmcnt(19) lgkmcnt(4)
	v_mul_f64 v[224:225], v[108:109], v[42:43]
	v_fmac_f64_e32 v[222:223], v[114:115], v[36:37]
	v_add_f64 v[200:201], v[200:201], v[220:221]
	s_waitcnt vmcnt(18) lgkmcnt(3)
	v_mul_f64 v[226:227], v[104:105], v[46:47]
	v_fmac_f64_e32 v[224:225], v[110:111], v[40:41]
	v_add_f64 v[200:201], v[200:201], v[222:223]
	s_waitcnt vmcnt(17) lgkmcnt(2)
	v_mul_f64 v[228:229], v[132:133], v[50:51]
	v_fmac_f64_e32 v[226:227], v[106:107], v[44:45]
	v_add_f64 v[200:201], v[200:201], v[224:225]
	s_waitcnt vmcnt(16) lgkmcnt(1)
	v_mul_f64 v[230:231], v[128:129], v[54:55]
	v_fmac_f64_e32 v[228:229], v[134:135], v[48:49]
	v_add_f64 v[200:201], v[200:201], v[226:227]
	v_add_f64 v[200:201], v[200:201], v[228:229]
	v_fmac_f64_e32 v[230:231], v[130:131], v[52:53]
	v_add_f64 v[204:205], v[200:201], v[230:231]
	ds_read_b128 v[200:203], v2 offset:976
	s_waitcnt vmcnt(15) lgkmcnt(1)
	v_mul_f64 v[206:207], v[124:125], v[58:59]
	v_fmac_f64_e32 v[206:207], v[126:127], v[56:57]
	v_add_f64 v[208:209], v[204:205], v[206:207]
	ds_read_b128 v[204:207], v2 offset:992
	s_waitcnt vmcnt(14) lgkmcnt(1)
	v_mul_f64 v[210:211], v[200:201], v[62:63]
	;; [unrolled: 5-line block ×10, first 2 shown]
	v_fmac_f64_e32 v[248:249], v[234:235], v[160:161]
	v_mul_f64 v[142:143], v[190:191], v[142:143]
	v_add_f64 v[248:249], v[246:247], v[248:249]
	v_fma_f64 v[246:247], v[188:189], v[140:141], -v[142:143]
	ds_read_b128 v[140:143], v2 offset:1136
	s_waitcnt vmcnt(5) lgkmcnt(1)
	v_mul_f64 v[188:189], v[236:237], v[166:167]
	v_fmac_f64_e32 v[188:189], v[238:239], v[164:165]
	v_mul_f64 v[150:151], v[186:187], v[150:151]
	v_add_f64 v[188:189], v[248:249], v[188:189]
	v_fma_f64 v[248:249], v[184:185], v[148:149], -v[150:151]
	ds_read_b128 v[148:151], v2 offset:1152
	s_waitcnt vmcnt(4) lgkmcnt(1)
	v_mul_f64 v[184:185], v[140:141], v[170:171]
	v_fmac_f64_e32 v[184:185], v[142:143], v[168:169]
	v_add_f64 v[188:189], v[188:189], v[184:185]
	ds_read_b128 v[184:187], v2 offset:1168
	v_mul_f64 v[154:155], v[194:195], v[154:155]
	s_waitcnt vmcnt(3) lgkmcnt(1)
	v_mul_f64 v[190:191], v[148:149], v[174:175]
	v_fma_f64 v[252:253], v[192:193], v[152:153], -v[154:155]
	ds_read_b128 v[152:155], v2 offset:1184
	v_fmac_f64_e32 v[190:191], v[150:151], v[172:173]
	v_add_f64 v[250:251], v[188:189], v[190:191]
	ds_read_b128 v[188:191], v2 offset:1200
	s_waitcnt vmcnt(2) lgkmcnt(2)
	v_mul_f64 v[192:193], v[184:185], v[178:179]
	v_fmac_f64_e32 v[192:193], v[186:187], v[176:177]
	v_add_f64 v[2:3], v[250:251], v[192:193]
	s_waitcnt vmcnt(1) lgkmcnt(1)
	v_mul_f64 v[192:193], v[152:153], v[182:183]
	v_fmac_f64_e32 v[192:193], v[154:155], v[180:181]
	v_add_f64 v[2:3], v[2:3], v[192:193]
	s_waitcnt vmcnt(0) lgkmcnt(0)
	v_mul_f64 v[192:193], v[188:189], v[198:199]
	v_fmac_f64_e32 v[192:193], v[190:191], v[196:197]
	v_add_f64 v[2:3], v[2:3], v[192:193]
	scratch_load_dwordx4 v[192:195], off, off offset:96
	v_add_f64 v[246:247], v[246:247], 0
	v_add_f64 v[246:247], v[246:247], v[248:249]
	v_mul_f64 v[6:7], v[70:71], v[6:7]
	v_add_f64 v[246:247], v[246:247], v[252:253]
	v_fma_f64 v[4:5], v[68:69], v[4:5], -v[6:7]
	v_mul_f64 v[6:7], v[90:91], v[10:11]
	v_add_f64 v[4:5], v[246:247], v[4:5]
	v_fma_f64 v[6:7], v[88:89], v[8:9], -v[6:7]
	v_add_f64 v[4:5], v[4:5], v[6:7]
	v_mul_f64 v[6:7], v[86:87], v[14:15]
	v_fma_f64 v[6:7], v[84:85], v[12:13], -v[6:7]
	v_add_f64 v[4:5], v[4:5], v[6:7]
	v_mul_f64 v[6:7], v[82:83], v[18:19]
	;; [unrolled: 3-line block ×27, first 2 shown]
	v_fma_f64 v[6:7], v[188:189], v[196:197], -v[6:7]
	v_add_f64 v[4:5], v[4:5], v[6:7]
	s_waitcnt vmcnt(0)
	v_add_f64 v[4:5], v[192:193], -v[4:5]
	v_add_f64 v[6:7], v[194:195], -v[2:3]
	scratch_store_dwordx4 off, v[4:7], off offset:96
	s_and_saveexec_b64 s[0:1], vcc
	s_cbranch_execz .LBB101_233
; %bb.232:
	scratch_load_dwordx4 v[2:5], off, s50
	v_mov_b32_e32 v6, 0
	v_mov_b32_e32 v7, v6
	;; [unrolled: 1-line block ×4, first 2 shown]
	scratch_store_dwordx4 off, v[6:9], off offset:80
	s_waitcnt vmcnt(1)
	ds_write_b128 v1, v[2:5]
.LBB101_233:
	s_or_b64 exec, exec, s[0:1]
	s_waitcnt lgkmcnt(0)
	; wave barrier
	scratch_load_dwordx4 v[108:111], off, off offset:96
	scratch_load_dwordx4 v[116:119], off, off offset:112
	;; [unrolled: 1-line block ×33, first 2 shown]
	v_mov_b32_e32 v2, 0
	ds_read_b128 v[220:223], v2 offset:688
	ds_read_b128 v[224:227], v2 offset:704
	;; [unrolled: 1-line block ×16, first 2 shown]
	v_cmp_lt_u32_e32 vcc, 3, v0
	s_waitcnt vmcnt(32) lgkmcnt(14)
	v_mul_f64 v[180:181], v[220:221], v[110:111]
	s_waitcnt vmcnt(31)
	v_mul_f64 v[182:183], v[224:225], v[118:119]
	v_fmac_f64_e32 v[180:181], v[222:223], v[108:109]
	s_waitcnt vmcnt(30) lgkmcnt(13)
	v_mul_f64 v[184:185], v[234:235], v[122:123]
	v_fmac_f64_e32 v[182:183], v[226:227], v[116:117]
	v_add_f64 v[180:181], v[180:181], 0
	s_waitcnt vmcnt(29) lgkmcnt(12)
	v_mul_f64 v[186:187], v[246:247], v[126:127]
	v_fmac_f64_e32 v[184:185], v[236:237], v[120:121]
	v_add_f64 v[180:181], v[180:181], v[182:183]
	;; [unrolled: 4-line block ×13, first 2 shown]
	v_fmac_f64_e32 v[208:209], v[142:143], v[40:41]
	v_add_f64 v[180:181], v[180:181], v[206:207]
	v_add_f64 v[184:185], v[180:181], v[208:209]
	ds_read_b128 v[180:183], v2 offset:944
	s_waitcnt vmcnt(17) lgkmcnt(1)
	v_mul_f64 v[186:187], v[136:137], v[46:47]
	v_fmac_f64_e32 v[186:187], v[138:139], v[44:45]
	v_add_f64 v[188:189], v[184:185], v[186:187]
	ds_read_b128 v[184:187], v2 offset:960
	s_waitcnt vmcnt(16) lgkmcnt(1)
	v_mul_f64 v[190:191], v[180:181], v[50:51]
	v_fmac_f64_e32 v[190:191], v[182:183], v[48:49]
	;; [unrolled: 5-line block ×10, first 2 shown]
	v_mul_f64 v[110:111], v[222:223], v[110:111]
	v_add_f64 v[228:229], v[228:229], v[230:231]
	v_fma_f64 v[230:231], v[220:221], v[108:109], -v[110:111]
	ds_read_b128 v[108:111], v2 offset:1104
	s_waitcnt vmcnt(7) lgkmcnt(1)
	v_mul_f64 v[220:221], v[216:217], v[86:87]
	v_mul_f64 v[118:119], v[226:227], v[118:119]
	v_fmac_f64_e32 v[220:221], v[218:219], v[84:85]
	v_fma_f64 v[232:233], v[224:225], v[116:117], -v[118:119]
	ds_read_b128 v[116:119], v2 offset:1120
	s_waitcnt vmcnt(6) lgkmcnt(1)
	v_mul_f64 v[222:223], v[108:109], v[90:91]
	v_add_f64 v[220:221], v[228:229], v[220:221]
	v_fmac_f64_e32 v[222:223], v[110:111], v[88:89]
	v_add_f64 v[224:225], v[220:221], v[222:223]
	ds_read_b128 v[220:223], v2 offset:1136
	v_mul_f64 v[122:123], v[236:237], v[122:123]
	v_fma_f64 v[234:235], v[234:235], v[120:121], -v[122:123]
	ds_read_b128 v[120:123], v2 offset:1152
	s_waitcnt vmcnt(5) lgkmcnt(2)
	v_mul_f64 v[226:227], v[116:117], v[94:95]
	v_fmac_f64_e32 v[226:227], v[118:119], v[92:93]
	v_mul_f64 v[126:127], v[248:249], v[126:127]
	v_add_f64 v[224:225], v[224:225], v[226:227]
	s_waitcnt vmcnt(4) lgkmcnt(1)
	v_mul_f64 v[226:227], v[220:221], v[98:99]
	v_fma_f64 v[236:237], v[246:247], v[124:125], -v[126:127]
	ds_read_b128 v[124:127], v2 offset:1168
	v_fmac_f64_e32 v[226:227], v[222:223], v[96:97]
	v_add_f64 v[228:229], v[224:225], v[226:227]
	s_waitcnt vmcnt(3) lgkmcnt(1)
	v_mul_f64 v[238:239], v[120:121], v[102:103]
	ds_read_b128 v[224:227], v2 offset:1184
	v_fmac_f64_e32 v[238:239], v[122:123], v[100:101]
	v_mul_f64 v[130:131], v[252:253], v[130:131]
	v_add_f64 v[228:229], v[228:229], v[238:239]
	v_fma_f64 v[238:239], v[250:251], v[128:129], -v[130:131]
	ds_read_b128 v[128:131], v2 offset:1200
	s_waitcnt vmcnt(2) lgkmcnt(2)
	v_mul_f64 v[246:247], v[124:125], v[106:107]
	v_fmac_f64_e32 v[246:247], v[126:127], v[104:105]
	v_add_f64 v[228:229], v[228:229], v[246:247]
	s_waitcnt vmcnt(1) lgkmcnt(1)
	v_mul_f64 v[246:247], v[224:225], v[114:115]
	v_fmac_f64_e32 v[246:247], v[226:227], v[112:113]
	v_add_f64 v[228:229], v[228:229], v[246:247]
	;; [unrolled: 4-line block ×3, first 2 shown]
	scratch_load_dwordx4 v[246:249], off, off offset:80
	v_add_f64 v[230:231], v[230:231], 0
	v_add_f64 v[230:231], v[230:231], v[232:233]
	;; [unrolled: 1-line block ×4, first 2 shown]
	v_mul_f64 v[6:7], v[178:179], v[6:7]
	v_add_f64 v[230:231], v[230:231], v[238:239]
	v_fma_f64 v[4:5], v[176:177], v[4:5], -v[6:7]
	v_mul_f64 v[6:7], v[174:175], v[10:11]
	v_add_f64 v[4:5], v[230:231], v[4:5]
	v_fma_f64 v[6:7], v[172:173], v[8:9], -v[6:7]
	v_add_f64 v[4:5], v[4:5], v[6:7]
	v_mul_f64 v[6:7], v[170:171], v[14:15]
	v_fma_f64 v[6:7], v[168:169], v[12:13], -v[6:7]
	v_add_f64 v[4:5], v[4:5], v[6:7]
	v_mul_f64 v[6:7], v[166:167], v[18:19]
	;; [unrolled: 3-line block ×26, first 2 shown]
	v_fma_f64 v[6:7], v[128:129], v[132:133], -v[6:7]
	v_add_f64 v[4:5], v[4:5], v[6:7]
	s_waitcnt vmcnt(0)
	v_add_f64 v[4:5], v[246:247], -v[4:5]
	v_add_f64 v[6:7], v[248:249], -v[228:229]
	scratch_store_dwordx4 off, v[4:7], off offset:80
	s_and_saveexec_b64 s[0:1], vcc
	s_cbranch_execz .LBB101_235
; %bb.234:
	scratch_load_dwordx4 v[6:9], off, s51
	v_mov_b32_e32 v3, v2
	v_mov_b32_e32 v4, v2
	;; [unrolled: 1-line block ×3, first 2 shown]
	scratch_store_dwordx4 off, v[2:5], off offset:64
	s_waitcnt vmcnt(1)
	ds_write_b128 v1, v[6:9]
.LBB101_235:
	s_or_b64 exec, exec, s[0:1]
	s_waitcnt lgkmcnt(0)
	; wave barrier
	scratch_load_dwordx4 v[144:147], off, off offset:80
	scratch_load_dwordx4 v[152:155], off, off offset:96
	;; [unrolled: 1-line block ×16, first 2 shown]
	ds_read_b128 v[196:199], v2 offset:672
	ds_read_b128 v[188:191], v2 offset:688
	ds_read_b128 v[180:183], v2 offset:704
	scratch_load_dwordx4 v[48:51], off, off offset:336
	ds_read_b128 v[192:195], v2 offset:720
	ds_read_b128 v[184:187], v2 offset:736
	ds_read_b128 v[64:67], v2 offset:752
	scratch_load_dwordx4 v[52:55], off, off offset:352
	;; [unrolled: 4-line block ×5, first 2 shown]
	ds_read_b128 v[116:119], v2 offset:912
	ds_read_b128 v[112:115], v2 offset:928
	scratch_load_dwordx4 v[108:111], off, off offset:416
	scratch_load_dwordx4 v[120:123], off, off offset:432
	;; [unrolled: 1-line block ×12, first 2 shown]
	v_cmp_lt_u32_e32 vcc, 2, v0
	s_waitcnt vmcnt(32) lgkmcnt(14)
	v_mul_f64 v[204:205], v[196:197], v[146:147]
	s_waitcnt vmcnt(31)
	v_mul_f64 v[206:207], v[188:189], v[154:155]
	v_fmac_f64_e32 v[204:205], v[198:199], v[144:145]
	s_waitcnt vmcnt(30)
	v_mul_f64 v[208:209], v[180:181], v[158:159]
	v_fmac_f64_e32 v[206:207], v[190:191], v[152:153]
	v_add_f64 v[204:205], v[204:205], 0
	s_waitcnt vmcnt(29) lgkmcnt(13)
	v_mul_f64 v[210:211], v[192:193], v[162:163]
	v_fmac_f64_e32 v[208:209], v[182:183], v[156:157]
	v_add_f64 v[204:205], v[204:205], v[206:207]
	s_waitcnt vmcnt(28) lgkmcnt(12)
	;; [unrolled: 4-line block ×12, first 2 shown]
	v_mul_f64 v[232:233], v[96:97], v[42:43]
	v_fmac_f64_e32 v[230:231], v[102:103], v[36:37]
	v_add_f64 v[204:205], v[204:205], v[228:229]
	v_fmac_f64_e32 v[232:233], v[98:99], v[40:41]
	v_add_f64 v[204:205], v[204:205], v[230:231]
	s_waitcnt vmcnt(17) lgkmcnt(1)
	v_mul_f64 v[206:207], v[116:117], v[46:47]
	v_add_f64 v[204:205], v[204:205], v[232:233]
	v_fmac_f64_e32 v[206:207], v[118:119], v[44:45]
	s_waitcnt vmcnt(16) lgkmcnt(0)
	v_mul_f64 v[210:211], v[112:113], v[50:51]
	v_add_f64 v[208:209], v[204:205], v[206:207]
	ds_read_b128 v[204:207], v2 offset:944
	v_fmac_f64_e32 v[210:211], v[114:115], v[48:49]
	v_add_f64 v[212:213], v[208:209], v[210:211]
	ds_read_b128 v[208:211], v2 offset:960
	v_mul_f64 v[146:147], v[198:199], v[146:147]
	s_waitcnt vmcnt(15) lgkmcnt(1)
	v_mul_f64 v[214:215], v[204:205], v[54:55]
	v_fmac_f64_e32 v[214:215], v[206:207], v[52:53]
	v_add_f64 v[216:217], v[212:213], v[214:215]
	s_waitcnt vmcnt(14) lgkmcnt(0)
	v_mul_f64 v[218:219], v[208:209], v[58:59]
	ds_read_b128 v[212:215], v2 offset:976
	v_fmac_f64_e32 v[218:219], v[210:211], v[56:57]
	v_add_f64 v[220:221], v[216:217], v[218:219]
	ds_read_b128 v[216:219], v2 offset:992
	v_mul_f64 v[154:155], v[190:191], v[154:155]
	s_waitcnt vmcnt(13) lgkmcnt(1)
	v_mul_f64 v[222:223], v[212:213], v[62:63]
	v_fmac_f64_e32 v[222:223], v[214:215], v[60:61]
	v_add_f64 v[224:225], v[220:221], v[222:223]
	s_waitcnt vmcnt(12) lgkmcnt(0)
	v_mul_f64 v[226:227], v[216:217], v[94:95]
	ds_read_b128 v[220:223], v2 offset:1008
	v_fmac_f64_e32 v[226:227], v[218:219], v[92:93]
	v_add_f64 v[228:229], v[224:225], v[226:227]
	ds_read_b128 v[224:227], v2 offset:1024
	v_fma_f64 v[250:251], v[188:189], v[152:153], -v[154:155]
	s_waitcnt vmcnt(11) lgkmcnt(1)
	v_mul_f64 v[230:231], v[220:221], v[110:111]
	v_fmac_f64_e32 v[230:231], v[222:223], v[108:109]
	v_add_f64 v[232:233], v[228:229], v[230:231]
	s_waitcnt vmcnt(10) lgkmcnt(0)
	v_mul_f64 v[234:235], v[224:225], v[122:123]
	ds_read_b128 v[228:231], v2 offset:1040
	v_fmac_f64_e32 v[234:235], v[226:227], v[120:121]
	v_add_f64 v[236:237], v[232:233], v[234:235]
	ds_read_b128 v[232:235], v2 offset:1056
	ds_read_b128 v[152:155], v2 offset:1104
	s_waitcnt vmcnt(9) lgkmcnt(2)
	v_mul_f64 v[238:239], v[228:229], v[126:127]
	v_fmac_f64_e32 v[238:239], v[230:231], v[124:125]
	v_add_f64 v[246:247], v[236:237], v[238:239]
	s_waitcnt vmcnt(8) lgkmcnt(1)
	v_mul_f64 v[248:249], v[232:233], v[130:131]
	ds_read_b128 v[236:239], v2 offset:1072
	v_fmac_f64_e32 v[248:249], v[234:235], v[128:129]
	v_add_f64 v[246:247], v[246:247], v[248:249]
	v_fma_f64 v[248:249], v[196:197], v[144:145], -v[146:147]
	ds_read_b128 v[144:147], v2 offset:1088
	s_waitcnt vmcnt(7) lgkmcnt(1)
	v_mul_f64 v[196:197], v[236:237], v[134:135]
	v_fmac_f64_e32 v[196:197], v[238:239], v[132:133]
	v_add_f64 v[188:189], v[246:247], v[196:197]
	v_mul_f64 v[158:159], v[182:183], v[158:159]
	s_waitcnt vmcnt(6) lgkmcnt(0)
	v_mul_f64 v[190:191], v[144:145], v[138:139]
	v_fmac_f64_e32 v[190:191], v[146:147], v[136:137]
	v_add_f64 v[196:197], v[188:189], v[190:191]
	ds_read_b128 v[188:191], v2 offset:1120
	v_fma_f64 v[246:247], v[180:181], v[156:157], -v[158:159]
	ds_read_b128 v[156:159], v2 offset:1136
	s_waitcnt vmcnt(5)
	v_mul_f64 v[198:199], v[152:153], v[142:143]
	v_fmac_f64_e32 v[198:199], v[154:155], v[140:141]
	s_waitcnt vmcnt(4) lgkmcnt(1)
	v_mul_f64 v[180:181], v[188:189], v[150:151]
	v_add_f64 v[196:197], v[196:197], v[198:199]
	v_fmac_f64_e32 v[180:181], v[190:191], v[148:149]
	v_mul_f64 v[162:163], v[194:195], v[162:163]
	v_add_f64 v[198:199], v[196:197], v[180:181]
	v_fma_f64 v[196:197], v[192:193], v[160:161], -v[162:163]
	ds_read_b128 v[160:163], v2 offset:1152
	s_waitcnt vmcnt(3) lgkmcnt(1)
	v_mul_f64 v[192:193], v[156:157], v[166:167]
	ds_read_b128 v[180:183], v2 offset:1168
	v_fmac_f64_e32 v[192:193], v[158:159], v[164:165]
	v_mul_f64 v[170:171], v[186:187], v[170:171]
	v_add_f64 v[192:193], v[198:199], v[192:193]
	v_fma_f64 v[198:199], v[184:185], v[168:169], -v[170:171]
	ds_read_b128 v[168:171], v2 offset:1184
	s_waitcnt vmcnt(2) lgkmcnt(2)
	v_mul_f64 v[184:185], v[160:161], v[174:175]
	v_fmac_f64_e32 v[184:185], v[162:163], v[172:173]
	s_waitcnt vmcnt(1) lgkmcnt(1)
	v_mul_f64 v[186:187], v[180:181], v[178:179]
	v_add_f64 v[184:185], v[192:193], v[184:185]
	v_fmac_f64_e32 v[186:187], v[182:183], v[176:177]
	v_add_f64 v[184:185], v[184:185], v[186:187]
	s_waitcnt vmcnt(0) lgkmcnt(0)
	v_mul_f64 v[186:187], v[168:169], v[202:203]
	v_fmac_f64_e32 v[186:187], v[170:171], v[200:201]
	v_add_f64 v[252:253], v[184:185], v[186:187]
	scratch_load_dwordx4 v[184:187], off, off offset:608
	v_add_f64 v[248:249], v[248:249], 0
	v_add_f64 v[248:249], v[248:249], v[250:251]
	v_add_f64 v[246:247], v[248:249], v[246:247]
	scratch_load_dwordx4 v[248:251], off, off offset:64
	v_add_f64 v[196:197], v[246:247], v[196:197]
	v_mul_f64 v[6:7], v[66:67], v[6:7]
	v_add_f64 v[196:197], v[196:197], v[198:199]
	v_fma_f64 v[4:5], v[64:65], v[4:5], -v[6:7]
	v_mul_f64 v[6:7], v[78:79], v[10:11]
	v_add_f64 v[4:5], v[196:197], v[4:5]
	v_fma_f64 v[6:7], v[76:77], v[8:9], -v[6:7]
	v_add_f64 v[4:5], v[4:5], v[6:7]
	v_mul_f64 v[6:7], v[74:75], v[14:15]
	v_fma_f64 v[6:7], v[72:73], v[12:13], -v[6:7]
	v_add_f64 v[4:5], v[4:5], v[6:7]
	v_mul_f64 v[6:7], v[70:71], v[18:19]
	;; [unrolled: 3-line block ×24, first 2 shown]
	ds_read_b128 v[192:195], v2 offset:1200
	v_fma_f64 v[6:7], v[160:161], v[172:173], -v[6:7]
	v_add_f64 v[4:5], v[4:5], v[6:7]
	v_mul_f64 v[6:7], v[182:183], v[178:179]
	v_fma_f64 v[6:7], v[180:181], v[176:177], -v[6:7]
	v_add_f64 v[4:5], v[4:5], v[6:7]
	v_mul_f64 v[6:7], v[170:171], v[202:203]
	v_fma_f64 v[6:7], v[168:169], v[200:201], -v[6:7]
	s_waitcnt vmcnt(1) lgkmcnt(0)
	v_mul_f64 v[2:3], v[192:193], v[186:187]
	v_add_f64 v[4:5], v[4:5], v[6:7]
	v_mul_f64 v[6:7], v[194:195], v[186:187]
	v_fmac_f64_e32 v[2:3], v[194:195], v[184:185]
	v_fma_f64 v[6:7], v[192:193], v[184:185], -v[6:7]
	v_add_f64 v[2:3], v[252:253], v[2:3]
	v_add_f64 v[4:5], v[4:5], v[6:7]
	s_waitcnt vmcnt(0)
	v_add_f64 v[4:5], v[248:249], -v[4:5]
	v_add_f64 v[6:7], v[250:251], -v[2:3]
	scratch_store_dwordx4 off, v[4:7], off offset:64
	s_and_saveexec_b64 s[0:1], vcc
	s_cbranch_execz .LBB101_237
; %bb.236:
	scratch_load_dwordx4 v[2:5], off, s52
	v_mov_b32_e32 v6, 0
	v_mov_b32_e32 v7, v6
	;; [unrolled: 1-line block ×4, first 2 shown]
	scratch_store_dwordx4 off, v[6:9], off offset:48
	s_waitcnt vmcnt(1)
	ds_write_b128 v1, v[2:5]
.LBB101_237:
	s_or_b64 exec, exec, s[0:1]
	s_waitcnt lgkmcnt(0)
	; wave barrier
	scratch_load_dwordx4 v[184:187], off, off offset:64
	scratch_load_dwordx4 v[188:191], off, off offset:80
	;; [unrolled: 1-line block ×32, first 2 shown]
	v_mov_b32_e32 v2, 0
	ds_read_b128 v[192:195], v2 offset:656
	ds_read_b128 v[204:207], v2 offset:672
	;; [unrolled: 1-line block ×16, first 2 shown]
	v_cmp_lt_u32_e32 vcc, 1, v0
	s_waitcnt vmcnt(31) lgkmcnt(14)
	v_mul_f64 v[104:105], v[192:193], v[186:187]
	s_waitcnt vmcnt(30)
	v_mul_f64 v[106:107], v[204:205], v[190:191]
	v_fmac_f64_e32 v[104:105], v[194:195], v[184:185]
	s_waitcnt vmcnt(29) lgkmcnt(13)
	v_mul_f64 v[112:113], v[216:217], v[198:199]
	v_fmac_f64_e32 v[106:107], v[206:207], v[188:189]
	v_add_f64 v[104:105], v[104:105], 0
	s_waitcnt vmcnt(28) lgkmcnt(12)
	v_mul_f64 v[114:115], v[224:225], v[202:203]
	v_fmac_f64_e32 v[112:113], v[218:219], v[196:197]
	v_add_f64 v[104:105], v[104:105], v[106:107]
	s_waitcnt vmcnt(27) lgkmcnt(11)
	v_mul_f64 v[128:129], v[228:229], v[210:211]
	v_fmac_f64_e32 v[114:115], v[226:227], v[200:201]
	v_add_f64 v[104:105], v[104:105], v[112:113]
	s_waitcnt vmcnt(26) lgkmcnt(10)
	v_mul_f64 v[130:131], v[246:247], v[214:215]
	v_fmac_f64_e32 v[128:129], v[230:231], v[208:209]
	v_add_f64 v[104:105], v[104:105], v[114:115]
	s_waitcnt vmcnt(25) lgkmcnt(9)
	v_mul_f64 v[152:153], v[250:251], v[222:223]
	v_fmac_f64_e32 v[130:131], v[248:249], v[212:213]
	v_add_f64 v[104:105], v[104:105], v[128:129]
	s_waitcnt vmcnt(24) lgkmcnt(8)
	v_mul_f64 v[154:155], v[148:149], v[6:7]
	v_fmac_f64_e32 v[152:153], v[252:253], v[220:221]
	v_add_f64 v[104:105], v[104:105], v[130:131]
	s_waitcnt vmcnt(23) lgkmcnt(7)
	v_mul_f64 v[156:157], v[144:145], v[10:11]
	v_fmac_f64_e32 v[154:155], v[150:151], v[4:5]
	v_add_f64 v[104:105], v[104:105], v[152:153]
	s_waitcnt vmcnt(22) lgkmcnt(6)
	v_mul_f64 v[158:159], v[140:141], v[14:15]
	v_fmac_f64_e32 v[156:157], v[146:147], v[8:9]
	v_add_f64 v[104:105], v[104:105], v[154:155]
	s_waitcnt vmcnt(21) lgkmcnt(5)
	v_mul_f64 v[160:161], v[136:137], v[18:19]
	v_fmac_f64_e32 v[158:159], v[142:143], v[12:13]
	v_add_f64 v[104:105], v[104:105], v[156:157]
	s_waitcnt vmcnt(20) lgkmcnt(4)
	v_mul_f64 v[162:163], v[132:133], v[22:23]
	v_fmac_f64_e32 v[160:161], v[138:139], v[16:17]
	v_add_f64 v[104:105], v[104:105], v[158:159]
	ds_read_b128 v[152:155], v2 offset:912
	ds_read_b128 v[156:159], v2 offset:928
	s_waitcnt vmcnt(19) lgkmcnt(5)
	v_mul_f64 v[164:165], v[124:125], v[26:27]
	v_fmac_f64_e32 v[162:163], v[134:135], v[20:21]
	v_add_f64 v[104:105], v[104:105], v[160:161]
	s_waitcnt vmcnt(18) lgkmcnt(4)
	v_mul_f64 v[166:167], v[120:121], v[30:31]
	v_fmac_f64_e32 v[164:165], v[126:127], v[24:25]
	v_add_f64 v[104:105], v[104:105], v[162:163]
	;; [unrolled: 4-line block ×4, first 2 shown]
	v_add_f64 v[112:113], v[104:105], v[168:169]
	v_fmac_f64_e32 v[170:171], v[110:111], v[36:37]
	scratch_load_dwordx4 v[104:107], off, off offset:576
	s_waitcnt vmcnt(16) lgkmcnt(1)
	v_mul_f64 v[114:115], v[152:153], v[42:43]
	v_add_f64 v[112:113], v[112:113], v[170:171]
	v_fmac_f64_e32 v[114:115], v[154:155], v[40:41]
	v_add_f64 v[128:129], v[112:113], v[114:115]
	scratch_load_dwordx4 v[112:115], off, off offset:592
	s_waitcnt vmcnt(16) lgkmcnt(0)
	v_mul_f64 v[130:131], v[156:157], v[46:47]
	v_fmac_f64_e32 v[130:131], v[158:159], v[44:45]
	v_add_f64 v[168:169], v[128:129], v[130:131]
	scratch_load_dwordx4 v[128:131], off, off offset:608
	ds_read_b128 v[160:163], v2 offset:944
	ds_read_b128 v[164:167], v2 offset:960
	v_mul_f64 v[186:187], v[194:195], v[186:187]
	v_fma_f64 v[254:255], v[192:193], v[184:185], -v[186:187]
	ds_read_b128 v[184:187], v2 offset:1040
	s_waitcnt vmcnt(16) lgkmcnt(2)
	v_mul_f64 v[170:171], v[160:161], v[50:51]
	v_fmac_f64_e32 v[170:171], v[162:163], v[48:49]
	s_waitcnt vmcnt(15) lgkmcnt(1)
	v_mul_f64 v[174:175], v[164:165], v[54:55]
	v_add_f64 v[172:173], v[168:169], v[170:171]
	ds_read_b128 v[168:171], v2 offset:976
	v_fmac_f64_e32 v[174:175], v[166:167], v[52:53]
	v_add_f64 v[176:177], v[172:173], v[174:175]
	ds_read_b128 v[172:175], v2 offset:992
	v_mul_f64 v[190:191], v[206:207], v[190:191]
	s_waitcnt vmcnt(14) lgkmcnt(1)
	v_mul_f64 v[178:179], v[168:169], v[58:59]
	v_fmac_f64_e32 v[178:179], v[170:171], v[56:57]
	v_add_f64 v[180:181], v[176:177], v[178:179]
	s_waitcnt vmcnt(13) lgkmcnt(0)
	v_mul_f64 v[182:183], v[172:173], v[62:63]
	ds_read_b128 v[176:179], v2 offset:1008
	v_fmac_f64_e32 v[182:183], v[174:175], v[60:61]
	v_add_f64 v[232:233], v[180:181], v[182:183]
	ds_read_b128 v[180:183], v2 offset:1024
	v_fma_f64 v[242:243], v[204:205], v[188:189], -v[190:191]
	s_waitcnt vmcnt(12) lgkmcnt(1)
	v_mul_f64 v[234:235], v[176:177], v[66:67]
	v_fmac_f64_e32 v[234:235], v[178:179], v[64:65]
	v_add_f64 v[232:233], v[232:233], v[234:235]
	s_waitcnt vmcnt(11) lgkmcnt(0)
	v_mul_f64 v[192:193], v[180:181], v[70:71]
	v_fmac_f64_e32 v[192:193], v[182:183], v[68:69]
	ds_read_b128 v[188:191], v2 offset:1056
	s_waitcnt vmcnt(10)
	v_mul_f64 v[194:195], v[184:185], v[74:75]
	v_add_f64 v[192:193], v[232:233], v[192:193]
	v_fmac_f64_e32 v[194:195], v[186:187], v[72:73]
	v_add_f64 v[204:205], v[192:193], v[194:195]
	ds_read_b128 v[192:195], v2 offset:1072
	v_mul_f64 v[198:199], v[218:219], v[198:199]
	v_fma_f64 v[244:245], v[216:217], v[196:197], -v[198:199]
	ds_read_b128 v[196:199], v2 offset:1088
	s_waitcnt vmcnt(9) lgkmcnt(2)
	v_mul_f64 v[206:207], v[188:189], v[78:79]
	v_fmac_f64_e32 v[206:207], v[190:191], v[76:77]
	v_add_f64 v[204:205], v[204:205], v[206:207]
	s_waitcnt vmcnt(8) lgkmcnt(1)
	v_mul_f64 v[206:207], v[192:193], v[82:83]
	v_fmac_f64_e32 v[206:207], v[194:195], v[80:81]
	v_mul_f64 v[202:203], v[226:227], v[202:203]
	v_add_f64 v[204:205], v[204:205], v[206:207]
	v_fma_f64 v[234:235], v[224:225], v[200:201], -v[202:203]
	ds_read_b128 v[200:203], v2 offset:1104
	s_waitcnt vmcnt(7) lgkmcnt(1)
	v_mul_f64 v[206:207], v[196:197], v[86:87]
	v_fmac_f64_e32 v[206:207], v[198:199], v[84:85]
	v_add_f64 v[216:217], v[204:205], v[206:207]
	ds_read_b128 v[204:207], v2 offset:1120
	v_mul_f64 v[210:211], v[230:231], v[210:211]
	v_fma_f64 v[236:237], v[228:229], v[208:209], -v[210:211]
	ds_read_b128 v[208:211], v2 offset:1136
	s_waitcnt vmcnt(6) lgkmcnt(2)
	v_mul_f64 v[218:219], v[200:201], v[90:91]
	v_fmac_f64_e32 v[218:219], v[202:203], v[88:89]
	v_add_f64 v[216:217], v[216:217], v[218:219]
	s_waitcnt vmcnt(5) lgkmcnt(1)
	v_mul_f64 v[218:219], v[204:205], v[94:95]
	v_fmac_f64_e32 v[218:219], v[206:207], v[92:93]
	v_mul_f64 v[214:215], v[248:249], v[214:215]
	v_fma_f64 v[238:239], v[246:247], v[212:213], -v[214:215]
	ds_read_b128 v[212:215], v2 offset:1152
	v_add_f64 v[216:217], v[216:217], v[218:219]
	s_waitcnt vmcnt(4) lgkmcnt(1)
	v_mul_f64 v[218:219], v[208:209], v[102:103]
	v_fmac_f64_e32 v[218:219], v[210:211], v[100:101]
	v_add_f64 v[224:225], v[216:217], v[218:219]
	ds_read_b128 v[216:219], v2 offset:1168
	v_mul_f64 v[222:223], v[252:253], v[222:223]
	v_fma_f64 v[246:247], v[250:251], v[220:221], -v[222:223]
	ds_read_b128 v[220:223], v2 offset:1184
	s_waitcnt vmcnt(3) lgkmcnt(2)
	v_mul_f64 v[226:227], v[212:213], v[98:99]
	v_fmac_f64_e32 v[226:227], v[214:215], v[96:97]
	v_add_f64 v[224:225], v[224:225], v[226:227]
	s_waitcnt vmcnt(2) lgkmcnt(1)
	v_mul_f64 v[226:227], v[216:217], v[106:107]
	v_fmac_f64_e32 v[226:227], v[218:219], v[104:105]
	v_add_f64 v[224:225], v[224:225], v[226:227]
	s_waitcnt vmcnt(1) lgkmcnt(0)
	v_mul_f64 v[226:227], v[220:221], v[114:115]
	v_fmac_f64_e32 v[226:227], v[222:223], v[112:113]
	v_add_f64 v[228:229], v[224:225], v[226:227]
	ds_read_b128 v[224:227], v2 offset:1200
	v_mul_f64 v[6:7], v[150:151], v[6:7]
	v_fma_f64 v[4:5], v[148:149], v[4:5], -v[6:7]
	v_mul_f64 v[6:7], v[146:147], v[10:11]
	v_fma_f64 v[6:7], v[144:145], v[8:9], -v[6:7]
	s_waitcnt vmcnt(0) lgkmcnt(0)
	v_mul_f64 v[230:231], v[224:225], v[130:131]
	v_fmac_f64_e32 v[230:231], v[226:227], v[128:129]
	v_add_f64 v[232:233], v[228:229], v[230:231]
	v_add_f64 v[228:229], v[254:255], 0
	;; [unrolled: 1-line block ×4, first 2 shown]
	scratch_load_dwordx4 v[228:231], off, off offset:48
	v_add_f64 v[234:235], v[248:249], v[234:235]
	v_add_f64 v[234:235], v[234:235], v[236:237]
	v_add_f64 v[234:235], v[234:235], v[238:239]
	v_add_f64 v[234:235], v[234:235], v[246:247]
	v_add_f64 v[4:5], v[234:235], v[4:5]
	v_add_f64 v[4:5], v[4:5], v[6:7]
	v_mul_f64 v[6:7], v[142:143], v[14:15]
	v_fma_f64 v[6:7], v[140:141], v[12:13], -v[6:7]
	v_add_f64 v[4:5], v[4:5], v[6:7]
	v_mul_f64 v[6:7], v[138:139], v[18:19]
	v_fma_f64 v[6:7], v[136:137], v[16:17], -v[6:7]
	v_add_f64 v[4:5], v[4:5], v[6:7]
	;; [unrolled: 3-line block ×26, first 2 shown]
	s_waitcnt vmcnt(0)
	v_add_f64 v[4:5], v[228:229], -v[4:5]
	v_add_f64 v[6:7], v[230:231], -v[232:233]
	scratch_store_dwordx4 off, v[4:7], off offset:48
	s_and_saveexec_b64 s[0:1], vcc
	s_cbranch_execz .LBB101_239
; %bb.238:
	scratch_load_dwordx4 v[6:9], off, s53
	v_mov_b32_e32 v3, v2
	v_mov_b32_e32 v4, v2
	;; [unrolled: 1-line block ×3, first 2 shown]
	scratch_store_dwordx4 off, v[2:5], off offset:32
	s_waitcnt vmcnt(1)
	ds_write_b128 v1, v[6:9]
.LBB101_239:
	s_or_b64 exec, exec, s[0:1]
	s_waitcnt lgkmcnt(0)
	; wave barrier
	scratch_load_dwordx4 v[140:143], off, off offset:48
	scratch_load_dwordx4 v[144:147], off, off offset:64
	scratch_load_dwordx4 v[148:151], off, off offset:80
	scratch_load_dwordx4 v[152:155], off, off offset:96
	scratch_load_dwordx4 v[156:159], off, off offset:112
	scratch_load_dwordx4 v[160:163], off, off offset:128
	scratch_load_dwordx4 v[164:167], off, off offset:144
	scratch_load_dwordx4 v[4:7], off, off offset:160
	scratch_load_dwordx4 v[8:11], off, off offset:176
	scratch_load_dwordx4 v[12:15], off, off offset:192
	scratch_load_dwordx4 v[16:19], off, off offset:208
	scratch_load_dwordx4 v[20:23], off, off offset:224
	scratch_load_dwordx4 v[24:27], off, off offset:240
	scratch_load_dwordx4 v[28:31], off, off offset:256
	scratch_load_dwordx4 v[32:35], off, off offset:272
	scratch_load_dwordx4 v[36:39], off, off offset:288
	ds_read_b128 v[208:211], v2 offset:640
	ds_read_b128 v[200:203], v2 offset:656
	;; [unrolled: 1-line block ×3, first 2 shown]
	scratch_load_dwordx4 v[40:43], off, off offset:304
	ds_read_b128 v[204:207], v2 offset:688
	ds_read_b128 v[192:195], v2 offset:704
	;; [unrolled: 1-line block ×3, first 2 shown]
	scratch_load_dwordx4 v[44:47], off, off offset:320
	ds_read_b128 v[196:199], v2 offset:736
	ds_read_b128 v[64:67], v2 offset:752
	;; [unrolled: 1-line block ×4, first 2 shown]
	scratch_load_dwordx4 v[48:51], off, off offset:336
	ds_read_b128 v[72:75], v2 offset:800
	ds_read_b128 v[68:71], v2 offset:816
	scratch_load_dwordx4 v[56:59], off, off offset:352
	ds_read_b128 v[92:95], v2 offset:832
	ds_read_b128 v[88:91], v2 offset:848
	;; [unrolled: 1-line block ×4, first 2 shown]
	scratch_load_dwordx4 v[76:79], off, off offset:368
	scratch_load_dwordx4 v[96:99], off, off offset:384
	;; [unrolled: 1-line block ×12, first 2 shown]
	ds_read_b128 v[168:171], v2 offset:896
	v_cmp_ne_u32_e32 vcc, 0, v0
	s_waitcnt vmcnt(31) lgkmcnt(14)
	v_mul_f64 v[172:173], v[208:209], v[142:143]
	s_waitcnt vmcnt(30)
	v_mul_f64 v[174:175], v[200:201], v[146:147]
	v_fmac_f64_e32 v[172:173], v[210:211], v[140:141]
	s_waitcnt vmcnt(29)
	v_mul_f64 v[176:177], v[188:189], v[150:151]
	v_fmac_f64_e32 v[174:175], v[202:203], v[144:145]
	v_add_f64 v[172:173], v[172:173], 0
	s_waitcnt vmcnt(28) lgkmcnt(13)
	v_mul_f64 v[178:179], v[204:205], v[154:155]
	v_fmac_f64_e32 v[176:177], v[190:191], v[148:149]
	v_add_f64 v[172:173], v[172:173], v[174:175]
	s_waitcnt vmcnt(27) lgkmcnt(12)
	;; [unrolled: 4-line block ×10, first 2 shown]
	v_mul_f64 v[224:225], v[92:93], v[26:27]
	v_fmac_f64_e32 v[222:223], v[70:71], v[20:21]
	v_add_f64 v[172:173], v[172:173], v[220:221]
	ds_read_b128 v[212:215], v2 offset:912
	s_waitcnt vmcnt(18) lgkmcnt(4)
	v_mul_f64 v[226:227], v[88:89], v[30:31]
	v_fmac_f64_e32 v[224:225], v[94:95], v[24:25]
	v_add_f64 v[172:173], v[172:173], v[222:223]
	ds_read_b128 v[216:219], v2 offset:928
	ds_read_b128 v[220:223], v2 offset:944
	s_waitcnt vmcnt(17) lgkmcnt(5)
	v_mul_f64 v[228:229], v[84:85], v[34:35]
	v_fmac_f64_e32 v[226:227], v[90:91], v[28:29]
	v_add_f64 v[172:173], v[172:173], v[224:225]
	s_waitcnt vmcnt(16) lgkmcnt(4)
	v_mul_f64 v[230:231], v[80:81], v[38:39]
	v_fmac_f64_e32 v[228:229], v[86:87], v[32:33]
	v_add_f64 v[172:173], v[172:173], v[226:227]
	v_add_f64 v[176:177], v[172:173], v[228:229]
	v_fmac_f64_e32 v[230:231], v[82:83], v[36:37]
	s_waitcnt vmcnt(15) lgkmcnt(3)
	v_mul_f64 v[178:179], v[168:169], v[42:43]
	v_add_f64 v[176:177], v[176:177], v[230:231]
	v_fmac_f64_e32 v[178:179], v[170:171], v[40:41]
	s_waitcnt vmcnt(14) lgkmcnt(2)
	v_mul_f64 v[182:183], v[212:213], v[46:47]
	;; [unrolled: 4-line block ×3, first 2 shown]
	v_add_f64 v[224:225], v[180:181], v[182:183]
	v_fmac_f64_e32 v[226:227], v[218:219], v[48:49]
	v_add_f64 v[228:229], v[224:225], v[226:227]
	ds_read_b128 v[224:227], v2 offset:960
	s_waitcnt vmcnt(12) lgkmcnt(1)
	v_mul_f64 v[230:231], v[220:221], v[58:59]
	v_fmac_f64_e32 v[230:231], v[222:223], v[56:57]
	v_add_f64 v[232:233], v[228:229], v[230:231]
	ds_read_b128 v[228:231], v2 offset:976
	s_waitcnt vmcnt(11) lgkmcnt(1)
	v_mul_f64 v[234:235], v[224:225], v[78:79]
	;; [unrolled: 5-line block ×4, first 2 shown]
	v_fmac_f64_e32 v[244:245], v[234:235], v[100:101]
	v_mul_f64 v[142:143], v[210:211], v[142:143]
	v_add_f64 v[242:243], v[242:243], v[244:245]
	v_fma_f64 v[244:245], v[208:209], v[140:141], -v[142:143]
	ds_read_b128 v[140:143], v2 offset:1024
	s_waitcnt vmcnt(8) lgkmcnt(1)
	v_mul_f64 v[208:209], v[236:237], v[106:107]
	v_fmac_f64_e32 v[208:209], v[238:239], v[104:105]
	v_mul_f64 v[146:147], v[202:203], v[146:147]
	v_add_f64 v[208:209], v[242:243], v[208:209]
	v_fma_f64 v[242:243], v[200:201], v[144:145], -v[146:147]
	ds_read_b128 v[144:147], v2 offset:1040
	s_waitcnt vmcnt(7) lgkmcnt(1)
	v_mul_f64 v[200:201], v[140:141], v[110:111]
	scratch_load_dwordx4 v[172:175], off, off offset:560
	v_fmac_f64_e32 v[200:201], v[142:143], v[108:109]
	v_add_f64 v[208:209], v[208:209], v[200:201]
	ds_read_b128 v[200:203], v2 offset:1056
	v_mul_f64 v[150:151], v[190:191], v[150:151]
	scratch_load_dwordx4 v[176:179], off, off offset:576
	scratch_load_dwordx4 v[180:183], off, off offset:592
	v_fma_f64 v[246:247], v[188:189], v[148:149], -v[150:151]
	ds_read_b128 v[148:151], v2 offset:1072
	s_waitcnt vmcnt(9) lgkmcnt(2)
	v_mul_f64 v[210:211], v[144:145], v[114:115]
	v_fmac_f64_e32 v[210:211], v[146:147], v[112:113]
	s_waitcnt vmcnt(8) lgkmcnt(1)
	v_mul_f64 v[188:189], v[200:201], v[118:119]
	v_add_f64 v[208:209], v[208:209], v[210:211]
	v_fmac_f64_e32 v[188:189], v[202:203], v[116:117]
	v_mul_f64 v[154:155], v[206:207], v[154:155]
	s_waitcnt vmcnt(7) lgkmcnt(0)
	v_mul_f64 v[190:191], v[148:149], v[122:123]
	v_add_f64 v[188:189], v[208:209], v[188:189]
	v_fma_f64 v[248:249], v[204:205], v[152:153], -v[154:155]
	ds_read_b128 v[152:155], v2 offset:1088
	v_fmac_f64_e32 v[190:191], v[150:151], v[120:121]
	v_add_f64 v[204:205], v[188:189], v[190:191]
	ds_read_b128 v[188:191], v2 offset:1104
	v_mul_f64 v[158:159], v[194:195], v[158:159]
	s_waitcnt vmcnt(6) lgkmcnt(1)
	v_mul_f64 v[206:207], v[152:153], v[126:127]
	v_fmac_f64_e32 v[206:207], v[154:155], v[124:125]
	v_fma_f64 v[250:251], v[192:193], v[156:157], -v[158:159]
	s_waitcnt vmcnt(5) lgkmcnt(0)
	v_mul_f64 v[192:193], v[188:189], v[130:131]
	v_add_f64 v[204:205], v[204:205], v[206:207]
	v_fmac_f64_e32 v[192:193], v[190:191], v[128:129]
	v_mul_f64 v[162:163], v[186:187], v[162:163]
	v_add_f64 v[244:245], v[244:245], 0
	v_fma_f64 v[208:209], v[184:185], v[160:161], -v[162:163]
	v_add_f64 v[184:185], v[204:205], v[192:193]
	scratch_load_dwordx4 v[204:207], off, off offset:608
	v_add_f64 v[242:243], v[244:245], v[242:243]
	v_add_f64 v[242:243], v[242:243], v[246:247]
	;; [unrolled: 1-line block ×4, first 2 shown]
	scratch_load_dwordx4 v[248:251], off, off offset:32
	v_mul_f64 v[166:167], v[198:199], v[166:167]
	v_fma_f64 v[210:211], v[196:197], v[164:165], -v[166:167]
	v_add_f64 v[208:209], v[246:247], v[208:209]
	v_mul_f64 v[6:7], v[66:67], v[6:7]
	v_add_f64 v[208:209], v[208:209], v[210:211]
	v_fma_f64 v[4:5], v[64:65], v[4:5], -v[6:7]
	v_mul_f64 v[6:7], v[62:63], v[10:11]
	v_add_f64 v[4:5], v[208:209], v[4:5]
	v_fma_f64 v[6:7], v[60:61], v[8:9], -v[6:7]
	v_add_f64 v[4:5], v[4:5], v[6:7]
	v_mul_f64 v[6:7], v[54:55], v[14:15]
	v_fma_f64 v[6:7], v[52:53], v[12:13], -v[6:7]
	v_add_f64 v[4:5], v[4:5], v[6:7]
	v_mul_f64 v[6:7], v[74:75], v[18:19]
	;; [unrolled: 3-line block ×12, first 2 shown]
	v_fma_f64 v[6:7], v[224:225], v[76:77], -v[6:7]
	ds_read_b128 v[156:159], v2 offset:1120
	ds_read_b128 v[160:163], v2 offset:1136
	v_add_f64 v[4:5], v[4:5], v[6:7]
	v_mul_f64 v[6:7], v[230:231], v[98:99]
	v_fma_f64 v[6:7], v[228:229], v[96:97], -v[6:7]
	v_add_f64 v[4:5], v[4:5], v[6:7]
	v_mul_f64 v[6:7], v[234:235], v[102:103]
	v_fma_f64 v[6:7], v[232:233], v[100:101], -v[6:7]
	v_add_f64 v[4:5], v[4:5], v[6:7]
	v_mul_f64 v[6:7], v[238:239], v[106:107]
	s_waitcnt vmcnt(6) lgkmcnt(1)
	v_mul_f64 v[186:187], v[156:157], v[138:139]
	v_fma_f64 v[6:7], v[236:237], v[104:105], -v[6:7]
	v_fmac_f64_e32 v[186:187], v[158:159], v[136:137]
	v_add_f64 v[4:5], v[4:5], v[6:7]
	v_mul_f64 v[6:7], v[142:143], v[110:111]
	v_add_f64 v[192:193], v[184:185], v[186:187]
	ds_read_b128 v[184:187], v2 offset:1152
	ds_read_b128 v[164:167], v2 offset:1168
	v_fma_f64 v[6:7], v[140:141], v[108:109], -v[6:7]
	v_add_f64 v[4:5], v[4:5], v[6:7]
	v_mul_f64 v[6:7], v[146:147], v[114:115]
	v_fma_f64 v[6:7], v[144:145], v[112:113], -v[6:7]
	s_waitcnt vmcnt(5) lgkmcnt(2)
	v_mul_f64 v[194:195], v[160:161], v[134:135]
	v_add_f64 v[4:5], v[4:5], v[6:7]
	v_mul_f64 v[6:7], v[202:203], v[118:119]
	v_fmac_f64_e32 v[194:195], v[162:163], v[132:133]
	v_fma_f64 v[6:7], v[200:201], v[116:117], -v[6:7]
	v_add_f64 v[192:193], v[192:193], v[194:195]
	s_waitcnt vmcnt(4) lgkmcnt(1)
	v_mul_f64 v[194:195], v[184:185], v[174:175]
	v_add_f64 v[4:5], v[4:5], v[6:7]
	v_mul_f64 v[6:7], v[150:151], v[122:123]
	v_fmac_f64_e32 v[194:195], v[186:187], v[172:173]
	v_fma_f64 v[6:7], v[148:149], v[120:121], -v[6:7]
	v_add_f64 v[192:193], v[192:193], v[194:195]
	;; [unrolled: 7-line block ×3, first 2 shown]
	ds_read_b128 v[192:195], v2 offset:1184
	v_add_f64 v[4:5], v[4:5], v[6:7]
	v_mul_f64 v[6:7], v[190:191], v[130:131]
	v_fma_f64 v[6:7], v[188:189], v[128:129], -v[6:7]
	v_add_f64 v[4:5], v[4:5], v[6:7]
	v_mul_f64 v[6:7], v[158:159], v[138:139]
	v_fma_f64 v[6:7], v[156:157], v[136:137], -v[6:7]
	v_add_f64 v[4:5], v[4:5], v[6:7]
	v_mul_f64 v[6:7], v[162:163], v[134:135]
	s_waitcnt vmcnt(2) lgkmcnt(0)
	v_mul_f64 v[198:199], v[192:193], v[182:183]
	v_fma_f64 v[6:7], v[160:161], v[132:133], -v[6:7]
	v_fmac_f64_e32 v[198:199], v[194:195], v[180:181]
	v_add_f64 v[4:5], v[4:5], v[6:7]
	v_mul_f64 v[6:7], v[186:187], v[174:175]
	v_add_f64 v[252:253], v[196:197], v[198:199]
	ds_read_b128 v[196:199], v2 offset:1200
	v_fma_f64 v[6:7], v[184:185], v[172:173], -v[6:7]
	v_add_f64 v[4:5], v[4:5], v[6:7]
	v_mul_f64 v[6:7], v[166:167], v[178:179]
	v_fma_f64 v[6:7], v[164:165], v[176:177], -v[6:7]
	v_add_f64 v[4:5], v[4:5], v[6:7]
	v_mul_f64 v[6:7], v[194:195], v[182:183]
	v_fma_f64 v[6:7], v[192:193], v[180:181], -v[6:7]
	s_waitcnt vmcnt(1) lgkmcnt(0)
	v_mul_f64 v[2:3], v[196:197], v[206:207]
	v_add_f64 v[4:5], v[4:5], v[6:7]
	v_mul_f64 v[6:7], v[198:199], v[206:207]
	v_fmac_f64_e32 v[2:3], v[198:199], v[204:205]
	v_fma_f64 v[6:7], v[196:197], v[204:205], -v[6:7]
	v_add_f64 v[2:3], v[252:253], v[2:3]
	v_add_f64 v[4:5], v[4:5], v[6:7]
	s_waitcnt vmcnt(0)
	v_add_f64 v[4:5], v[248:249], -v[4:5]
	v_add_f64 v[6:7], v[250:251], -v[2:3]
	scratch_store_dwordx4 off, v[4:7], off offset:32
	s_and_saveexec_b64 s[0:1], vcc
	s_cbranch_execz .LBB101_241
; %bb.240:
	scratch_load_dwordx4 v[2:5], off, off offset:16
	v_mov_b32_e32 v6, 0
	v_mov_b32_e32 v7, v6
	;; [unrolled: 1-line block ×4, first 2 shown]
	scratch_store_dwordx4 off, v[6:9], off offset:16
	s_waitcnt vmcnt(1)
	ds_write_b128 v1, v[2:5]
.LBB101_241:
	s_or_b64 exec, exec, s[0:1]
	s_waitcnt lgkmcnt(0)
	; wave barrier
	scratch_load_dwordx4 v[176:179], off, off offset:32
	scratch_load_dwordx4 v[180:183], off, off offset:48
	scratch_load_dwordx4 v[188:191], off, off offset:64
	scratch_load_dwordx4 v[192:195], off, off offset:80
	scratch_load_dwordx4 v[200:203], off, off offset:96
	scratch_load_dwordx4 v[204:207], off, off offset:112
	scratch_load_dwordx4 v[212:215], off, off offset:128
	scratch_load_dwordx4 v[216:219], off, off offset:144
	scratch_load_dwordx4 v[0:3], off, off offset:160
	scratch_load_dwordx4 v[4:7], off, off offset:176
	scratch_load_dwordx4 v[8:11], off, off offset:192
	scratch_load_dwordx4 v[12:15], off, off offset:208
	scratch_load_dwordx4 v[16:19], off, off offset:224
	scratch_load_dwordx4 v[20:23], off, off offset:240
	scratch_load_dwordx4 v[24:27], off, off offset:256
	scratch_load_dwordx4 v[28:31], off, off offset:272
	scratch_load_dwordx4 v[32:35], off, off offset:288
	scratch_load_dwordx4 v[36:39], off, off offset:304
	scratch_load_dwordx4 v[40:43], off, off offset:320
	scratch_load_dwordx4 v[44:47], off, off offset:336
	scratch_load_dwordx4 v[48:51], off, off offset:352
	scratch_load_dwordx4 v[52:55], off, off offset:368
	scratch_load_dwordx4 v[56:59], off, off offset:384
	scratch_load_dwordx4 v[60:63], off, off offset:400
	scratch_load_dwordx4 v[64:67], off, off offset:416
	scratch_load_dwordx4 v[68:71], off, off offset:432
	scratch_load_dwordx4 v[72:75], off, off offset:448
	scratch_load_dwordx4 v[76:79], off, off offset:464
	scratch_load_dwordx4 v[80:83], off, off offset:480
	scratch_load_dwordx4 v[84:87], off, off offset:496
	scratch_load_dwordx4 v[88:91], off, off offset:512
	scratch_load_dwordx4 v[92:95], off, off offset:528
	v_mov_b32_e32 v250, 0
	ds_read_b128 v[184:187], v250 offset:624
	ds_read_b128 v[196:199], v250 offset:640
	;; [unrolled: 1-line block ×17, first 2 shown]
	s_and_b64 vcc, exec, s[10:11]
	ds_read_b128 v[172:175], v250 offset:992
	s_waitcnt vmcnt(31) lgkmcnt(14)
	v_mul_f64 v[96:97], v[184:185], v[178:179]
	s_waitcnt vmcnt(30)
	v_mul_f64 v[98:99], v[196:197], v[182:183]
	v_fmac_f64_e32 v[96:97], v[186:187], v[176:177]
	s_waitcnt vmcnt(29)
	v_mul_f64 v[108:109], v[208:209], v[190:191]
	v_fmac_f64_e32 v[98:99], v[198:199], v[180:181]
	v_add_f64 v[96:97], v[96:97], 0
	s_waitcnt vmcnt(28)
	v_mul_f64 v[110:111], v[220:221], v[194:195]
	v_fmac_f64_e32 v[108:109], v[210:211], v[188:189]
	v_add_f64 v[96:97], v[96:97], v[98:99]
	s_waitcnt vmcnt(27) lgkmcnt(13)
	v_mul_f64 v[112:113], v[224:225], v[202:203]
	v_fmac_f64_e32 v[110:111], v[222:223], v[192:193]
	v_add_f64 v[96:97], v[96:97], v[108:109]
	s_waitcnt vmcnt(26) lgkmcnt(12)
	;; [unrolled: 4-line block ×8, first 2 shown]
	v_mul_f64 v[150:151], v[128:129], v[14:15]
	v_fmac_f64_e32 v[148:149], v[134:135], v[8:9]
	v_add_f64 v[96:97], v[96:97], v[146:147]
	v_fmac_f64_e32 v[150:151], v[130:131], v[12:13]
	v_add_f64 v[96:97], v[96:97], v[148:149]
	s_waitcnt vmcnt(19) lgkmcnt(5)
	v_mul_f64 v[152:153], v[120:121], v[18:19]
	v_add_f64 v[96:97], v[96:97], v[150:151]
	ds_read_b128 v[148:151], v250 offset:880
	ds_read_b128 v[144:147], v250 offset:896
	s_waitcnt vmcnt(18) lgkmcnt(6)
	v_mul_f64 v[154:155], v[116:117], v[22:23]
	v_fmac_f64_e32 v[152:153], v[122:123], v[16:17]
	s_waitcnt vmcnt(17) lgkmcnt(5)
	v_mul_f64 v[156:157], v[104:105], v[26:27]
	v_fmac_f64_e32 v[154:155], v[118:119], v[20:21]
	v_add_f64 v[96:97], v[96:97], v[152:153]
	v_fmac_f64_e32 v[156:157], v[106:107], v[24:25]
	v_add_f64 v[96:97], v[96:97], v[154:155]
	s_waitcnt vmcnt(16) lgkmcnt(4)
	v_mul_f64 v[158:159], v[100:101], v[30:31]
	v_add_f64 v[108:109], v[96:97], v[156:157]
	scratch_load_dwordx4 v[96:99], off, off offset:544
	ds_read_b128 v[152:155], v250 offset:912
	v_fmac_f64_e32 v[158:159], v[102:103], v[28:29]
	s_waitcnt vmcnt(16) lgkmcnt(2)
	v_mul_f64 v[110:111], v[148:149], v[34:35]
	v_add_f64 v[108:109], v[108:109], v[158:159]
	v_fmac_f64_e32 v[110:111], v[150:151], v[32:33]
	v_add_f64 v[112:113], v[108:109], v[110:111]
	s_waitcnt vmcnt(15) lgkmcnt(1)
	v_mul_f64 v[114:115], v[144:145], v[38:39]
	scratch_load_dwordx4 v[108:111], off, off offset:560
	v_fmac_f64_e32 v[114:115], v[146:147], v[36:37]
	v_add_f64 v[124:125], v[112:113], v[114:115]
	scratch_load_dwordx4 v[112:115], off, off offset:576
	ds_read_b128 v[156:159], v250 offset:928
	s_waitcnt vmcnt(16) lgkmcnt(1)
	v_mul_f64 v[126:127], v[152:153], v[42:43]
	v_fmac_f64_e32 v[126:127], v[154:155], v[40:41]
	v_add_f64 v[164:165], v[124:125], v[126:127]
	scratch_load_dwordx4 v[124:127], off, off offset:592
	s_waitcnt vmcnt(16) lgkmcnt(0)
	v_mul_f64 v[166:167], v[156:157], v[46:47]
	v_fmac_f64_e32 v[166:167], v[158:159], v[44:45]
	v_add_f64 v[168:169], v[164:165], v[166:167]
	ds_read_b128 v[164:167], v250 offset:960
	s_waitcnt vmcnt(15)
	v_mul_f64 v[170:171], v[160:161], v[50:51]
	v_fmac_f64_e32 v[170:171], v[162:163], v[48:49]
	v_add_f64 v[236:237], v[168:169], v[170:171]
	ds_read_b128 v[168:171], v250 offset:976
	v_mul_f64 v[178:179], v[186:187], v[178:179]
	v_fma_f64 v[242:243], v[184:185], v[176:177], -v[178:179]
	ds_read_b128 v[176:179], v250 offset:1008
	s_waitcnt vmcnt(14) lgkmcnt(2)
	v_mul_f64 v[238:239], v[164:165], v[54:55]
	v_fmac_f64_e32 v[238:239], v[166:167], v[52:53]
	v_add_f64 v[236:237], v[236:237], v[238:239]
	s_waitcnt vmcnt(13) lgkmcnt(1)
	v_mul_f64 v[238:239], v[168:169], v[58:59]
	v_fmac_f64_e32 v[238:239], v[170:171], v[56:57]
	s_waitcnt vmcnt(12)
	v_mul_f64 v[184:185], v[172:173], v[62:63]
	v_mul_f64 v[182:183], v[198:199], v[182:183]
	v_add_f64 v[236:237], v[236:237], v[238:239]
	v_fmac_f64_e32 v[184:185], v[174:175], v[60:61]
	v_fma_f64 v[244:245], v[196:197], v[180:181], -v[182:183]
	ds_read_b128 v[180:183], v250 offset:1024
	s_waitcnt vmcnt(11) lgkmcnt(1)
	v_mul_f64 v[186:187], v[176:177], v[66:67]
	v_add_f64 v[184:185], v[236:237], v[184:185]
	v_fmac_f64_e32 v[186:187], v[178:179], v[64:65]
	v_add_f64 v[196:197], v[184:185], v[186:187]
	ds_read_b128 v[184:187], v250 offset:1040
	v_mul_f64 v[190:191], v[210:211], v[190:191]
	v_fma_f64 v[252:253], v[208:209], v[188:189], -v[190:191]
	ds_read_b128 v[188:191], v250 offset:1056
	s_waitcnt vmcnt(10) lgkmcnt(2)
	v_mul_f64 v[198:199], v[180:181], v[70:71]
	v_fmac_f64_e32 v[198:199], v[182:183], v[68:69]
	v_add_f64 v[196:197], v[196:197], v[198:199]
	s_waitcnt vmcnt(9) lgkmcnt(1)
	v_mul_f64 v[198:199], v[184:185], v[74:75]
	v_fmac_f64_e32 v[198:199], v[186:187], v[72:73]
	v_mul_f64 v[194:195], v[222:223], v[194:195]
	v_add_f64 v[196:197], v[196:197], v[198:199]
	v_fma_f64 v[254:255], v[220:221], v[192:193], -v[194:195]
	ds_read_b128 v[192:195], v250 offset:1072
	s_waitcnt vmcnt(8) lgkmcnt(1)
	v_mul_f64 v[198:199], v[188:189], v[78:79]
	v_fmac_f64_e32 v[198:199], v[190:191], v[76:77]
	v_add_f64 v[208:209], v[196:197], v[198:199]
	ds_read_b128 v[196:199], v250 offset:1088
	v_mul_f64 v[202:203], v[226:227], v[202:203]
	v_fma_f64 v[240:241], v[224:225], v[200:201], -v[202:203]
	ds_read_b128 v[200:203], v250 offset:1104
	s_waitcnt vmcnt(7) lgkmcnt(2)
	v_mul_f64 v[210:211], v[192:193], v[82:83]
	v_fmac_f64_e32 v[210:211], v[194:195], v[80:81]
	v_add_f64 v[208:209], v[208:209], v[210:211]
	s_waitcnt vmcnt(6) lgkmcnt(1)
	v_mul_f64 v[210:211], v[196:197], v[86:87]
	v_accvgpr_write_b32 a79, v3
	v_fmac_f64_e32 v[210:211], v[198:199], v[84:85]
	v_mul_f64 v[206:207], v[230:231], v[206:207]
	v_accvgpr_write_b32 a78, v2
	v_accvgpr_write_b32 a77, v1
	;; [unrolled: 1-line block ×3, first 2 shown]
	v_fma_f64 v[0:1], v[228:229], v[204:205], -v[206:207]
	ds_read_b128 v[204:207], v250 offset:1120
	v_add_f64 v[2:3], v[208:209], v[210:211]
	s_waitcnt vmcnt(5) lgkmcnt(1)
	v_mul_f64 v[208:209], v[200:201], v[90:91]
	v_fmac_f64_e32 v[208:209], v[202:203], v[88:89]
	v_add_f64 v[2:3], v[2:3], v[208:209]
	ds_read_b128 v[208:211], v250 offset:1136
	v_mul_f64 v[214:215], v[234:235], v[214:215]
	s_waitcnt vmcnt(4) lgkmcnt(1)
	v_mul_f64 v[220:221], v[204:205], v[94:95]
	v_fma_f64 v[238:239], v[232:233], v[212:213], -v[214:215]
	ds_read_b128 v[212:215], v250 offset:1152
	v_fmac_f64_e32 v[220:221], v[206:207], v[92:93]
	v_mul_f64 v[218:219], v[248:249], v[218:219]
	v_add_f64 v[2:3], v[2:3], v[220:221]
	s_waitcnt vmcnt(3) lgkmcnt(1)
	v_mul_f64 v[220:221], v[208:209], v[98:99]
	v_fma_f64 v[246:247], v[246:247], v[216:217], -v[218:219]
	ds_read_b128 v[216:219], v250 offset:1168
	v_fmac_f64_e32 v[220:221], v[210:211], v[96:97]
	v_add_f64 v[2:3], v[2:3], v[220:221]
	ds_read_b128 v[220:223], v250 offset:1184
	s_waitcnt vmcnt(2) lgkmcnt(2)
	v_mul_f64 v[224:225], v[212:213], v[110:111]
	v_fmac_f64_e32 v[224:225], v[214:215], v[108:109]
	v_add_f64 v[2:3], v[2:3], v[224:225]
	s_waitcnt vmcnt(1) lgkmcnt(1)
	v_mul_f64 v[224:225], v[216:217], v[114:115]
	v_fmac_f64_e32 v[224:225], v[218:219], v[112:113]
	v_add_f64 v[2:3], v[2:3], v[224:225]
	;; [unrolled: 4-line block ×3, first 2 shown]
	scratch_load_dwordx4 v[224:227], off, off offset:608
	ds_read_b128 v[228:231], v250 offset:1200
	s_waitcnt vmcnt(0) lgkmcnt(0)
	v_mul_f64 v[232:233], v[228:229], v[226:227]
	v_fmac_f64_e32 v[232:233], v[230:231], v[224:225]
	v_add_f64 v[236:237], v[2:3], v[232:233]
	scratch_load_dwordx4 v[232:235], off, off offset:16
	v_add_f64 v[2:3], v[242:243], 0
	v_add_f64 v[2:3], v[2:3], v[244:245]
	;; [unrolled: 1-line block ×7, first 2 shown]
	v_accvgpr_read_b32 v241, a79
	v_accvgpr_read_b32 v240, a78
	;; [unrolled: 1-line block ×4, first 2 shown]
	v_mul_f64 v[2:3], v[142:143], v[240:241]
	v_add_f64 v[0:1], v[0:1], v[246:247]
	v_fma_f64 v[2:3], v[140:141], v[238:239], -v[2:3]
	v_add_f64 v[0:1], v[0:1], v[2:3]
	v_mul_f64 v[2:3], v[138:139], v[6:7]
	v_fma_f64 v[2:3], v[136:137], v[4:5], -v[2:3]
	v_add_f64 v[0:1], v[0:1], v[2:3]
	v_mul_f64 v[2:3], v[134:135], v[10:11]
	;; [unrolled: 3-line block ×28, first 2 shown]
	v_fma_f64 v[2:3], v[228:229], v[224:225], -v[2:3]
	v_add_f64 v[0:1], v[0:1], v[2:3]
	s_waitcnt vmcnt(0)
	v_add_f64 v[0:1], v[232:233], -v[0:1]
	v_add_f64 v[2:3], v[234:235], -v[236:237]
	scratch_store_dwordx4 off, v[0:3], off offset:16
	s_cbranch_vccz .LBB101_316
; %bb.242:
	global_load_dword v0, v250, s[8:9] offset:144
	s_waitcnt vmcnt(0)
	v_readfirstlane_b32 s0, v0
	s_add_i32 s0, s0, -1
	s_cmp_lg_u32 s0, 36
	s_cbranch_scc0 .LBB101_244
; %bb.243:
	s_lshl_b32 s0, s0, 4
	s_add_i32 s0, s0, 16
	scratch_load_dwordx4 v[0:3], off, s0
	scratch_load_dwordx4 v[4:7], off, s17
	s_waitcnt vmcnt(1)
	scratch_store_dwordx4 off, v[0:3], s17
	s_waitcnt vmcnt(1)
	scratch_store_dwordx4 off, v[4:7], s0
.LBB101_244:
	v_mov_b32_e32 v0, 0
	global_load_dword v1, v0, s[8:9] offset:140
	s_waitcnt vmcnt(0)
	v_readfirstlane_b32 s0, v1
	s_add_i32 s0, s0, -1
	s_cmp_eq_u32 s0, 35
	s_cbranch_scc1 .LBB101_246
; %bb.245:
	s_lshl_b32 s0, s0, 4
	s_add_i32 s0, s0, 16
	scratch_load_dwordx4 v[2:5], off, s0
	scratch_load_dwordx4 v[6:9], off, s18
	s_waitcnt vmcnt(1)
	scratch_store_dwordx4 off, v[2:5], s18
	s_waitcnt vmcnt(1)
	scratch_store_dwordx4 off, v[6:9], s0
.LBB101_246:
	global_load_dword v0, v0, s[8:9] offset:136
	s_waitcnt vmcnt(0)
	v_readfirstlane_b32 s0, v0
	s_add_i32 s0, s0, -1
	s_cmp_eq_u32 s0, 34
	s_cbranch_scc1 .LBB101_248
; %bb.247:
	s_lshl_b32 s0, s0, 4
	s_add_i32 s0, s0, 16
	scratch_load_dwordx4 v[0:3], off, s0
	scratch_load_dwordx4 v[4:7], off, s19
	s_waitcnt vmcnt(1)
	scratch_store_dwordx4 off, v[0:3], s19
	s_waitcnt vmcnt(1)
	scratch_store_dwordx4 off, v[4:7], s0
.LBB101_248:
	v_mov_b32_e32 v0, 0
	global_load_dword v1, v0, s[8:9] offset:132
	s_waitcnt vmcnt(0)
	v_readfirstlane_b32 s0, v1
	s_add_i32 s0, s0, -1
	s_cmp_eq_u32 s0, 33
	s_cbranch_scc1 .LBB101_250
; %bb.249:
	s_lshl_b32 s0, s0, 4
	s_add_i32 s0, s0, 16
	scratch_load_dwordx4 v[2:5], off, s0
	scratch_load_dwordx4 v[6:9], off, s20
	s_waitcnt vmcnt(1)
	scratch_store_dwordx4 off, v[2:5], s20
	s_waitcnt vmcnt(1)
	scratch_store_dwordx4 off, v[6:9], s0
.LBB101_250:
	global_load_dword v0, v0, s[8:9] offset:128
	s_waitcnt vmcnt(0)
	v_readfirstlane_b32 s0, v0
	s_add_i32 s0, s0, -1
	s_cmp_eq_u32 s0, 32
	s_cbranch_scc1 .LBB101_252
; %bb.251:
	s_lshl_b32 s0, s0, 4
	s_add_i32 s0, s0, 16
	scratch_load_dwordx4 v[0:3], off, s0
	scratch_load_dwordx4 v[4:7], off, s21
	s_waitcnt vmcnt(1)
	scratch_store_dwordx4 off, v[0:3], s21
	s_waitcnt vmcnt(1)
	scratch_store_dwordx4 off, v[4:7], s0
.LBB101_252:
	;; [unrolled: 33-line block ×17, first 2 shown]
	v_mov_b32_e32 v0, 0
	global_load_dword v1, v0, s[8:9] offset:4
	s_waitcnt vmcnt(0)
	v_readfirstlane_b32 s0, v1
	s_add_i32 s0, s0, -1
	s_cmp_eq_u32 s0, 1
	s_cbranch_scc1 .LBB101_314
; %bb.313:
	s_lshl_b32 s0, s0, 4
	s_add_i32 s0, s0, 16
	scratch_load_dwordx4 v[2:5], off, s0
	scratch_load_dwordx4 v[6:9], off, s53
	s_waitcnt vmcnt(1)
	scratch_store_dwordx4 off, v[2:5], s53
	s_waitcnt vmcnt(1)
	scratch_store_dwordx4 off, v[6:9], s0
.LBB101_314:
	global_load_dword v0, v0, s[8:9]
	s_waitcnt vmcnt(0)
	v_readfirstlane_b32 s0, v0
	s_add_i32 s0, s0, -1
	s_cmp_eq_u32 s0, 0
	s_cbranch_scc1 .LBB101_316
; %bb.315:
	s_lshl_b32 s0, s0, 4
	s_add_i32 s0, s0, 16
	scratch_load_dwordx4 v[0:3], off, s0
	scratch_load_dwordx4 v[4:7], off, off offset:16
	s_waitcnt vmcnt(1)
	scratch_store_dwordx4 off, v[0:3], off offset:16
	s_waitcnt vmcnt(1)
	scratch_store_dwordx4 off, v[4:7], s0
.LBB101_316:
	scratch_load_dwordx4 v[0:3], off, off offset:16
	s_nop 0
	v_accvgpr_read_b32 v5, a1
	v_accvgpr_read_b32 v4, a0
	s_waitcnt vmcnt(0)
	flat_store_dwordx4 v[4:5], v[0:3]
	scratch_load_dwordx4 v[0:3], off, s53
	v_accvgpr_read_b32 v5, a3
	v_accvgpr_read_b32 v4, a2
	s_waitcnt vmcnt(0)
	flat_store_dwordx4 v[4:5], v[0:3]
	scratch_load_dwordx4 v[0:3], off, s52
	;; [unrolled: 5-line block ×37, first 2 shown]
	v_accvgpr_read_b32 v4, a74
	v_accvgpr_read_b32 v5, a75
	s_waitcnt vmcnt(0)
	flat_store_dwordx4 v[4:5], v[0:3]
	s_endpgm
	.section	.rodata,"a",@progbits
	.p2align	6, 0x0
	.amdhsa_kernel _ZN9rocsolver6v33100L18getri_kernel_smallILi38E19rocblas_complex_numIdEPKPS3_EEvT1_iilPiilS8_bb
		.amdhsa_group_segment_fixed_size 1224
		.amdhsa_private_segment_fixed_size 640
		.amdhsa_kernarg_size 60
		.amdhsa_user_sgpr_count 2
		.amdhsa_user_sgpr_dispatch_ptr 0
		.amdhsa_user_sgpr_queue_ptr 0
		.amdhsa_user_sgpr_kernarg_segment_ptr 1
		.amdhsa_user_sgpr_dispatch_id 0
		.amdhsa_user_sgpr_kernarg_preload_length 0
		.amdhsa_user_sgpr_kernarg_preload_offset 0
		.amdhsa_user_sgpr_private_segment_size 0
		.amdhsa_uses_dynamic_stack 0
		.amdhsa_enable_private_segment 1
		.amdhsa_system_sgpr_workgroup_id_x 1
		.amdhsa_system_sgpr_workgroup_id_y 0
		.amdhsa_system_sgpr_workgroup_id_z 0
		.amdhsa_system_sgpr_workgroup_info 0
		.amdhsa_system_vgpr_workitem_id 0
		.amdhsa_next_free_vgpr 336
		.amdhsa_next_free_sgpr 67
		.amdhsa_accum_offset 256
		.amdhsa_reserve_vcc 1
		.amdhsa_float_round_mode_32 0
		.amdhsa_float_round_mode_16_64 0
		.amdhsa_float_denorm_mode_32 3
		.amdhsa_float_denorm_mode_16_64 3
		.amdhsa_dx10_clamp 1
		.amdhsa_ieee_mode 1
		.amdhsa_fp16_overflow 0
		.amdhsa_tg_split 0
		.amdhsa_exception_fp_ieee_invalid_op 0
		.amdhsa_exception_fp_denorm_src 0
		.amdhsa_exception_fp_ieee_div_zero 0
		.amdhsa_exception_fp_ieee_overflow 0
		.amdhsa_exception_fp_ieee_underflow 0
		.amdhsa_exception_fp_ieee_inexact 0
		.amdhsa_exception_int_div_zero 0
	.end_amdhsa_kernel
	.section	.text._ZN9rocsolver6v33100L18getri_kernel_smallILi38E19rocblas_complex_numIdEPKPS3_EEvT1_iilPiilS8_bb,"axG",@progbits,_ZN9rocsolver6v33100L18getri_kernel_smallILi38E19rocblas_complex_numIdEPKPS3_EEvT1_iilPiilS8_bb,comdat
.Lfunc_end101:
	.size	_ZN9rocsolver6v33100L18getri_kernel_smallILi38E19rocblas_complex_numIdEPKPS3_EEvT1_iilPiilS8_bb, .Lfunc_end101-_ZN9rocsolver6v33100L18getri_kernel_smallILi38E19rocblas_complex_numIdEPKPS3_EEvT1_iilPiilS8_bb
                                        ; -- End function
	.set _ZN9rocsolver6v33100L18getri_kernel_smallILi38E19rocblas_complex_numIdEPKPS3_EEvT1_iilPiilS8_bb.num_vgpr, 256
	.set _ZN9rocsolver6v33100L18getri_kernel_smallILi38E19rocblas_complex_numIdEPKPS3_EEvT1_iilPiilS8_bb.num_agpr, 80
	.set _ZN9rocsolver6v33100L18getri_kernel_smallILi38E19rocblas_complex_numIdEPKPS3_EEvT1_iilPiilS8_bb.numbered_sgpr, 67
	.set _ZN9rocsolver6v33100L18getri_kernel_smallILi38E19rocblas_complex_numIdEPKPS3_EEvT1_iilPiilS8_bb.num_named_barrier, 0
	.set _ZN9rocsolver6v33100L18getri_kernel_smallILi38E19rocblas_complex_numIdEPKPS3_EEvT1_iilPiilS8_bb.private_seg_size, 640
	.set _ZN9rocsolver6v33100L18getri_kernel_smallILi38E19rocblas_complex_numIdEPKPS3_EEvT1_iilPiilS8_bb.uses_vcc, 1
	.set _ZN9rocsolver6v33100L18getri_kernel_smallILi38E19rocblas_complex_numIdEPKPS3_EEvT1_iilPiilS8_bb.uses_flat_scratch, 0
	.set _ZN9rocsolver6v33100L18getri_kernel_smallILi38E19rocblas_complex_numIdEPKPS3_EEvT1_iilPiilS8_bb.has_dyn_sized_stack, 0
	.set _ZN9rocsolver6v33100L18getri_kernel_smallILi38E19rocblas_complex_numIdEPKPS3_EEvT1_iilPiilS8_bb.has_recursion, 0
	.set _ZN9rocsolver6v33100L18getri_kernel_smallILi38E19rocblas_complex_numIdEPKPS3_EEvT1_iilPiilS8_bb.has_indirect_call, 0
	.section	.AMDGPU.csdata,"",@progbits
; Kernel info:
; codeLenInByte = 64196
; TotalNumSgprs: 73
; NumVgprs: 256
; NumAgprs: 80
; TotalNumVgprs: 336
; ScratchSize: 640
; MemoryBound: 0
; FloatMode: 240
; IeeeMode: 1
; LDSByteSize: 1224 bytes/workgroup (compile time only)
; SGPRBlocks: 9
; VGPRBlocks: 41
; NumSGPRsForWavesPerEU: 73
; NumVGPRsForWavesPerEU: 336
; AccumOffset: 256
; Occupancy: 1
; WaveLimiterHint : 1
; COMPUTE_PGM_RSRC2:SCRATCH_EN: 1
; COMPUTE_PGM_RSRC2:USER_SGPR: 2
; COMPUTE_PGM_RSRC2:TRAP_HANDLER: 0
; COMPUTE_PGM_RSRC2:TGID_X_EN: 1
; COMPUTE_PGM_RSRC2:TGID_Y_EN: 0
; COMPUTE_PGM_RSRC2:TGID_Z_EN: 0
; COMPUTE_PGM_RSRC2:TIDIG_COMP_CNT: 0
; COMPUTE_PGM_RSRC3_GFX90A:ACCUM_OFFSET: 63
; COMPUTE_PGM_RSRC3_GFX90A:TG_SPLIT: 0
	.section	.text._ZN9rocsolver6v33100L18getri_kernel_smallILi39E19rocblas_complex_numIdEPKPS3_EEvT1_iilPiilS8_bb,"axG",@progbits,_ZN9rocsolver6v33100L18getri_kernel_smallILi39E19rocblas_complex_numIdEPKPS3_EEvT1_iilPiilS8_bb,comdat
	.globl	_ZN9rocsolver6v33100L18getri_kernel_smallILi39E19rocblas_complex_numIdEPKPS3_EEvT1_iilPiilS8_bb ; -- Begin function _ZN9rocsolver6v33100L18getri_kernel_smallILi39E19rocblas_complex_numIdEPKPS3_EEvT1_iilPiilS8_bb
	.p2align	8
	.type	_ZN9rocsolver6v33100L18getri_kernel_smallILi39E19rocblas_complex_numIdEPKPS3_EEvT1_iilPiilS8_bb,@function
_ZN9rocsolver6v33100L18getri_kernel_smallILi39E19rocblas_complex_numIdEPKPS3_EEvT1_iilPiilS8_bb: ; @_ZN9rocsolver6v33100L18getri_kernel_smallILi39E19rocblas_complex_numIdEPKPS3_EEvT1_iilPiilS8_bb
; %bb.0:
	v_cmp_gt_u32_e32 vcc, 39, v0
	s_and_saveexec_b64 s[4:5], vcc
	s_cbranch_execz .LBB102_170
; %bb.1:
	s_load_dword s14, s[0:1], 0x38
	s_load_dwordx2 s[8:9], s[0:1], 0x0
	s_load_dwordx4 s[4:7], s[0:1], 0x28
	s_waitcnt lgkmcnt(0)
	s_bitcmp1_b32 s14, 8
	s_cselect_b64 s[10:11], -1, 0
	s_ashr_i32 s3, s2, 31
	s_lshl_b64 s[12:13], s[2:3], 3
	s_add_u32 s8, s8, s12
	s_addc_u32 s9, s9, s13
	s_load_dwordx2 s[12:13], s[8:9], 0x0
	s_bfe_u32 s8, s14, 0x10008
	s_cmp_eq_u32 s8, 0
                                        ; implicit-def: $sgpr8_sgpr9
	s_cbranch_scc1 .LBB102_3
; %bb.2:
	s_load_dword s8, s[0:1], 0x20
	s_load_dwordx2 s[14:15], s[0:1], 0x18
	s_mul_i32 s9, s4, s3
	s_mul_hi_u32 s16, s4, s2
	s_add_i32 s16, s16, s9
	s_mul_i32 s5, s5, s2
	s_add_i32 s5, s16, s5
	s_mul_i32 s4, s4, s2
	s_waitcnt lgkmcnt(0)
	s_ashr_i32 s9, s8, 31
	s_lshl_b64 s[4:5], s[4:5], 2
	s_add_u32 s14, s14, s4
	s_addc_u32 s15, s15, s5
	s_lshl_b64 s[4:5], s[8:9], 2
	s_add_u32 s8, s14, s4
	s_addc_u32 s9, s15, s5
.LBB102_3:
	s_load_dwordx2 s[4:5], s[0:1], 0x8
	s_load_dword s14, s[0:1], 0x38
	v_lshlrev_b32_e32 v14, 4, v0
	v_mov_b32_e32 v15, 0
	s_movk_i32 s15, 0xb0
	s_waitcnt lgkmcnt(0)
	s_ashr_i32 s1, s4, 31
	s_mov_b32 s0, s4
	s_lshl_b64 s[0:1], s[0:1], 4
	s_add_u32 s0, s12, s0
	s_addc_u32 s1, s13, s1
	v_lshl_add_u64 v[6:7], s[0:1], 0, v[14:15]
	flat_load_dwordx4 v[2:5], v[6:7]
	s_mov_b32 s12, s5
	s_ashr_i32 s13, s5, 31
	v_accvgpr_write_b32 a0, v6
	v_accvgpr_write_b32 a1, v7
	v_lshl_add_u64 v[6:7], s[12:13], 4, v[6:7]
	v_accvgpr_write_b32 a2, v6
	s_add_i32 s4, s5, s5
	v_accvgpr_write_b32 a3, v7
	s_movk_i32 s12, 0x90
	s_movk_i32 s13, 0xa0
	;; [unrolled: 1-line block ×29, first 2 shown]
	s_add_i32 s46, s12, 16
	s_add_i32 s45, s13, 16
	;; [unrolled: 1-line block ×30, first 2 shown]
	s_mov_b32 s54, 32
	s_mov_b32 s53, 48
	;; [unrolled: 1-line block ×3, first 2 shown]
	s_movk_i32 s51, 0x50
	s_waitcnt vmcnt(0) lgkmcnt(0)
	scratch_store_dwordx4 off, v[2:5], off offset:16
	flat_load_dwordx4 v[2:5], v[6:7]
	v_add_u32_e32 v6, s4, v0
	v_ashrrev_i32_e32 v7, 31, v6
	v_lshl_add_u64 v[8:9], v[6:7], 4, s[0:1]
	v_add_u32_e32 v6, s5, v6
	v_accvgpr_write_b32 a4, v8
	v_ashrrev_i32_e32 v7, 31, v6
	v_accvgpr_write_b32 a5, v9
	s_movk_i32 s4, 0x70
	s_add_i32 s48, s4, 16
	s_waitcnt vmcnt(0) lgkmcnt(0)
	scratch_store_dwordx4 off, v[2:5], off offset:32
	flat_load_dwordx4 v[2:5], v[8:9]
	v_lshl_add_u64 v[8:9], v[6:7], 4, s[0:1]
	v_add_u32_e32 v6, s5, v6
	v_accvgpr_write_b32 a6, v8
	v_ashrrev_i32_e32 v7, 31, v6
	v_accvgpr_write_b32 a7, v9
	s_waitcnt vmcnt(0) lgkmcnt(0)
	scratch_store_dwordx4 off, v[2:5], off offset:48
	flat_load_dwordx4 v[2:5], v[8:9]
	v_lshl_add_u64 v[8:9], v[6:7], 4, s[0:1]
	v_add_u32_e32 v6, s5, v6
	v_accvgpr_write_b32 a8, v8
	v_ashrrev_i32_e32 v7, 31, v6
	v_accvgpr_write_b32 a9, v9
	;; [unrolled: 8-line block ×34, first 2 shown]
	s_waitcnt vmcnt(0) lgkmcnt(0)
	scratch_store_dwordx4 off, v[2:5], off offset:576
	flat_load_dwordx4 v[2:5], v[8:9]
	v_lshl_add_u64 v[8:9], v[6:7], 4, s[0:1]
	v_add_u32_e32 v6, s5, v6
	v_ashrrev_i32_e32 v7, 31, v6
	v_lshl_add_u64 v[6:7], v[6:7], 4, s[0:1]
	s_movk_i32 s0, 0x50
	s_movk_i32 s1, 0x60
	;; [unrolled: 1-line block ×3, first 2 shown]
	v_accvgpr_write_b32 a75, v9
	v_accvgpr_write_b32 a77, v7
	s_add_i32 s50, s0, 16
	s_add_i32 s49, s1, 16
	;; [unrolled: 1-line block ×3, first 2 shown]
	v_accvgpr_write_b32 a74, v8
	v_accvgpr_write_b32 a76, v6
	s_bitcmp0_b32 s14, 0
	s_mov_b64 s[4:5], -1
	s_waitcnt vmcnt(0) lgkmcnt(0)
	scratch_store_dwordx4 off, v[2:5], off offset:592
	flat_load_dwordx4 v[2:5], v[8:9]
	s_waitcnt vmcnt(0) lgkmcnt(0)
	scratch_store_dwordx4 off, v[2:5], off offset:608
	flat_load_dwordx4 v[2:5], v[6:7]
	s_waitcnt vmcnt(0) lgkmcnt(0)
	scratch_store_dwordx4 off, v[2:5], off offset:624
	s_cbranch_scc1 .LBB102_168
; %bb.4:
	v_cmp_eq_u32_e64 s[0:1], 0, v0
	s_and_saveexec_b64 s[4:5], s[0:1]
; %bb.5:
	v_mov_b32_e32 v1, 0
	ds_write_b32 v1, v1 offset:1248
; %bb.6:
	s_or_b64 exec, exec, s[4:5]
	s_waitcnt lgkmcnt(0)
	; wave barrier
	scratch_load_dwordx4 v[2:5], v14, off offset:16
	s_waitcnt vmcnt(0)
	v_cmp_eq_f64_e32 vcc, 0, v[2:3]
	v_cmp_eq_f64_e64 s[4:5], 0, v[4:5]
	s_and_b64 s[4:5], vcc, s[4:5]
	s_and_saveexec_b64 s[12:13], s[4:5]
	s_cbranch_execz .LBB102_10
; %bb.7:
	v_mov_b32_e32 v1, 0
	ds_read_b32 v3, v1 offset:1248
	v_add_u32_e32 v2, 1, v0
	s_waitcnt lgkmcnt(0)
	v_readfirstlane_b32 s4, v3
	s_cmp_eq_u32 s4, 0
	s_cselect_b64 s[14:15], -1, 0
	v_cmp_gt_i32_e32 vcc, s4, v2
	s_or_b64 s[14:15], s[14:15], vcc
	s_and_b64 exec, exec, s[14:15]
	s_cbranch_execz .LBB102_10
; %bb.8:
	s_mov_b64 s[14:15], 0
	v_mov_b32_e32 v3, s4
.LBB102_9:                              ; =>This Inner Loop Header: Depth=1
	ds_cmpst_rtn_b32 v3, v1, v3, v2 offset:1248
	s_waitcnt lgkmcnt(0)
	v_cmp_ne_u32_e32 vcc, 0, v3
	v_cmp_le_i32_e64 s[4:5], v3, v2
	s_and_b64 s[4:5], vcc, s[4:5]
	s_and_b64 s[4:5], exec, s[4:5]
	s_or_b64 s[14:15], s[4:5], s[14:15]
	s_andn2_b64 exec, exec, s[14:15]
	s_cbranch_execnz .LBB102_9
.LBB102_10:
	s_or_b64 exec, exec, s[12:13]
	v_mov_b32_e32 v2, 0
	; wave barrier
	ds_read_b32 v1, v2 offset:1248
	s_and_saveexec_b64 s[4:5], s[0:1]
	s_cbranch_execz .LBB102_12
; %bb.11:
	s_lshl_b64 s[12:13], s[2:3], 2
	s_add_u32 s12, s6, s12
	s_addc_u32 s13, s7, s13
	s_waitcnt lgkmcnt(0)
	global_store_dword v2, v1, s[12:13]
.LBB102_12:
	s_or_b64 exec, exec, s[4:5]
	s_waitcnt lgkmcnt(0)
	v_cmp_ne_u32_e32 vcc, 0, v1
	s_mov_b64 s[4:5], 0
	s_cbranch_vccnz .LBB102_168
; %bb.13:
	v_add_u32_e32 v15, 16, v14
	scratch_load_dwordx4 v[2:5], v15, off
                                        ; implicit-def: $vgpr6_vgpr7
                                        ; implicit-def: $vgpr10_vgpr11
	s_waitcnt vmcnt(0)
	v_cmp_ngt_f64_e64 s[4:5], |v[2:3]|, |v[4:5]|
	s_and_saveexec_b64 s[12:13], s[4:5]
	s_xor_b64 s[4:5], exec, s[12:13]
	s_cbranch_execz .LBB102_15
; %bb.14:
	v_div_scale_f64 v[6:7], s[12:13], v[4:5], v[4:5], v[2:3]
	v_rcp_f64_e32 v[8:9], v[6:7]
	v_div_scale_f64 v[10:11], vcc, v[2:3], v[4:5], v[2:3]
	v_fma_f64 v[12:13], -v[6:7], v[8:9], 1.0
	v_fmac_f64_e32 v[8:9], v[8:9], v[12:13]
	v_fma_f64 v[12:13], -v[6:7], v[8:9], 1.0
	v_fmac_f64_e32 v[8:9], v[8:9], v[12:13]
	v_mul_f64 v[12:13], v[10:11], v[8:9]
	v_fma_f64 v[6:7], -v[6:7], v[12:13], v[10:11]
	v_div_fmas_f64 v[6:7], v[6:7], v[8:9], v[12:13]
	v_div_fixup_f64 v[6:7], v[6:7], v[4:5], v[2:3]
	v_fmac_f64_e32 v[4:5], v[2:3], v[6:7]
	v_div_scale_f64 v[2:3], s[12:13], v[4:5], v[4:5], 1.0
	v_rcp_f64_e32 v[8:9], v[2:3]
	s_nop 0
	v_fma_f64 v[10:11], -v[2:3], v[8:9], 1.0
	v_fmac_f64_e32 v[8:9], v[8:9], v[10:11]
	v_fma_f64 v[10:11], -v[2:3], v[8:9], 1.0
	v_fmac_f64_e32 v[8:9], v[8:9], v[10:11]
	v_div_scale_f64 v[10:11], vcc, 1.0, v[4:5], 1.0
	v_mul_f64 v[12:13], v[10:11], v[8:9]
	v_fma_f64 v[2:3], -v[2:3], v[12:13], v[10:11]
	s_nop 1
	v_div_fmas_f64 v[2:3], v[2:3], v[8:9], v[12:13]
	v_div_fixup_f64 v[8:9], v[2:3], v[4:5], 1.0
	v_mul_f64 v[6:7], v[6:7], v[8:9]
	v_xor_b32_e32 v9, 0x80000000, v9
	v_xor_b32_e32 v11, 0x80000000, v7
	v_mov_b32_e32 v10, v6
                                        ; implicit-def: $vgpr2_vgpr3
.LBB102_15:
	s_andn2_saveexec_b64 s[4:5], s[4:5]
	s_cbranch_execz .LBB102_17
; %bb.16:
	v_div_scale_f64 v[6:7], s[12:13], v[2:3], v[2:3], v[4:5]
	v_rcp_f64_e32 v[8:9], v[6:7]
	v_div_scale_f64 v[10:11], vcc, v[4:5], v[2:3], v[4:5]
	v_fma_f64 v[12:13], -v[6:7], v[8:9], 1.0
	v_fmac_f64_e32 v[8:9], v[8:9], v[12:13]
	v_fma_f64 v[12:13], -v[6:7], v[8:9], 1.0
	v_fmac_f64_e32 v[8:9], v[8:9], v[12:13]
	v_mul_f64 v[12:13], v[10:11], v[8:9]
	v_fma_f64 v[6:7], -v[6:7], v[12:13], v[10:11]
	v_div_fmas_f64 v[6:7], v[6:7], v[8:9], v[12:13]
	v_div_fixup_f64 v[8:9], v[6:7], v[2:3], v[4:5]
	v_fmac_f64_e32 v[2:3], v[4:5], v[8:9]
	v_div_scale_f64 v[4:5], s[12:13], v[2:3], v[2:3], 1.0
	v_rcp_f64_e32 v[6:7], v[4:5]
	s_nop 0
	v_fma_f64 v[10:11], -v[4:5], v[6:7], 1.0
	v_fmac_f64_e32 v[6:7], v[6:7], v[10:11]
	v_fma_f64 v[10:11], -v[4:5], v[6:7], 1.0
	v_fmac_f64_e32 v[6:7], v[6:7], v[10:11]
	v_div_scale_f64 v[10:11], vcc, 1.0, v[2:3], 1.0
	v_mul_f64 v[12:13], v[10:11], v[6:7]
	v_fma_f64 v[4:5], -v[4:5], v[12:13], v[10:11]
	s_nop 1
	v_div_fmas_f64 v[4:5], v[4:5], v[6:7], v[12:13]
	v_div_fixup_f64 v[6:7], v[4:5], v[2:3], 1.0
	v_xor_b32_e32 v11, 0x80000000, v7
	v_mov_b32_e32 v10, v6
	v_mul_f64 v[8:9], v[8:9], -v[6:7]
.LBB102_17:
	s_or_b64 exec, exec, s[4:5]
	scratch_store_dwordx4 v15, v[6:9], off
	scratch_load_dwordx4 v[2:5], off, s54
	v_xor_b32_e32 v13, 0x80000000, v9
	v_mov_b32_e32 v12, v8
	v_add_u32_e32 v1, 0x270, v14
	ds_write_b128 v14, v[10:13]
	s_waitcnt vmcnt(0)
	ds_write_b128 v14, v[2:5] offset:624
	s_waitcnt lgkmcnt(0)
	; wave barrier
	s_and_saveexec_b64 s[4:5], s[0:1]
	s_cbranch_execz .LBB102_19
; %bb.18:
	scratch_load_dwordx4 v[2:5], v15, off
	ds_read_b128 v[6:9], v1
	v_mov_b32_e32 v10, 0
	ds_read_b128 v[10:13], v10 offset:16
	s_waitcnt vmcnt(0) lgkmcnt(1)
	v_mul_f64 v[16:17], v[8:9], v[4:5]
	v_mul_f64 v[4:5], v[6:7], v[4:5]
	v_fma_f64 v[6:7], v[6:7], v[2:3], -v[16:17]
	v_fmac_f64_e32 v[4:5], v[8:9], v[2:3]
	v_add_f64 v[2:3], v[6:7], 0
	v_add_f64 v[6:7], v[4:5], 0
	s_waitcnt lgkmcnt(0)
	v_mul_f64 v[8:9], v[6:7], v[12:13]
	v_mul_f64 v[4:5], v[2:3], v[12:13]
	v_fma_f64 v[2:3], v[2:3], v[10:11], -v[8:9]
	v_fmac_f64_e32 v[4:5], v[6:7], v[10:11]
	scratch_store_dwordx4 off, v[2:5], off offset:32
.LBB102_19:
	s_or_b64 exec, exec, s[4:5]
	; wave barrier
	scratch_load_dwordx4 v[2:5], off, s53
	v_cmp_gt_u32_e32 vcc, 2, v0
	s_waitcnt vmcnt(0)
	ds_write_b128 v1, v[2:5]
	s_waitcnt lgkmcnt(0)
	; wave barrier
	s_and_saveexec_b64 s[4:5], vcc
	s_cbranch_execz .LBB102_23
; %bb.20:
	scratch_load_dwordx4 v[2:5], v15, off
	ds_read_b128 v[6:9], v1
	s_waitcnt vmcnt(0) lgkmcnt(0)
	v_mul_f64 v[10:11], v[8:9], v[4:5]
	v_mul_f64 v[12:13], v[6:7], v[4:5]
	v_fma_f64 v[4:5], v[6:7], v[2:3], -v[10:11]
	v_fmac_f64_e32 v[12:13], v[8:9], v[2:3]
	v_add_f64 v[4:5], v[4:5], 0
	v_add_f64 v[2:3], v[12:13], 0
	s_and_saveexec_b64 s[12:13], s[0:1]
	s_cbranch_execz .LBB102_22
; %bb.21:
	scratch_load_dwordx4 v[6:9], off, off offset:32
	v_mov_b32_e32 v10, 0
	ds_read_b128 v[10:13], v10 offset:640
	s_waitcnt vmcnt(0) lgkmcnt(0)
	v_mul_f64 v[16:17], v[10:11], v[8:9]
	v_mul_f64 v[8:9], v[12:13], v[8:9]
	v_fmac_f64_e32 v[16:17], v[12:13], v[6:7]
	v_fma_f64 v[6:7], v[10:11], v[6:7], -v[8:9]
	v_add_f64 v[2:3], v[2:3], v[16:17]
	v_add_f64 v[4:5], v[4:5], v[6:7]
.LBB102_22:
	s_or_b64 exec, exec, s[12:13]
	v_mov_b32_e32 v6, 0
	ds_read_b128 v[6:9], v6 offset:32
	s_waitcnt lgkmcnt(0)
	v_mul_f64 v[12:13], v[2:3], v[8:9]
	v_mul_f64 v[10:11], v[4:5], v[8:9]
	v_fma_f64 v[8:9], v[4:5], v[6:7], -v[12:13]
	v_fmac_f64_e32 v[10:11], v[2:3], v[6:7]
	scratch_store_dwordx4 off, v[8:11], off offset:48
.LBB102_23:
	s_or_b64 exec, exec, s[4:5]
	; wave barrier
	scratch_load_dwordx4 v[2:5], off, s52
	v_cmp_gt_u32_e32 vcc, 3, v0
	v_add_u32_e32 v6, -1, v0
	s_waitcnt vmcnt(0)
	ds_write_b128 v1, v[2:5]
	s_waitcnt lgkmcnt(0)
	; wave barrier
	s_and_saveexec_b64 s[0:1], vcc
	s_cbranch_execz .LBB102_27
; %bb.24:
	v_add_u32_e32 v7, -1, v0
	v_add_u32_e32 v8, 0x270, v14
	v_add_u32_e32 v9, 16, v14
	v_mov_b64_e32 v[2:3], 0
	s_mov_b64 s[4:5], 0
	v_mov_b64_e32 v[4:5], 0
.LBB102_25:                             ; =>This Inner Loop Header: Depth=1
	scratch_load_dwordx4 v[10:13], v9, off
	ds_read_b128 v[16:19], v8
	v_add_u32_e32 v7, 1, v7
	v_cmp_lt_u32_e32 vcc, 1, v7
	v_add_u32_e32 v8, 16, v8
	v_add_u32_e32 v9, 16, v9
	s_or_b64 s[4:5], vcc, s[4:5]
	s_waitcnt vmcnt(0) lgkmcnt(0)
	v_mul_f64 v[20:21], v[18:19], v[12:13]
	v_mul_f64 v[12:13], v[16:17], v[12:13]
	v_fma_f64 v[16:17], v[16:17], v[10:11], -v[20:21]
	v_fmac_f64_e32 v[12:13], v[18:19], v[10:11]
	v_add_f64 v[4:5], v[4:5], v[16:17]
	v_add_f64 v[2:3], v[2:3], v[12:13]
	s_andn2_b64 exec, exec, s[4:5]
	s_cbranch_execnz .LBB102_25
; %bb.26:
	s_or_b64 exec, exec, s[4:5]
	v_mov_b32_e32 v7, 0
	ds_read_b128 v[8:11], v7 offset:48
	s_waitcnt lgkmcnt(0)
	v_mul_f64 v[16:17], v[2:3], v[10:11]
	v_mul_f64 v[12:13], v[4:5], v[10:11]
	v_fma_f64 v[10:11], v[4:5], v[8:9], -v[16:17]
	v_fmac_f64_e32 v[12:13], v[2:3], v[8:9]
	scratch_store_dwordx4 off, v[10:13], off offset:64
.LBB102_27:
	s_or_b64 exec, exec, s[0:1]
	; wave barrier
	scratch_load_dwordx4 v[2:5], off, s51
	v_cmp_gt_u32_e32 vcc, 4, v0
	s_waitcnt vmcnt(0)
	ds_write_b128 v1, v[2:5]
	s_waitcnt lgkmcnt(0)
	; wave barrier
	s_and_saveexec_b64 s[0:1], vcc
	s_cbranch_execz .LBB102_31
; %bb.28:
	v_add_u32_e32 v7, -1, v0
	v_add_u32_e32 v8, 0x270, v14
	v_add_u32_e32 v9, 16, v14
	v_mov_b64_e32 v[2:3], 0
	s_mov_b64 s[4:5], 0
	v_mov_b64_e32 v[4:5], 0
.LBB102_29:                             ; =>This Inner Loop Header: Depth=1
	scratch_load_dwordx4 v[10:13], v9, off
	ds_read_b128 v[16:19], v8
	v_add_u32_e32 v7, 1, v7
	v_cmp_lt_u32_e32 vcc, 2, v7
	v_add_u32_e32 v8, 16, v8
	v_add_u32_e32 v9, 16, v9
	s_or_b64 s[4:5], vcc, s[4:5]
	s_waitcnt vmcnt(0) lgkmcnt(0)
	v_mul_f64 v[20:21], v[18:19], v[12:13]
	v_mul_f64 v[12:13], v[16:17], v[12:13]
	v_fma_f64 v[16:17], v[16:17], v[10:11], -v[20:21]
	v_fmac_f64_e32 v[12:13], v[18:19], v[10:11]
	v_add_f64 v[4:5], v[4:5], v[16:17]
	v_add_f64 v[2:3], v[2:3], v[12:13]
	s_andn2_b64 exec, exec, s[4:5]
	s_cbranch_execnz .LBB102_29
; %bb.30:
	s_or_b64 exec, exec, s[4:5]
	v_mov_b32_e32 v7, 0
	ds_read_b128 v[8:11], v7 offset:64
	s_waitcnt lgkmcnt(0)
	v_mul_f64 v[16:17], v[2:3], v[10:11]
	v_mul_f64 v[12:13], v[4:5], v[10:11]
	v_fma_f64 v[10:11], v[4:5], v[8:9], -v[16:17]
	v_fmac_f64_e32 v[12:13], v[2:3], v[8:9]
	scratch_store_dwordx4 off, v[10:13], off offset:80
.LBB102_31:
	s_or_b64 exec, exec, s[0:1]
	; wave barrier
	scratch_load_dwordx4 v[2:5], off, s50
	v_cmp_gt_u32_e32 vcc, 5, v0
	;; [unrolled: 45-line block ×19, first 2 shown]
	s_waitcnt vmcnt(0)
	ds_write_b128 v1, v[2:5]
	s_waitcnt lgkmcnt(0)
	; wave barrier
	s_and_saveexec_b64 s[0:1], vcc
	s_cbranch_execz .LBB102_103
; %bb.100:
	v_add_u32_e32 v7, -1, v0
	v_add_u32_e32 v8, 0x270, v14
	v_add_u32_e32 v9, 16, v14
	v_mov_b64_e32 v[2:3], 0
	s_mov_b64 s[4:5], 0
	v_mov_b64_e32 v[4:5], 0
.LBB102_101:                            ; =>This Inner Loop Header: Depth=1
	scratch_load_dwordx4 v[10:13], v9, off
	ds_read_b128 v[16:19], v8
	v_add_u32_e32 v7, 1, v7
	v_cmp_lt_u32_e32 vcc, 20, v7
	v_add_u32_e32 v8, 16, v8
	v_add_u32_e32 v9, 16, v9
	s_or_b64 s[4:5], vcc, s[4:5]
	s_waitcnt vmcnt(0) lgkmcnt(0)
	v_mul_f64 v[20:21], v[18:19], v[12:13]
	v_mul_f64 v[12:13], v[16:17], v[12:13]
	v_fma_f64 v[16:17], v[16:17], v[10:11], -v[20:21]
	v_fmac_f64_e32 v[12:13], v[18:19], v[10:11]
	v_add_f64 v[4:5], v[4:5], v[16:17]
	v_add_f64 v[2:3], v[2:3], v[12:13]
	s_andn2_b64 exec, exec, s[4:5]
	s_cbranch_execnz .LBB102_101
; %bb.102:
	s_or_b64 exec, exec, s[4:5]
	v_mov_b32_e32 v7, 0
	ds_read_b128 v[8:11], v7 offset:352
	s_waitcnt lgkmcnt(0)
	v_mul_f64 v[16:17], v[2:3], v[10:11]
	v_mul_f64 v[12:13], v[4:5], v[10:11]
	v_fma_f64 v[10:11], v[4:5], v[8:9], -v[16:17]
	v_fmac_f64_e32 v[12:13], v[2:3], v[8:9]
	scratch_store_dwordx4 off, v[10:13], off offset:368
.LBB102_103:
	s_or_b64 exec, exec, s[0:1]
	; wave barrier
	scratch_load_dwordx4 v[2:5], off, s31
	v_cmp_gt_u32_e32 vcc, 23, v0
	s_waitcnt vmcnt(0)
	ds_write_b128 v1, v[2:5]
	s_waitcnt lgkmcnt(0)
	; wave barrier
	s_and_saveexec_b64 s[0:1], vcc
	s_cbranch_execz .LBB102_107
; %bb.104:
	v_add_u32_e32 v7, -1, v0
	v_add_u32_e32 v8, 0x270, v14
	v_add_u32_e32 v9, 16, v14
	v_mov_b64_e32 v[2:3], 0
	s_mov_b64 s[4:5], 0
	v_mov_b64_e32 v[4:5], 0
.LBB102_105:                            ; =>This Inner Loop Header: Depth=1
	scratch_load_dwordx4 v[10:13], v9, off
	ds_read_b128 v[16:19], v8
	v_add_u32_e32 v7, 1, v7
	v_cmp_lt_u32_e32 vcc, 21, v7
	v_add_u32_e32 v8, 16, v8
	v_add_u32_e32 v9, 16, v9
	s_or_b64 s[4:5], vcc, s[4:5]
	s_waitcnt vmcnt(0) lgkmcnt(0)
	v_mul_f64 v[20:21], v[18:19], v[12:13]
	v_mul_f64 v[12:13], v[16:17], v[12:13]
	v_fma_f64 v[16:17], v[16:17], v[10:11], -v[20:21]
	v_fmac_f64_e32 v[12:13], v[18:19], v[10:11]
	v_add_f64 v[4:5], v[4:5], v[16:17]
	v_add_f64 v[2:3], v[2:3], v[12:13]
	s_andn2_b64 exec, exec, s[4:5]
	s_cbranch_execnz .LBB102_105
; %bb.106:
	s_or_b64 exec, exec, s[4:5]
	v_mov_b32_e32 v7, 0
	ds_read_b128 v[8:11], v7 offset:368
	s_waitcnt lgkmcnt(0)
	v_mul_f64 v[16:17], v[2:3], v[10:11]
	v_mul_f64 v[12:13], v[4:5], v[10:11]
	v_fma_f64 v[10:11], v[4:5], v[8:9], -v[16:17]
	v_fmac_f64_e32 v[12:13], v[2:3], v[8:9]
	scratch_store_dwordx4 off, v[10:13], off offset:384
.LBB102_107:
	s_or_b64 exec, exec, s[0:1]
	; wave barrier
	scratch_load_dwordx4 v[2:5], off, s30
	v_cmp_gt_u32_e32 vcc, 24, v0
	;; [unrolled: 45-line block ×15, first 2 shown]
	s_waitcnt vmcnt(0)
	ds_write_b128 v1, v[2:5]
	s_waitcnt lgkmcnt(0)
	; wave barrier
	s_and_saveexec_b64 s[0:1], vcc
	s_cbranch_execz .LBB102_163
; %bb.160:
	v_add_u32_e32 v7, -1, v0
	v_add_u32_e32 v8, 0x270, v14
	v_add_u32_e32 v9, 16, v14
	v_mov_b64_e32 v[2:3], 0
	s_mov_b64 s[4:5], 0
	v_mov_b64_e32 v[4:5], 0
.LBB102_161:                            ; =>This Inner Loop Header: Depth=1
	scratch_load_dwordx4 v[10:13], v9, off
	ds_read_b128 v[16:19], v8
	v_add_u32_e32 v7, 1, v7
	v_cmp_lt_u32_e32 vcc, 35, v7
	v_add_u32_e32 v8, 16, v8
	v_add_u32_e32 v9, 16, v9
	s_or_b64 s[4:5], vcc, s[4:5]
	s_waitcnt vmcnt(0) lgkmcnt(0)
	v_mul_f64 v[20:21], v[18:19], v[12:13]
	v_mul_f64 v[12:13], v[16:17], v[12:13]
	v_fma_f64 v[16:17], v[16:17], v[10:11], -v[20:21]
	v_fmac_f64_e32 v[12:13], v[18:19], v[10:11]
	v_add_f64 v[4:5], v[4:5], v[16:17]
	v_add_f64 v[2:3], v[2:3], v[12:13]
	s_andn2_b64 exec, exec, s[4:5]
	s_cbranch_execnz .LBB102_161
; %bb.162:
	s_or_b64 exec, exec, s[4:5]
	v_mov_b32_e32 v7, 0
	ds_read_b128 v[8:11], v7 offset:592
	s_waitcnt lgkmcnt(0)
	v_mul_f64 v[16:17], v[2:3], v[10:11]
	v_mul_f64 v[12:13], v[4:5], v[10:11]
	v_fma_f64 v[10:11], v[4:5], v[8:9], -v[16:17]
	v_fmac_f64_e32 v[12:13], v[2:3], v[8:9]
	scratch_store_dwordx4 off, v[10:13], off offset:608
.LBB102_163:
	s_or_b64 exec, exec, s[0:1]
	; wave barrier
	scratch_load_dwordx4 v[2:5], off, s16
	v_cmp_ne_u32_e32 vcc, 38, v0
	s_waitcnt vmcnt(0)
	ds_write_b128 v1, v[2:5]
	s_waitcnt lgkmcnt(0)
	; wave barrier
	s_and_saveexec_b64 s[0:1], vcc
	s_cbranch_execz .LBB102_167
; %bb.164:
	v_add_u32_e32 v1, 0x270, v14
	v_add_u32_e32 v7, 16, v14
	v_mov_b64_e32 v[2:3], 0
	s_mov_b64 s[4:5], 0
	v_mov_b64_e32 v[4:5], 0
.LBB102_165:                            ; =>This Inner Loop Header: Depth=1
	scratch_load_dwordx4 v[8:11], v7, off
	ds_read_b128 v[12:15], v1
	v_add_u32_e32 v6, 1, v6
	v_cmp_lt_u32_e32 vcc, 36, v6
	v_add_u32_e32 v1, 16, v1
	v_add_u32_e32 v7, 16, v7
	s_or_b64 s[4:5], vcc, s[4:5]
	s_waitcnt vmcnt(0) lgkmcnt(0)
	v_mul_f64 v[16:17], v[14:15], v[10:11]
	v_mul_f64 v[10:11], v[12:13], v[10:11]
	v_fma_f64 v[12:13], v[12:13], v[8:9], -v[16:17]
	v_fmac_f64_e32 v[10:11], v[14:15], v[8:9]
	v_add_f64 v[4:5], v[4:5], v[12:13]
	v_add_f64 v[2:3], v[2:3], v[10:11]
	s_andn2_b64 exec, exec, s[4:5]
	s_cbranch_execnz .LBB102_165
; %bb.166:
	s_or_b64 exec, exec, s[4:5]
	v_mov_b32_e32 v1, 0
	ds_read_b128 v[6:9], v1 offset:608
	s_waitcnt lgkmcnt(0)
	v_mul_f64 v[12:13], v[2:3], v[8:9]
	v_mul_f64 v[10:11], v[4:5], v[8:9]
	v_fma_f64 v[8:9], v[4:5], v[6:7], -v[12:13]
	v_fmac_f64_e32 v[10:11], v[2:3], v[6:7]
	scratch_store_dwordx4 off, v[8:11], off offset:624
.LBB102_167:
	s_or_b64 exec, exec, s[0:1]
	s_mov_b64 s[4:5], -1
	; wave barrier
.LBB102_168:
	s_and_b64 vcc, exec, s[4:5]
	s_cbranch_vccz .LBB102_170
; %bb.169:
	s_lshl_b64 s[0:1], s[2:3], 2
	s_add_u32 s0, s6, s0
	s_addc_u32 s1, s7, s1
	v_mov_b32_e32 v1, 0
	global_load_dword v1, v1, s[0:1]
	s_waitcnt vmcnt(0)
	v_cmp_ne_u32_e32 vcc, 0, v1
	s_cbranch_vccz .LBB102_171
.LBB102_170:
	s_endpgm
.LBB102_171:
	v_mov_b32_e32 v1, 0x270
	v_lshl_add_u32 v1, v0, 4, v1
	v_cmp_eq_u32_e32 vcc, 38, v0
	s_and_saveexec_b64 s[0:1], vcc
	s_cbranch_execz .LBB102_173
; %bb.172:
	scratch_load_dwordx4 v[2:5], off, s17
	v_mov_b32_e32 v6, 0
	v_mov_b32_e32 v7, v6
	;; [unrolled: 1-line block ×4, first 2 shown]
	scratch_store_dwordx4 off, v[6:9], off offset:608
	s_waitcnt vmcnt(1)
	ds_write_b128 v1, v[2:5]
.LBB102_173:
	s_or_b64 exec, exec, s[0:1]
	s_waitcnt lgkmcnt(0)
	; wave barrier
	scratch_load_dwordx4 v[4:7], off, off offset:624
	scratch_load_dwordx4 v[8:11], off, off offset:608
	v_mov_b32_e32 v2, 0
	ds_read_b128 v[12:15], v2 offset:1232
	v_cmp_lt_u32_e32 vcc, 36, v0
	s_waitcnt vmcnt(1) lgkmcnt(0)
	v_mul_f64 v[16:17], v[12:13], v[6:7]
	v_mul_f64 v[6:7], v[14:15], v[6:7]
	v_fmac_f64_e32 v[16:17], v[14:15], v[4:5]
	v_fma_f64 v[4:5], v[12:13], v[4:5], -v[6:7]
	v_add_f64 v[6:7], v[16:17], 0
	v_add_f64 v[4:5], v[4:5], 0
	s_waitcnt vmcnt(0)
	v_add_f64 v[4:5], v[8:9], -v[4:5]
	v_add_f64 v[6:7], v[10:11], -v[6:7]
	scratch_store_dwordx4 off, v[4:7], off offset:608
	s_and_saveexec_b64 s[0:1], vcc
	s_cbranch_execz .LBB102_175
; %bb.174:
	scratch_load_dwordx4 v[6:9], off, s18
	v_mov_b32_e32 v3, v2
	v_mov_b32_e32 v4, v2
	;; [unrolled: 1-line block ×3, first 2 shown]
	scratch_store_dwordx4 off, v[2:5], off offset:592
	s_waitcnt vmcnt(1)
	ds_write_b128 v1, v[6:9]
.LBB102_175:
	s_or_b64 exec, exec, s[0:1]
	s_waitcnt lgkmcnt(0)
	; wave barrier
	scratch_load_dwordx4 v[4:7], off, off offset:608
	scratch_load_dwordx4 v[8:11], off, off offset:624
	scratch_load_dwordx4 v[12:15], off, off offset:592
	ds_read_b128 v[16:19], v2 offset:1216
	ds_read_b128 v[20:23], v2 offset:1232
	v_cmp_lt_u32_e32 vcc, 35, v0
	s_waitcnt vmcnt(2) lgkmcnt(1)
	v_mul_f64 v[2:3], v[16:17], v[6:7]
	v_mul_f64 v[6:7], v[18:19], v[6:7]
	s_waitcnt vmcnt(1) lgkmcnt(0)
	v_mul_f64 v[24:25], v[20:21], v[10:11]
	v_mul_f64 v[10:11], v[22:23], v[10:11]
	v_fmac_f64_e32 v[2:3], v[18:19], v[4:5]
	v_fma_f64 v[4:5], v[16:17], v[4:5], -v[6:7]
	v_fmac_f64_e32 v[24:25], v[22:23], v[8:9]
	v_fma_f64 v[6:7], v[20:21], v[8:9], -v[10:11]
	v_add_f64 v[2:3], v[2:3], 0
	v_add_f64 v[4:5], v[4:5], 0
	;; [unrolled: 1-line block ×4, first 2 shown]
	s_waitcnt vmcnt(0)
	v_add_f64 v[2:3], v[12:13], -v[2:3]
	v_add_f64 v[4:5], v[14:15], -v[8:9]
	scratch_store_dwordx4 off, v[2:5], off offset:592
	s_and_saveexec_b64 s[0:1], vcc
	s_cbranch_execz .LBB102_177
; %bb.176:
	scratch_load_dwordx4 v[2:5], off, s19
	v_mov_b32_e32 v6, 0
	v_mov_b32_e32 v7, v6
	;; [unrolled: 1-line block ×4, first 2 shown]
	scratch_store_dwordx4 off, v[6:9], off offset:576
	s_waitcnt vmcnt(1)
	ds_write_b128 v1, v[2:5]
.LBB102_177:
	s_or_b64 exec, exec, s[0:1]
	s_waitcnt lgkmcnt(0)
	; wave barrier
	scratch_load_dwordx4 v[4:7], off, off offset:592
	scratch_load_dwordx4 v[8:11], off, off offset:608
	;; [unrolled: 1-line block ×4, first 2 shown]
	v_mov_b32_e32 v2, 0
	ds_read_b128 v[20:23], v2 offset:1200
	ds_read_b128 v[24:27], v2 offset:1216
	;; [unrolled: 1-line block ×3, first 2 shown]
	v_cmp_lt_u32_e32 vcc, 34, v0
	s_waitcnt vmcnt(3) lgkmcnt(2)
	v_mul_f64 v[32:33], v[20:21], v[6:7]
	v_mul_f64 v[6:7], v[22:23], v[6:7]
	s_waitcnt vmcnt(2) lgkmcnt(1)
	v_mul_f64 v[34:35], v[24:25], v[10:11]
	v_mul_f64 v[10:11], v[26:27], v[10:11]
	v_fmac_f64_e32 v[32:33], v[22:23], v[4:5]
	v_fma_f64 v[4:5], v[20:21], v[4:5], -v[6:7]
	s_waitcnt vmcnt(1) lgkmcnt(0)
	v_mul_f64 v[36:37], v[28:29], v[14:15]
	v_mul_f64 v[14:15], v[30:31], v[14:15]
	v_fmac_f64_e32 v[34:35], v[26:27], v[8:9]
	v_fma_f64 v[6:7], v[24:25], v[8:9], -v[10:11]
	v_add_f64 v[10:11], v[32:33], 0
	v_add_f64 v[4:5], v[4:5], 0
	v_fmac_f64_e32 v[36:37], v[30:31], v[12:13]
	v_fma_f64 v[8:9], v[28:29], v[12:13], -v[14:15]
	v_add_f64 v[10:11], v[10:11], v[34:35]
	v_add_f64 v[4:5], v[4:5], v[6:7]
	;; [unrolled: 1-line block ×4, first 2 shown]
	s_waitcnt vmcnt(0)
	v_add_f64 v[4:5], v[16:17], -v[4:5]
	v_add_f64 v[6:7], v[18:19], -v[6:7]
	scratch_store_dwordx4 off, v[4:7], off offset:576
	s_and_saveexec_b64 s[0:1], vcc
	s_cbranch_execz .LBB102_179
; %bb.178:
	scratch_load_dwordx4 v[6:9], off, s20
	v_mov_b32_e32 v3, v2
	v_mov_b32_e32 v4, v2
	;; [unrolled: 1-line block ×3, first 2 shown]
	scratch_store_dwordx4 off, v[2:5], off offset:560
	s_waitcnt vmcnt(1)
	ds_write_b128 v1, v[6:9]
.LBB102_179:
	s_or_b64 exec, exec, s[0:1]
	s_waitcnt lgkmcnt(0)
	; wave barrier
	scratch_load_dwordx4 v[4:7], off, off offset:576
	scratch_load_dwordx4 v[8:11], off, off offset:592
	;; [unrolled: 1-line block ×5, first 2 shown]
	ds_read_b128 v[24:27], v2 offset:1184
	ds_read_b128 v[28:31], v2 offset:1200
	ds_read_b128 v[32:35], v2 offset:1216
	ds_read_b128 v[36:39], v2 offset:1232
	v_cmp_lt_u32_e32 vcc, 33, v0
	s_waitcnt vmcnt(4) lgkmcnt(3)
	v_mul_f64 v[2:3], v[24:25], v[6:7]
	v_mul_f64 v[6:7], v[26:27], v[6:7]
	s_waitcnt vmcnt(3) lgkmcnt(2)
	v_mul_f64 v[40:41], v[28:29], v[10:11]
	v_mul_f64 v[10:11], v[30:31], v[10:11]
	v_fmac_f64_e32 v[2:3], v[26:27], v[4:5]
	v_fma_f64 v[4:5], v[24:25], v[4:5], -v[6:7]
	s_waitcnt vmcnt(2) lgkmcnt(1)
	v_mul_f64 v[42:43], v[32:33], v[14:15]
	v_mul_f64 v[14:15], v[34:35], v[14:15]
	v_fmac_f64_e32 v[40:41], v[30:31], v[8:9]
	v_fma_f64 v[6:7], v[28:29], v[8:9], -v[10:11]
	v_add_f64 v[2:3], v[2:3], 0
	v_add_f64 v[4:5], v[4:5], 0
	s_waitcnt vmcnt(1) lgkmcnt(0)
	v_mul_f64 v[44:45], v[36:37], v[18:19]
	v_mul_f64 v[18:19], v[38:39], v[18:19]
	v_fmac_f64_e32 v[42:43], v[34:35], v[12:13]
	v_fma_f64 v[8:9], v[32:33], v[12:13], -v[14:15]
	v_add_f64 v[2:3], v[2:3], v[40:41]
	v_add_f64 v[4:5], v[4:5], v[6:7]
	v_fmac_f64_e32 v[44:45], v[38:39], v[16:17]
	v_fma_f64 v[10:11], v[36:37], v[16:17], -v[18:19]
	v_add_f64 v[2:3], v[2:3], v[42:43]
	v_add_f64 v[4:5], v[4:5], v[8:9]
	;; [unrolled: 1-line block ×4, first 2 shown]
	s_waitcnt vmcnt(0)
	v_add_f64 v[2:3], v[20:21], -v[2:3]
	v_add_f64 v[4:5], v[22:23], -v[6:7]
	scratch_store_dwordx4 off, v[2:5], off offset:560
	s_and_saveexec_b64 s[0:1], vcc
	s_cbranch_execz .LBB102_181
; %bb.180:
	scratch_load_dwordx4 v[2:5], off, s21
	v_mov_b32_e32 v6, 0
	v_mov_b32_e32 v7, v6
	v_mov_b32_e32 v8, v6
	v_mov_b32_e32 v9, v6
	scratch_store_dwordx4 off, v[6:9], off offset:544
	s_waitcnt vmcnt(1)
	ds_write_b128 v1, v[2:5]
.LBB102_181:
	s_or_b64 exec, exec, s[0:1]
	v_mov_b32_e32 v2, 0
	s_waitcnt lgkmcnt(0)
	; wave barrier
	ds_read_b128 v[4:7], v2 offset:1168
	ds_read_b128 v[8:11], v2 offset:1184
	;; [unrolled: 1-line block ×4, first 2 shown]
	scratch_load_dwordx4 v[20:23], off, off offset:560
	scratch_load_dwordx4 v[40:43], off, off offset:624
	v_cmp_lt_u32_e32 vcc, 32, v0
	s_waitcnt vmcnt(1) lgkmcnt(3)
	v_mul_f64 v[24:25], v[4:5], v[22:23]
	v_fmac_f64_e32 v[24:25], v[6:7], v[20:21]
	v_add_f64 v[28:29], v[24:25], 0
	scratch_load_dwordx4 v[24:27], off, off offset:576
	v_mul_f64 v[6:7], v[6:7], v[22:23]
	v_fma_f64 v[4:5], v[4:5], v[20:21], -v[6:7]
	v_add_f64 v[4:5], v[4:5], 0
	s_waitcnt vmcnt(0) lgkmcnt(2)
	v_mul_f64 v[30:31], v[8:9], v[26:27]
	v_fmac_f64_e32 v[30:31], v[10:11], v[24:25]
	v_add_f64 v[32:33], v[28:29], v[30:31]
	scratch_load_dwordx4 v[28:31], off, off offset:592
	v_mul_f64 v[6:7], v[10:11], v[26:27]
	v_fma_f64 v[6:7], v[8:9], v[24:25], -v[6:7]
	v_add_f64 v[4:5], v[4:5], v[6:7]
	;; [unrolled: 8-line block ×3, first 2 shown]
	s_waitcnt vmcnt(0) lgkmcnt(0)
	v_mul_f64 v[38:39], v[16:17], v[34:35]
	v_fmac_f64_e32 v[38:39], v[18:19], v[32:33]
	v_add_f64 v[44:45], v[36:37], v[38:39]
	ds_read_b128 v[36:39], v2 offset:1232
	v_mul_f64 v[6:7], v[18:19], v[34:35]
	v_fma_f64 v[6:7], v[16:17], v[32:33], -v[6:7]
	v_add_f64 v[4:5], v[4:5], v[6:7]
	s_waitcnt lgkmcnt(0)
	v_mul_f64 v[6:7], v[38:39], v[42:43]
	v_fma_f64 v[6:7], v[36:37], v[40:41], -v[6:7]
	v_add_f64 v[8:9], v[4:5], v[6:7]
	scratch_load_dwordx4 v[4:7], off, off offset:544
	v_mul_f64 v[46:47], v[36:37], v[42:43]
	v_fmac_f64_e32 v[46:47], v[38:39], v[40:41]
	v_add_f64 v[44:45], v[44:45], v[46:47]
	s_waitcnt vmcnt(0)
	v_add_f64 v[4:5], v[4:5], -v[8:9]
	v_add_f64 v[6:7], v[6:7], -v[44:45]
	scratch_store_dwordx4 off, v[4:7], off offset:544
	s_and_saveexec_b64 s[0:1], vcc
	s_cbranch_execz .LBB102_183
; %bb.182:
	scratch_load_dwordx4 v[6:9], off, s22
	v_mov_b32_e32 v3, v2
	v_mov_b32_e32 v4, v2
	;; [unrolled: 1-line block ×3, first 2 shown]
	scratch_store_dwordx4 off, v[2:5], off offset:528
	s_waitcnt vmcnt(1)
	ds_write_b128 v1, v[6:9]
.LBB102_183:
	s_or_b64 exec, exec, s[0:1]
	s_waitcnt lgkmcnt(0)
	; wave barrier
	scratch_load_dwordx4 v[4:7], off, off offset:544
	scratch_load_dwordx4 v[8:11], off, off offset:560
	;; [unrolled: 1-line block ×7, first 2 shown]
	ds_read_b128 v[32:35], v2 offset:1152
	ds_read_b128 v[36:39], v2 offset:1168
	;; [unrolled: 1-line block ×6, first 2 shown]
	v_cmp_lt_u32_e32 vcc, 31, v0
	s_waitcnt vmcnt(6) lgkmcnt(5)
	v_mul_f64 v[2:3], v[32:33], v[6:7]
	v_mul_f64 v[6:7], v[34:35], v[6:7]
	s_waitcnt vmcnt(5) lgkmcnt(4)
	v_mul_f64 v[56:57], v[36:37], v[10:11]
	v_mul_f64 v[10:11], v[38:39], v[10:11]
	v_fmac_f64_e32 v[2:3], v[34:35], v[4:5]
	v_fma_f64 v[4:5], v[32:33], v[4:5], -v[6:7]
	s_waitcnt vmcnt(4) lgkmcnt(3)
	v_mul_f64 v[58:59], v[40:41], v[14:15]
	v_mul_f64 v[14:15], v[42:43], v[14:15]
	v_fmac_f64_e32 v[56:57], v[38:39], v[8:9]
	v_fma_f64 v[6:7], v[36:37], v[8:9], -v[10:11]
	v_add_f64 v[2:3], v[2:3], 0
	v_add_f64 v[4:5], v[4:5], 0
	s_waitcnt vmcnt(3) lgkmcnt(2)
	v_mul_f64 v[60:61], v[44:45], v[18:19]
	v_mul_f64 v[18:19], v[46:47], v[18:19]
	v_fmac_f64_e32 v[58:59], v[42:43], v[12:13]
	v_fma_f64 v[8:9], v[40:41], v[12:13], -v[14:15]
	v_add_f64 v[2:3], v[2:3], v[56:57]
	v_add_f64 v[4:5], v[4:5], v[6:7]
	;; [unrolled: 7-line block ×4, first 2 shown]
	v_fmac_f64_e32 v[64:65], v[54:55], v[24:25]
	v_fma_f64 v[14:15], v[52:53], v[24:25], -v[26:27]
	v_add_f64 v[2:3], v[2:3], v[62:63]
	v_add_f64 v[4:5], v[4:5], v[12:13]
	;; [unrolled: 1-line block ×4, first 2 shown]
	s_waitcnt vmcnt(0)
	v_add_f64 v[2:3], v[28:29], -v[2:3]
	v_add_f64 v[4:5], v[30:31], -v[6:7]
	scratch_store_dwordx4 off, v[2:5], off offset:528
	s_and_saveexec_b64 s[0:1], vcc
	s_cbranch_execz .LBB102_185
; %bb.184:
	scratch_load_dwordx4 v[2:5], off, s23
	v_mov_b32_e32 v6, 0
	v_mov_b32_e32 v7, v6
	;; [unrolled: 1-line block ×4, first 2 shown]
	scratch_store_dwordx4 off, v[6:9], off offset:512
	s_waitcnt vmcnt(1)
	ds_write_b128 v1, v[2:5]
.LBB102_185:
	s_or_b64 exec, exec, s[0:1]
	s_waitcnt lgkmcnt(0)
	; wave barrier
	scratch_load_dwordx4 v[4:7], off, off offset:528
	scratch_load_dwordx4 v[8:11], off, off offset:544
	;; [unrolled: 1-line block ×8, first 2 shown]
	v_mov_b32_e32 v2, 0
	ds_read_b128 v[36:39], v2 offset:1136
	ds_read_b128 v[40:43], v2 offset:1152
	;; [unrolled: 1-line block ×7, first 2 shown]
	v_cmp_lt_u32_e32 vcc, 30, v0
	s_waitcnt vmcnt(7) lgkmcnt(6)
	v_mul_f64 v[64:65], v[36:37], v[6:7]
	v_mul_f64 v[6:7], v[38:39], v[6:7]
	s_waitcnt vmcnt(6) lgkmcnt(5)
	v_mul_f64 v[66:67], v[40:41], v[10:11]
	s_waitcnt vmcnt(4) lgkmcnt(3)
	v_mul_f64 v[70:71], v[48:49], v[18:19]
	v_mul_f64 v[10:11], v[42:43], v[10:11]
	;; [unrolled: 1-line block ×3, first 2 shown]
	v_fmac_f64_e32 v[64:65], v[38:39], v[4:5]
	v_fma_f64 v[4:5], v[36:37], v[4:5], -v[6:7]
	v_mul_f64 v[68:69], v[44:45], v[14:15]
	v_mul_f64 v[14:15], v[46:47], v[14:15]
	v_fmac_f64_e32 v[66:67], v[42:43], v[8:9]
	v_fma_f64 v[6:7], v[40:41], v[8:9], -v[10:11]
	v_fma_f64 v[10:11], v[48:49], v[16:17], -v[18:19]
	v_add_f64 v[18:19], v[64:65], 0
	v_add_f64 v[4:5], v[4:5], 0
	v_fmac_f64_e32 v[68:69], v[46:47], v[12:13]
	v_fma_f64 v[8:9], v[44:45], v[12:13], -v[14:15]
	v_add_f64 v[18:19], v[18:19], v[66:67]
	v_add_f64 v[4:5], v[4:5], v[6:7]
	s_waitcnt vmcnt(3) lgkmcnt(2)
	v_mul_f64 v[72:73], v[52:53], v[22:23]
	v_mul_f64 v[22:23], v[54:55], v[22:23]
	v_fmac_f64_e32 v[70:71], v[50:51], v[16:17]
	v_add_f64 v[6:7], v[18:19], v[68:69]
	v_add_f64 v[4:5], v[4:5], v[8:9]
	s_waitcnt vmcnt(2) lgkmcnt(1)
	v_mul_f64 v[74:75], v[56:57], v[26:27]
	v_mul_f64 v[26:27], v[58:59], v[26:27]
	v_fmac_f64_e32 v[72:73], v[54:55], v[20:21]
	v_fma_f64 v[12:13], v[52:53], v[20:21], -v[22:23]
	v_add_f64 v[6:7], v[6:7], v[70:71]
	v_add_f64 v[4:5], v[4:5], v[10:11]
	s_waitcnt vmcnt(1) lgkmcnt(0)
	v_mul_f64 v[76:77], v[60:61], v[30:31]
	v_mul_f64 v[30:31], v[62:63], v[30:31]
	v_fmac_f64_e32 v[74:75], v[58:59], v[24:25]
	v_fma_f64 v[14:15], v[56:57], v[24:25], -v[26:27]
	v_add_f64 v[6:7], v[6:7], v[72:73]
	v_add_f64 v[4:5], v[4:5], v[12:13]
	v_fmac_f64_e32 v[76:77], v[62:63], v[28:29]
	v_fma_f64 v[16:17], v[60:61], v[28:29], -v[30:31]
	v_add_f64 v[6:7], v[6:7], v[74:75]
	v_add_f64 v[4:5], v[4:5], v[14:15]
	;; [unrolled: 1-line block ×4, first 2 shown]
	s_waitcnt vmcnt(0)
	v_add_f64 v[4:5], v[32:33], -v[4:5]
	v_add_f64 v[6:7], v[34:35], -v[6:7]
	scratch_store_dwordx4 off, v[4:7], off offset:512
	s_and_saveexec_b64 s[0:1], vcc
	s_cbranch_execz .LBB102_187
; %bb.186:
	scratch_load_dwordx4 v[6:9], off, s24
	v_mov_b32_e32 v3, v2
	v_mov_b32_e32 v4, v2
	;; [unrolled: 1-line block ×3, first 2 shown]
	scratch_store_dwordx4 off, v[2:5], off offset:496
	s_waitcnt vmcnt(1)
	ds_write_b128 v1, v[6:9]
.LBB102_187:
	s_or_b64 exec, exec, s[0:1]
	s_waitcnt lgkmcnt(0)
	; wave barrier
	scratch_load_dwordx4 v[4:7], off, off offset:512
	scratch_load_dwordx4 v[8:11], off, off offset:528
	;; [unrolled: 1-line block ×9, first 2 shown]
	ds_read_b128 v[40:43], v2 offset:1120
	ds_read_b128 v[44:47], v2 offset:1136
	;; [unrolled: 1-line block ×8, first 2 shown]
	v_cmp_lt_u32_e32 vcc, 29, v0
	s_waitcnt vmcnt(8) lgkmcnt(7)
	v_mul_f64 v[2:3], v[40:41], v[6:7]
	v_mul_f64 v[6:7], v[42:43], v[6:7]
	s_waitcnt vmcnt(7) lgkmcnt(6)
	v_mul_f64 v[72:73], v[44:45], v[10:11]
	v_mul_f64 v[10:11], v[46:47], v[10:11]
	v_fmac_f64_e32 v[2:3], v[42:43], v[4:5]
	v_fma_f64 v[4:5], v[40:41], v[4:5], -v[6:7]
	s_waitcnt vmcnt(6) lgkmcnt(5)
	v_mul_f64 v[74:75], v[48:49], v[14:15]
	v_mul_f64 v[14:15], v[50:51], v[14:15]
	v_fmac_f64_e32 v[72:73], v[46:47], v[8:9]
	v_fma_f64 v[6:7], v[44:45], v[8:9], -v[10:11]
	v_add_f64 v[2:3], v[2:3], 0
	v_add_f64 v[4:5], v[4:5], 0
	s_waitcnt vmcnt(5) lgkmcnt(4)
	v_mul_f64 v[76:77], v[52:53], v[18:19]
	v_mul_f64 v[18:19], v[54:55], v[18:19]
	v_fmac_f64_e32 v[74:75], v[50:51], v[12:13]
	v_fma_f64 v[8:9], v[48:49], v[12:13], -v[14:15]
	v_add_f64 v[2:3], v[2:3], v[72:73]
	v_add_f64 v[4:5], v[4:5], v[6:7]
	;; [unrolled: 7-line block ×6, first 2 shown]
	v_fmac_f64_e32 v[84:85], v[70:71], v[32:33]
	v_fma_f64 v[18:19], v[68:69], v[32:33], -v[34:35]
	v_add_f64 v[2:3], v[2:3], v[82:83]
	v_add_f64 v[4:5], v[4:5], v[16:17]
	;; [unrolled: 1-line block ×4, first 2 shown]
	s_waitcnt vmcnt(0)
	v_add_f64 v[2:3], v[36:37], -v[2:3]
	v_add_f64 v[4:5], v[38:39], -v[6:7]
	scratch_store_dwordx4 off, v[2:5], off offset:496
	s_and_saveexec_b64 s[0:1], vcc
	s_cbranch_execz .LBB102_189
; %bb.188:
	scratch_load_dwordx4 v[2:5], off, s25
	v_mov_b32_e32 v6, 0
	v_mov_b32_e32 v7, v6
	;; [unrolled: 1-line block ×4, first 2 shown]
	scratch_store_dwordx4 off, v[6:9], off offset:480
	s_waitcnt vmcnt(1)
	ds_write_b128 v1, v[2:5]
.LBB102_189:
	s_or_b64 exec, exec, s[0:1]
	v_mov_b32_e32 v2, 0
	s_waitcnt lgkmcnt(0)
	; wave barrier
	ds_read_b128 v[4:7], v2 offset:1104
	ds_read_b128 v[8:11], v2 offset:1120
	;; [unrolled: 1-line block ×4, first 2 shown]
	scratch_load_dwordx4 v[20:23], off, off offset:496
	scratch_load_dwordx4 v[40:43], off, off offset:560
	;; [unrolled: 1-line block ×3, first 2 shown]
	v_cmp_lt_u32_e32 vcc, 28, v0
	scratch_load_dwordx4 v[48:51], off, off offset:576
	scratch_load_dwordx4 v[56:59], off, off offset:592
	;; [unrolled: 1-line block ×3, first 2 shown]
	s_waitcnt vmcnt(5) lgkmcnt(3)
	v_mul_f64 v[24:25], v[4:5], v[22:23]
	v_fmac_f64_e32 v[24:25], v[6:7], v[20:21]
	v_add_f64 v[28:29], v[24:25], 0
	scratch_load_dwordx4 v[24:27], off, off offset:512
	v_mul_f64 v[6:7], v[6:7], v[22:23]
	v_fma_f64 v[4:5], v[4:5], v[20:21], -v[6:7]
	v_add_f64 v[4:5], v[4:5], 0
	s_waitcnt vmcnt(0) lgkmcnt(2)
	v_mul_f64 v[30:31], v[8:9], v[26:27]
	v_fmac_f64_e32 v[30:31], v[10:11], v[24:25]
	v_add_f64 v[32:33], v[28:29], v[30:31]
	scratch_load_dwordx4 v[28:31], off, off offset:528
	v_mul_f64 v[6:7], v[10:11], v[26:27]
	v_fma_f64 v[6:7], v[8:9], v[24:25], -v[6:7]
	v_add_f64 v[4:5], v[4:5], v[6:7]
	s_waitcnt vmcnt(0) lgkmcnt(1)
	v_mul_f64 v[34:35], v[12:13], v[30:31]
	v_fmac_f64_e32 v[34:35], v[14:15], v[28:29]
	v_add_f64 v[36:37], v[32:33], v[34:35]
	scratch_load_dwordx4 v[32:35], off, off offset:544
	v_mul_f64 v[6:7], v[14:15], v[30:31]
	v_fma_f64 v[6:7], v[12:13], v[28:29], -v[6:7]
	v_add_f64 v[4:5], v[4:5], v[6:7]
	s_waitcnt vmcnt(0) lgkmcnt(0)
	v_mul_f64 v[38:39], v[16:17], v[34:35]
	v_fmac_f64_e32 v[38:39], v[18:19], v[32:33]
	v_add_f64 v[44:45], v[36:37], v[38:39]
	ds_read_b128 v[36:39], v2 offset:1168
	v_mul_f64 v[6:7], v[18:19], v[34:35]
	v_fma_f64 v[6:7], v[16:17], v[32:33], -v[6:7]
	v_add_f64 v[4:5], v[4:5], v[6:7]
	s_waitcnt lgkmcnt(0)
	v_mul_f64 v[46:47], v[36:37], v[42:43]
	v_fmac_f64_e32 v[46:47], v[38:39], v[40:41]
	v_add_f64 v[52:53], v[44:45], v[46:47]
	ds_read_b128 v[44:47], v2 offset:1184
	v_mul_f64 v[6:7], v[38:39], v[42:43]
	v_fma_f64 v[6:7], v[36:37], v[40:41], -v[6:7]
	v_add_f64 v[4:5], v[4:5], v[6:7]
	s_waitcnt lgkmcnt(0)
	;; [unrolled: 8-line block ×5, first 2 shown]
	v_mul_f64 v[6:7], v[70:71], v[74:75]
	v_fma_f64 v[6:7], v[68:69], v[72:73], -v[6:7]
	v_add_f64 v[8:9], v[4:5], v[6:7]
	scratch_load_dwordx4 v[4:7], off, off offset:480
	v_mul_f64 v[78:79], v[68:69], v[74:75]
	v_fmac_f64_e32 v[78:79], v[70:71], v[72:73]
	v_add_f64 v[76:77], v[76:77], v[78:79]
	s_waitcnt vmcnt(0)
	v_add_f64 v[4:5], v[4:5], -v[8:9]
	v_add_f64 v[6:7], v[6:7], -v[76:77]
	scratch_store_dwordx4 off, v[4:7], off offset:480
	s_and_saveexec_b64 s[0:1], vcc
	s_cbranch_execz .LBB102_191
; %bb.190:
	scratch_load_dwordx4 v[6:9], off, s26
	v_mov_b32_e32 v3, v2
	v_mov_b32_e32 v4, v2
	;; [unrolled: 1-line block ×3, first 2 shown]
	scratch_store_dwordx4 off, v[2:5], off offset:464
	s_waitcnt vmcnt(1)
	ds_write_b128 v1, v[6:9]
.LBB102_191:
	s_or_b64 exec, exec, s[0:1]
	s_waitcnt lgkmcnt(0)
	; wave barrier
	ds_read_b128 v[4:7], v2 offset:1088
	ds_read_b128 v[8:11], v2 offset:1104
	;; [unrolled: 1-line block ×4, first 2 shown]
	scratch_load_dwordx4 v[20:23], off, off offset:480
	scratch_load_dwordx4 v[40:43], off, off offset:544
	;; [unrolled: 1-line block ×4, first 2 shown]
	v_cmp_lt_u32_e32 vcc, 27, v0
	scratch_load_dwordx4 v[48:51], off, off offset:560
	scratch_load_dwordx4 v[56:59], off, off offset:576
	;; [unrolled: 1-line block ×3, first 2 shown]
	s_waitcnt vmcnt(6) lgkmcnt(3)
	v_mul_f64 v[24:25], v[4:5], v[22:23]
	v_fmac_f64_e32 v[24:25], v[6:7], v[20:21]
	v_add_f64 v[28:29], v[24:25], 0
	scratch_load_dwordx4 v[24:27], off, off offset:496
	s_waitcnt vmcnt(0) lgkmcnt(2)
	v_mul_f64 v[30:31], v[8:9], v[26:27]
	v_fmac_f64_e32 v[30:31], v[10:11], v[24:25]
	v_add_f64 v[32:33], v[28:29], v[30:31]
	scratch_load_dwordx4 v[28:31], off, off offset:512
	;; [unrolled: 5-line block ×3, first 2 shown]
	s_waitcnt vmcnt(0) lgkmcnt(0)
	v_mul_f64 v[38:39], v[16:17], v[34:35]
	v_fmac_f64_e32 v[38:39], v[18:19], v[32:33]
	v_add_f64 v[44:45], v[36:37], v[38:39]
	ds_read_b128 v[36:39], v2 offset:1152
	s_waitcnt lgkmcnt(0)
	v_mul_f64 v[46:47], v[36:37], v[42:43]
	v_fmac_f64_e32 v[46:47], v[38:39], v[40:41]
	v_add_f64 v[52:53], v[44:45], v[46:47]
	ds_read_b128 v[44:47], v2 offset:1168
	s_waitcnt lgkmcnt(0)
	;; [unrolled: 5-line block ×6, first 2 shown]
	v_mul_f64 v[2:3], v[76:77], v[82:83]
	v_fmac_f64_e32 v[2:3], v[78:79], v[80:81]
	v_add_f64 v[84:85], v[84:85], v[2:3]
	v_mul_f64 v[2:3], v[6:7], v[22:23]
	v_fma_f64 v[2:3], v[4:5], v[20:21], -v[2:3]
	v_mul_f64 v[4:5], v[10:11], v[26:27]
	v_add_f64 v[2:3], v[2:3], 0
	v_fma_f64 v[4:5], v[8:9], v[24:25], -v[4:5]
	v_add_f64 v[2:3], v[2:3], v[4:5]
	v_mul_f64 v[4:5], v[14:15], v[30:31]
	v_fma_f64 v[4:5], v[12:13], v[28:29], -v[4:5]
	v_add_f64 v[2:3], v[2:3], v[4:5]
	v_mul_f64 v[4:5], v[18:19], v[34:35]
	;; [unrolled: 3-line block ×8, first 2 shown]
	v_fma_f64 v[4:5], v[76:77], v[80:81], -v[4:5]
	v_add_f64 v[6:7], v[2:3], v[4:5]
	scratch_load_dwordx4 v[2:5], off, off offset:464
	s_waitcnt vmcnt(0)
	v_add_f64 v[2:3], v[2:3], -v[6:7]
	v_add_f64 v[4:5], v[4:5], -v[84:85]
	scratch_store_dwordx4 off, v[2:5], off offset:464
	s_and_saveexec_b64 s[0:1], vcc
	s_cbranch_execz .LBB102_193
; %bb.192:
	scratch_load_dwordx4 v[2:5], off, s27
	v_mov_b32_e32 v6, 0
	v_mov_b32_e32 v7, v6
	v_mov_b32_e32 v8, v6
	v_mov_b32_e32 v9, v6
	scratch_store_dwordx4 off, v[6:9], off offset:448
	s_waitcnt vmcnt(1)
	ds_write_b128 v1, v[2:5]
.LBB102_193:
	s_or_b64 exec, exec, s[0:1]
	s_waitcnt lgkmcnt(0)
	; wave barrier
	scratch_load_dwordx4 v[4:7], off, off offset:464
	scratch_load_dwordx4 v[8:11], off, off offset:480
	;; [unrolled: 1-line block ×12, first 2 shown]
	v_mov_b32_e32 v2, 0
	ds_read_b128 v[52:55], v2 offset:1072
	ds_read_b128 v[56:59], v2 offset:1088
	;; [unrolled: 1-line block ×11, first 2 shown]
	v_cmp_lt_u32_e32 vcc, 26, v0
	s_waitcnt vmcnt(11) lgkmcnt(10)
	v_mul_f64 v[96:97], v[52:53], v[6:7]
	v_mul_f64 v[6:7], v[54:55], v[6:7]
	s_waitcnt vmcnt(10) lgkmcnt(9)
	v_mul_f64 v[98:99], v[56:57], v[10:11]
	s_waitcnt vmcnt(9) lgkmcnt(8)
	v_mul_f64 v[100:101], v[60:61], v[14:15]
	v_mul_f64 v[10:11], v[58:59], v[10:11]
	s_waitcnt vmcnt(6) lgkmcnt(5)
	v_mul_f64 v[106:107], v[72:73], v[26:27]
	v_mul_f64 v[14:15], v[62:63], v[14:15]
	;; [unrolled: 1-line block ×3, first 2 shown]
	v_fmac_f64_e32 v[96:97], v[54:55], v[4:5]
	v_fma_f64 v[4:5], v[52:53], v[4:5], -v[6:7]
	v_fmac_f64_e32 v[98:99], v[58:59], v[8:9]
	v_fma_f64 v[6:7], v[56:57], v[8:9], -v[10:11]
	v_fma_f64 v[8:9], v[60:61], v[12:13], -v[14:15]
	;; [unrolled: 1-line block ×3, first 2 shown]
	v_add_f64 v[26:27], v[96:97], 0
	v_add_f64 v[4:5], v[4:5], 0
	v_mul_f64 v[102:103], v[64:65], v[18:19]
	v_mul_f64 v[18:19], v[66:67], v[18:19]
	v_fmac_f64_e32 v[100:101], v[62:63], v[12:13]
	v_add_f64 v[26:27], v[26:27], v[98:99]
	v_add_f64 v[4:5], v[4:5], v[6:7]
	v_mul_f64 v[104:105], v[68:69], v[22:23]
	v_mul_f64 v[22:23], v[70:71], v[22:23]
	v_fmac_f64_e32 v[102:103], v[66:67], v[16:17]
	v_fma_f64 v[10:11], v[64:65], v[16:17], -v[18:19]
	v_add_f64 v[6:7], v[26:27], v[100:101]
	v_add_f64 v[4:5], v[4:5], v[8:9]
	v_fmac_f64_e32 v[104:105], v[70:71], v[20:21]
	v_fma_f64 v[12:13], v[68:69], v[20:21], -v[22:23]
	v_add_f64 v[6:7], v[6:7], v[102:103]
	v_add_f64 v[4:5], v[4:5], v[10:11]
	s_waitcnt vmcnt(5) lgkmcnt(4)
	v_mul_f64 v[108:109], v[76:77], v[30:31]
	v_mul_f64 v[30:31], v[78:79], v[30:31]
	v_fmac_f64_e32 v[106:107], v[74:75], v[24:25]
	v_add_f64 v[6:7], v[6:7], v[104:105]
	v_add_f64 v[4:5], v[4:5], v[12:13]
	s_waitcnt vmcnt(4) lgkmcnt(3)
	v_mul_f64 v[110:111], v[80:81], v[34:35]
	v_mul_f64 v[34:35], v[82:83], v[34:35]
	v_fmac_f64_e32 v[108:109], v[78:79], v[28:29]
	v_fma_f64 v[16:17], v[76:77], v[28:29], -v[30:31]
	v_add_f64 v[6:7], v[6:7], v[106:107]
	v_add_f64 v[4:5], v[4:5], v[14:15]
	s_waitcnt vmcnt(3) lgkmcnt(2)
	v_mul_f64 v[112:113], v[84:85], v[38:39]
	v_mul_f64 v[38:39], v[86:87], v[38:39]
	v_fmac_f64_e32 v[110:111], v[82:83], v[32:33]
	v_fma_f64 v[18:19], v[80:81], v[32:33], -v[34:35]
	;; [unrolled: 7-line block ×4, first 2 shown]
	v_add_f64 v[6:7], v[6:7], v[112:113]
	v_add_f64 v[4:5], v[4:5], v[20:21]
	v_fmac_f64_e32 v[116:117], v[94:95], v[44:45]
	v_fma_f64 v[24:25], v[92:93], v[44:45], -v[46:47]
	v_add_f64 v[6:7], v[6:7], v[114:115]
	v_add_f64 v[4:5], v[4:5], v[22:23]
	;; [unrolled: 1-line block ×4, first 2 shown]
	s_waitcnt vmcnt(0)
	v_add_f64 v[4:5], v[48:49], -v[4:5]
	v_add_f64 v[6:7], v[50:51], -v[6:7]
	scratch_store_dwordx4 off, v[4:7], off offset:448
	s_and_saveexec_b64 s[0:1], vcc
	s_cbranch_execz .LBB102_195
; %bb.194:
	scratch_load_dwordx4 v[6:9], off, s28
	v_mov_b32_e32 v3, v2
	v_mov_b32_e32 v4, v2
	;; [unrolled: 1-line block ×3, first 2 shown]
	scratch_store_dwordx4 off, v[2:5], off offset:432
	s_waitcnt vmcnt(1)
	ds_write_b128 v1, v[6:9]
.LBB102_195:
	s_or_b64 exec, exec, s[0:1]
	s_waitcnt lgkmcnt(0)
	; wave barrier
	scratch_load_dwordx4 v[4:7], off, off offset:448
	scratch_load_dwordx4 v[8:11], off, off offset:464
	;; [unrolled: 1-line block ×12, first 2 shown]
	ds_read_b128 v[52:55], v2 offset:1056
	ds_read_b128 v[56:59], v2 offset:1072
	;; [unrolled: 1-line block ×4, first 2 shown]
	scratch_load_dwordx4 v[68:71], off, off offset:432
	ds_read_b128 v[72:75], v2 offset:1120
	ds_read_b128 v[76:79], v2 offset:1136
	;; [unrolled: 1-line block ×8, first 2 shown]
	v_cmp_lt_u32_e32 vcc, 25, v0
	s_waitcnt vmcnt(12) lgkmcnt(11)
	v_mul_f64 v[2:3], v[52:53], v[6:7]
	s_waitcnt vmcnt(11) lgkmcnt(10)
	v_mul_f64 v[104:105], v[56:57], v[10:11]
	v_fmac_f64_e32 v[2:3], v[54:55], v[4:5]
	s_waitcnt vmcnt(10) lgkmcnt(9)
	v_mul_f64 v[106:107], v[60:61], v[14:15]
	v_mul_f64 v[6:7], v[54:55], v[6:7]
	v_fmac_f64_e32 v[104:105], v[58:59], v[8:9]
	v_add_f64 v[2:3], v[2:3], 0
	s_waitcnt vmcnt(9) lgkmcnt(8)
	v_mul_f64 v[108:109], v[64:65], v[18:19]
	v_mul_f64 v[10:11], v[58:59], v[10:11]
	v_fmac_f64_e32 v[106:107], v[62:63], v[12:13]
	v_fma_f64 v[4:5], v[52:53], v[4:5], -v[6:7]
	v_add_f64 v[2:3], v[2:3], v[104:105]
	s_waitcnt vmcnt(8) lgkmcnt(7)
	v_mul_f64 v[110:111], v[72:73], v[22:23]
	v_mul_f64 v[14:15], v[62:63], v[14:15]
	v_fmac_f64_e32 v[108:109], v[66:67], v[16:17]
	v_fma_f64 v[6:7], v[56:57], v[8:9], -v[10:11]
	v_add_f64 v[4:5], v[4:5], 0
	v_add_f64 v[2:3], v[2:3], v[106:107]
	s_waitcnt vmcnt(7) lgkmcnt(6)
	v_mul_f64 v[112:113], v[76:77], v[26:27]
	v_mul_f64 v[18:19], v[66:67], v[18:19]
	v_fmac_f64_e32 v[110:111], v[74:75], v[20:21]
	v_fma_f64 v[8:9], v[60:61], v[12:13], -v[14:15]
	v_add_f64 v[4:5], v[4:5], v[6:7]
	;; [unrolled: 7-line block ×8, first 2 shown]
	v_add_f64 v[2:3], v[2:3], v[120:121]
	v_mul_f64 v[46:47], v[98:99], v[46:47]
	v_fmac_f64_e32 v[124:125], v[102:103], v[48:49]
	v_fma_f64 v[22:23], v[92:93], v[40:41], -v[42:43]
	v_add_f64 v[4:5], v[4:5], v[20:21]
	v_add_f64 v[2:3], v[2:3], v[122:123]
	;; [unrolled: 1-line block ×4, first 2 shown]
	v_fma_f64 v[2:3], v[96:97], v[44:45], -v[46:47]
	v_add_f64 v[2:3], v[4:5], v[2:3]
	v_mul_f64 v[4:5], v[102:103], v[50:51]
	v_fma_f64 v[4:5], v[100:101], v[48:49], -v[4:5]
	v_add_f64 v[2:3], v[2:3], v[4:5]
	s_waitcnt vmcnt(0)
	v_add_f64 v[2:3], v[68:69], -v[2:3]
	v_add_f64 v[4:5], v[70:71], -v[6:7]
	scratch_store_dwordx4 off, v[2:5], off offset:432
	s_and_saveexec_b64 s[0:1], vcc
	s_cbranch_execz .LBB102_197
; %bb.196:
	scratch_load_dwordx4 v[2:5], off, s29
	v_mov_b32_e32 v6, 0
	v_mov_b32_e32 v7, v6
	;; [unrolled: 1-line block ×4, first 2 shown]
	scratch_store_dwordx4 off, v[6:9], off offset:416
	s_waitcnt vmcnt(1)
	ds_write_b128 v1, v[2:5]
.LBB102_197:
	s_or_b64 exec, exec, s[0:1]
	s_waitcnt lgkmcnt(0)
	; wave barrier
	scratch_load_dwordx4 v[4:7], off, off offset:432
	scratch_load_dwordx4 v[8:11], off, off offset:448
	;; [unrolled: 1-line block ×14, first 2 shown]
	v_mov_b32_e32 v2, 0
	ds_read_b128 v[60:63], v2 offset:1040
	ds_read_b128 v[64:67], v2 offset:1056
	;; [unrolled: 1-line block ×13, first 2 shown]
	v_cmp_lt_u32_e32 vcc, 24, v0
	s_waitcnt vmcnt(13) lgkmcnt(12)
	v_mul_f64 v[112:113], v[60:61], v[6:7]
	v_mul_f64 v[6:7], v[62:63], v[6:7]
	s_waitcnt vmcnt(12) lgkmcnt(11)
	v_mul_f64 v[114:115], v[64:65], v[10:11]
	v_mul_f64 v[10:11], v[66:67], v[10:11]
	v_fmac_f64_e32 v[112:113], v[62:63], v[4:5]
	v_fma_f64 v[4:5], v[60:61], v[4:5], -v[6:7]
	s_waitcnt vmcnt(11) lgkmcnt(10)
	v_mul_f64 v[116:117], v[68:69], v[14:15]
	v_mul_f64 v[14:15], v[70:71], v[14:15]
	v_fma_f64 v[6:7], v[64:65], v[8:9], -v[10:11]
	v_add_f64 v[4:5], v[4:5], 0
	s_waitcnt vmcnt(10) lgkmcnt(9)
	v_mul_f64 v[118:119], v[72:73], v[18:19]
	v_mul_f64 v[18:19], v[74:75], v[18:19]
	v_fmac_f64_e32 v[114:115], v[66:67], v[8:9]
	v_fma_f64 v[8:9], v[68:69], v[12:13], -v[14:15]
	v_add_f64 v[4:5], v[4:5], v[6:7]
	s_waitcnt vmcnt(9) lgkmcnt(8)
	v_mul_f64 v[120:121], v[76:77], v[22:23]
	v_mul_f64 v[22:23], v[78:79], v[22:23]
	v_fma_f64 v[10:11], v[72:73], v[16:17], -v[18:19]
	v_add_f64 v[4:5], v[4:5], v[8:9]
	s_waitcnt vmcnt(8) lgkmcnt(7)
	v_mul_f64 v[122:123], v[80:81], v[26:27]
	v_mul_f64 v[26:27], v[82:83], v[26:27]
	v_fmac_f64_e32 v[116:117], v[70:71], v[12:13]
	v_fma_f64 v[12:13], v[76:77], v[20:21], -v[22:23]
	v_add_f64 v[22:23], v[112:113], 0
	v_add_f64 v[4:5], v[4:5], v[10:11]
	s_waitcnt vmcnt(7) lgkmcnt(6)
	v_mul_f64 v[124:125], v[84:85], v[30:31]
	v_mul_f64 v[30:31], v[86:87], v[30:31]
	v_fma_f64 v[14:15], v[80:81], v[24:25], -v[26:27]
	v_add_f64 v[22:23], v[22:23], v[114:115]
	v_add_f64 v[4:5], v[4:5], v[12:13]
	s_waitcnt vmcnt(6) lgkmcnt(5)
	v_mul_f64 v[126:127], v[88:89], v[34:35]
	v_mul_f64 v[34:35], v[90:91], v[34:35]
	v_fmac_f64_e32 v[118:119], v[74:75], v[16:17]
	v_fma_f64 v[16:17], v[84:85], v[28:29], -v[30:31]
	v_add_f64 v[6:7], v[22:23], v[116:117]
	v_add_f64 v[4:5], v[4:5], v[14:15]
	s_waitcnt vmcnt(5) lgkmcnt(4)
	v_mul_f64 v[128:129], v[92:93], v[38:39]
	v_mul_f64 v[38:39], v[94:95], v[38:39]
	v_fmac_f64_e32 v[120:121], v[78:79], v[20:21]
	v_fma_f64 v[18:19], v[88:89], v[32:33], -v[34:35]
	v_add_f64 v[6:7], v[6:7], v[118:119]
	v_add_f64 v[4:5], v[4:5], v[16:17]
	v_fmac_f64_e32 v[122:123], v[82:83], v[24:25]
	v_fma_f64 v[20:21], v[92:93], v[36:37], -v[38:39]
	v_add_f64 v[6:7], v[6:7], v[120:121]
	v_add_f64 v[4:5], v[4:5], v[18:19]
	s_waitcnt vmcnt(4) lgkmcnt(3)
	v_mul_f64 v[8:9], v[98:99], v[42:43]
	v_fmac_f64_e32 v[124:125], v[86:87], v[28:29]
	v_add_f64 v[6:7], v[6:7], v[122:123]
	v_add_f64 v[4:5], v[4:5], v[20:21]
	v_fma_f64 v[8:9], v[96:97], v[40:41], -v[8:9]
	v_fmac_f64_e32 v[126:127], v[90:91], v[32:33]
	v_add_f64 v[6:7], v[6:7], v[124:125]
	v_add_f64 v[4:5], v[4:5], v[8:9]
	s_waitcnt vmcnt(3) lgkmcnt(2)
	v_mul_f64 v[8:9], v[102:103], v[46:47]
	v_mul_f64 v[130:131], v[96:97], v[42:43]
	v_fmac_f64_e32 v[128:129], v[94:95], v[36:37]
	v_add_f64 v[6:7], v[6:7], v[126:127]
	v_fma_f64 v[8:9], v[100:101], v[44:45], -v[8:9]
	v_mul_f64 v[132:133], v[100:101], v[46:47]
	v_fmac_f64_e32 v[130:131], v[98:99], v[40:41]
	v_add_f64 v[6:7], v[6:7], v[128:129]
	v_add_f64 v[4:5], v[4:5], v[8:9]
	s_waitcnt vmcnt(2) lgkmcnt(1)
	v_mul_f64 v[8:9], v[106:107], v[50:51]
	v_mul_f64 v[134:135], v[104:105], v[50:51]
	v_fmac_f64_e32 v[132:133], v[102:103], v[44:45]
	v_add_f64 v[6:7], v[6:7], v[130:131]
	v_fma_f64 v[8:9], v[104:105], v[48:49], -v[8:9]
	s_waitcnt vmcnt(1) lgkmcnt(0)
	v_mul_f64 v[136:137], v[108:109], v[54:55]
	v_fmac_f64_e32 v[134:135], v[106:107], v[48:49]
	v_add_f64 v[6:7], v[6:7], v[132:133]
	v_add_f64 v[4:5], v[4:5], v[8:9]
	v_mul_f64 v[8:9], v[110:111], v[54:55]
	v_fmac_f64_e32 v[136:137], v[110:111], v[52:53]
	v_add_f64 v[6:7], v[6:7], v[134:135]
	v_fma_f64 v[8:9], v[108:109], v[52:53], -v[8:9]
	v_add_f64 v[6:7], v[6:7], v[136:137]
	v_add_f64 v[4:5], v[4:5], v[8:9]
	s_waitcnt vmcnt(0)
	v_add_f64 v[4:5], v[56:57], -v[4:5]
	v_add_f64 v[6:7], v[58:59], -v[6:7]
	scratch_store_dwordx4 off, v[4:7], off offset:416
	s_and_saveexec_b64 s[0:1], vcc
	s_cbranch_execz .LBB102_199
; %bb.198:
	scratch_load_dwordx4 v[6:9], off, s30
	v_mov_b32_e32 v3, v2
	v_mov_b32_e32 v4, v2
	;; [unrolled: 1-line block ×3, first 2 shown]
	scratch_store_dwordx4 off, v[2:5], off offset:400
	s_waitcnt vmcnt(1)
	ds_write_b128 v1, v[6:9]
.LBB102_199:
	s_or_b64 exec, exec, s[0:1]
	s_waitcnt lgkmcnt(0)
	; wave barrier
	scratch_load_dwordx4 v[4:7], off, off offset:416
	scratch_load_dwordx4 v[8:11], off, off offset:432
	;; [unrolled: 1-line block ×14, first 2 shown]
	ds_read_b128 v[60:63], v2 offset:1024
	ds_read_b128 v[64:67], v2 offset:1040
	;; [unrolled: 1-line block ×14, first 2 shown]
	scratch_load_dwordx4 v[116:119], off, off offset:400
	v_cmp_lt_u32_e32 vcc, 23, v0
	s_waitcnt vmcnt(14) lgkmcnt(13)
	v_mul_f64 v[2:3], v[60:61], v[6:7]
	s_waitcnt vmcnt(13) lgkmcnt(12)
	v_mul_f64 v[120:121], v[64:65], v[10:11]
	v_fmac_f64_e32 v[2:3], v[62:63], v[4:5]
	s_waitcnt vmcnt(12) lgkmcnt(11)
	v_mul_f64 v[122:123], v[68:69], v[14:15]
	v_fmac_f64_e32 v[120:121], v[66:67], v[8:9]
	v_add_f64 v[2:3], v[2:3], 0
	s_waitcnt vmcnt(11) lgkmcnt(10)
	v_mul_f64 v[124:125], v[72:73], v[18:19]
	v_fmac_f64_e32 v[122:123], v[70:71], v[12:13]
	v_add_f64 v[2:3], v[2:3], v[120:121]
	s_waitcnt vmcnt(10) lgkmcnt(9)
	v_mul_f64 v[126:127], v[76:77], v[22:23]
	v_fmac_f64_e32 v[124:125], v[74:75], v[16:17]
	v_add_f64 v[2:3], v[2:3], v[122:123]
	s_waitcnt vmcnt(9) lgkmcnt(8)
	v_mul_f64 v[128:129], v[80:81], v[26:27]
	v_fmac_f64_e32 v[126:127], v[78:79], v[20:21]
	v_add_f64 v[2:3], v[2:3], v[124:125]
	s_waitcnt vmcnt(8) lgkmcnt(7)
	v_mul_f64 v[130:131], v[84:85], v[30:31]
	v_mul_f64 v[6:7], v[62:63], v[6:7]
	v_fmac_f64_e32 v[128:129], v[82:83], v[24:25]
	v_add_f64 v[2:3], v[2:3], v[126:127]
	s_waitcnt vmcnt(7) lgkmcnt(6)
	v_mul_f64 v[132:133], v[88:89], v[34:35]
	v_mul_f64 v[10:11], v[66:67], v[10:11]
	v_fmac_f64_e32 v[130:131], v[86:87], v[28:29]
	v_fma_f64 v[4:5], v[60:61], v[4:5], -v[6:7]
	v_add_f64 v[2:3], v[2:3], v[128:129]
	s_waitcnt vmcnt(6) lgkmcnt(5)
	v_mul_f64 v[134:135], v[92:93], v[38:39]
	v_mul_f64 v[14:15], v[70:71], v[14:15]
	v_fmac_f64_e32 v[132:133], v[90:91], v[32:33]
	v_fma_f64 v[6:7], v[64:65], v[8:9], -v[10:11]
	v_add_f64 v[4:5], v[4:5], 0
	v_add_f64 v[2:3], v[2:3], v[130:131]
	s_waitcnt vmcnt(5) lgkmcnt(4)
	v_mul_f64 v[136:137], v[96:97], v[42:43]
	v_mul_f64 v[18:19], v[74:75], v[18:19]
	v_fmac_f64_e32 v[134:135], v[94:95], v[36:37]
	v_fma_f64 v[8:9], v[68:69], v[12:13], -v[14:15]
	v_add_f64 v[4:5], v[4:5], v[6:7]
	;; [unrolled: 7-line block ×6, first 2 shown]
	v_add_f64 v[2:3], v[2:3], v[140:141]
	v_fmac_f64_e32 v[144:145], v[114:115], v[56:57]
	v_fma_f64 v[18:19], v[88:89], v[32:33], -v[34:35]
	v_add_f64 v[4:5], v[4:5], v[16:17]
	v_add_f64 v[2:3], v[2:3], v[142:143]
	;; [unrolled: 1-line block ×4, first 2 shown]
	v_mul_f64 v[4:5], v[94:95], v[38:39]
	v_fma_f64 v[4:5], v[92:93], v[36:37], -v[4:5]
	v_add_f64 v[2:3], v[2:3], v[4:5]
	v_mul_f64 v[4:5], v[98:99], v[42:43]
	v_fma_f64 v[4:5], v[96:97], v[40:41], -v[4:5]
	v_add_f64 v[2:3], v[2:3], v[4:5]
	;; [unrolled: 3-line block ×6, first 2 shown]
	s_waitcnt vmcnt(0)
	v_add_f64 v[2:3], v[116:117], -v[2:3]
	v_add_f64 v[4:5], v[118:119], -v[6:7]
	scratch_store_dwordx4 off, v[2:5], off offset:400
	s_and_saveexec_b64 s[0:1], vcc
	s_cbranch_execz .LBB102_201
; %bb.200:
	scratch_load_dwordx4 v[2:5], off, s31
	v_mov_b32_e32 v6, 0
	v_mov_b32_e32 v7, v6
	;; [unrolled: 1-line block ×4, first 2 shown]
	scratch_store_dwordx4 off, v[6:9], off offset:384
	s_waitcnt vmcnt(1)
	ds_write_b128 v1, v[2:5]
.LBB102_201:
	s_or_b64 exec, exec, s[0:1]
	s_waitcnt lgkmcnt(0)
	; wave barrier
	scratch_load_dwordx4 v[4:7], off, off offset:400
	scratch_load_dwordx4 v[8:11], off, off offset:416
	;; [unrolled: 1-line block ×16, first 2 shown]
	v_mov_b32_e32 v2, 0
	ds_read_b128 v[68:71], v2 offset:1008
	ds_read_b128 v[72:75], v2 offset:1024
	ds_read_b128 v[76:79], v2 offset:1040
	ds_read_b128 v[80:83], v2 offset:1056
	ds_read_b128 v[84:87], v2 offset:1072
	ds_read_b128 v[88:91], v2 offset:1088
	ds_read_b128 v[92:95], v2 offset:1104
	ds_read_b128 v[96:99], v2 offset:1120
	ds_read_b128 v[100:103], v2 offset:1136
	ds_read_b128 v[104:107], v2 offset:1152
	ds_read_b128 v[108:111], v2 offset:1168
	ds_read_b128 v[112:115], v2 offset:1184
	ds_read_b128 v[116:119], v2 offset:1200
	ds_read_b128 v[120:123], v2 offset:1216
	ds_read_b128 v[124:127], v2 offset:1232
	v_cmp_lt_u32_e32 vcc, 22, v0
	s_waitcnt vmcnt(15) lgkmcnt(14)
	v_mul_f64 v[128:129], v[68:69], v[6:7]
	v_mul_f64 v[6:7], v[70:71], v[6:7]
	s_waitcnt vmcnt(14) lgkmcnt(13)
	v_mul_f64 v[130:131], v[72:73], v[10:11]
	v_mul_f64 v[10:11], v[74:75], v[10:11]
	v_fmac_f64_e32 v[128:129], v[70:71], v[4:5]
	v_fma_f64 v[4:5], v[68:69], v[4:5], -v[6:7]
	s_waitcnt vmcnt(13) lgkmcnt(12)
	v_mul_f64 v[132:133], v[76:77], v[14:15]
	v_mul_f64 v[14:15], v[78:79], v[14:15]
	v_fma_f64 v[6:7], v[72:73], v[8:9], -v[10:11]
	v_add_f64 v[4:5], v[4:5], 0
	s_waitcnt vmcnt(12) lgkmcnt(11)
	v_mul_f64 v[134:135], v[80:81], v[18:19]
	v_mul_f64 v[18:19], v[82:83], v[18:19]
	v_fmac_f64_e32 v[130:131], v[74:75], v[8:9]
	v_fma_f64 v[8:9], v[76:77], v[12:13], -v[14:15]
	v_add_f64 v[4:5], v[4:5], v[6:7]
	s_waitcnt vmcnt(11) lgkmcnt(10)
	v_mul_f64 v[136:137], v[84:85], v[22:23]
	v_mul_f64 v[22:23], v[86:87], v[22:23]
	v_fma_f64 v[10:11], v[80:81], v[16:17], -v[18:19]
	v_add_f64 v[4:5], v[4:5], v[8:9]
	s_waitcnt vmcnt(10) lgkmcnt(9)
	v_mul_f64 v[138:139], v[88:89], v[26:27]
	v_mul_f64 v[26:27], v[90:91], v[26:27]
	v_fmac_f64_e32 v[132:133], v[78:79], v[12:13]
	v_fma_f64 v[12:13], v[84:85], v[20:21], -v[22:23]
	v_add_f64 v[4:5], v[4:5], v[10:11]
	v_fma_f64 v[14:15], v[88:89], v[24:25], -v[26:27]
	v_add_f64 v[4:5], v[4:5], v[12:13]
	s_waitcnt vmcnt(9) lgkmcnt(8)
	v_mul_f64 v[8:9], v[94:95], v[30:31]
	v_add_f64 v[4:5], v[4:5], v[14:15]
	v_fma_f64 v[8:9], v[92:93], v[28:29], -v[8:9]
	v_add_f64 v[4:5], v[4:5], v[8:9]
	s_waitcnt vmcnt(8) lgkmcnt(7)
	v_mul_f64 v[8:9], v[98:99], v[34:35]
	v_fma_f64 v[8:9], v[96:97], v[32:33], -v[8:9]
	v_fmac_f64_e32 v[134:135], v[82:83], v[16:17]
	v_add_f64 v[16:17], v[128:129], 0
	v_add_f64 v[4:5], v[4:5], v[8:9]
	s_waitcnt vmcnt(7) lgkmcnt(6)
	v_mul_f64 v[8:9], v[102:103], v[38:39]
	v_add_f64 v[16:17], v[16:17], v[130:131]
	v_fma_f64 v[8:9], v[100:101], v[36:37], -v[8:9]
	v_add_f64 v[6:7], v[16:17], v[132:133]
	v_add_f64 v[4:5], v[4:5], v[8:9]
	s_waitcnt vmcnt(6) lgkmcnt(5)
	v_mul_f64 v[8:9], v[106:107], v[42:43]
	v_fmac_f64_e32 v[136:137], v[86:87], v[20:21]
	v_add_f64 v[6:7], v[6:7], v[134:135]
	v_fma_f64 v[8:9], v[104:105], v[40:41], -v[8:9]
	v_mul_f64 v[140:141], v[92:93], v[30:31]
	v_fmac_f64_e32 v[138:139], v[90:91], v[24:25]
	v_add_f64 v[6:7], v[6:7], v[136:137]
	v_add_f64 v[4:5], v[4:5], v[8:9]
	s_waitcnt vmcnt(5) lgkmcnt(4)
	v_mul_f64 v[8:9], v[110:111], v[46:47]
	v_mul_f64 v[142:143], v[96:97], v[34:35]
	v_fmac_f64_e32 v[140:141], v[94:95], v[28:29]
	v_add_f64 v[6:7], v[6:7], v[138:139]
	v_fma_f64 v[8:9], v[108:109], v[44:45], -v[8:9]
	v_mul_f64 v[144:145], v[100:101], v[38:39]
	v_fmac_f64_e32 v[142:143], v[98:99], v[32:33]
	v_add_f64 v[6:7], v[6:7], v[140:141]
	v_add_f64 v[4:5], v[4:5], v[8:9]
	s_waitcnt vmcnt(4) lgkmcnt(3)
	v_mul_f64 v[8:9], v[114:115], v[50:51]
	;; [unrolled: 10-line block ×4, first 2 shown]
	v_mul_f64 v[154:155], v[120:121], v[58:59]
	v_fmac_f64_e32 v[152:153], v[118:119], v[52:53]
	v_add_f64 v[6:7], v[6:7], v[150:151]
	v_fma_f64 v[8:9], v[120:121], v[56:57], -v[8:9]
	s_waitcnt vmcnt(1) lgkmcnt(0)
	v_mul_f64 v[156:157], v[124:125], v[62:63]
	v_fmac_f64_e32 v[154:155], v[122:123], v[56:57]
	v_add_f64 v[6:7], v[6:7], v[152:153]
	v_add_f64 v[4:5], v[4:5], v[8:9]
	v_mul_f64 v[8:9], v[126:127], v[62:63]
	v_fmac_f64_e32 v[156:157], v[126:127], v[60:61]
	v_add_f64 v[6:7], v[6:7], v[154:155]
	v_fma_f64 v[8:9], v[124:125], v[60:61], -v[8:9]
	v_add_f64 v[6:7], v[6:7], v[156:157]
	v_add_f64 v[4:5], v[4:5], v[8:9]
	s_waitcnt vmcnt(0)
	v_add_f64 v[4:5], v[64:65], -v[4:5]
	v_add_f64 v[6:7], v[66:67], -v[6:7]
	scratch_store_dwordx4 off, v[4:7], off offset:384
	s_and_saveexec_b64 s[0:1], vcc
	s_cbranch_execz .LBB102_203
; %bb.202:
	scratch_load_dwordx4 v[6:9], off, s33
	v_mov_b32_e32 v3, v2
	v_mov_b32_e32 v4, v2
	;; [unrolled: 1-line block ×3, first 2 shown]
	scratch_store_dwordx4 off, v[2:5], off offset:368
	s_waitcnt vmcnt(1)
	ds_write_b128 v1, v[6:9]
.LBB102_203:
	s_or_b64 exec, exec, s[0:1]
	s_waitcnt lgkmcnt(0)
	; wave barrier
	scratch_load_dwordx4 v[4:7], off, off offset:384
	scratch_load_dwordx4 v[8:11], off, off offset:400
	;; [unrolled: 1-line block ×16, first 2 shown]
	ds_read_b128 v[68:71], v2 offset:992
	ds_read_b128 v[72:75], v2 offset:1008
	;; [unrolled: 1-line block ×16, first 2 shown]
	scratch_load_dwordx4 v[132:135], off, off offset:368
	v_cmp_lt_u32_e32 vcc, 21, v0
	s_waitcnt vmcnt(16) lgkmcnt(14)
	v_mul_f64 v[2:3], v[68:69], v[6:7]
	s_waitcnt vmcnt(15)
	v_mul_f64 v[136:137], v[72:73], v[10:11]
	v_fmac_f64_e32 v[2:3], v[70:71], v[4:5]
	s_waitcnt vmcnt(14) lgkmcnt(13)
	v_mul_f64 v[138:139], v[76:77], v[14:15]
	v_fmac_f64_e32 v[136:137], v[74:75], v[8:9]
	v_add_f64 v[2:3], v[2:3], 0
	s_waitcnt vmcnt(13) lgkmcnt(12)
	v_mul_f64 v[140:141], v[80:81], v[18:19]
	v_fmac_f64_e32 v[138:139], v[78:79], v[12:13]
	v_add_f64 v[2:3], v[2:3], v[136:137]
	;; [unrolled: 4-line block ×10, first 2 shown]
	s_waitcnt vmcnt(4) lgkmcnt(3)
	v_mul_f64 v[158:159], v[116:117], v[54:55]
	v_mul_f64 v[6:7], v[70:71], v[6:7]
	v_fmac_f64_e32 v[156:157], v[114:115], v[48:49]
	v_add_f64 v[2:3], v[2:3], v[154:155]
	s_waitcnt vmcnt(3) lgkmcnt(2)
	v_mul_f64 v[160:161], v[120:121], v[58:59]
	v_mul_f64 v[10:11], v[74:75], v[10:11]
	v_fmac_f64_e32 v[158:159], v[118:119], v[52:53]
	v_fma_f64 v[4:5], v[68:69], v[4:5], -v[6:7]
	v_add_f64 v[2:3], v[2:3], v[156:157]
	s_waitcnt vmcnt(2) lgkmcnt(1)
	v_mul_f64 v[162:163], v[124:125], v[62:63]
	v_mul_f64 v[14:15], v[78:79], v[14:15]
	v_fmac_f64_e32 v[160:161], v[122:123], v[56:57]
	v_fma_f64 v[6:7], v[72:73], v[8:9], -v[10:11]
	v_add_f64 v[4:5], v[4:5], 0
	v_add_f64 v[2:3], v[2:3], v[158:159]
	s_waitcnt vmcnt(1) lgkmcnt(0)
	v_mul_f64 v[164:165], v[128:129], v[66:67]
	v_mul_f64 v[18:19], v[82:83], v[18:19]
	v_fmac_f64_e32 v[162:163], v[126:127], v[60:61]
	v_fma_f64 v[8:9], v[76:77], v[12:13], -v[14:15]
	v_add_f64 v[4:5], v[4:5], v[6:7]
	v_add_f64 v[2:3], v[2:3], v[160:161]
	v_mul_f64 v[26:27], v[86:87], v[26:27]
	v_fmac_f64_e32 v[164:165], v[130:131], v[64:65]
	v_fma_f64 v[10:11], v[80:81], v[16:17], -v[18:19]
	v_add_f64 v[4:5], v[4:5], v[8:9]
	v_add_f64 v[2:3], v[2:3], v[162:163]
	v_fma_f64 v[12:13], v[84:85], v[24:25], -v[26:27]
	v_add_f64 v[4:5], v[4:5], v[10:11]
	v_add_f64 v[6:7], v[2:3], v[164:165]
	v_mul_f64 v[2:3], v[90:91], v[22:23]
	v_add_f64 v[4:5], v[4:5], v[12:13]
	v_fma_f64 v[2:3], v[88:89], v[20:21], -v[2:3]
	v_add_f64 v[2:3], v[4:5], v[2:3]
	v_mul_f64 v[4:5], v[94:95], v[30:31]
	v_fma_f64 v[4:5], v[92:93], v[28:29], -v[4:5]
	v_add_f64 v[2:3], v[2:3], v[4:5]
	v_mul_f64 v[4:5], v[98:99], v[34:35]
	;; [unrolled: 3-line block ×10, first 2 shown]
	v_fma_f64 v[4:5], v[128:129], v[64:65], -v[4:5]
	v_add_f64 v[2:3], v[2:3], v[4:5]
	s_waitcnt vmcnt(0)
	v_add_f64 v[2:3], v[132:133], -v[2:3]
	v_add_f64 v[4:5], v[134:135], -v[6:7]
	scratch_store_dwordx4 off, v[2:5], off offset:368
	s_and_saveexec_b64 s[0:1], vcc
	s_cbranch_execz .LBB102_205
; %bb.204:
	scratch_load_dwordx4 v[2:5], off, s34
	v_mov_b32_e32 v6, 0
	v_mov_b32_e32 v7, v6
	;; [unrolled: 1-line block ×4, first 2 shown]
	scratch_store_dwordx4 off, v[6:9], off offset:352
	s_waitcnt vmcnt(1)
	ds_write_b128 v1, v[2:5]
.LBB102_205:
	s_or_b64 exec, exec, s[0:1]
	v_mov_b32_e32 v2, 0
	s_waitcnt lgkmcnt(0)
	; wave barrier
	ds_read_b128 v[16:19], v2 offset:976
	ds_read_b128 v[12:15], v2 offset:992
	;; [unrolled: 1-line block ×4, first 2 shown]
	scratch_load_dwordx4 v[20:23], off, off offset:368
	scratch_load_dwordx4 v[40:43], off, off offset:432
	;; [unrolled: 1-line block ×11, first 2 shown]
	v_cmp_lt_u32_e32 vcc, 20, v0
	scratch_load_dwordx4 v[48:51], off, off offset:448
	scratch_load_dwordx4 v[56:59], off, off offset:464
	;; [unrolled: 1-line block ×3, first 2 shown]
	s_waitcnt vmcnt(13) lgkmcnt(3)
	v_mul_f64 v[24:25], v[16:17], v[22:23]
	v_fmac_f64_e32 v[24:25], v[18:19], v[20:21]
	v_add_f64 v[28:29], v[24:25], 0
	scratch_load_dwordx4 v[24:27], off, off offset:384
	v_mul_f64 v[18:19], v[18:19], v[22:23]
	v_fma_f64 v[16:17], v[16:17], v[20:21], -v[18:19]
	v_add_f64 v[16:17], v[16:17], 0
	s_waitcnt vmcnt(0) lgkmcnt(2)
	v_mul_f64 v[30:31], v[12:13], v[26:27]
	v_fmac_f64_e32 v[30:31], v[14:15], v[24:25]
	v_add_f64 v[32:33], v[28:29], v[30:31]
	scratch_load_dwordx4 v[28:31], off, off offset:400
	v_mul_f64 v[14:15], v[14:15], v[26:27]
	v_fma_f64 v[12:13], v[12:13], v[24:25], -v[14:15]
	v_add_f64 v[12:13], v[16:17], v[12:13]
	;; [unrolled: 8-line block ×3, first 2 shown]
	s_waitcnt vmcnt(0) lgkmcnt(0)
	v_mul_f64 v[38:39], v[4:5], v[34:35]
	v_fmac_f64_e32 v[38:39], v[6:7], v[32:33]
	v_add_f64 v[44:45], v[36:37], v[38:39]
	ds_read_b128 v[36:39], v2 offset:1040
	v_mul_f64 v[6:7], v[6:7], v[34:35]
	v_fma_f64 v[4:5], v[4:5], v[32:33], -v[6:7]
	v_add_f64 v[4:5], v[8:9], v[4:5]
	s_waitcnt lgkmcnt(0)
	v_mul_f64 v[46:47], v[36:37], v[42:43]
	v_fmac_f64_e32 v[46:47], v[38:39], v[40:41]
	v_add_f64 v[52:53], v[44:45], v[46:47]
	ds_read_b128 v[44:47], v2 offset:1056
	v_mul_f64 v[6:7], v[38:39], v[42:43]
	v_fma_f64 v[6:7], v[36:37], v[40:41], -v[6:7]
	v_add_f64 v[4:5], v[4:5], v[6:7]
	s_waitcnt lgkmcnt(0)
	;; [unrolled: 8-line block ×13, first 2 shown]
	v_mul_f64 v[6:7], v[136:137], v[140:141]
	v_fma_f64 v[6:7], v[134:135], v[138:139], -v[6:7]
	v_add_f64 v[8:9], v[4:5], v[6:7]
	scratch_load_dwordx4 v[4:7], off, off offset:352
	v_mul_f64 v[142:143], v[134:135], v[140:141]
	v_fmac_f64_e32 v[142:143], v[136:137], v[138:139]
	v_add_f64 v[72:73], v[72:73], v[142:143]
	s_waitcnt vmcnt(0)
	v_add_f64 v[4:5], v[4:5], -v[8:9]
	v_add_f64 v[6:7], v[6:7], -v[72:73]
	scratch_store_dwordx4 off, v[4:7], off offset:352
	s_and_saveexec_b64 s[0:1], vcc
	s_cbranch_execz .LBB102_207
; %bb.206:
	scratch_load_dwordx4 v[6:9], off, s35
	v_mov_b32_e32 v3, v2
	v_mov_b32_e32 v4, v2
	v_mov_b32_e32 v5, v2
	scratch_store_dwordx4 off, v[2:5], off offset:336
	s_waitcnt vmcnt(1)
	ds_write_b128 v1, v[6:9]
.LBB102_207:
	s_or_b64 exec, exec, s[0:1]
	s_waitcnt lgkmcnt(0)
	; wave barrier
	ds_read_b128 v[16:19], v2 offset:960
	ds_read_b128 v[12:15], v2 offset:976
	;; [unrolled: 1-line block ×4, first 2 shown]
	scratch_load_dwordx4 v[20:23], off, off offset:352
	scratch_load_dwordx4 v[40:43], off, off offset:416
	;; [unrolled: 1-line block ×12, first 2 shown]
	v_cmp_lt_u32_e32 vcc, 19, v0
	scratch_load_dwordx4 v[48:51], off, off offset:432
	scratch_load_dwordx4 v[56:59], off, off offset:448
	;; [unrolled: 1-line block ×3, first 2 shown]
	s_waitcnt vmcnt(14) lgkmcnt(3)
	v_mul_f64 v[24:25], v[16:17], v[22:23]
	v_fmac_f64_e32 v[24:25], v[18:19], v[20:21]
	v_add_f64 v[28:29], v[24:25], 0
	scratch_load_dwordx4 v[24:27], off, off offset:368
	s_waitcnt vmcnt(0) lgkmcnt(2)
	v_mul_f64 v[30:31], v[12:13], v[26:27]
	v_fmac_f64_e32 v[30:31], v[14:15], v[24:25]
	v_add_f64 v[32:33], v[28:29], v[30:31]
	scratch_load_dwordx4 v[28:31], off, off offset:384
	v_mul_f64 v[14:15], v[14:15], v[26:27]
	v_fma_f64 v[12:13], v[12:13], v[24:25], -v[14:15]
	s_waitcnt vmcnt(0) lgkmcnt(1)
	v_mul_f64 v[34:35], v[8:9], v[30:31]
	v_fmac_f64_e32 v[34:35], v[10:11], v[28:29]
	v_add_f64 v[36:37], v[32:33], v[34:35]
	scratch_load_dwordx4 v[32:35], off, off offset:400
	v_mul_f64 v[10:11], v[10:11], v[30:31]
	v_fma_f64 v[8:9], v[8:9], v[28:29], -v[10:11]
	s_waitcnt vmcnt(0) lgkmcnt(0)
	v_mul_f64 v[38:39], v[4:5], v[34:35]
	v_fmac_f64_e32 v[38:39], v[6:7], v[32:33]
	v_add_f64 v[44:45], v[36:37], v[38:39]
	ds_read_b128 v[36:39], v2 offset:1024
	v_mul_f64 v[6:7], v[6:7], v[34:35]
	v_fma_f64 v[4:5], v[4:5], v[32:33], -v[6:7]
	s_waitcnt lgkmcnt(0)
	v_mul_f64 v[46:47], v[36:37], v[42:43]
	v_fmac_f64_e32 v[46:47], v[38:39], v[40:41]
	v_add_f64 v[52:53], v[44:45], v[46:47]
	ds_read_b128 v[44:47], v2 offset:1040
	s_waitcnt lgkmcnt(0)
	v_mul_f64 v[54:55], v[44:45], v[50:51]
	v_fmac_f64_e32 v[54:55], v[46:47], v[48:49]
	v_add_f64 v[60:61], v[52:53], v[54:55]
	ds_read_b128 v[52:55], v2 offset:1056
	;; [unrolled: 5-line block ×13, first 2 shown]
	s_waitcnt lgkmcnt(0)
	v_mul_f64 v[2:3], v[142:143], v[148:149]
	v_fmac_f64_e32 v[2:3], v[144:145], v[146:147]
	v_add_f64 v[80:81], v[80:81], v[2:3]
	v_mul_f64 v[2:3], v[18:19], v[22:23]
	v_fma_f64 v[2:3], v[16:17], v[20:21], -v[2:3]
	v_add_f64 v[2:3], v[2:3], 0
	v_add_f64 v[2:3], v[2:3], v[12:13]
	;; [unrolled: 1-line block ×4, first 2 shown]
	v_mul_f64 v[4:5], v[38:39], v[42:43]
	v_fma_f64 v[4:5], v[36:37], v[40:41], -v[4:5]
	v_add_f64 v[2:3], v[2:3], v[4:5]
	v_mul_f64 v[4:5], v[46:47], v[50:51]
	v_fma_f64 v[4:5], v[44:45], v[48:49], -v[4:5]
	v_add_f64 v[2:3], v[2:3], v[4:5]
	;; [unrolled: 3-line block ×14, first 2 shown]
	scratch_load_dwordx4 v[2:5], off, off offset:336
	s_waitcnt vmcnt(0)
	v_add_f64 v[2:3], v[2:3], -v[6:7]
	v_add_f64 v[4:5], v[4:5], -v[80:81]
	scratch_store_dwordx4 off, v[2:5], off offset:336
	s_and_saveexec_b64 s[0:1], vcc
	s_cbranch_execz .LBB102_209
; %bb.208:
	scratch_load_dwordx4 v[2:5], off, s36
	v_mov_b32_e32 v6, 0
	v_mov_b32_e32 v7, v6
	v_mov_b32_e32 v8, v6
	v_mov_b32_e32 v9, v6
	scratch_store_dwordx4 off, v[6:9], off offset:320
	s_waitcnt vmcnt(1)
	ds_write_b128 v1, v[2:5]
.LBB102_209:
	s_or_b64 exec, exec, s[0:1]
	v_mov_b32_e32 v2, 0
	s_waitcnt lgkmcnt(0)
	; wave barrier
	ds_read_b128 v[16:19], v2 offset:944
	ds_read_b128 v[12:15], v2 offset:960
	;; [unrolled: 1-line block ×4, first 2 shown]
	scratch_load_dwordx4 v[20:23], off, off offset:336
	scratch_load_dwordx4 v[40:43], off, off offset:400
	;; [unrolled: 1-line block ×13, first 2 shown]
	v_cmp_lt_u32_e32 vcc, 18, v0
	scratch_load_dwordx4 v[48:51], off, off offset:416
	scratch_load_dwordx4 v[56:59], off, off offset:432
	;; [unrolled: 1-line block ×3, first 2 shown]
	s_waitcnt vmcnt(15) lgkmcnt(3)
	v_mul_f64 v[24:25], v[16:17], v[22:23]
	v_fmac_f64_e32 v[24:25], v[18:19], v[20:21]
	v_add_f64 v[28:29], v[24:25], 0
	scratch_load_dwordx4 v[24:27], off, off offset:352
	v_mul_f64 v[18:19], v[18:19], v[22:23]
	v_fma_f64 v[16:17], v[16:17], v[20:21], -v[18:19]
	v_add_f64 v[16:17], v[16:17], 0
	s_waitcnt vmcnt(0) lgkmcnt(2)
	v_mul_f64 v[30:31], v[12:13], v[26:27]
	v_fmac_f64_e32 v[30:31], v[14:15], v[24:25]
	v_add_f64 v[32:33], v[28:29], v[30:31]
	scratch_load_dwordx4 v[28:31], off, off offset:368
	v_mul_f64 v[14:15], v[14:15], v[26:27]
	v_fma_f64 v[12:13], v[12:13], v[24:25], -v[14:15]
	v_add_f64 v[12:13], v[16:17], v[12:13]
	;; [unrolled: 8-line block ×3, first 2 shown]
	s_waitcnt vmcnt(0) lgkmcnt(0)
	v_mul_f64 v[38:39], v[4:5], v[34:35]
	v_fmac_f64_e32 v[38:39], v[6:7], v[32:33]
	v_add_f64 v[44:45], v[36:37], v[38:39]
	ds_read_b128 v[36:39], v2 offset:1008
	v_mul_f64 v[6:7], v[6:7], v[34:35]
	v_fma_f64 v[4:5], v[4:5], v[32:33], -v[6:7]
	v_add_f64 v[4:5], v[8:9], v[4:5]
	s_waitcnt lgkmcnt(0)
	v_mul_f64 v[46:47], v[36:37], v[42:43]
	v_fmac_f64_e32 v[46:47], v[38:39], v[40:41]
	v_add_f64 v[52:53], v[44:45], v[46:47]
	ds_read_b128 v[44:47], v2 offset:1024
	v_mul_f64 v[6:7], v[38:39], v[42:43]
	v_fma_f64 v[6:7], v[36:37], v[40:41], -v[6:7]
	v_add_f64 v[4:5], v[4:5], v[6:7]
	s_waitcnt lgkmcnt(0)
	v_mul_f64 v[54:55], v[44:45], v[50:51]
	v_fmac_f64_e32 v[54:55], v[46:47], v[48:49]
	v_add_f64 v[60:61], v[52:53], v[54:55]
	ds_read_b128 v[52:55], v2 offset:1040
	v_mul_f64 v[6:7], v[46:47], v[50:51]
	v_fma_f64 v[6:7], v[44:45], v[48:49], -v[6:7]
	v_add_f64 v[4:5], v[4:5], v[6:7]
	s_waitcnt lgkmcnt(0)
	v_mul_f64 v[62:63], v[52:53], v[58:59]
	v_fmac_f64_e32 v[62:63], v[54:55], v[56:57]
	v_add_f64 v[68:69], v[60:61], v[62:63]
	ds_read_b128 v[60:63], v2 offset:1056
	v_mul_f64 v[6:7], v[54:55], v[58:59]
	v_fma_f64 v[6:7], v[52:53], v[56:57], -v[6:7]
	v_add_f64 v[4:5], v[4:5], v[6:7]
	s_waitcnt lgkmcnt(0)
	v_mul_f64 v[70:71], v[60:61], v[66:67]
	v_fmac_f64_e32 v[70:71], v[62:63], v[64:65]
	v_add_f64 v[76:77], v[68:69], v[70:71]
	ds_read_b128 v[68:71], v2 offset:1072
	v_mul_f64 v[6:7], v[62:63], v[66:67]
	v_fma_f64 v[6:7], v[60:61], v[64:65], -v[6:7]
	v_add_f64 v[4:5], v[4:5], v[6:7]
	s_waitcnt lgkmcnt(0)
	v_mul_f64 v[78:79], v[68:69], v[74:75]
	v_fmac_f64_e32 v[78:79], v[70:71], v[72:73]
	v_add_f64 v[84:85], v[76:77], v[78:79]
	ds_read_b128 v[76:79], v2 offset:1088
	v_mul_f64 v[6:7], v[70:71], v[74:75]
	v_fma_f64 v[6:7], v[68:69], v[72:73], -v[6:7]
	v_add_f64 v[4:5], v[4:5], v[6:7]
	s_waitcnt lgkmcnt(0)
	v_mul_f64 v[86:87], v[76:77], v[82:83]
	v_fmac_f64_e32 v[86:87], v[78:79], v[80:81]
	v_add_f64 v[88:89], v[84:85], v[86:87]
	ds_read_b128 v[84:87], v2 offset:1104
	v_mul_f64 v[6:7], v[78:79], v[82:83]
	v_fma_f64 v[6:7], v[76:77], v[80:81], -v[6:7]
	v_add_f64 v[4:5], v[4:5], v[6:7]
	s_waitcnt lgkmcnt(0)
	v_mul_f64 v[94:95], v[84:85], v[92:93]
	v_fmac_f64_e32 v[94:95], v[86:87], v[90:91]
	v_add_f64 v[88:89], v[88:89], v[94:95]
	ds_read_b128 v[94:97], v2 offset:1120
	v_mul_f64 v[6:7], v[86:87], v[92:93]
	v_fma_f64 v[6:7], v[84:85], v[90:91], -v[6:7]
	v_add_f64 v[4:5], v[4:5], v[6:7]
	s_waitcnt lgkmcnt(0)
	v_mul_f64 v[102:103], v[94:95], v[100:101]
	v_fmac_f64_e32 v[102:103], v[96:97], v[98:99]
	v_add_f64 v[88:89], v[88:89], v[102:103]
	ds_read_b128 v[102:105], v2 offset:1136
	v_mul_f64 v[6:7], v[96:97], v[100:101]
	v_fma_f64 v[6:7], v[94:95], v[98:99], -v[6:7]
	v_add_f64 v[4:5], v[4:5], v[6:7]
	s_waitcnt lgkmcnt(0)
	v_mul_f64 v[110:111], v[102:103], v[108:109]
	v_fmac_f64_e32 v[110:111], v[104:105], v[106:107]
	v_add_f64 v[88:89], v[88:89], v[110:111]
	ds_read_b128 v[110:113], v2 offset:1152
	v_mul_f64 v[6:7], v[104:105], v[108:109]
	v_fma_f64 v[6:7], v[102:103], v[106:107], -v[6:7]
	v_add_f64 v[4:5], v[4:5], v[6:7]
	s_waitcnt lgkmcnt(0)
	v_mul_f64 v[118:119], v[110:111], v[116:117]
	v_fmac_f64_e32 v[118:119], v[112:113], v[114:115]
	v_add_f64 v[88:89], v[88:89], v[118:119]
	ds_read_b128 v[118:121], v2 offset:1168
	v_mul_f64 v[6:7], v[112:113], v[116:117]
	v_fma_f64 v[6:7], v[110:111], v[114:115], -v[6:7]
	v_add_f64 v[4:5], v[4:5], v[6:7]
	s_waitcnt lgkmcnt(0)
	v_mul_f64 v[126:127], v[118:119], v[124:125]
	v_fmac_f64_e32 v[126:127], v[120:121], v[122:123]
	v_add_f64 v[88:89], v[88:89], v[126:127]
	ds_read_b128 v[126:129], v2 offset:1184
	v_mul_f64 v[6:7], v[120:121], v[124:125]
	v_fma_f64 v[6:7], v[118:119], v[122:123], -v[6:7]
	v_add_f64 v[4:5], v[4:5], v[6:7]
	s_waitcnt lgkmcnt(0)
	v_mul_f64 v[134:135], v[126:127], v[132:133]
	v_fmac_f64_e32 v[134:135], v[128:129], v[130:131]
	v_add_f64 v[88:89], v[88:89], v[134:135]
	ds_read_b128 v[134:137], v2 offset:1200
	v_mul_f64 v[6:7], v[128:129], v[132:133]
	v_fma_f64 v[6:7], v[126:127], v[130:131], -v[6:7]
	v_add_f64 v[4:5], v[4:5], v[6:7]
	s_waitcnt lgkmcnt(0)
	v_mul_f64 v[142:143], v[134:135], v[140:141]
	v_fmac_f64_e32 v[142:143], v[136:137], v[138:139]
	v_add_f64 v[88:89], v[88:89], v[142:143]
	ds_read_b128 v[142:145], v2 offset:1216
	v_mul_f64 v[6:7], v[136:137], v[140:141]
	v_fma_f64 v[6:7], v[134:135], v[138:139], -v[6:7]
	v_add_f64 v[4:5], v[4:5], v[6:7]
	s_waitcnt lgkmcnt(0)
	v_mul_f64 v[150:151], v[142:143], v[148:149]
	v_fmac_f64_e32 v[150:151], v[144:145], v[146:147]
	v_add_f64 v[88:89], v[88:89], v[150:151]
	ds_read_b128 v[150:153], v2 offset:1232
	v_mul_f64 v[6:7], v[144:145], v[148:149]
	v_fma_f64 v[6:7], v[142:143], v[146:147], -v[6:7]
	v_add_f64 v[4:5], v[4:5], v[6:7]
	s_waitcnt lgkmcnt(0)
	v_mul_f64 v[6:7], v[152:153], v[156:157]
	v_fma_f64 v[6:7], v[150:151], v[154:155], -v[6:7]
	v_add_f64 v[8:9], v[4:5], v[6:7]
	scratch_load_dwordx4 v[4:7], off, off offset:320
	v_mul_f64 v[158:159], v[150:151], v[156:157]
	v_fmac_f64_e32 v[158:159], v[152:153], v[154:155]
	v_add_f64 v[88:89], v[88:89], v[158:159]
	s_waitcnt vmcnt(0)
	v_add_f64 v[4:5], v[4:5], -v[8:9]
	v_add_f64 v[6:7], v[6:7], -v[88:89]
	scratch_store_dwordx4 off, v[4:7], off offset:320
	s_and_saveexec_b64 s[0:1], vcc
	s_cbranch_execz .LBB102_211
; %bb.210:
	scratch_load_dwordx4 v[6:9], off, s37
	v_mov_b32_e32 v3, v2
	v_mov_b32_e32 v4, v2
	;; [unrolled: 1-line block ×3, first 2 shown]
	scratch_store_dwordx4 off, v[2:5], off offset:304
	s_waitcnt vmcnt(1)
	ds_write_b128 v1, v[6:9]
.LBB102_211:
	s_or_b64 exec, exec, s[0:1]
	s_waitcnt lgkmcnt(0)
	; wave barrier
	ds_read_b128 v[16:19], v2 offset:928
	ds_read_b128 v[12:15], v2 offset:944
	;; [unrolled: 1-line block ×4, first 2 shown]
	scratch_load_dwordx4 v[20:23], off, off offset:320
	scratch_load_dwordx4 v[40:43], off, off offset:384
	;; [unrolled: 1-line block ×14, first 2 shown]
	v_cmp_lt_u32_e32 vcc, 17, v0
	scratch_load_dwordx4 v[48:51], off, off offset:400
	scratch_load_dwordx4 v[56:59], off, off offset:416
	;; [unrolled: 1-line block ×3, first 2 shown]
	s_waitcnt vmcnt(16) lgkmcnt(3)
	v_mul_f64 v[24:25], v[16:17], v[22:23]
	v_fmac_f64_e32 v[24:25], v[18:19], v[20:21]
	v_add_f64 v[28:29], v[24:25], 0
	scratch_load_dwordx4 v[24:27], off, off offset:336
	s_waitcnt vmcnt(0) lgkmcnt(2)
	v_mul_f64 v[30:31], v[12:13], v[26:27]
	v_fmac_f64_e32 v[30:31], v[14:15], v[24:25]
	v_add_f64 v[32:33], v[28:29], v[30:31]
	scratch_load_dwordx4 v[28:31], off, off offset:352
	v_mul_f64 v[14:15], v[14:15], v[26:27]
	v_fma_f64 v[12:13], v[12:13], v[24:25], -v[14:15]
	s_waitcnt vmcnt(0) lgkmcnt(1)
	v_mul_f64 v[34:35], v[8:9], v[30:31]
	v_fmac_f64_e32 v[34:35], v[10:11], v[28:29]
	v_add_f64 v[36:37], v[32:33], v[34:35]
	scratch_load_dwordx4 v[32:35], off, off offset:368
	v_mul_f64 v[10:11], v[10:11], v[30:31]
	v_fma_f64 v[8:9], v[8:9], v[28:29], -v[10:11]
	s_waitcnt vmcnt(0) lgkmcnt(0)
	v_mul_f64 v[38:39], v[4:5], v[34:35]
	v_fmac_f64_e32 v[38:39], v[6:7], v[32:33]
	v_add_f64 v[44:45], v[36:37], v[38:39]
	ds_read_b128 v[36:39], v2 offset:992
	v_mul_f64 v[6:7], v[6:7], v[34:35]
	v_fma_f64 v[4:5], v[4:5], v[32:33], -v[6:7]
	s_waitcnt lgkmcnt(0)
	v_mul_f64 v[46:47], v[36:37], v[42:43]
	v_fmac_f64_e32 v[46:47], v[38:39], v[40:41]
	v_add_f64 v[52:53], v[44:45], v[46:47]
	ds_read_b128 v[44:47], v2 offset:1008
	s_waitcnt lgkmcnt(0)
	v_mul_f64 v[54:55], v[44:45], v[50:51]
	v_fmac_f64_e32 v[54:55], v[46:47], v[48:49]
	v_add_f64 v[60:61], v[52:53], v[54:55]
	ds_read_b128 v[52:55], v2 offset:1024
	;; [unrolled: 5-line block ×15, first 2 shown]
	s_waitcnt lgkmcnt(0)
	v_mul_f64 v[2:3], v[158:159], v[164:165]
	v_fmac_f64_e32 v[2:3], v[160:161], v[162:163]
	v_add_f64 v[96:97], v[96:97], v[2:3]
	v_mul_f64 v[2:3], v[18:19], v[22:23]
	v_fma_f64 v[2:3], v[16:17], v[20:21], -v[2:3]
	v_add_f64 v[2:3], v[2:3], 0
	v_add_f64 v[2:3], v[2:3], v[12:13]
	v_add_f64 v[2:3], v[2:3], v[8:9]
	v_add_f64 v[2:3], v[2:3], v[4:5]
	v_mul_f64 v[4:5], v[38:39], v[42:43]
	v_fma_f64 v[4:5], v[36:37], v[40:41], -v[4:5]
	v_add_f64 v[2:3], v[2:3], v[4:5]
	v_mul_f64 v[4:5], v[46:47], v[50:51]
	v_fma_f64 v[4:5], v[44:45], v[48:49], -v[4:5]
	v_add_f64 v[2:3], v[2:3], v[4:5]
	;; [unrolled: 3-line block ×16, first 2 shown]
	scratch_load_dwordx4 v[2:5], off, off offset:304
	s_waitcnt vmcnt(0)
	v_add_f64 v[2:3], v[2:3], -v[6:7]
	v_add_f64 v[4:5], v[4:5], -v[96:97]
	scratch_store_dwordx4 off, v[2:5], off offset:304
	s_and_saveexec_b64 s[0:1], vcc
	s_cbranch_execz .LBB102_213
; %bb.212:
	scratch_load_dwordx4 v[2:5], off, s38
	v_mov_b32_e32 v6, 0
	v_mov_b32_e32 v7, v6
	;; [unrolled: 1-line block ×4, first 2 shown]
	scratch_store_dwordx4 off, v[6:9], off offset:288
	s_waitcnt vmcnt(1)
	ds_write_b128 v1, v[2:5]
.LBB102_213:
	s_or_b64 exec, exec, s[0:1]
	v_mov_b32_e32 v2, 0
	s_waitcnt lgkmcnt(0)
	; wave barrier
	ds_read_b128 v[16:19], v2 offset:912
	ds_read_b128 v[12:15], v2 offset:928
	;; [unrolled: 1-line block ×4, first 2 shown]
	scratch_load_dwordx4 v[20:23], off, off offset:304
	scratch_load_dwordx4 v[40:43], off, off offset:368
	;; [unrolled: 1-line block ×15, first 2 shown]
	v_cmp_lt_u32_e32 vcc, 16, v0
	scratch_load_dwordx4 v[48:51], off, off offset:384
	scratch_load_dwordx4 v[56:59], off, off offset:400
	;; [unrolled: 1-line block ×3, first 2 shown]
	s_waitcnt vmcnt(17) lgkmcnt(3)
	v_mul_f64 v[24:25], v[16:17], v[22:23]
	v_fmac_f64_e32 v[24:25], v[18:19], v[20:21]
	v_add_f64 v[28:29], v[24:25], 0
	scratch_load_dwordx4 v[24:27], off, off offset:320
	v_mul_f64 v[18:19], v[18:19], v[22:23]
	v_fma_f64 v[16:17], v[16:17], v[20:21], -v[18:19]
	v_add_f64 v[16:17], v[16:17], 0
	s_waitcnt vmcnt(0) lgkmcnt(2)
	v_mul_f64 v[30:31], v[12:13], v[26:27]
	v_fmac_f64_e32 v[30:31], v[14:15], v[24:25]
	v_add_f64 v[32:33], v[28:29], v[30:31]
	scratch_load_dwordx4 v[28:31], off, off offset:336
	v_mul_f64 v[14:15], v[14:15], v[26:27]
	v_fma_f64 v[12:13], v[12:13], v[24:25], -v[14:15]
	v_add_f64 v[12:13], v[16:17], v[12:13]
	;; [unrolled: 8-line block ×3, first 2 shown]
	s_waitcnt vmcnt(0) lgkmcnt(0)
	v_mul_f64 v[38:39], v[4:5], v[34:35]
	v_fmac_f64_e32 v[38:39], v[6:7], v[32:33]
	v_add_f64 v[44:45], v[36:37], v[38:39]
	ds_read_b128 v[36:39], v2 offset:976
	v_mul_f64 v[6:7], v[6:7], v[34:35]
	v_fma_f64 v[4:5], v[4:5], v[32:33], -v[6:7]
	v_add_f64 v[4:5], v[8:9], v[4:5]
	s_waitcnt lgkmcnt(0)
	v_mul_f64 v[46:47], v[36:37], v[42:43]
	v_fmac_f64_e32 v[46:47], v[38:39], v[40:41]
	v_add_f64 v[52:53], v[44:45], v[46:47]
	ds_read_b128 v[44:47], v2 offset:992
	v_mul_f64 v[6:7], v[38:39], v[42:43]
	v_fma_f64 v[6:7], v[36:37], v[40:41], -v[6:7]
	v_add_f64 v[4:5], v[4:5], v[6:7]
	s_waitcnt lgkmcnt(0)
	;; [unrolled: 8-line block ×17, first 2 shown]
	v_mul_f64 v[6:7], v[168:169], v[172:173]
	v_fma_f64 v[6:7], v[166:167], v[170:171], -v[6:7]
	v_add_f64 v[8:9], v[4:5], v[6:7]
	scratch_load_dwordx4 v[4:7], off, off offset:288
	v_mul_f64 v[174:175], v[166:167], v[172:173]
	v_fmac_f64_e32 v[174:175], v[168:169], v[170:171]
	v_add_f64 v[104:105], v[104:105], v[174:175]
	s_waitcnt vmcnt(0)
	v_add_f64 v[4:5], v[4:5], -v[8:9]
	v_add_f64 v[6:7], v[6:7], -v[104:105]
	scratch_store_dwordx4 off, v[4:7], off offset:288
	s_and_saveexec_b64 s[0:1], vcc
	s_cbranch_execz .LBB102_215
; %bb.214:
	scratch_load_dwordx4 v[6:9], off, s39
	v_mov_b32_e32 v3, v2
	v_mov_b32_e32 v4, v2
	;; [unrolled: 1-line block ×3, first 2 shown]
	scratch_store_dwordx4 off, v[2:5], off offset:272
	s_waitcnt vmcnt(1)
	ds_write_b128 v1, v[6:9]
.LBB102_215:
	s_or_b64 exec, exec, s[0:1]
	s_waitcnt lgkmcnt(0)
	; wave barrier
	ds_read_b128 v[16:19], v2 offset:896
	ds_read_b128 v[12:15], v2 offset:912
	;; [unrolled: 1-line block ×4, first 2 shown]
	scratch_load_dwordx4 v[20:23], off, off offset:288
	scratch_load_dwordx4 v[40:43], off, off offset:352
	;; [unrolled: 1-line block ×16, first 2 shown]
	v_cmp_lt_u32_e32 vcc, 15, v0
	scratch_load_dwordx4 v[48:51], off, off offset:368
	scratch_load_dwordx4 v[56:59], off, off offset:384
	;; [unrolled: 1-line block ×3, first 2 shown]
	s_waitcnt vmcnt(18) lgkmcnt(3)
	v_mul_f64 v[24:25], v[16:17], v[22:23]
	v_fmac_f64_e32 v[24:25], v[18:19], v[20:21]
	v_add_f64 v[28:29], v[24:25], 0
	scratch_load_dwordx4 v[24:27], off, off offset:304
	s_waitcnt vmcnt(0) lgkmcnt(2)
	v_mul_f64 v[30:31], v[12:13], v[26:27]
	v_fmac_f64_e32 v[30:31], v[14:15], v[24:25]
	v_add_f64 v[32:33], v[28:29], v[30:31]
	scratch_load_dwordx4 v[28:31], off, off offset:320
	v_mul_f64 v[14:15], v[14:15], v[26:27]
	v_fma_f64 v[12:13], v[12:13], v[24:25], -v[14:15]
	s_waitcnt vmcnt(0) lgkmcnt(1)
	v_mul_f64 v[34:35], v[8:9], v[30:31]
	v_fmac_f64_e32 v[34:35], v[10:11], v[28:29]
	v_add_f64 v[36:37], v[32:33], v[34:35]
	scratch_load_dwordx4 v[32:35], off, off offset:336
	v_mul_f64 v[10:11], v[10:11], v[30:31]
	v_fma_f64 v[8:9], v[8:9], v[28:29], -v[10:11]
	s_waitcnt vmcnt(0) lgkmcnt(0)
	v_mul_f64 v[38:39], v[4:5], v[34:35]
	v_fmac_f64_e32 v[38:39], v[6:7], v[32:33]
	v_add_f64 v[44:45], v[36:37], v[38:39]
	ds_read_b128 v[36:39], v2 offset:960
	v_mul_f64 v[6:7], v[6:7], v[34:35]
	v_fma_f64 v[4:5], v[4:5], v[32:33], -v[6:7]
	s_waitcnt lgkmcnt(0)
	v_mul_f64 v[46:47], v[36:37], v[42:43]
	v_fmac_f64_e32 v[46:47], v[38:39], v[40:41]
	v_add_f64 v[52:53], v[44:45], v[46:47]
	ds_read_b128 v[44:47], v2 offset:976
	s_waitcnt lgkmcnt(0)
	v_mul_f64 v[54:55], v[44:45], v[50:51]
	v_fmac_f64_e32 v[54:55], v[46:47], v[48:49]
	v_add_f64 v[60:61], v[52:53], v[54:55]
	ds_read_b128 v[52:55], v2 offset:992
	;; [unrolled: 5-line block ×17, first 2 shown]
	s_waitcnt lgkmcnt(0)
	v_mul_f64 v[2:3], v[174:175], v[180:181]
	v_fmac_f64_e32 v[2:3], v[176:177], v[178:179]
	v_add_f64 v[120:121], v[120:121], v[2:3]
	v_mul_f64 v[2:3], v[18:19], v[22:23]
	v_fma_f64 v[2:3], v[16:17], v[20:21], -v[2:3]
	v_add_f64 v[2:3], v[2:3], 0
	v_add_f64 v[2:3], v[2:3], v[12:13]
	;; [unrolled: 1-line block ×4, first 2 shown]
	v_mul_f64 v[4:5], v[38:39], v[42:43]
	v_fma_f64 v[4:5], v[36:37], v[40:41], -v[4:5]
	v_add_f64 v[2:3], v[2:3], v[4:5]
	v_mul_f64 v[4:5], v[46:47], v[50:51]
	v_fma_f64 v[4:5], v[44:45], v[48:49], -v[4:5]
	v_add_f64 v[2:3], v[2:3], v[4:5]
	;; [unrolled: 3-line block ×18, first 2 shown]
	scratch_load_dwordx4 v[2:5], off, off offset:272
	s_waitcnt vmcnt(0)
	v_add_f64 v[2:3], v[2:3], -v[6:7]
	v_add_f64 v[4:5], v[4:5], -v[120:121]
	scratch_store_dwordx4 off, v[2:5], off offset:272
	s_and_saveexec_b64 s[0:1], vcc
	s_cbranch_execz .LBB102_217
; %bb.216:
	scratch_load_dwordx4 v[2:5], off, s40
	v_mov_b32_e32 v6, 0
	v_mov_b32_e32 v7, v6
	;; [unrolled: 1-line block ×4, first 2 shown]
	scratch_store_dwordx4 off, v[6:9], off offset:256
	s_waitcnt vmcnt(1)
	ds_write_b128 v1, v[2:5]
.LBB102_217:
	s_or_b64 exec, exec, s[0:1]
	v_mov_b32_e32 v2, 0
	s_waitcnt lgkmcnt(0)
	; wave barrier
	ds_read_b128 v[16:19], v2 offset:880
	ds_read_b128 v[12:15], v2 offset:896
	;; [unrolled: 1-line block ×4, first 2 shown]
	scratch_load_dwordx4 v[20:23], off, off offset:272
	scratch_load_dwordx4 v[40:43], off, off offset:336
	;; [unrolled: 1-line block ×17, first 2 shown]
	v_cmp_lt_u32_e32 vcc, 14, v0
	scratch_load_dwordx4 v[48:51], off, off offset:352
	scratch_load_dwordx4 v[56:59], off, off offset:368
	;; [unrolled: 1-line block ×3, first 2 shown]
	s_waitcnt vmcnt(19) lgkmcnt(3)
	v_mul_f64 v[24:25], v[16:17], v[22:23]
	v_fmac_f64_e32 v[24:25], v[18:19], v[20:21]
	v_add_f64 v[28:29], v[24:25], 0
	scratch_load_dwordx4 v[24:27], off, off offset:288
	v_mul_f64 v[18:19], v[18:19], v[22:23]
	v_fma_f64 v[16:17], v[16:17], v[20:21], -v[18:19]
	v_add_f64 v[16:17], v[16:17], 0
	s_waitcnt vmcnt(0) lgkmcnt(2)
	v_mul_f64 v[30:31], v[12:13], v[26:27]
	v_fmac_f64_e32 v[30:31], v[14:15], v[24:25]
	v_add_f64 v[32:33], v[28:29], v[30:31]
	scratch_load_dwordx4 v[28:31], off, off offset:304
	v_mul_f64 v[14:15], v[14:15], v[26:27]
	v_fma_f64 v[12:13], v[12:13], v[24:25], -v[14:15]
	v_add_f64 v[12:13], v[16:17], v[12:13]
	;; [unrolled: 8-line block ×3, first 2 shown]
	s_waitcnt vmcnt(0) lgkmcnt(0)
	v_mul_f64 v[38:39], v[4:5], v[34:35]
	v_fmac_f64_e32 v[38:39], v[6:7], v[32:33]
	v_add_f64 v[44:45], v[36:37], v[38:39]
	ds_read_b128 v[36:39], v2 offset:944
	v_mul_f64 v[6:7], v[6:7], v[34:35]
	v_fma_f64 v[4:5], v[4:5], v[32:33], -v[6:7]
	v_add_f64 v[4:5], v[8:9], v[4:5]
	s_waitcnt lgkmcnt(0)
	v_mul_f64 v[46:47], v[36:37], v[42:43]
	v_fmac_f64_e32 v[46:47], v[38:39], v[40:41]
	v_add_f64 v[52:53], v[44:45], v[46:47]
	ds_read_b128 v[44:47], v2 offset:960
	v_mul_f64 v[6:7], v[38:39], v[42:43]
	v_fma_f64 v[6:7], v[36:37], v[40:41], -v[6:7]
	v_add_f64 v[4:5], v[4:5], v[6:7]
	s_waitcnt lgkmcnt(0)
	;; [unrolled: 8-line block ×19, first 2 shown]
	v_mul_f64 v[6:7], v[184:185], v[188:189]
	v_fma_f64 v[6:7], v[182:183], v[186:187], -v[6:7]
	v_add_f64 v[8:9], v[4:5], v[6:7]
	scratch_load_dwordx4 v[4:7], off, off offset:256
	v_mul_f64 v[190:191], v[182:183], v[188:189]
	v_fmac_f64_e32 v[190:191], v[184:185], v[186:187]
	v_add_f64 v[128:129], v[128:129], v[190:191]
	s_waitcnt vmcnt(0)
	v_add_f64 v[4:5], v[4:5], -v[8:9]
	v_add_f64 v[6:7], v[6:7], -v[128:129]
	scratch_store_dwordx4 off, v[4:7], off offset:256
	s_and_saveexec_b64 s[0:1], vcc
	s_cbranch_execz .LBB102_219
; %bb.218:
	scratch_load_dwordx4 v[6:9], off, s41
	v_mov_b32_e32 v3, v2
	v_mov_b32_e32 v4, v2
	;; [unrolled: 1-line block ×3, first 2 shown]
	scratch_store_dwordx4 off, v[2:5], off offset:240
	s_waitcnt vmcnt(1)
	ds_write_b128 v1, v[6:9]
.LBB102_219:
	s_or_b64 exec, exec, s[0:1]
	s_waitcnt lgkmcnt(0)
	; wave barrier
	ds_read_b128 v[16:19], v2 offset:864
	ds_read_b128 v[12:15], v2 offset:880
	;; [unrolled: 1-line block ×4, first 2 shown]
	scratch_load_dwordx4 v[20:23], off, off offset:256
	scratch_load_dwordx4 v[40:43], off, off offset:320
	;; [unrolled: 1-line block ×18, first 2 shown]
	v_cmp_lt_u32_e32 vcc, 13, v0
	scratch_load_dwordx4 v[48:51], off, off offset:336
	scratch_load_dwordx4 v[56:59], off, off offset:352
	;; [unrolled: 1-line block ×3, first 2 shown]
	s_waitcnt vmcnt(20) lgkmcnt(3)
	v_mul_f64 v[24:25], v[16:17], v[22:23]
	v_fmac_f64_e32 v[24:25], v[18:19], v[20:21]
	v_add_f64 v[28:29], v[24:25], 0
	scratch_load_dwordx4 v[24:27], off, off offset:272
	s_waitcnt vmcnt(0) lgkmcnt(2)
	v_mul_f64 v[30:31], v[12:13], v[26:27]
	v_fmac_f64_e32 v[30:31], v[14:15], v[24:25]
	v_add_f64 v[32:33], v[28:29], v[30:31]
	scratch_load_dwordx4 v[28:31], off, off offset:288
	v_mul_f64 v[14:15], v[14:15], v[26:27]
	v_fma_f64 v[12:13], v[12:13], v[24:25], -v[14:15]
	s_waitcnt vmcnt(0) lgkmcnt(1)
	v_mul_f64 v[34:35], v[8:9], v[30:31]
	v_fmac_f64_e32 v[34:35], v[10:11], v[28:29]
	v_add_f64 v[36:37], v[32:33], v[34:35]
	scratch_load_dwordx4 v[32:35], off, off offset:304
	v_mul_f64 v[10:11], v[10:11], v[30:31]
	v_fma_f64 v[8:9], v[8:9], v[28:29], -v[10:11]
	s_waitcnt vmcnt(0) lgkmcnt(0)
	v_mul_f64 v[38:39], v[4:5], v[34:35]
	v_fmac_f64_e32 v[38:39], v[6:7], v[32:33]
	v_add_f64 v[44:45], v[36:37], v[38:39]
	ds_read_b128 v[36:39], v2 offset:928
	v_mul_f64 v[6:7], v[6:7], v[34:35]
	v_fma_f64 v[4:5], v[4:5], v[32:33], -v[6:7]
	s_waitcnt lgkmcnt(0)
	v_mul_f64 v[46:47], v[36:37], v[42:43]
	v_fmac_f64_e32 v[46:47], v[38:39], v[40:41]
	v_add_f64 v[52:53], v[44:45], v[46:47]
	ds_read_b128 v[44:47], v2 offset:944
	s_waitcnt lgkmcnt(0)
	v_mul_f64 v[54:55], v[44:45], v[50:51]
	v_fmac_f64_e32 v[54:55], v[46:47], v[48:49]
	v_add_f64 v[60:61], v[52:53], v[54:55]
	ds_read_b128 v[52:55], v2 offset:960
	;; [unrolled: 5-line block ×19, first 2 shown]
	s_waitcnt lgkmcnt(0)
	v_mul_f64 v[2:3], v[190:191], v[196:197]
	v_fmac_f64_e32 v[2:3], v[192:193], v[194:195]
	v_add_f64 v[148:149], v[148:149], v[2:3]
	v_mul_f64 v[2:3], v[18:19], v[22:23]
	v_fma_f64 v[2:3], v[16:17], v[20:21], -v[2:3]
	v_add_f64 v[2:3], v[2:3], 0
	v_add_f64 v[2:3], v[2:3], v[12:13]
	;; [unrolled: 1-line block ×4, first 2 shown]
	v_mul_f64 v[4:5], v[38:39], v[42:43]
	v_fma_f64 v[4:5], v[36:37], v[40:41], -v[4:5]
	v_add_f64 v[2:3], v[2:3], v[4:5]
	v_mul_f64 v[4:5], v[46:47], v[50:51]
	v_fma_f64 v[4:5], v[44:45], v[48:49], -v[4:5]
	v_add_f64 v[2:3], v[2:3], v[4:5]
	;; [unrolled: 3-line block ×20, first 2 shown]
	scratch_load_dwordx4 v[2:5], off, off offset:240
	s_waitcnt vmcnt(0)
	v_add_f64 v[2:3], v[2:3], -v[6:7]
	v_add_f64 v[4:5], v[4:5], -v[148:149]
	scratch_store_dwordx4 off, v[2:5], off offset:240
	s_and_saveexec_b64 s[0:1], vcc
	s_cbranch_execz .LBB102_221
; %bb.220:
	scratch_load_dwordx4 v[2:5], off, s42
	v_mov_b32_e32 v6, 0
	v_mov_b32_e32 v7, v6
	;; [unrolled: 1-line block ×4, first 2 shown]
	scratch_store_dwordx4 off, v[6:9], off offset:224
	s_waitcnt vmcnt(1)
	ds_write_b128 v1, v[2:5]
.LBB102_221:
	s_or_b64 exec, exec, s[0:1]
	v_mov_b32_e32 v2, 0
	s_waitcnt lgkmcnt(0)
	; wave barrier
	ds_read_b128 v[16:19], v2 offset:848
	ds_read_b128 v[12:15], v2 offset:864
	;; [unrolled: 1-line block ×4, first 2 shown]
	scratch_load_dwordx4 v[20:23], off, off offset:240
	scratch_load_dwordx4 v[40:43], off, off offset:304
	;; [unrolled: 1-line block ×19, first 2 shown]
	v_cmp_lt_u32_e32 vcc, 12, v0
	scratch_load_dwordx4 v[48:51], off, off offset:320
	scratch_load_dwordx4 v[56:59], off, off offset:336
	;; [unrolled: 1-line block ×3, first 2 shown]
	s_waitcnt vmcnt(21) lgkmcnt(3)
	v_mul_f64 v[24:25], v[16:17], v[22:23]
	v_fmac_f64_e32 v[24:25], v[18:19], v[20:21]
	v_add_f64 v[28:29], v[24:25], 0
	scratch_load_dwordx4 v[24:27], off, off offset:256
	v_mul_f64 v[18:19], v[18:19], v[22:23]
	v_fma_f64 v[16:17], v[16:17], v[20:21], -v[18:19]
	v_add_f64 v[16:17], v[16:17], 0
	s_waitcnt vmcnt(0) lgkmcnt(2)
	v_mul_f64 v[30:31], v[12:13], v[26:27]
	v_fmac_f64_e32 v[30:31], v[14:15], v[24:25]
	v_add_f64 v[32:33], v[28:29], v[30:31]
	scratch_load_dwordx4 v[28:31], off, off offset:272
	v_mul_f64 v[14:15], v[14:15], v[26:27]
	v_fma_f64 v[12:13], v[12:13], v[24:25], -v[14:15]
	v_add_f64 v[12:13], v[16:17], v[12:13]
	;; [unrolled: 8-line block ×3, first 2 shown]
	s_waitcnt vmcnt(0) lgkmcnt(0)
	v_mul_f64 v[38:39], v[4:5], v[34:35]
	v_fmac_f64_e32 v[38:39], v[6:7], v[32:33]
	v_add_f64 v[44:45], v[36:37], v[38:39]
	ds_read_b128 v[36:39], v2 offset:912
	v_mul_f64 v[6:7], v[6:7], v[34:35]
	v_fma_f64 v[4:5], v[4:5], v[32:33], -v[6:7]
	v_add_f64 v[4:5], v[8:9], v[4:5]
	s_waitcnt lgkmcnt(0)
	v_mul_f64 v[46:47], v[36:37], v[42:43]
	v_fmac_f64_e32 v[46:47], v[38:39], v[40:41]
	v_add_f64 v[52:53], v[44:45], v[46:47]
	ds_read_b128 v[44:47], v2 offset:928
	v_mul_f64 v[6:7], v[38:39], v[42:43]
	v_fma_f64 v[6:7], v[36:37], v[40:41], -v[6:7]
	v_add_f64 v[4:5], v[4:5], v[6:7]
	s_waitcnt lgkmcnt(0)
	;; [unrolled: 8-line block ×21, first 2 shown]
	v_mul_f64 v[6:7], v[200:201], v[204:205]
	v_fma_f64 v[6:7], v[198:199], v[202:203], -v[6:7]
	v_add_f64 v[8:9], v[4:5], v[6:7]
	scratch_load_dwordx4 v[4:7], off, off offset:224
	v_mul_f64 v[206:207], v[198:199], v[204:205]
	v_fmac_f64_e32 v[206:207], v[200:201], v[202:203]
	v_add_f64 v[144:145], v[144:145], v[206:207]
	s_waitcnt vmcnt(0)
	v_add_f64 v[4:5], v[4:5], -v[8:9]
	v_add_f64 v[6:7], v[6:7], -v[144:145]
	scratch_store_dwordx4 off, v[4:7], off offset:224
	s_and_saveexec_b64 s[0:1], vcc
	s_cbranch_execz .LBB102_223
; %bb.222:
	scratch_load_dwordx4 v[6:9], off, s43
	v_mov_b32_e32 v3, v2
	v_mov_b32_e32 v4, v2
	;; [unrolled: 1-line block ×3, first 2 shown]
	scratch_store_dwordx4 off, v[2:5], off offset:208
	s_waitcnt vmcnt(1)
	ds_write_b128 v1, v[6:9]
.LBB102_223:
	s_or_b64 exec, exec, s[0:1]
	s_waitcnt lgkmcnt(0)
	; wave barrier
	ds_read_b128 v[16:19], v2 offset:832
	ds_read_b128 v[12:15], v2 offset:848
	;; [unrolled: 1-line block ×4, first 2 shown]
	scratch_load_dwordx4 v[20:23], off, off offset:224
	scratch_load_dwordx4 v[40:43], off, off offset:288
	;; [unrolled: 1-line block ×20, first 2 shown]
	v_cmp_lt_u32_e32 vcc, 11, v0
	scratch_load_dwordx4 v[48:51], off, off offset:304
	scratch_load_dwordx4 v[56:59], off, off offset:320
	;; [unrolled: 1-line block ×3, first 2 shown]
	s_waitcnt vmcnt(22) lgkmcnt(3)
	v_mul_f64 v[24:25], v[16:17], v[22:23]
	v_fmac_f64_e32 v[24:25], v[18:19], v[20:21]
	v_add_f64 v[28:29], v[24:25], 0
	scratch_load_dwordx4 v[24:27], off, off offset:240
	s_waitcnt vmcnt(0) lgkmcnt(2)
	v_mul_f64 v[30:31], v[12:13], v[26:27]
	v_fmac_f64_e32 v[30:31], v[14:15], v[24:25]
	v_add_f64 v[32:33], v[28:29], v[30:31]
	scratch_load_dwordx4 v[28:31], off, off offset:256
	v_mul_f64 v[14:15], v[14:15], v[26:27]
	v_fma_f64 v[12:13], v[12:13], v[24:25], -v[14:15]
	s_waitcnt vmcnt(0) lgkmcnt(1)
	v_mul_f64 v[34:35], v[8:9], v[30:31]
	v_fmac_f64_e32 v[34:35], v[10:11], v[28:29]
	v_add_f64 v[36:37], v[32:33], v[34:35]
	scratch_load_dwordx4 v[32:35], off, off offset:272
	v_mul_f64 v[10:11], v[10:11], v[30:31]
	v_fma_f64 v[8:9], v[8:9], v[28:29], -v[10:11]
	s_waitcnt vmcnt(0) lgkmcnt(0)
	v_mul_f64 v[38:39], v[4:5], v[34:35]
	v_fmac_f64_e32 v[38:39], v[6:7], v[32:33]
	v_add_f64 v[44:45], v[36:37], v[38:39]
	ds_read_b128 v[36:39], v2 offset:896
	v_mul_f64 v[6:7], v[6:7], v[34:35]
	v_fma_f64 v[4:5], v[4:5], v[32:33], -v[6:7]
	s_waitcnt lgkmcnt(0)
	v_mul_f64 v[46:47], v[36:37], v[42:43]
	v_fmac_f64_e32 v[46:47], v[38:39], v[40:41]
	v_add_f64 v[52:53], v[44:45], v[46:47]
	ds_read_b128 v[44:47], v2 offset:912
	s_waitcnt lgkmcnt(0)
	v_mul_f64 v[54:55], v[44:45], v[50:51]
	v_fmac_f64_e32 v[54:55], v[46:47], v[48:49]
	v_add_f64 v[60:61], v[52:53], v[54:55]
	ds_read_b128 v[52:55], v2 offset:928
	;; [unrolled: 5-line block ×21, first 2 shown]
	s_waitcnt lgkmcnt(0)
	v_mul_f64 v[2:3], v[206:207], v[212:213]
	v_fmac_f64_e32 v[2:3], v[208:209], v[210:211]
	v_add_f64 v[168:169], v[168:169], v[2:3]
	v_mul_f64 v[2:3], v[18:19], v[22:23]
	v_fma_f64 v[2:3], v[16:17], v[20:21], -v[2:3]
	v_add_f64 v[2:3], v[2:3], 0
	v_add_f64 v[2:3], v[2:3], v[12:13]
	;; [unrolled: 1-line block ×4, first 2 shown]
	v_mul_f64 v[4:5], v[38:39], v[42:43]
	v_fma_f64 v[4:5], v[36:37], v[40:41], -v[4:5]
	v_add_f64 v[2:3], v[2:3], v[4:5]
	v_mul_f64 v[4:5], v[46:47], v[50:51]
	v_fma_f64 v[4:5], v[44:45], v[48:49], -v[4:5]
	v_add_f64 v[2:3], v[2:3], v[4:5]
	;; [unrolled: 3-line block ×22, first 2 shown]
	scratch_load_dwordx4 v[2:5], off, off offset:208
	s_waitcnt vmcnt(0)
	v_add_f64 v[2:3], v[2:3], -v[6:7]
	v_add_f64 v[4:5], v[4:5], -v[168:169]
	scratch_store_dwordx4 off, v[2:5], off offset:208
	s_and_saveexec_b64 s[0:1], vcc
	s_cbranch_execz .LBB102_225
; %bb.224:
	scratch_load_dwordx4 v[2:5], off, s44
	v_mov_b32_e32 v6, 0
	v_mov_b32_e32 v7, v6
	;; [unrolled: 1-line block ×4, first 2 shown]
	scratch_store_dwordx4 off, v[6:9], off offset:192
	s_waitcnt vmcnt(1)
	ds_write_b128 v1, v[2:5]
.LBB102_225:
	s_or_b64 exec, exec, s[0:1]
	v_mov_b32_e32 v2, 0
	s_waitcnt lgkmcnt(0)
	; wave barrier
	ds_read_b128 v[16:19], v2 offset:816
	ds_read_b128 v[12:15], v2 offset:832
	;; [unrolled: 1-line block ×4, first 2 shown]
	scratch_load_dwordx4 v[20:23], off, off offset:208
	scratch_load_dwordx4 v[40:43], off, off offset:272
	;; [unrolled: 1-line block ×21, first 2 shown]
	v_cmp_lt_u32_e32 vcc, 10, v0
	scratch_load_dwordx4 v[48:51], off, off offset:288
	scratch_load_dwordx4 v[56:59], off, off offset:304
	;; [unrolled: 1-line block ×3, first 2 shown]
	s_waitcnt vmcnt(23) lgkmcnt(3)
	v_mul_f64 v[24:25], v[16:17], v[22:23]
	v_fmac_f64_e32 v[24:25], v[18:19], v[20:21]
	v_add_f64 v[28:29], v[24:25], 0
	scratch_load_dwordx4 v[24:27], off, off offset:224
	v_mul_f64 v[18:19], v[18:19], v[22:23]
	v_fma_f64 v[16:17], v[16:17], v[20:21], -v[18:19]
	v_add_f64 v[16:17], v[16:17], 0
	s_waitcnt vmcnt(0) lgkmcnt(2)
	v_mul_f64 v[30:31], v[12:13], v[26:27]
	v_fmac_f64_e32 v[30:31], v[14:15], v[24:25]
	v_add_f64 v[32:33], v[28:29], v[30:31]
	scratch_load_dwordx4 v[28:31], off, off offset:240
	v_mul_f64 v[14:15], v[14:15], v[26:27]
	v_fma_f64 v[12:13], v[12:13], v[24:25], -v[14:15]
	v_add_f64 v[12:13], v[16:17], v[12:13]
	;; [unrolled: 8-line block ×3, first 2 shown]
	s_waitcnt vmcnt(0) lgkmcnt(0)
	v_mul_f64 v[38:39], v[4:5], v[34:35]
	v_fmac_f64_e32 v[38:39], v[6:7], v[32:33]
	v_add_f64 v[44:45], v[36:37], v[38:39]
	ds_read_b128 v[36:39], v2 offset:880
	v_mul_f64 v[6:7], v[6:7], v[34:35]
	v_fma_f64 v[4:5], v[4:5], v[32:33], -v[6:7]
	v_add_f64 v[4:5], v[8:9], v[4:5]
	s_waitcnt lgkmcnt(0)
	v_mul_f64 v[46:47], v[36:37], v[42:43]
	v_fmac_f64_e32 v[46:47], v[38:39], v[40:41]
	v_add_f64 v[52:53], v[44:45], v[46:47]
	ds_read_b128 v[44:47], v2 offset:896
	v_mul_f64 v[6:7], v[38:39], v[42:43]
	v_fma_f64 v[6:7], v[36:37], v[40:41], -v[6:7]
	v_add_f64 v[4:5], v[4:5], v[6:7]
	s_waitcnt lgkmcnt(0)
	;; [unrolled: 8-line block ×23, first 2 shown]
	v_mul_f64 v[6:7], v[216:217], v[220:221]
	v_fma_f64 v[6:7], v[214:215], v[218:219], -v[6:7]
	v_add_f64 v[8:9], v[4:5], v[6:7]
	scratch_load_dwordx4 v[4:7], off, off offset:192
	v_mul_f64 v[222:223], v[214:215], v[220:221]
	v_fmac_f64_e32 v[222:223], v[216:217], v[218:219]
	v_add_f64 v[160:161], v[160:161], v[222:223]
	s_waitcnt vmcnt(0)
	v_add_f64 v[4:5], v[4:5], -v[8:9]
	v_add_f64 v[6:7], v[6:7], -v[160:161]
	scratch_store_dwordx4 off, v[4:7], off offset:192
	s_and_saveexec_b64 s[0:1], vcc
	s_cbranch_execz .LBB102_227
; %bb.226:
	scratch_load_dwordx4 v[6:9], off, s45
	v_mov_b32_e32 v3, v2
	v_mov_b32_e32 v4, v2
	;; [unrolled: 1-line block ×3, first 2 shown]
	scratch_store_dwordx4 off, v[2:5], off offset:176
	s_waitcnt vmcnt(1)
	ds_write_b128 v1, v[6:9]
.LBB102_227:
	s_or_b64 exec, exec, s[0:1]
	s_waitcnt lgkmcnt(0)
	; wave barrier
	ds_read_b128 v[16:19], v2 offset:800
	ds_read_b128 v[12:15], v2 offset:816
	;; [unrolled: 1-line block ×4, first 2 shown]
	scratch_load_dwordx4 v[20:23], off, off offset:192
	scratch_load_dwordx4 v[40:43], off, off offset:256
	;; [unrolled: 1-line block ×22, first 2 shown]
	v_cmp_lt_u32_e32 vcc, 9, v0
	scratch_load_dwordx4 v[48:51], off, off offset:272
	scratch_load_dwordx4 v[56:59], off, off offset:288
	;; [unrolled: 1-line block ×3, first 2 shown]
	s_waitcnt vmcnt(24) lgkmcnt(3)
	v_mul_f64 v[24:25], v[16:17], v[22:23]
	v_fmac_f64_e32 v[24:25], v[18:19], v[20:21]
	v_add_f64 v[28:29], v[24:25], 0
	scratch_load_dwordx4 v[24:27], off, off offset:208
	s_waitcnt vmcnt(0) lgkmcnt(2)
	v_mul_f64 v[30:31], v[12:13], v[26:27]
	v_fmac_f64_e32 v[30:31], v[14:15], v[24:25]
	v_add_f64 v[32:33], v[28:29], v[30:31]
	scratch_load_dwordx4 v[28:31], off, off offset:224
	v_mul_f64 v[14:15], v[14:15], v[26:27]
	v_fma_f64 v[12:13], v[12:13], v[24:25], -v[14:15]
	s_waitcnt vmcnt(0) lgkmcnt(1)
	v_mul_f64 v[34:35], v[8:9], v[30:31]
	v_fmac_f64_e32 v[34:35], v[10:11], v[28:29]
	v_add_f64 v[36:37], v[32:33], v[34:35]
	scratch_load_dwordx4 v[32:35], off, off offset:240
	v_mul_f64 v[10:11], v[10:11], v[30:31]
	v_fma_f64 v[8:9], v[8:9], v[28:29], -v[10:11]
	s_waitcnt vmcnt(0) lgkmcnt(0)
	v_mul_f64 v[38:39], v[4:5], v[34:35]
	v_fmac_f64_e32 v[38:39], v[6:7], v[32:33]
	v_add_f64 v[44:45], v[36:37], v[38:39]
	ds_read_b128 v[36:39], v2 offset:864
	v_mul_f64 v[6:7], v[6:7], v[34:35]
	v_fma_f64 v[4:5], v[4:5], v[32:33], -v[6:7]
	s_waitcnt lgkmcnt(0)
	v_mul_f64 v[46:47], v[36:37], v[42:43]
	v_fmac_f64_e32 v[46:47], v[38:39], v[40:41]
	v_add_f64 v[52:53], v[44:45], v[46:47]
	ds_read_b128 v[44:47], v2 offset:880
	s_waitcnt lgkmcnt(0)
	v_mul_f64 v[54:55], v[44:45], v[50:51]
	v_fmac_f64_e32 v[54:55], v[46:47], v[48:49]
	v_add_f64 v[60:61], v[52:53], v[54:55]
	ds_read_b128 v[52:55], v2 offset:896
	;; [unrolled: 5-line block ×23, first 2 shown]
	s_waitcnt lgkmcnt(0)
	v_mul_f64 v[2:3], v[222:223], v[228:229]
	v_fmac_f64_e32 v[2:3], v[224:225], v[226:227]
	v_add_f64 v[176:177], v[176:177], v[2:3]
	v_mul_f64 v[2:3], v[18:19], v[22:23]
	v_fma_f64 v[2:3], v[16:17], v[20:21], -v[2:3]
	v_add_f64 v[2:3], v[2:3], 0
	v_add_f64 v[2:3], v[2:3], v[12:13]
	;; [unrolled: 1-line block ×4, first 2 shown]
	v_mul_f64 v[4:5], v[38:39], v[42:43]
	v_fma_f64 v[4:5], v[36:37], v[40:41], -v[4:5]
	v_add_f64 v[2:3], v[2:3], v[4:5]
	v_mul_f64 v[4:5], v[46:47], v[50:51]
	v_fma_f64 v[4:5], v[44:45], v[48:49], -v[4:5]
	v_add_f64 v[2:3], v[2:3], v[4:5]
	;; [unrolled: 3-line block ×24, first 2 shown]
	scratch_load_dwordx4 v[2:5], off, off offset:176
	s_waitcnt vmcnt(0)
	v_add_f64 v[2:3], v[2:3], -v[6:7]
	v_add_f64 v[4:5], v[4:5], -v[176:177]
	scratch_store_dwordx4 off, v[2:5], off offset:176
	s_and_saveexec_b64 s[0:1], vcc
	s_cbranch_execz .LBB102_229
; %bb.228:
	scratch_load_dwordx4 v[2:5], off, s46
	v_mov_b32_e32 v6, 0
	v_mov_b32_e32 v7, v6
	;; [unrolled: 1-line block ×4, first 2 shown]
	scratch_store_dwordx4 off, v[6:9], off offset:160
	s_waitcnt vmcnt(1)
	ds_write_b128 v1, v[2:5]
.LBB102_229:
	s_or_b64 exec, exec, s[0:1]
	v_mov_b32_e32 v2, 0
	s_waitcnt lgkmcnt(0)
	; wave barrier
	ds_read_b128 v[16:19], v2 offset:784
	ds_read_b128 v[12:15], v2 offset:800
	;; [unrolled: 1-line block ×4, first 2 shown]
	scratch_load_dwordx4 v[20:23], off, off offset:176
	scratch_load_dwordx4 v[40:43], off, off offset:240
	scratch_load_dwordx4 v[72:75], off, off offset:304
	scratch_load_dwordx4 v[80:83], off, off offset:320
	scratch_load_dwordx4 v[88:91], off, off offset:336
	scratch_load_dwordx4 v[96:99], off, off offset:352
	scratch_load_dwordx4 v[104:107], off, off offset:368
	scratch_load_dwordx4 v[112:115], off, off offset:384
	scratch_load_dwordx4 v[120:123], off, off offset:400
	scratch_load_dwordx4 v[128:131], off, off offset:416
	scratch_load_dwordx4 v[136:139], off, off offset:432
	scratch_load_dwordx4 v[144:147], off, off offset:448
	scratch_load_dwordx4 v[152:155], off, off offset:464
	scratch_load_dwordx4 v[160:163], off, off offset:480
	scratch_load_dwordx4 v[168:171], off, off offset:496
	scratch_load_dwordx4 v[178:181], off, off offset:512
	scratch_load_dwordx4 v[186:189], off, off offset:528
	scratch_load_dwordx4 v[194:197], off, off offset:544
	scratch_load_dwordx4 v[202:205], off, off offset:560
	scratch_load_dwordx4 v[210:213], off, off offset:576
	scratch_load_dwordx4 v[218:221], off, off offset:592
	scratch_load_dwordx4 v[226:229], off, off offset:608
	scratch_load_dwordx4 v[234:237], off, off offset:624
	v_cmp_lt_u32_e32 vcc, 8, v0
	scratch_load_dwordx4 v[48:51], off, off offset:256
	scratch_load_dwordx4 v[56:59], off, off offset:272
	;; [unrolled: 1-line block ×3, first 2 shown]
	s_waitcnt vmcnt(25) lgkmcnt(3)
	v_mul_f64 v[24:25], v[16:17], v[22:23]
	v_fmac_f64_e32 v[24:25], v[18:19], v[20:21]
	v_add_f64 v[28:29], v[24:25], 0
	scratch_load_dwordx4 v[24:27], off, off offset:192
	v_mul_f64 v[18:19], v[18:19], v[22:23]
	v_fma_f64 v[16:17], v[16:17], v[20:21], -v[18:19]
	v_add_f64 v[16:17], v[16:17], 0
	s_waitcnt vmcnt(0) lgkmcnt(2)
	v_mul_f64 v[30:31], v[12:13], v[26:27]
	v_fmac_f64_e32 v[30:31], v[14:15], v[24:25]
	v_add_f64 v[32:33], v[28:29], v[30:31]
	scratch_load_dwordx4 v[28:31], off, off offset:208
	v_mul_f64 v[14:15], v[14:15], v[26:27]
	v_fma_f64 v[12:13], v[12:13], v[24:25], -v[14:15]
	v_add_f64 v[12:13], v[16:17], v[12:13]
	;; [unrolled: 8-line block ×3, first 2 shown]
	s_waitcnt vmcnt(0) lgkmcnt(0)
	v_mul_f64 v[38:39], v[4:5], v[34:35]
	v_fmac_f64_e32 v[38:39], v[6:7], v[32:33]
	v_add_f64 v[44:45], v[36:37], v[38:39]
	ds_read_b128 v[36:39], v2 offset:848
	v_mul_f64 v[6:7], v[6:7], v[34:35]
	v_fma_f64 v[4:5], v[4:5], v[32:33], -v[6:7]
	v_add_f64 v[4:5], v[8:9], v[4:5]
	s_waitcnt lgkmcnt(0)
	v_mul_f64 v[46:47], v[36:37], v[42:43]
	v_fmac_f64_e32 v[46:47], v[38:39], v[40:41]
	v_add_f64 v[52:53], v[44:45], v[46:47]
	ds_read_b128 v[44:47], v2 offset:864
	v_mul_f64 v[6:7], v[38:39], v[42:43]
	v_fma_f64 v[6:7], v[36:37], v[40:41], -v[6:7]
	v_add_f64 v[4:5], v[4:5], v[6:7]
	s_waitcnt lgkmcnt(0)
	;; [unrolled: 8-line block ×25, first 2 shown]
	v_mul_f64 v[6:7], v[232:233], v[236:237]
	v_fma_f64 v[6:7], v[230:231], v[234:235], -v[6:7]
	v_add_f64 v[8:9], v[4:5], v[6:7]
	scratch_load_dwordx4 v[4:7], off, off offset:160
	v_mul_f64 v[238:239], v[230:231], v[236:237]
	v_fmac_f64_e32 v[238:239], v[232:233], v[234:235]
	v_add_f64 v[176:177], v[176:177], v[238:239]
	s_waitcnt vmcnt(0)
	v_add_f64 v[4:5], v[4:5], -v[8:9]
	v_add_f64 v[6:7], v[6:7], -v[176:177]
	scratch_store_dwordx4 off, v[4:7], off offset:160
	s_and_saveexec_b64 s[0:1], vcc
	s_cbranch_execz .LBB102_231
; %bb.230:
	scratch_load_dwordx4 v[6:9], off, s47
	v_mov_b32_e32 v3, v2
	v_mov_b32_e32 v4, v2
	;; [unrolled: 1-line block ×3, first 2 shown]
	scratch_store_dwordx4 off, v[2:5], off offset:144
	s_waitcnt vmcnt(1)
	ds_write_b128 v1, v[6:9]
.LBB102_231:
	s_or_b64 exec, exec, s[0:1]
	s_waitcnt lgkmcnt(0)
	; wave barrier
	ds_read_b128 v[16:19], v2 offset:768
	ds_read_b128 v[12:15], v2 offset:784
	;; [unrolled: 1-line block ×4, first 2 shown]
	scratch_load_dwordx4 v[20:23], off, off offset:160
	scratch_load_dwordx4 v[40:43], off, off offset:224
	scratch_load_dwordx4 v[72:75], off, off offset:288
	scratch_load_dwordx4 v[80:83], off, off offset:304
	scratch_load_dwordx4 v[88:91], off, off offset:320
	scratch_load_dwordx4 v[96:99], off, off offset:336
	scratch_load_dwordx4 v[104:107], off, off offset:352
	scratch_load_dwordx4 v[112:115], off, off offset:368
	scratch_load_dwordx4 v[120:123], off, off offset:384
	scratch_load_dwordx4 v[128:131], off, off offset:400
	scratch_load_dwordx4 v[136:139], off, off offset:416
	scratch_load_dwordx4 v[144:147], off, off offset:432
	scratch_load_dwordx4 v[152:155], off, off offset:448
	scratch_load_dwordx4 v[160:163], off, off offset:464
	scratch_load_dwordx4 v[168:171], off, off offset:480
	scratch_load_dwordx4 v[176:179], off, off offset:496
	scratch_load_dwordx4 v[186:189], off, off offset:512
	scratch_load_dwordx4 v[194:197], off, off offset:528
	scratch_load_dwordx4 v[202:205], off, off offset:544
	scratch_load_dwordx4 v[210:213], off, off offset:560
	scratch_load_dwordx4 v[218:221], off, off offset:576
	scratch_load_dwordx4 v[226:229], off, off offset:592
	scratch_load_dwordx4 v[234:237], off, off offset:608
	scratch_load_dwordx4 v[252:255], off, off offset:624
	v_cmp_lt_u32_e32 vcc, 7, v0
	scratch_load_dwordx4 v[48:51], off, off offset:240
	scratch_load_dwordx4 v[56:59], off, off offset:256
	;; [unrolled: 1-line block ×3, first 2 shown]
	ds_read_b128 v[248:251], v2 offset:1232
	s_waitcnt vmcnt(26) lgkmcnt(4)
	v_mul_f64 v[24:25], v[16:17], v[22:23]
	v_fmac_f64_e32 v[24:25], v[18:19], v[20:21]
	v_add_f64 v[28:29], v[24:25], 0
	scratch_load_dwordx4 v[24:27], off, off offset:176
	s_waitcnt vmcnt(0) lgkmcnt(3)
	v_mul_f64 v[30:31], v[12:13], v[26:27]
	v_fmac_f64_e32 v[30:31], v[14:15], v[24:25]
	v_add_f64 v[32:33], v[28:29], v[30:31]
	scratch_load_dwordx4 v[28:31], off, off offset:192
	v_mul_f64 v[14:15], v[14:15], v[26:27]
	v_fma_f64 v[12:13], v[12:13], v[24:25], -v[14:15]
	s_waitcnt vmcnt(0) lgkmcnt(2)
	v_mul_f64 v[34:35], v[8:9], v[30:31]
	v_fmac_f64_e32 v[34:35], v[10:11], v[28:29]
	v_add_f64 v[36:37], v[32:33], v[34:35]
	scratch_load_dwordx4 v[32:35], off, off offset:208
	v_mul_f64 v[10:11], v[10:11], v[30:31]
	v_fma_f64 v[8:9], v[8:9], v[28:29], -v[10:11]
	s_waitcnt vmcnt(0) lgkmcnt(1)
	v_mul_f64 v[38:39], v[4:5], v[34:35]
	v_fmac_f64_e32 v[38:39], v[6:7], v[32:33]
	v_add_f64 v[44:45], v[36:37], v[38:39]
	ds_read_b128 v[36:39], v2 offset:832
	v_mul_f64 v[6:7], v[6:7], v[34:35]
	v_fma_f64 v[4:5], v[4:5], v[32:33], -v[6:7]
	s_waitcnt lgkmcnt(0)
	v_mul_f64 v[46:47], v[36:37], v[42:43]
	v_fmac_f64_e32 v[46:47], v[38:39], v[40:41]
	v_add_f64 v[52:53], v[44:45], v[46:47]
	ds_read_b128 v[44:47], v2 offset:848
	s_waitcnt lgkmcnt(0)
	v_mul_f64 v[54:55], v[44:45], v[50:51]
	v_fmac_f64_e32 v[54:55], v[46:47], v[48:49]
	v_add_f64 v[60:61], v[52:53], v[54:55]
	ds_read_b128 v[52:55], v2 offset:864
	;; [unrolled: 5-line block ×24, first 2 shown]
	v_mul_f64 v[2:3], v[248:249], v[254:255]
	v_fmac_f64_e32 v[2:3], v[250:251], v[252:253]
	s_waitcnt lgkmcnt(0)
	v_mul_f64 v[238:239], v[230:231], v[236:237]
	v_fmac_f64_e32 v[238:239], v[232:233], v[234:235]
	v_add_f64 v[184:185], v[184:185], v[238:239]
	v_add_f64 v[184:185], v[184:185], v[2:3]
	v_mul_f64 v[2:3], v[18:19], v[22:23]
	v_fma_f64 v[2:3], v[16:17], v[20:21], -v[2:3]
	v_add_f64 v[2:3], v[2:3], 0
	v_add_f64 v[2:3], v[2:3], v[12:13]
	;; [unrolled: 1-line block ×4, first 2 shown]
	v_mul_f64 v[4:5], v[38:39], v[42:43]
	v_fma_f64 v[4:5], v[36:37], v[40:41], -v[4:5]
	v_add_f64 v[2:3], v[2:3], v[4:5]
	v_mul_f64 v[4:5], v[46:47], v[50:51]
	v_fma_f64 v[4:5], v[44:45], v[48:49], -v[4:5]
	v_add_f64 v[2:3], v[2:3], v[4:5]
	;; [unrolled: 3-line block ×26, first 2 shown]
	scratch_load_dwordx4 v[2:5], off, off offset:144
	s_waitcnt vmcnt(0)
	v_add_f64 v[2:3], v[2:3], -v[6:7]
	v_add_f64 v[4:5], v[4:5], -v[184:185]
	scratch_store_dwordx4 off, v[2:5], off offset:144
	s_and_saveexec_b64 s[0:1], vcc
	s_cbranch_execz .LBB102_233
; %bb.232:
	scratch_load_dwordx4 v[2:5], off, s48
	v_mov_b32_e32 v6, 0
	v_mov_b32_e32 v7, v6
	;; [unrolled: 1-line block ×4, first 2 shown]
	scratch_store_dwordx4 off, v[6:9], off offset:128
	s_waitcnt vmcnt(1)
	ds_write_b128 v1, v[2:5]
.LBB102_233:
	s_or_b64 exec, exec, s[0:1]
	s_waitcnt lgkmcnt(0)
	; wave barrier
	scratch_load_dwordx4 v[16:19], off, off offset:144
	scratch_load_dwordx4 v[12:15], off, off offset:160
	;; [unrolled: 1-line block ×32, first 2 shown]
	v_mov_b32_e32 v2, 0
	ds_read_b128 v[132:135], v2 offset:752
	ds_read_b128 v[136:139], v2 offset:768
	;; [unrolled: 1-line block ×17, first 2 shown]
	v_cmp_lt_u32_e32 vcc, 6, v0
	s_waitcnt vmcnt(31) lgkmcnt(14)
	v_mul_f64 v[200:201], v[132:133], v[18:19]
	s_waitcnt vmcnt(30)
	v_mul_f64 v[202:203], v[136:137], v[14:15]
	v_fmac_f64_e32 v[200:201], v[134:135], v[16:17]
	s_waitcnt vmcnt(29)
	v_mul_f64 v[204:205], v[140:141], v[10:11]
	v_fmac_f64_e32 v[202:203], v[138:139], v[12:13]
	v_add_f64 v[200:201], v[200:201], 0
	s_waitcnt vmcnt(28) lgkmcnt(13)
	v_mul_f64 v[206:207], v[144:145], v[6:7]
	v_fmac_f64_e32 v[204:205], v[142:143], v[8:9]
	v_add_f64 v[200:201], v[200:201], v[202:203]
	s_waitcnt vmcnt(27) lgkmcnt(12)
	;; [unrolled: 4-line block ×12, first 2 shown]
	v_mul_f64 v[228:229], v[188:189], v[62:63]
	v_fmac_f64_e32 v[226:227], v[186:187], v[56:57]
	v_add_f64 v[200:201], v[200:201], v[224:225]
	v_fmac_f64_e32 v[228:229], v[190:191], v[60:61]
	v_add_f64 v[200:201], v[200:201], v[226:227]
	s_waitcnt vmcnt(16) lgkmcnt(1)
	v_mul_f64 v[202:203], v[192:193], v[66:67]
	v_add_f64 v[200:201], v[200:201], v[228:229]
	v_fmac_f64_e32 v[202:203], v[194:195], v[64:65]
	s_waitcnt vmcnt(15) lgkmcnt(0)
	v_mul_f64 v[206:207], v[196:197], v[70:71]
	v_add_f64 v[204:205], v[200:201], v[202:203]
	ds_read_b128 v[200:203], v2 offset:1024
	v_fmac_f64_e32 v[206:207], v[198:199], v[68:69]
	v_add_f64 v[208:209], v[204:205], v[206:207]
	ds_read_b128 v[204:207], v2 offset:1040
	v_mul_f64 v[18:19], v[134:135], v[18:19]
	s_waitcnt vmcnt(14) lgkmcnt(1)
	v_mul_f64 v[210:211], v[200:201], v[74:75]
	v_fmac_f64_e32 v[210:211], v[202:203], v[72:73]
	v_add_f64 v[212:213], v[208:209], v[210:211]
	s_waitcnt vmcnt(13) lgkmcnt(0)
	v_mul_f64 v[214:215], v[204:205], v[78:79]
	ds_read_b128 v[208:211], v2 offset:1056
	v_fmac_f64_e32 v[214:215], v[206:207], v[76:77]
	v_add_f64 v[216:217], v[212:213], v[214:215]
	ds_read_b128 v[212:215], v2 offset:1072
	v_fma_f64 v[250:251], v[132:133], v[16:17], -v[18:19]
	s_waitcnt vmcnt(12) lgkmcnt(1)
	v_mul_f64 v[218:219], v[208:209], v[82:83]
	v_fmac_f64_e32 v[218:219], v[210:211], v[80:81]
	v_add_f64 v[220:221], v[216:217], v[218:219]
	s_waitcnt vmcnt(11) lgkmcnt(0)
	v_mul_f64 v[222:223], v[212:213], v[86:87]
	ds_read_b128 v[216:219], v2 offset:1088
	v_fmac_f64_e32 v[222:223], v[214:215], v[84:85]
	v_add_f64 v[224:225], v[220:221], v[222:223]
	ds_read_b128 v[220:223], v2 offset:1104
	ds_read_b128 v[16:19], v2 offset:1184
	s_waitcnt vmcnt(10) lgkmcnt(2)
	v_mul_f64 v[226:227], v[216:217], v[90:91]
	v_fmac_f64_e32 v[226:227], v[218:219], v[88:89]
	v_add_f64 v[228:229], v[224:225], v[226:227]
	s_waitcnt vmcnt(9) lgkmcnt(1)
	v_mul_f64 v[230:231], v[220:221], v[94:95]
	ds_read_b128 v[224:227], v2 offset:1120
	v_fmac_f64_e32 v[230:231], v[222:223], v[92:93]
	v_add_f64 v[232:233], v[228:229], v[230:231]
	ds_read_b128 v[228:231], v2 offset:1136
	v_mul_f64 v[14:15], v[138:139], v[14:15]
	s_waitcnt vmcnt(8) lgkmcnt(1)
	v_mul_f64 v[234:235], v[224:225], v[98:99]
	v_fmac_f64_e32 v[234:235], v[226:227], v[96:97]
	v_add_f64 v[236:237], v[232:233], v[234:235]
	s_waitcnt vmcnt(7) lgkmcnt(0)
	v_mul_f64 v[238:239], v[228:229], v[102:103]
	ds_read_b128 v[232:235], v2 offset:1152
	v_fmac_f64_e32 v[238:239], v[230:231], v[100:101]
	v_add_f64 v[248:249], v[236:237], v[238:239]
	ds_read_b128 v[236:239], v2 offset:1168
	v_fma_f64 v[136:137], v[136:137], v[12:13], -v[14:15]
	s_waitcnt vmcnt(6) lgkmcnt(1)
	v_mul_f64 v[132:133], v[232:233], v[106:107]
	v_fmac_f64_e32 v[132:133], v[234:235], v[104:105]
	v_add_f64 v[132:133], v[248:249], v[132:133]
	s_waitcnt vmcnt(5) lgkmcnt(0)
	v_mul_f64 v[134:135], v[236:237], v[110:111]
	v_fmac_f64_e32 v[134:135], v[238:239], v[108:109]
	v_add_f64 v[132:133], v[132:133], v[134:135]
	ds_read_b128 v[12:15], v2 offset:1200
	s_waitcnt vmcnt(4)
	v_mul_f64 v[134:135], v[16:17], v[114:115]
	v_fmac_f64_e32 v[134:135], v[18:19], v[112:113]
	v_add_f64 v[138:139], v[132:133], v[134:135]
	ds_read_b128 v[132:135], v2 offset:1216
	v_mul_f64 v[10:11], v[142:143], v[10:11]
	v_fma_f64 v[140:141], v[140:141], v[8:9], -v[10:11]
	ds_read_b128 v[8:11], v2 offset:1232
	s_waitcnt vmcnt(3) lgkmcnt(2)
	v_mul_f64 v[142:143], v[12:13], v[118:119]
	v_fmac_f64_e32 v[142:143], v[14:15], v[116:117]
	v_add_f64 v[138:139], v[138:139], v[142:143]
	s_waitcnt vmcnt(2) lgkmcnt(1)
	v_mul_f64 v[142:143], v[132:133], v[122:123]
	v_fmac_f64_e32 v[142:143], v[134:135], v[120:121]
	v_add_f64 v[138:139], v[138:139], v[142:143]
	;; [unrolled: 4-line block ×3, first 2 shown]
	v_add_f64 v[142:143], v[250:251], 0
	v_add_f64 v[136:137], v[142:143], v[136:137]
	v_mul_f64 v[6:7], v[146:147], v[6:7]
	v_add_f64 v[136:137], v[136:137], v[140:141]
	v_fma_f64 v[4:5], v[144:145], v[4:5], -v[6:7]
	v_mul_f64 v[6:7], v[150:151], v[22:23]
	v_add_f64 v[4:5], v[136:137], v[4:5]
	v_fma_f64 v[6:7], v[148:149], v[20:21], -v[6:7]
	v_add_f64 v[4:5], v[4:5], v[6:7]
	v_mul_f64 v[6:7], v[154:155], v[26:27]
	v_fma_f64 v[6:7], v[152:153], v[24:25], -v[6:7]
	v_add_f64 v[4:5], v[4:5], v[6:7]
	v_mul_f64 v[6:7], v[158:159], v[30:31]
	;; [unrolled: 3-line block ×26, first 2 shown]
	v_fma_f64 v[6:7], v[8:9], v[124:125], -v[6:7]
	v_add_f64 v[4:5], v[4:5], v[6:7]
	s_waitcnt vmcnt(0)
	v_add_f64 v[4:5], v[128:129], -v[4:5]
	v_add_f64 v[6:7], v[130:131], -v[138:139]
	scratch_store_dwordx4 off, v[4:7], off offset:128
	s_and_saveexec_b64 s[0:1], vcc
	s_cbranch_execz .LBB102_235
; %bb.234:
	scratch_load_dwordx4 v[6:9], off, s49
	v_mov_b32_e32 v3, v2
	v_mov_b32_e32 v4, v2
	;; [unrolled: 1-line block ×3, first 2 shown]
	scratch_store_dwordx4 off, v[2:5], off offset:112
	s_waitcnt vmcnt(1)
	ds_write_b128 v1, v[6:9]
.LBB102_235:
	s_or_b64 exec, exec, s[0:1]
	s_waitcnt lgkmcnt(0)
	; wave barrier
	scratch_load_dwordx4 v[140:143], off, off offset:128
	scratch_load_dwordx4 v[148:151], off, off offset:144
	scratch_load_dwordx4 v[152:155], off, off offset:160
	scratch_load_dwordx4 v[4:7], off, off offset:176
	scratch_load_dwordx4 v[8:11], off, off offset:192
	scratch_load_dwordx4 v[12:15], off, off offset:208
	scratch_load_dwordx4 v[16:19], off, off offset:224
	scratch_load_dwordx4 v[20:23], off, off offset:240
	scratch_load_dwordx4 v[24:27], off, off offset:256
	scratch_load_dwordx4 v[28:31], off, off offset:272
	scratch_load_dwordx4 v[32:35], off, off offset:288
	scratch_load_dwordx4 v[36:39], off, off offset:304
	scratch_load_dwordx4 v[40:43], off, off offset:320
	scratch_load_dwordx4 v[44:47], off, off offset:336
	scratch_load_dwordx4 v[48:51], off, off offset:352
	scratch_load_dwordx4 v[52:55], off, off offset:368
	ds_read_b128 v[188:191], v2 offset:736
	ds_read_b128 v[184:187], v2 offset:752
	scratch_load_dwordx4 v[56:59], off, off offset:384
	ds_read_b128 v[192:195], v2 offset:768
	ds_read_b128 v[68:71], v2 offset:784
	scratch_load_dwordx4 v[60:63], off, off offset:400
	ds_read_b128 v[88:91], v2 offset:800
	ds_read_b128 v[84:87], v2 offset:816
	;; [unrolled: 1-line block ×4, first 2 shown]
	scratch_load_dwordx4 v[64:67], off, off offset:416
	ds_read_b128 v[100:103], v2 offset:864
	ds_read_b128 v[96:99], v2 offset:880
	scratch_load_dwordx4 v[72:75], off, off offset:432
	ds_read_b128 v[116:119], v2 offset:896
	ds_read_b128 v[112:115], v2 offset:912
	;; [unrolled: 1-line block ×4, first 2 shown]
	scratch_load_dwordx4 v[92:95], off, off offset:448
	ds_read_b128 v[132:135], v2 offset:960
	ds_read_b128 v[128:131], v2 offset:976
	;; [unrolled: 1-line block ×3, first 2 shown]
	scratch_load_dwordx4 v[120:123], off, off offset:464
	scratch_load_dwordx4 v[136:139], off, off offset:480
	;; [unrolled: 1-line block ×11, first 2 shown]
	v_cmp_lt_u32_e32 vcc, 5, v0
	s_waitcnt vmcnt(31) lgkmcnt(14)
	v_mul_f64 v[200:201], v[188:189], v[142:143]
	s_waitcnt vmcnt(30)
	v_mul_f64 v[202:203], v[184:185], v[150:151]
	v_fmac_f64_e32 v[200:201], v[190:191], v[140:141]
	s_waitcnt vmcnt(29)
	v_mul_f64 v[204:205], v[192:193], v[154:155]
	v_fmac_f64_e32 v[202:203], v[186:187], v[148:149]
	v_add_f64 v[200:201], v[200:201], 0
	s_waitcnt vmcnt(28) lgkmcnt(13)
	v_mul_f64 v[206:207], v[68:69], v[6:7]
	v_fmac_f64_e32 v[204:205], v[194:195], v[152:153]
	v_add_f64 v[200:201], v[200:201], v[202:203]
	s_waitcnt vmcnt(27) lgkmcnt(12)
	;; [unrolled: 4-line block ×13, first 2 shown]
	v_mul_f64 v[230:231], v[128:129], v[54:55]
	v_fmac_f64_e32 v[228:229], v[134:135], v[48:49]
	v_add_f64 v[200:201], v[200:201], v[226:227]
	v_add_f64 v[200:201], v[200:201], v[228:229]
	v_fmac_f64_e32 v[230:231], v[130:131], v[52:53]
	v_add_f64 v[204:205], v[200:201], v[230:231]
	ds_read_b128 v[200:203], v2 offset:1008
	s_waitcnt vmcnt(15) lgkmcnt(1)
	v_mul_f64 v[206:207], v[124:125], v[58:59]
	v_fmac_f64_e32 v[206:207], v[126:127], v[56:57]
	v_add_f64 v[208:209], v[204:205], v[206:207]
	ds_read_b128 v[204:207], v2 offset:1024
	s_waitcnt vmcnt(14) lgkmcnt(1)
	v_mul_f64 v[210:211], v[200:201], v[62:63]
	;; [unrolled: 5-line block ×10, first 2 shown]
	v_fmac_f64_e32 v[250:251], v[234:235], v[160:161]
	v_mul_f64 v[142:143], v[190:191], v[142:143]
	v_add_f64 v[250:251], v[248:249], v[250:251]
	v_fma_f64 v[248:249], v[188:189], v[140:141], -v[142:143]
	ds_read_b128 v[140:143], v2 offset:1168
	s_waitcnt vmcnt(5) lgkmcnt(1)
	v_mul_f64 v[188:189], v[236:237], v[166:167]
	v_fmac_f64_e32 v[188:189], v[238:239], v[164:165]
	v_mul_f64 v[150:151], v[186:187], v[150:151]
	v_add_f64 v[188:189], v[250:251], v[188:189]
	v_fma_f64 v[250:251], v[184:185], v[148:149], -v[150:151]
	ds_read_b128 v[148:151], v2 offset:1184
	s_waitcnt vmcnt(4) lgkmcnt(1)
	v_mul_f64 v[184:185], v[140:141], v[170:171]
	v_fmac_f64_e32 v[184:185], v[142:143], v[168:169]
	v_add_f64 v[188:189], v[188:189], v[184:185]
	ds_read_b128 v[184:187], v2 offset:1200
	v_mul_f64 v[154:155], v[194:195], v[154:155]
	s_waitcnt vmcnt(3) lgkmcnt(1)
	v_mul_f64 v[190:191], v[148:149], v[174:175]
	v_fma_f64 v[254:255], v[192:193], v[152:153], -v[154:155]
	ds_read_b128 v[152:155], v2 offset:1216
	v_fmac_f64_e32 v[190:191], v[150:151], v[172:173]
	v_add_f64 v[252:253], v[188:189], v[190:191]
	ds_read_b128 v[188:191], v2 offset:1232
	s_waitcnt vmcnt(2) lgkmcnt(2)
	v_mul_f64 v[192:193], v[184:185], v[178:179]
	v_fmac_f64_e32 v[192:193], v[186:187], v[176:177]
	v_add_f64 v[2:3], v[252:253], v[192:193]
	s_waitcnt vmcnt(1) lgkmcnt(1)
	v_mul_f64 v[192:193], v[152:153], v[182:183]
	v_fmac_f64_e32 v[192:193], v[154:155], v[180:181]
	v_add_f64 v[2:3], v[2:3], v[192:193]
	;; [unrolled: 4-line block ×3, first 2 shown]
	scratch_load_dwordx4 v[192:195], off, off offset:112
	v_add_f64 v[248:249], v[248:249], 0
	v_add_f64 v[248:249], v[248:249], v[250:251]
	v_mul_f64 v[6:7], v[70:71], v[6:7]
	v_add_f64 v[248:249], v[248:249], v[254:255]
	v_fma_f64 v[4:5], v[68:69], v[4:5], -v[6:7]
	v_mul_f64 v[6:7], v[90:91], v[10:11]
	v_add_f64 v[4:5], v[248:249], v[4:5]
	v_fma_f64 v[6:7], v[88:89], v[8:9], -v[6:7]
	v_add_f64 v[4:5], v[4:5], v[6:7]
	v_mul_f64 v[6:7], v[86:87], v[14:15]
	v_fma_f64 v[6:7], v[84:85], v[12:13], -v[6:7]
	v_add_f64 v[4:5], v[4:5], v[6:7]
	v_mul_f64 v[6:7], v[82:83], v[18:19]
	;; [unrolled: 3-line block ×27, first 2 shown]
	v_fma_f64 v[6:7], v[188:189], v[196:197], -v[6:7]
	v_add_f64 v[4:5], v[4:5], v[6:7]
	s_waitcnt vmcnt(0)
	v_add_f64 v[4:5], v[192:193], -v[4:5]
	v_add_f64 v[6:7], v[194:195], -v[2:3]
	scratch_store_dwordx4 off, v[4:7], off offset:112
	s_and_saveexec_b64 s[0:1], vcc
	s_cbranch_execz .LBB102_237
; %bb.236:
	scratch_load_dwordx4 v[2:5], off, s50
	v_mov_b32_e32 v6, 0
	v_mov_b32_e32 v7, v6
	;; [unrolled: 1-line block ×4, first 2 shown]
	scratch_store_dwordx4 off, v[6:9], off offset:96
	s_waitcnt vmcnt(1)
	ds_write_b128 v1, v[2:5]
.LBB102_237:
	s_or_b64 exec, exec, s[0:1]
	s_waitcnt lgkmcnt(0)
	; wave barrier
	scratch_load_dwordx4 v[108:111], off, off offset:112
	scratch_load_dwordx4 v[116:119], off, off offset:128
	;; [unrolled: 1-line block ×33, first 2 shown]
	v_mov_b32_e32 v2, 0
	ds_read_b128 v[220:223], v2 offset:720
	ds_read_b128 v[224:227], v2 offset:736
	ds_read_b128 v[234:237], v2 offset:752
	ds_read_b128 v[248:251], v2 offset:768
	ds_read_b128 v[252:255], v2 offset:784
	ds_read_b128 v[176:179], v2 offset:800
	ds_read_b128 v[172:175], v2 offset:816
	ds_read_b128 v[168:171], v2 offset:832
	ds_read_b128 v[164:167], v2 offset:848
	ds_read_b128 v[160:163], v2 offset:864
	ds_read_b128 v[156:159], v2 offset:880
	ds_read_b128 v[152:155], v2 offset:896
	ds_read_b128 v[148:151], v2 offset:912
	ds_read_b128 v[144:147], v2 offset:928
	ds_read_b128 v[140:143], v2 offset:944
	ds_read_b128 v[136:139], v2 offset:960
	v_cmp_lt_u32_e32 vcc, 4, v0
	s_waitcnt vmcnt(32) lgkmcnt(14)
	v_mul_f64 v[180:181], v[220:221], v[110:111]
	s_waitcnt vmcnt(31)
	v_mul_f64 v[182:183], v[224:225], v[118:119]
	v_fmac_f64_e32 v[180:181], v[222:223], v[108:109]
	s_waitcnt vmcnt(30) lgkmcnt(13)
	v_mul_f64 v[184:185], v[234:235], v[122:123]
	v_fmac_f64_e32 v[182:183], v[226:227], v[116:117]
	v_add_f64 v[180:181], v[180:181], 0
	s_waitcnt vmcnt(29) lgkmcnt(12)
	v_mul_f64 v[186:187], v[248:249], v[126:127]
	v_fmac_f64_e32 v[184:185], v[236:237], v[120:121]
	v_add_f64 v[180:181], v[180:181], v[182:183]
	;; [unrolled: 4-line block ×13, first 2 shown]
	v_fmac_f64_e32 v[208:209], v[142:143], v[40:41]
	v_add_f64 v[180:181], v[180:181], v[206:207]
	v_add_f64 v[184:185], v[180:181], v[208:209]
	ds_read_b128 v[180:183], v2 offset:976
	s_waitcnt vmcnt(17) lgkmcnt(1)
	v_mul_f64 v[186:187], v[136:137], v[46:47]
	v_fmac_f64_e32 v[186:187], v[138:139], v[44:45]
	v_add_f64 v[188:189], v[184:185], v[186:187]
	ds_read_b128 v[184:187], v2 offset:992
	s_waitcnt vmcnt(16) lgkmcnt(1)
	v_mul_f64 v[190:191], v[180:181], v[50:51]
	v_fmac_f64_e32 v[190:191], v[182:183], v[48:49]
	;; [unrolled: 5-line block ×10, first 2 shown]
	v_mul_f64 v[110:111], v[222:223], v[110:111]
	v_add_f64 v[228:229], v[228:229], v[230:231]
	v_fma_f64 v[230:231], v[220:221], v[108:109], -v[110:111]
	ds_read_b128 v[108:111], v2 offset:1136
	s_waitcnt vmcnt(7) lgkmcnt(1)
	v_mul_f64 v[220:221], v[216:217], v[86:87]
	v_mul_f64 v[118:119], v[226:227], v[118:119]
	v_fmac_f64_e32 v[220:221], v[218:219], v[84:85]
	v_fma_f64 v[232:233], v[224:225], v[116:117], -v[118:119]
	ds_read_b128 v[116:119], v2 offset:1152
	s_waitcnt vmcnt(6) lgkmcnt(1)
	v_mul_f64 v[222:223], v[108:109], v[90:91]
	v_add_f64 v[220:221], v[228:229], v[220:221]
	v_fmac_f64_e32 v[222:223], v[110:111], v[88:89]
	v_add_f64 v[224:225], v[220:221], v[222:223]
	ds_read_b128 v[220:223], v2 offset:1168
	v_mul_f64 v[122:123], v[236:237], v[122:123]
	v_fma_f64 v[234:235], v[234:235], v[120:121], -v[122:123]
	ds_read_b128 v[120:123], v2 offset:1184
	s_waitcnt vmcnt(5) lgkmcnt(2)
	v_mul_f64 v[226:227], v[116:117], v[94:95]
	v_fmac_f64_e32 v[226:227], v[118:119], v[92:93]
	v_mul_f64 v[126:127], v[250:251], v[126:127]
	v_add_f64 v[224:225], v[224:225], v[226:227]
	s_waitcnt vmcnt(4) lgkmcnt(1)
	v_mul_f64 v[226:227], v[220:221], v[98:99]
	v_fma_f64 v[236:237], v[248:249], v[124:125], -v[126:127]
	ds_read_b128 v[124:127], v2 offset:1200
	v_fmac_f64_e32 v[226:227], v[222:223], v[96:97]
	v_add_f64 v[228:229], v[224:225], v[226:227]
	s_waitcnt vmcnt(3) lgkmcnt(1)
	v_mul_f64 v[238:239], v[120:121], v[102:103]
	ds_read_b128 v[224:227], v2 offset:1216
	v_fmac_f64_e32 v[238:239], v[122:123], v[100:101]
	v_mul_f64 v[130:131], v[254:255], v[130:131]
	v_add_f64 v[228:229], v[228:229], v[238:239]
	v_fma_f64 v[238:239], v[252:253], v[128:129], -v[130:131]
	ds_read_b128 v[128:131], v2 offset:1232
	s_waitcnt vmcnt(2) lgkmcnt(2)
	v_mul_f64 v[248:249], v[124:125], v[106:107]
	v_fmac_f64_e32 v[248:249], v[126:127], v[104:105]
	v_add_f64 v[228:229], v[228:229], v[248:249]
	s_waitcnt vmcnt(1) lgkmcnt(1)
	v_mul_f64 v[248:249], v[224:225], v[114:115]
	v_fmac_f64_e32 v[248:249], v[226:227], v[112:113]
	v_add_f64 v[228:229], v[228:229], v[248:249]
	s_waitcnt vmcnt(0) lgkmcnt(0)
	v_mul_f64 v[248:249], v[128:129], v[134:135]
	v_fmac_f64_e32 v[248:249], v[130:131], v[132:133]
	v_add_f64 v[228:229], v[228:229], v[248:249]
	scratch_load_dwordx4 v[248:251], off, off offset:96
	v_add_f64 v[230:231], v[230:231], 0
	v_add_f64 v[230:231], v[230:231], v[232:233]
	;; [unrolled: 1-line block ×4, first 2 shown]
	v_mul_f64 v[6:7], v[178:179], v[6:7]
	v_add_f64 v[230:231], v[230:231], v[238:239]
	v_fma_f64 v[4:5], v[176:177], v[4:5], -v[6:7]
	v_mul_f64 v[6:7], v[174:175], v[10:11]
	v_add_f64 v[4:5], v[230:231], v[4:5]
	v_fma_f64 v[6:7], v[172:173], v[8:9], -v[6:7]
	v_add_f64 v[4:5], v[4:5], v[6:7]
	v_mul_f64 v[6:7], v[170:171], v[14:15]
	v_fma_f64 v[6:7], v[168:169], v[12:13], -v[6:7]
	v_add_f64 v[4:5], v[4:5], v[6:7]
	v_mul_f64 v[6:7], v[166:167], v[18:19]
	;; [unrolled: 3-line block ×26, first 2 shown]
	v_fma_f64 v[6:7], v[128:129], v[132:133], -v[6:7]
	v_add_f64 v[4:5], v[4:5], v[6:7]
	s_waitcnt vmcnt(0)
	v_add_f64 v[4:5], v[248:249], -v[4:5]
	v_add_f64 v[6:7], v[250:251], -v[228:229]
	scratch_store_dwordx4 off, v[4:7], off offset:96
	s_and_saveexec_b64 s[0:1], vcc
	s_cbranch_execz .LBB102_239
; %bb.238:
	scratch_load_dwordx4 v[6:9], off, s51
	v_mov_b32_e32 v3, v2
	v_mov_b32_e32 v4, v2
	;; [unrolled: 1-line block ×3, first 2 shown]
	scratch_store_dwordx4 off, v[2:5], off offset:80
	s_waitcnt vmcnt(1)
	ds_write_b128 v1, v[6:9]
.LBB102_239:
	s_or_b64 exec, exec, s[0:1]
	s_waitcnt lgkmcnt(0)
	; wave barrier
	scratch_load_dwordx4 v[144:147], off, off offset:96
	scratch_load_dwordx4 v[152:155], off, off offset:112
	;; [unrolled: 1-line block ×16, first 2 shown]
	ds_read_b128 v[196:199], v2 offset:704
	ds_read_b128 v[188:191], v2 offset:720
	ds_read_b128 v[180:183], v2 offset:736
	scratch_load_dwordx4 v[48:51], off, off offset:352
	ds_read_b128 v[192:195], v2 offset:752
	ds_read_b128 v[184:187], v2 offset:768
	ds_read_b128 v[64:67], v2 offset:784
	scratch_load_dwordx4 v[52:55], off, off offset:368
	;; [unrolled: 4-line block ×5, first 2 shown]
	ds_read_b128 v[116:119], v2 offset:944
	ds_read_b128 v[112:115], v2 offset:960
	scratch_load_dwordx4 v[108:111], off, off offset:432
	scratch_load_dwordx4 v[120:123], off, off offset:448
	;; [unrolled: 1-line block ×12, first 2 shown]
	v_cmp_lt_u32_e32 vcc, 3, v0
	s_waitcnt vmcnt(32) lgkmcnt(14)
	v_mul_f64 v[204:205], v[196:197], v[146:147]
	s_waitcnt vmcnt(31)
	v_mul_f64 v[206:207], v[188:189], v[154:155]
	v_fmac_f64_e32 v[204:205], v[198:199], v[144:145]
	s_waitcnt vmcnt(30)
	v_mul_f64 v[208:209], v[180:181], v[158:159]
	v_fmac_f64_e32 v[206:207], v[190:191], v[152:153]
	v_add_f64 v[204:205], v[204:205], 0
	s_waitcnt vmcnt(29) lgkmcnt(13)
	v_mul_f64 v[210:211], v[192:193], v[162:163]
	v_fmac_f64_e32 v[208:209], v[182:183], v[156:157]
	v_add_f64 v[204:205], v[204:205], v[206:207]
	s_waitcnt vmcnt(28) lgkmcnt(12)
	v_mul_f64 v[212:213], v[184:185], v[170:171]
	v_fmac_f64_e32 v[210:211], v[194:195], v[160:161]
	v_add_f64 v[204:205], v[204:205], v[208:209]
	s_waitcnt vmcnt(27) lgkmcnt(11)
	v_mul_f64 v[214:215], v[64:65], v[6:7]
	v_fmac_f64_e32 v[212:213], v[186:187], v[168:169]
	v_add_f64 v[204:205], v[204:205], v[210:211]
	s_waitcnt vmcnt(26) lgkmcnt(10)
	v_mul_f64 v[216:217], v[76:77], v[10:11]
	v_fmac_f64_e32 v[214:215], v[66:67], v[4:5]
	v_add_f64 v[204:205], v[204:205], v[212:213]
	s_waitcnt vmcnt(25) lgkmcnt(9)
	v_mul_f64 v[218:219], v[72:73], v[14:15]
	v_fmac_f64_e32 v[216:217], v[78:79], v[8:9]
	v_add_f64 v[204:205], v[204:205], v[214:215]
	s_waitcnt vmcnt(24) lgkmcnt(8)
	v_mul_f64 v[220:221], v[68:69], v[18:19]
	v_fmac_f64_e32 v[218:219], v[74:75], v[12:13]
	v_add_f64 v[204:205], v[204:205], v[216:217]
	s_waitcnt vmcnt(23) lgkmcnt(7)
	v_mul_f64 v[222:223], v[88:89], v[22:23]
	v_fmac_f64_e32 v[220:221], v[70:71], v[16:17]
	v_add_f64 v[204:205], v[204:205], v[218:219]
	s_waitcnt vmcnt(22) lgkmcnt(6)
	v_mul_f64 v[224:225], v[84:85], v[26:27]
	v_fmac_f64_e32 v[222:223], v[90:91], v[20:21]
	v_add_f64 v[204:205], v[204:205], v[220:221]
	s_waitcnt vmcnt(21) lgkmcnt(5)
	v_mul_f64 v[226:227], v[80:81], v[30:31]
	v_fmac_f64_e32 v[224:225], v[86:87], v[24:25]
	v_add_f64 v[204:205], v[204:205], v[222:223]
	s_waitcnt vmcnt(20) lgkmcnt(4)
	v_mul_f64 v[228:229], v[104:105], v[34:35]
	v_fmac_f64_e32 v[226:227], v[82:83], v[28:29]
	v_add_f64 v[204:205], v[204:205], v[224:225]
	s_waitcnt vmcnt(19) lgkmcnt(3)
	v_mul_f64 v[230:231], v[100:101], v[38:39]
	v_fmac_f64_e32 v[228:229], v[106:107], v[32:33]
	v_add_f64 v[204:205], v[204:205], v[226:227]
	s_waitcnt vmcnt(18) lgkmcnt(2)
	v_mul_f64 v[232:233], v[96:97], v[42:43]
	v_fmac_f64_e32 v[230:231], v[102:103], v[36:37]
	v_add_f64 v[204:205], v[204:205], v[228:229]
	v_fmac_f64_e32 v[232:233], v[98:99], v[40:41]
	v_add_f64 v[204:205], v[204:205], v[230:231]
	s_waitcnt vmcnt(17) lgkmcnt(1)
	v_mul_f64 v[206:207], v[116:117], v[46:47]
	v_add_f64 v[204:205], v[204:205], v[232:233]
	v_fmac_f64_e32 v[206:207], v[118:119], v[44:45]
	s_waitcnt vmcnt(16) lgkmcnt(0)
	v_mul_f64 v[210:211], v[112:113], v[50:51]
	v_add_f64 v[208:209], v[204:205], v[206:207]
	ds_read_b128 v[204:207], v2 offset:976
	v_fmac_f64_e32 v[210:211], v[114:115], v[48:49]
	v_add_f64 v[212:213], v[208:209], v[210:211]
	ds_read_b128 v[208:211], v2 offset:992
	v_mul_f64 v[146:147], v[198:199], v[146:147]
	s_waitcnt vmcnt(15) lgkmcnt(1)
	v_mul_f64 v[214:215], v[204:205], v[54:55]
	v_fmac_f64_e32 v[214:215], v[206:207], v[52:53]
	v_add_f64 v[216:217], v[212:213], v[214:215]
	s_waitcnt vmcnt(14) lgkmcnt(0)
	v_mul_f64 v[218:219], v[208:209], v[58:59]
	ds_read_b128 v[212:215], v2 offset:1008
	v_fmac_f64_e32 v[218:219], v[210:211], v[56:57]
	v_add_f64 v[220:221], v[216:217], v[218:219]
	ds_read_b128 v[216:219], v2 offset:1024
	v_mul_f64 v[154:155], v[190:191], v[154:155]
	s_waitcnt vmcnt(13) lgkmcnt(1)
	v_mul_f64 v[222:223], v[212:213], v[62:63]
	v_fmac_f64_e32 v[222:223], v[214:215], v[60:61]
	v_add_f64 v[224:225], v[220:221], v[222:223]
	s_waitcnt vmcnt(12) lgkmcnt(0)
	v_mul_f64 v[226:227], v[216:217], v[94:95]
	ds_read_b128 v[220:223], v2 offset:1040
	v_fmac_f64_e32 v[226:227], v[218:219], v[92:93]
	v_add_f64 v[228:229], v[224:225], v[226:227]
	ds_read_b128 v[224:227], v2 offset:1056
	v_fma_f64 v[252:253], v[188:189], v[152:153], -v[154:155]
	s_waitcnt vmcnt(11) lgkmcnt(1)
	v_mul_f64 v[230:231], v[220:221], v[110:111]
	v_fmac_f64_e32 v[230:231], v[222:223], v[108:109]
	v_add_f64 v[232:233], v[228:229], v[230:231]
	s_waitcnt vmcnt(10) lgkmcnt(0)
	v_mul_f64 v[234:235], v[224:225], v[122:123]
	ds_read_b128 v[228:231], v2 offset:1072
	v_fmac_f64_e32 v[234:235], v[226:227], v[120:121]
	v_add_f64 v[236:237], v[232:233], v[234:235]
	ds_read_b128 v[232:235], v2 offset:1088
	ds_read_b128 v[152:155], v2 offset:1136
	s_waitcnt vmcnt(9) lgkmcnt(2)
	v_mul_f64 v[238:239], v[228:229], v[126:127]
	v_fmac_f64_e32 v[238:239], v[230:231], v[124:125]
	v_add_f64 v[248:249], v[236:237], v[238:239]
	s_waitcnt vmcnt(8) lgkmcnt(1)
	v_mul_f64 v[250:251], v[232:233], v[130:131]
	ds_read_b128 v[236:239], v2 offset:1104
	v_fmac_f64_e32 v[250:251], v[234:235], v[128:129]
	v_add_f64 v[248:249], v[248:249], v[250:251]
	v_fma_f64 v[250:251], v[196:197], v[144:145], -v[146:147]
	ds_read_b128 v[144:147], v2 offset:1120
	s_waitcnt vmcnt(7) lgkmcnt(1)
	v_mul_f64 v[196:197], v[236:237], v[134:135]
	v_fmac_f64_e32 v[196:197], v[238:239], v[132:133]
	v_add_f64 v[188:189], v[248:249], v[196:197]
	v_mul_f64 v[158:159], v[182:183], v[158:159]
	s_waitcnt vmcnt(6) lgkmcnt(0)
	v_mul_f64 v[190:191], v[144:145], v[138:139]
	v_fmac_f64_e32 v[190:191], v[146:147], v[136:137]
	v_add_f64 v[196:197], v[188:189], v[190:191]
	ds_read_b128 v[188:191], v2 offset:1152
	v_fma_f64 v[248:249], v[180:181], v[156:157], -v[158:159]
	ds_read_b128 v[156:159], v2 offset:1168
	s_waitcnt vmcnt(5)
	v_mul_f64 v[198:199], v[152:153], v[142:143]
	v_fmac_f64_e32 v[198:199], v[154:155], v[140:141]
	s_waitcnt vmcnt(4) lgkmcnt(1)
	v_mul_f64 v[180:181], v[188:189], v[150:151]
	v_add_f64 v[196:197], v[196:197], v[198:199]
	v_fmac_f64_e32 v[180:181], v[190:191], v[148:149]
	v_mul_f64 v[162:163], v[194:195], v[162:163]
	v_add_f64 v[198:199], v[196:197], v[180:181]
	v_fma_f64 v[196:197], v[192:193], v[160:161], -v[162:163]
	ds_read_b128 v[160:163], v2 offset:1184
	s_waitcnt vmcnt(3) lgkmcnt(1)
	v_mul_f64 v[192:193], v[156:157], v[166:167]
	ds_read_b128 v[180:183], v2 offset:1200
	v_fmac_f64_e32 v[192:193], v[158:159], v[164:165]
	v_mul_f64 v[170:171], v[186:187], v[170:171]
	v_add_f64 v[192:193], v[198:199], v[192:193]
	v_fma_f64 v[198:199], v[184:185], v[168:169], -v[170:171]
	ds_read_b128 v[168:171], v2 offset:1216
	s_waitcnt vmcnt(2) lgkmcnt(2)
	v_mul_f64 v[184:185], v[160:161], v[174:175]
	v_fmac_f64_e32 v[184:185], v[162:163], v[172:173]
	s_waitcnt vmcnt(1) lgkmcnt(1)
	v_mul_f64 v[186:187], v[180:181], v[178:179]
	v_add_f64 v[184:185], v[192:193], v[184:185]
	v_fmac_f64_e32 v[186:187], v[182:183], v[176:177]
	v_add_f64 v[184:185], v[184:185], v[186:187]
	s_waitcnt vmcnt(0) lgkmcnt(0)
	v_mul_f64 v[186:187], v[168:169], v[202:203]
	v_fmac_f64_e32 v[186:187], v[170:171], v[200:201]
	v_add_f64 v[254:255], v[184:185], v[186:187]
	scratch_load_dwordx4 v[184:187], off, off offset:624
	v_add_f64 v[250:251], v[250:251], 0
	v_add_f64 v[250:251], v[250:251], v[252:253]
	;; [unrolled: 1-line block ×3, first 2 shown]
	scratch_load_dwordx4 v[250:253], off, off offset:80
	v_add_f64 v[196:197], v[248:249], v[196:197]
	v_mul_f64 v[6:7], v[66:67], v[6:7]
	v_add_f64 v[196:197], v[196:197], v[198:199]
	v_fma_f64 v[4:5], v[64:65], v[4:5], -v[6:7]
	v_mul_f64 v[6:7], v[78:79], v[10:11]
	v_add_f64 v[4:5], v[196:197], v[4:5]
	v_fma_f64 v[6:7], v[76:77], v[8:9], -v[6:7]
	v_add_f64 v[4:5], v[4:5], v[6:7]
	v_mul_f64 v[6:7], v[74:75], v[14:15]
	v_fma_f64 v[6:7], v[72:73], v[12:13], -v[6:7]
	v_add_f64 v[4:5], v[4:5], v[6:7]
	v_mul_f64 v[6:7], v[70:71], v[18:19]
	;; [unrolled: 3-line block ×24, first 2 shown]
	ds_read_b128 v[192:195], v2 offset:1232
	v_fma_f64 v[6:7], v[160:161], v[172:173], -v[6:7]
	v_add_f64 v[4:5], v[4:5], v[6:7]
	v_mul_f64 v[6:7], v[182:183], v[178:179]
	v_fma_f64 v[6:7], v[180:181], v[176:177], -v[6:7]
	v_add_f64 v[4:5], v[4:5], v[6:7]
	v_mul_f64 v[6:7], v[170:171], v[202:203]
	v_fma_f64 v[6:7], v[168:169], v[200:201], -v[6:7]
	s_waitcnt vmcnt(1) lgkmcnt(0)
	v_mul_f64 v[2:3], v[192:193], v[186:187]
	v_add_f64 v[4:5], v[4:5], v[6:7]
	v_mul_f64 v[6:7], v[194:195], v[186:187]
	v_fmac_f64_e32 v[2:3], v[194:195], v[184:185]
	v_fma_f64 v[6:7], v[192:193], v[184:185], -v[6:7]
	v_add_f64 v[2:3], v[254:255], v[2:3]
	v_add_f64 v[4:5], v[4:5], v[6:7]
	s_waitcnt vmcnt(0)
	v_add_f64 v[4:5], v[250:251], -v[4:5]
	v_add_f64 v[6:7], v[252:253], -v[2:3]
	scratch_store_dwordx4 off, v[4:7], off offset:80
	s_and_saveexec_b64 s[0:1], vcc
	s_cbranch_execz .LBB102_241
; %bb.240:
	scratch_load_dwordx4 v[2:5], off, s52
	v_mov_b32_e32 v6, 0
	v_mov_b32_e32 v7, v6
	v_mov_b32_e32 v8, v6
	v_mov_b32_e32 v9, v6
	scratch_store_dwordx4 off, v[6:9], off offset:64
	s_waitcnt vmcnt(1)
	ds_write_b128 v1, v[2:5]
.LBB102_241:
	s_or_b64 exec, exec, s[0:1]
	s_waitcnt lgkmcnt(0)
	; wave barrier
	scratch_load_dwordx4 v[184:187], off, off offset:80
	scratch_load_dwordx4 v[188:191], off, off offset:96
	;; [unrolled: 1-line block ×32, first 2 shown]
	v_mov_b32_e32 v2, 0
	ds_read_b128 v[192:195], v2 offset:688
	ds_read_b128 v[204:207], v2 offset:704
	ds_read_b128 v[216:219], v2 offset:720
	ds_read_b128 v[224:227], v2 offset:736
	ds_read_b128 v[228:231], v2 offset:752
	ds_read_b128 v[248:251], v2 offset:768
	ds_read_b128 v[252:255], v2 offset:784
	ds_read_b128 v[148:151], v2 offset:800
	ds_read_b128 v[144:147], v2 offset:816
	ds_read_b128 v[140:143], v2 offset:832
	ds_read_b128 v[136:139], v2 offset:848
	ds_read_b128 v[132:135], v2 offset:864
	ds_read_b128 v[124:127], v2 offset:880
	ds_read_b128 v[120:123], v2 offset:896
	ds_read_b128 v[116:119], v2 offset:912
	ds_read_b128 v[108:111], v2 offset:928
	v_cmp_lt_u32_e32 vcc, 2, v0
	s_waitcnt vmcnt(31) lgkmcnt(14)
	v_mul_f64 v[104:105], v[192:193], v[186:187]
	s_waitcnt vmcnt(30)
	v_mul_f64 v[106:107], v[204:205], v[190:191]
	v_fmac_f64_e32 v[104:105], v[194:195], v[184:185]
	s_waitcnt vmcnt(29) lgkmcnt(13)
	v_mul_f64 v[112:113], v[216:217], v[198:199]
	v_fmac_f64_e32 v[106:107], v[206:207], v[188:189]
	v_add_f64 v[104:105], v[104:105], 0
	s_waitcnt vmcnt(28) lgkmcnt(12)
	v_mul_f64 v[114:115], v[224:225], v[202:203]
	v_fmac_f64_e32 v[112:113], v[218:219], v[196:197]
	v_add_f64 v[104:105], v[104:105], v[106:107]
	s_waitcnt vmcnt(27) lgkmcnt(11)
	v_mul_f64 v[128:129], v[228:229], v[210:211]
	v_fmac_f64_e32 v[114:115], v[226:227], v[200:201]
	v_add_f64 v[104:105], v[104:105], v[112:113]
	s_waitcnt vmcnt(26) lgkmcnt(10)
	v_mul_f64 v[130:131], v[248:249], v[214:215]
	v_fmac_f64_e32 v[128:129], v[230:231], v[208:209]
	v_add_f64 v[104:105], v[104:105], v[114:115]
	s_waitcnt vmcnt(25) lgkmcnt(9)
	v_mul_f64 v[152:153], v[252:253], v[222:223]
	v_fmac_f64_e32 v[130:131], v[250:251], v[212:213]
	v_add_f64 v[104:105], v[104:105], v[128:129]
	s_waitcnt vmcnt(24) lgkmcnt(8)
	v_mul_f64 v[154:155], v[148:149], v[6:7]
	v_fmac_f64_e32 v[152:153], v[254:255], v[220:221]
	v_add_f64 v[104:105], v[104:105], v[130:131]
	s_waitcnt vmcnt(23) lgkmcnt(7)
	v_mul_f64 v[156:157], v[144:145], v[10:11]
	v_fmac_f64_e32 v[154:155], v[150:151], v[4:5]
	v_add_f64 v[104:105], v[104:105], v[152:153]
	s_waitcnt vmcnt(22) lgkmcnt(6)
	v_mul_f64 v[158:159], v[140:141], v[14:15]
	v_fmac_f64_e32 v[156:157], v[146:147], v[8:9]
	v_add_f64 v[104:105], v[104:105], v[154:155]
	s_waitcnt vmcnt(21) lgkmcnt(5)
	v_mul_f64 v[160:161], v[136:137], v[18:19]
	v_fmac_f64_e32 v[158:159], v[142:143], v[12:13]
	v_add_f64 v[104:105], v[104:105], v[156:157]
	s_waitcnt vmcnt(20) lgkmcnt(4)
	v_mul_f64 v[162:163], v[132:133], v[22:23]
	v_fmac_f64_e32 v[160:161], v[138:139], v[16:17]
	v_add_f64 v[104:105], v[104:105], v[158:159]
	ds_read_b128 v[152:155], v2 offset:944
	ds_read_b128 v[156:159], v2 offset:960
	s_waitcnt vmcnt(19) lgkmcnt(5)
	v_mul_f64 v[164:165], v[124:125], v[26:27]
	v_fmac_f64_e32 v[162:163], v[134:135], v[20:21]
	v_add_f64 v[104:105], v[104:105], v[160:161]
	s_waitcnt vmcnt(18) lgkmcnt(4)
	v_mul_f64 v[166:167], v[120:121], v[30:31]
	v_fmac_f64_e32 v[164:165], v[126:127], v[24:25]
	v_add_f64 v[104:105], v[104:105], v[162:163]
	;; [unrolled: 4-line block ×4, first 2 shown]
	v_add_f64 v[112:113], v[104:105], v[168:169]
	v_fmac_f64_e32 v[170:171], v[110:111], v[36:37]
	scratch_load_dwordx4 v[104:107], off, off offset:592
	s_waitcnt vmcnt(16) lgkmcnt(1)
	v_mul_f64 v[114:115], v[152:153], v[42:43]
	v_add_f64 v[112:113], v[112:113], v[170:171]
	v_fmac_f64_e32 v[114:115], v[154:155], v[40:41]
	v_add_f64 v[128:129], v[112:113], v[114:115]
	scratch_load_dwordx4 v[112:115], off, off offset:608
	s_waitcnt vmcnt(16) lgkmcnt(0)
	v_mul_f64 v[130:131], v[156:157], v[46:47]
	v_fmac_f64_e32 v[130:131], v[158:159], v[44:45]
	v_add_f64 v[168:169], v[128:129], v[130:131]
	scratch_load_dwordx4 v[128:131], off, off offset:624
	ds_read_b128 v[160:163], v2 offset:976
	ds_read_b128 v[164:167], v2 offset:992
	v_mul_f64 v[186:187], v[194:195], v[186:187]
	v_fma_f64 v[242:243], v[192:193], v[184:185], -v[186:187]
	ds_read_b128 v[184:187], v2 offset:1072
	s_waitcnt vmcnt(16) lgkmcnt(2)
	v_mul_f64 v[170:171], v[160:161], v[50:51]
	v_fmac_f64_e32 v[170:171], v[162:163], v[48:49]
	s_waitcnt vmcnt(15) lgkmcnt(1)
	v_mul_f64 v[174:175], v[164:165], v[54:55]
	v_add_f64 v[172:173], v[168:169], v[170:171]
	ds_read_b128 v[168:171], v2 offset:1008
	v_fmac_f64_e32 v[174:175], v[166:167], v[52:53]
	v_add_f64 v[176:177], v[172:173], v[174:175]
	ds_read_b128 v[172:175], v2 offset:1024
	v_mul_f64 v[190:191], v[206:207], v[190:191]
	s_waitcnt vmcnt(14) lgkmcnt(1)
	v_mul_f64 v[178:179], v[168:169], v[58:59]
	v_fmac_f64_e32 v[178:179], v[170:171], v[56:57]
	v_add_f64 v[180:181], v[176:177], v[178:179]
	s_waitcnt vmcnt(13) lgkmcnt(0)
	v_mul_f64 v[182:183], v[172:173], v[62:63]
	ds_read_b128 v[176:179], v2 offset:1040
	v_fmac_f64_e32 v[182:183], v[174:175], v[60:61]
	v_add_f64 v[232:233], v[180:181], v[182:183]
	ds_read_b128 v[180:183], v2 offset:1056
	v_fma_f64 v[244:245], v[204:205], v[188:189], -v[190:191]
	s_waitcnt vmcnt(12) lgkmcnt(1)
	v_mul_f64 v[234:235], v[176:177], v[66:67]
	v_fmac_f64_e32 v[234:235], v[178:179], v[64:65]
	v_add_f64 v[232:233], v[232:233], v[234:235]
	s_waitcnt vmcnt(11) lgkmcnt(0)
	v_mul_f64 v[192:193], v[180:181], v[70:71]
	v_fmac_f64_e32 v[192:193], v[182:183], v[68:69]
	ds_read_b128 v[188:191], v2 offset:1088
	s_waitcnt vmcnt(10)
	v_mul_f64 v[194:195], v[184:185], v[74:75]
	v_add_f64 v[192:193], v[232:233], v[192:193]
	v_fmac_f64_e32 v[194:195], v[186:187], v[72:73]
	v_add_f64 v[204:205], v[192:193], v[194:195]
	ds_read_b128 v[192:195], v2 offset:1104
	v_mul_f64 v[198:199], v[218:219], v[198:199]
	v_fma_f64 v[246:247], v[216:217], v[196:197], -v[198:199]
	ds_read_b128 v[196:199], v2 offset:1120
	s_waitcnt vmcnt(9) lgkmcnt(2)
	v_mul_f64 v[206:207], v[188:189], v[78:79]
	v_fmac_f64_e32 v[206:207], v[190:191], v[76:77]
	v_add_f64 v[204:205], v[204:205], v[206:207]
	s_waitcnt vmcnt(8) lgkmcnt(1)
	v_mul_f64 v[206:207], v[192:193], v[82:83]
	v_fmac_f64_e32 v[206:207], v[194:195], v[80:81]
	v_mul_f64 v[202:203], v[226:227], v[202:203]
	v_add_f64 v[204:205], v[204:205], v[206:207]
	v_fma_f64 v[234:235], v[224:225], v[200:201], -v[202:203]
	ds_read_b128 v[200:203], v2 offset:1136
	s_waitcnt vmcnt(7) lgkmcnt(1)
	v_mul_f64 v[206:207], v[196:197], v[86:87]
	v_fmac_f64_e32 v[206:207], v[198:199], v[84:85]
	v_add_f64 v[216:217], v[204:205], v[206:207]
	ds_read_b128 v[204:207], v2 offset:1152
	v_mul_f64 v[210:211], v[230:231], v[210:211]
	v_fma_f64 v[236:237], v[228:229], v[208:209], -v[210:211]
	ds_read_b128 v[208:211], v2 offset:1168
	s_waitcnt vmcnt(6) lgkmcnt(2)
	v_mul_f64 v[218:219], v[200:201], v[90:91]
	v_fmac_f64_e32 v[218:219], v[202:203], v[88:89]
	v_add_f64 v[216:217], v[216:217], v[218:219]
	s_waitcnt vmcnt(5) lgkmcnt(1)
	v_mul_f64 v[218:219], v[204:205], v[94:95]
	v_fmac_f64_e32 v[218:219], v[206:207], v[92:93]
	v_mul_f64 v[214:215], v[250:251], v[214:215]
	v_fma_f64 v[238:239], v[248:249], v[212:213], -v[214:215]
	ds_read_b128 v[212:215], v2 offset:1184
	v_add_f64 v[216:217], v[216:217], v[218:219]
	s_waitcnt vmcnt(4) lgkmcnt(1)
	v_mul_f64 v[218:219], v[208:209], v[102:103]
	v_fmac_f64_e32 v[218:219], v[210:211], v[100:101]
	v_add_f64 v[224:225], v[216:217], v[218:219]
	ds_read_b128 v[216:219], v2 offset:1200
	v_mul_f64 v[222:223], v[254:255], v[222:223]
	v_fma_f64 v[248:249], v[252:253], v[220:221], -v[222:223]
	ds_read_b128 v[220:223], v2 offset:1216
	s_waitcnt vmcnt(3) lgkmcnt(2)
	v_mul_f64 v[226:227], v[212:213], v[98:99]
	v_fmac_f64_e32 v[226:227], v[214:215], v[96:97]
	v_add_f64 v[224:225], v[224:225], v[226:227]
	s_waitcnt vmcnt(2) lgkmcnt(1)
	v_mul_f64 v[226:227], v[216:217], v[106:107]
	v_fmac_f64_e32 v[226:227], v[218:219], v[104:105]
	v_add_f64 v[224:225], v[224:225], v[226:227]
	;; [unrolled: 4-line block ×3, first 2 shown]
	ds_read_b128 v[224:227], v2 offset:1232
	v_mul_f64 v[6:7], v[150:151], v[6:7]
	v_fma_f64 v[4:5], v[148:149], v[4:5], -v[6:7]
	v_mul_f64 v[6:7], v[146:147], v[10:11]
	v_fma_f64 v[6:7], v[144:145], v[8:9], -v[6:7]
	s_waitcnt vmcnt(0) lgkmcnt(0)
	v_mul_f64 v[230:231], v[224:225], v[130:131]
	v_fmac_f64_e32 v[230:231], v[226:227], v[128:129]
	v_add_f64 v[232:233], v[228:229], v[230:231]
	v_add_f64 v[228:229], v[242:243], 0
	;; [unrolled: 1-line block ×4, first 2 shown]
	scratch_load_dwordx4 v[228:231], off, off offset:64
	v_add_f64 v[234:235], v[250:251], v[234:235]
	v_add_f64 v[234:235], v[234:235], v[236:237]
	;; [unrolled: 1-line block ×6, first 2 shown]
	v_mul_f64 v[6:7], v[142:143], v[14:15]
	v_fma_f64 v[6:7], v[140:141], v[12:13], -v[6:7]
	v_add_f64 v[4:5], v[4:5], v[6:7]
	v_mul_f64 v[6:7], v[138:139], v[18:19]
	v_fma_f64 v[6:7], v[136:137], v[16:17], -v[6:7]
	v_add_f64 v[4:5], v[4:5], v[6:7]
	;; [unrolled: 3-line block ×26, first 2 shown]
	s_waitcnt vmcnt(0)
	v_add_f64 v[4:5], v[228:229], -v[4:5]
	v_add_f64 v[6:7], v[230:231], -v[232:233]
	scratch_store_dwordx4 off, v[4:7], off offset:64
	s_and_saveexec_b64 s[0:1], vcc
	s_cbranch_execz .LBB102_243
; %bb.242:
	scratch_load_dwordx4 v[6:9], off, s53
	v_mov_b32_e32 v3, v2
	v_mov_b32_e32 v4, v2
	;; [unrolled: 1-line block ×3, first 2 shown]
	scratch_store_dwordx4 off, v[2:5], off offset:48
	s_waitcnt vmcnt(1)
	ds_write_b128 v1, v[6:9]
.LBB102_243:
	s_or_b64 exec, exec, s[0:1]
	s_waitcnt lgkmcnt(0)
	; wave barrier
	scratch_load_dwordx4 v[140:143], off, off offset:64
	scratch_load_dwordx4 v[144:147], off, off offset:80
	;; [unrolled: 1-line block ×16, first 2 shown]
	ds_read_b128 v[208:211], v2 offset:672
	ds_read_b128 v[200:203], v2 offset:688
	;; [unrolled: 1-line block ×3, first 2 shown]
	scratch_load_dwordx4 v[40:43], off, off offset:320
	ds_read_b128 v[204:207], v2 offset:720
	ds_read_b128 v[192:195], v2 offset:736
	;; [unrolled: 1-line block ×3, first 2 shown]
	scratch_load_dwordx4 v[44:47], off, off offset:336
	ds_read_b128 v[196:199], v2 offset:768
	ds_read_b128 v[64:67], v2 offset:784
	;; [unrolled: 1-line block ×4, first 2 shown]
	scratch_load_dwordx4 v[48:51], off, off offset:352
	ds_read_b128 v[72:75], v2 offset:832
	ds_read_b128 v[68:71], v2 offset:848
	scratch_load_dwordx4 v[56:59], off, off offset:368
	ds_read_b128 v[92:95], v2 offset:864
	ds_read_b128 v[88:91], v2 offset:880
	;; [unrolled: 1-line block ×4, first 2 shown]
	scratch_load_dwordx4 v[76:79], off, off offset:384
	scratch_load_dwordx4 v[96:99], off, off offset:400
	;; [unrolled: 1-line block ×12, first 2 shown]
	ds_read_b128 v[168:171], v2 offset:928
	v_cmp_lt_u32_e32 vcc, 1, v0
	s_waitcnt vmcnt(31) lgkmcnt(14)
	v_mul_f64 v[172:173], v[208:209], v[142:143]
	s_waitcnt vmcnt(30)
	v_mul_f64 v[174:175], v[200:201], v[146:147]
	v_fmac_f64_e32 v[172:173], v[210:211], v[140:141]
	s_waitcnt vmcnt(29)
	v_mul_f64 v[176:177], v[188:189], v[150:151]
	v_fmac_f64_e32 v[174:175], v[202:203], v[144:145]
	v_add_f64 v[172:173], v[172:173], 0
	s_waitcnt vmcnt(28) lgkmcnt(13)
	v_mul_f64 v[178:179], v[204:205], v[154:155]
	v_fmac_f64_e32 v[176:177], v[190:191], v[148:149]
	v_add_f64 v[172:173], v[172:173], v[174:175]
	s_waitcnt vmcnt(27) lgkmcnt(12)
	;; [unrolled: 4-line block ×10, first 2 shown]
	v_mul_f64 v[224:225], v[92:93], v[26:27]
	v_fmac_f64_e32 v[222:223], v[70:71], v[20:21]
	v_add_f64 v[172:173], v[172:173], v[220:221]
	ds_read_b128 v[212:215], v2 offset:944
	s_waitcnt vmcnt(18) lgkmcnt(4)
	v_mul_f64 v[226:227], v[88:89], v[30:31]
	v_fmac_f64_e32 v[224:225], v[94:95], v[24:25]
	v_add_f64 v[172:173], v[172:173], v[222:223]
	ds_read_b128 v[216:219], v2 offset:960
	ds_read_b128 v[220:223], v2 offset:976
	s_waitcnt vmcnt(17) lgkmcnt(5)
	v_mul_f64 v[228:229], v[84:85], v[34:35]
	v_fmac_f64_e32 v[226:227], v[90:91], v[28:29]
	v_add_f64 v[172:173], v[172:173], v[224:225]
	s_waitcnt vmcnt(16) lgkmcnt(4)
	v_mul_f64 v[230:231], v[80:81], v[38:39]
	v_fmac_f64_e32 v[228:229], v[86:87], v[32:33]
	v_add_f64 v[172:173], v[172:173], v[226:227]
	v_add_f64 v[176:177], v[172:173], v[228:229]
	v_fmac_f64_e32 v[230:231], v[82:83], v[36:37]
	s_waitcnt vmcnt(15) lgkmcnt(3)
	v_mul_f64 v[178:179], v[168:169], v[42:43]
	v_add_f64 v[176:177], v[176:177], v[230:231]
	v_fmac_f64_e32 v[178:179], v[170:171], v[40:41]
	s_waitcnt vmcnt(14) lgkmcnt(2)
	v_mul_f64 v[182:183], v[212:213], v[46:47]
	;; [unrolled: 4-line block ×3, first 2 shown]
	v_add_f64 v[224:225], v[180:181], v[182:183]
	v_fmac_f64_e32 v[226:227], v[218:219], v[48:49]
	v_add_f64 v[228:229], v[224:225], v[226:227]
	ds_read_b128 v[224:227], v2 offset:992
	s_waitcnt vmcnt(12) lgkmcnt(1)
	v_mul_f64 v[230:231], v[220:221], v[58:59]
	v_fmac_f64_e32 v[230:231], v[222:223], v[56:57]
	v_add_f64 v[232:233], v[228:229], v[230:231]
	ds_read_b128 v[228:231], v2 offset:1008
	s_waitcnt vmcnt(11) lgkmcnt(1)
	v_mul_f64 v[234:235], v[224:225], v[78:79]
	;; [unrolled: 5-line block ×4, first 2 shown]
	v_fmac_f64_e32 v[244:245], v[234:235], v[100:101]
	v_mul_f64 v[142:143], v[210:211], v[142:143]
	v_add_f64 v[242:243], v[242:243], v[244:245]
	v_fma_f64 v[244:245], v[208:209], v[140:141], -v[142:143]
	ds_read_b128 v[140:143], v2 offset:1056
	s_waitcnt vmcnt(8) lgkmcnt(1)
	v_mul_f64 v[208:209], v[236:237], v[106:107]
	v_fmac_f64_e32 v[208:209], v[238:239], v[104:105]
	v_mul_f64 v[146:147], v[202:203], v[146:147]
	v_add_f64 v[208:209], v[242:243], v[208:209]
	v_fma_f64 v[242:243], v[200:201], v[144:145], -v[146:147]
	ds_read_b128 v[144:147], v2 offset:1072
	s_waitcnt vmcnt(7) lgkmcnt(1)
	v_mul_f64 v[200:201], v[140:141], v[110:111]
	scratch_load_dwordx4 v[172:175], off, off offset:576
	scratch_load_dwordx4 v[176:179], off, off offset:592
	v_fmac_f64_e32 v[200:201], v[142:143], v[108:109]
	v_add_f64 v[208:209], v[208:209], v[200:201]
	ds_read_b128 v[200:203], v2 offset:1088
	v_mul_f64 v[150:151], v[190:191], v[150:151]
	v_fma_f64 v[246:247], v[188:189], v[148:149], -v[150:151]
	ds_read_b128 v[148:151], v2 offset:1104
	s_waitcnt vmcnt(8) lgkmcnt(2)
	v_mul_f64 v[210:211], v[144:145], v[114:115]
	v_fmac_f64_e32 v[210:211], v[146:147], v[112:113]
	s_waitcnt vmcnt(7) lgkmcnt(1)
	v_mul_f64 v[188:189], v[200:201], v[118:119]
	v_add_f64 v[208:209], v[208:209], v[210:211]
	v_fmac_f64_e32 v[188:189], v[202:203], v[116:117]
	v_mul_f64 v[154:155], v[206:207], v[154:155]
	s_waitcnt vmcnt(6) lgkmcnt(0)
	v_mul_f64 v[190:191], v[148:149], v[122:123]
	v_add_f64 v[188:189], v[208:209], v[188:189]
	v_fma_f64 v[248:249], v[204:205], v[152:153], -v[154:155]
	ds_read_b128 v[152:155], v2 offset:1120
	v_fmac_f64_e32 v[190:191], v[150:151], v[120:121]
	scratch_load_dwordx4 v[180:183], off, off offset:608
	v_add_f64 v[204:205], v[188:189], v[190:191]
	ds_read_b128 v[188:191], v2 offset:1136
	s_waitcnt vmcnt(6) lgkmcnt(1)
	v_mul_f64 v[206:207], v[152:153], v[126:127]
	v_mul_f64 v[158:159], v[194:195], v[158:159]
	v_fmac_f64_e32 v[206:207], v[154:155], v[124:125]
	v_fma_f64 v[250:251], v[192:193], v[156:157], -v[158:159]
	s_waitcnt vmcnt(5) lgkmcnt(0)
	v_mul_f64 v[192:193], v[188:189], v[130:131]
	v_add_f64 v[204:205], v[204:205], v[206:207]
	v_fmac_f64_e32 v[192:193], v[190:191], v[128:129]
	v_mul_f64 v[162:163], v[186:187], v[162:163]
	v_fma_f64 v[208:209], v[184:185], v[160:161], -v[162:163]
	v_add_f64 v[184:185], v[204:205], v[192:193]
	scratch_load_dwordx4 v[204:207], off, off offset:624
	ds_read_b128 v[156:159], v2 offset:1152
	ds_read_b128 v[160:163], v2 offset:1168
	v_mul_f64 v[166:167], v[198:199], v[166:167]
	v_fma_f64 v[210:211], v[196:197], v[164:165], -v[166:167]
	ds_read_b128 v[164:167], v2 offset:1200
	s_waitcnt vmcnt(5) lgkmcnt(2)
	v_mul_f64 v[186:187], v[156:157], v[138:139]
	v_fmac_f64_e32 v[186:187], v[158:159], v[136:137]
	v_add_f64 v[192:193], v[184:185], v[186:187]
	ds_read_b128 v[184:187], v2 offset:1184
	s_waitcnt vmcnt(4) lgkmcnt(2)
	v_mul_f64 v[194:195], v[160:161], v[134:135]
	v_fmac_f64_e32 v[194:195], v[162:163], v[132:133]
	v_add_f64 v[192:193], v[192:193], v[194:195]
	v_add_f64 v[244:245], v[244:245], 0
	;; [unrolled: 1-line block ×7, first 2 shown]
	v_mul_f64 v[6:7], v[66:67], v[6:7]
	v_add_f64 v[208:209], v[208:209], v[210:211]
	v_fma_f64 v[4:5], v[64:65], v[4:5], -v[6:7]
	v_mul_f64 v[6:7], v[62:63], v[10:11]
	v_add_f64 v[4:5], v[208:209], v[4:5]
	v_fma_f64 v[6:7], v[60:61], v[8:9], -v[6:7]
	v_add_f64 v[4:5], v[4:5], v[6:7]
	v_mul_f64 v[6:7], v[54:55], v[14:15]
	v_fma_f64 v[6:7], v[52:53], v[12:13], -v[6:7]
	v_add_f64 v[4:5], v[4:5], v[6:7]
	v_mul_f64 v[6:7], v[74:75], v[18:19]
	v_fma_f64 v[6:7], v[72:73], v[16:17], -v[6:7]
	v_add_f64 v[4:5], v[4:5], v[6:7]
	v_mul_f64 v[6:7], v[70:71], v[22:23]
	v_fma_f64 v[6:7], v[68:69], v[20:21], -v[6:7]
	v_add_f64 v[4:5], v[4:5], v[6:7]
	v_mul_f64 v[6:7], v[94:95], v[26:27]
	v_fma_f64 v[6:7], v[92:93], v[24:25], -v[6:7]
	v_add_f64 v[4:5], v[4:5], v[6:7]
	v_mul_f64 v[6:7], v[90:91], v[30:31]
	v_fma_f64 v[6:7], v[88:89], v[28:29], -v[6:7]
	v_add_f64 v[4:5], v[4:5], v[6:7]
	v_mul_f64 v[6:7], v[86:87], v[34:35]
	v_fma_f64 v[6:7], v[84:85], v[32:33], -v[6:7]
	v_add_f64 v[4:5], v[4:5], v[6:7]
	v_mul_f64 v[6:7], v[82:83], v[38:39]
	v_fma_f64 v[6:7], v[80:81], v[36:37], -v[6:7]
	v_add_f64 v[4:5], v[4:5], v[6:7]
	v_mul_f64 v[6:7], v[170:171], v[42:43]
	s_waitcnt vmcnt(3) lgkmcnt(0)
	v_mul_f64 v[194:195], v[184:185], v[174:175]
	v_fmac_f64_e32 v[194:195], v[186:187], v[172:173]
	v_add_f64 v[192:193], v[192:193], v[194:195]
	s_waitcnt vmcnt(2)
	v_mul_f64 v[194:195], v[164:165], v[178:179]
	v_fmac_f64_e32 v[194:195], v[166:167], v[176:177]
	v_add_f64 v[196:197], v[192:193], v[194:195]
	ds_read_b128 v[192:195], v2 offset:1216
	v_fma_f64 v[6:7], v[168:169], v[40:41], -v[6:7]
	v_add_f64 v[4:5], v[4:5], v[6:7]
	v_mul_f64 v[6:7], v[214:215], v[46:47]
	v_fma_f64 v[6:7], v[212:213], v[44:45], -v[6:7]
	v_add_f64 v[4:5], v[4:5], v[6:7]
	v_mul_f64 v[6:7], v[218:219], v[50:51]
	;; [unrolled: 3-line block ×4, first 2 shown]
	s_waitcnt vmcnt(1) lgkmcnt(0)
	v_mul_f64 v[198:199], v[192:193], v[182:183]
	v_fmac_f64_e32 v[198:199], v[194:195], v[180:181]
	v_add_f64 v[252:253], v[196:197], v[198:199]
	ds_read_b128 v[196:199], v2 offset:1232
	v_fma_f64 v[6:7], v[224:225], v[76:77], -v[6:7]
	v_add_f64 v[4:5], v[4:5], v[6:7]
	v_mul_f64 v[6:7], v[230:231], v[98:99]
	v_fma_f64 v[6:7], v[228:229], v[96:97], -v[6:7]
	v_add_f64 v[4:5], v[4:5], v[6:7]
	v_mul_f64 v[6:7], v[234:235], v[102:103]
	;; [unrolled: 3-line block ×3, first 2 shown]
	s_waitcnt vmcnt(0) lgkmcnt(0)
	v_mul_f64 v[2:3], v[196:197], v[206:207]
	v_fmac_f64_e32 v[2:3], v[198:199], v[204:205]
	v_add_f64 v[2:3], v[252:253], v[2:3]
	scratch_load_dwordx4 v[250:253], off, off offset:48
	v_fma_f64 v[6:7], v[236:237], v[104:105], -v[6:7]
	v_add_f64 v[4:5], v[4:5], v[6:7]
	v_mul_f64 v[6:7], v[142:143], v[110:111]
	v_fma_f64 v[6:7], v[140:141], v[108:109], -v[6:7]
	v_add_f64 v[4:5], v[4:5], v[6:7]
	v_mul_f64 v[6:7], v[146:147], v[114:115]
	v_fma_f64 v[6:7], v[144:145], v[112:113], -v[6:7]
	v_add_f64 v[4:5], v[4:5], v[6:7]
	v_mul_f64 v[6:7], v[202:203], v[118:119]
	v_fma_f64 v[6:7], v[200:201], v[116:117], -v[6:7]
	v_add_f64 v[4:5], v[4:5], v[6:7]
	v_mul_f64 v[6:7], v[150:151], v[122:123]
	v_fma_f64 v[6:7], v[148:149], v[120:121], -v[6:7]
	v_add_f64 v[4:5], v[4:5], v[6:7]
	v_mul_f64 v[6:7], v[154:155], v[126:127]
	v_fma_f64 v[6:7], v[152:153], v[124:125], -v[6:7]
	v_add_f64 v[4:5], v[4:5], v[6:7]
	v_mul_f64 v[6:7], v[190:191], v[130:131]
	v_fma_f64 v[6:7], v[188:189], v[128:129], -v[6:7]
	v_add_f64 v[4:5], v[4:5], v[6:7]
	v_mul_f64 v[6:7], v[158:159], v[138:139]
	v_fma_f64 v[6:7], v[156:157], v[136:137], -v[6:7]
	v_add_f64 v[4:5], v[4:5], v[6:7]
	v_mul_f64 v[6:7], v[162:163], v[134:135]
	v_fma_f64 v[6:7], v[160:161], v[132:133], -v[6:7]
	v_add_f64 v[4:5], v[4:5], v[6:7]
	v_mul_f64 v[6:7], v[186:187], v[174:175]
	v_fma_f64 v[6:7], v[184:185], v[172:173], -v[6:7]
	v_add_f64 v[4:5], v[4:5], v[6:7]
	v_mul_f64 v[6:7], v[166:167], v[178:179]
	v_fma_f64 v[6:7], v[164:165], v[176:177], -v[6:7]
	v_add_f64 v[4:5], v[4:5], v[6:7]
	v_mul_f64 v[6:7], v[194:195], v[182:183]
	v_fma_f64 v[6:7], v[192:193], v[180:181], -v[6:7]
	v_add_f64 v[4:5], v[4:5], v[6:7]
	v_mul_f64 v[6:7], v[198:199], v[206:207]
	v_fma_f64 v[6:7], v[196:197], v[204:205], -v[6:7]
	v_add_f64 v[4:5], v[4:5], v[6:7]
	s_waitcnt vmcnt(0)
	v_add_f64 v[4:5], v[250:251], -v[4:5]
	v_add_f64 v[6:7], v[252:253], -v[2:3]
	scratch_store_dwordx4 off, v[4:7], off offset:48
	s_and_saveexec_b64 s[0:1], vcc
	s_cbranch_execz .LBB102_245
; %bb.244:
	scratch_load_dwordx4 v[2:5], off, s54
	v_mov_b32_e32 v6, 0
	v_mov_b32_e32 v7, v6
	;; [unrolled: 1-line block ×4, first 2 shown]
	scratch_store_dwordx4 off, v[6:9], off offset:32
	s_waitcnt vmcnt(1)
	ds_write_b128 v1, v[2:5]
.LBB102_245:
	s_or_b64 exec, exec, s[0:1]
	s_waitcnt lgkmcnt(0)
	; wave barrier
	scratch_load_dwordx4 v[168:171], off, off offset:48
	scratch_load_dwordx4 v[172:175], off, off offset:64
	;; [unrolled: 1-line block ×32, first 2 shown]
	v_mov_b32_e32 v2, 0
	ds_read_b128 v[176:179], v2 offset:656
	ds_read_b128 v[188:191], v2 offset:672
	;; [unrolled: 1-line block ×17, first 2 shown]
	v_cmp_ne_u32_e32 vcc, 0, v0
	s_waitcnt vmcnt(31) lgkmcnt(14)
	v_mul_f64 v[104:105], v[176:177], v[170:171]
	s_waitcnt vmcnt(30)
	v_mul_f64 v[106:107], v[188:189], v[174:175]
	v_fmac_f64_e32 v[104:105], v[178:179], v[168:169]
	s_waitcnt vmcnt(29)
	v_mul_f64 v[108:109], v[200:201], v[182:183]
	v_fmac_f64_e32 v[106:107], v[190:191], v[172:173]
	v_add_f64 v[104:105], v[104:105], 0
	s_waitcnt vmcnt(28) lgkmcnt(13)
	v_mul_f64 v[110:111], v[212:213], v[186:187]
	v_fmac_f64_e32 v[108:109], v[202:203], v[180:181]
	v_add_f64 v[104:105], v[104:105], v[106:107]
	s_waitcnt vmcnt(27) lgkmcnt(12)
	;; [unrolled: 4-line block ×12, first 2 shown]
	v_mul_f64 v[156:157], v[112:113], v[26:27]
	v_fmac_f64_e32 v[154:155], v[118:119], v[20:21]
	v_add_f64 v[104:105], v[104:105], v[152:153]
	v_fmac_f64_e32 v[156:157], v[114:115], v[24:25]
	v_add_f64 v[104:105], v[104:105], v[154:155]
	s_waitcnt vmcnt(16) lgkmcnt(1)
	v_mul_f64 v[106:107], v[100:101], v[30:31]
	v_add_f64 v[104:105], v[104:105], v[156:157]
	v_fmac_f64_e32 v[106:107], v[102:103], v[28:29]
	v_add_f64 v[108:109], v[104:105], v[106:107]
	ds_read_b128 v[144:147], v2 offset:928
	ds_read_b128 v[148:151], v2 offset:944
	scratch_load_dwordx4 v[104:107], off, off offset:560
	s_waitcnt vmcnt(16) lgkmcnt(2)
	v_mul_f64 v[110:111], v[96:97], v[34:35]
	v_fmac_f64_e32 v[110:111], v[98:99], v[32:33]
	v_add_f64 v[120:121], v[108:109], v[110:111]
	scratch_load_dwordx4 v[108:111], off, off offset:576
	s_waitcnt vmcnt(16) lgkmcnt(1)
	v_mul_f64 v[122:123], v[144:145], v[38:39]
	v_fmac_f64_e32 v[122:123], v[146:147], v[36:37]
	v_add_f64 v[132:133], v[120:121], v[122:123]
	s_waitcnt vmcnt(15) lgkmcnt(0)
	v_mul_f64 v[134:135], v[148:149], v[42:43]
	scratch_load_dwordx4 v[120:123], off, off offset:592
	v_fmac_f64_e32 v[134:135], v[150:151], v[40:41]
	v_add_f64 v[160:161], v[132:133], v[134:135]
	scratch_load_dwordx4 v[132:135], off, off offset:608
	ds_read_b128 v[152:155], v2 offset:960
	ds_read_b128 v[156:159], v2 offset:976
	v_mul_f64 v[170:171], v[178:179], v[170:171]
	v_fma_f64 v[242:243], v[176:177], v[168:169], -v[170:171]
	ds_read_b128 v[168:171], v2 offset:1024
	s_waitcnt vmcnt(16) lgkmcnt(2)
	v_mul_f64 v[162:163], v[152:153], v[46:47]
	v_fmac_f64_e32 v[162:163], v[154:155], v[44:45]
	s_waitcnt vmcnt(15) lgkmcnt(1)
	v_mul_f64 v[166:167], v[156:157], v[50:51]
	v_add_f64 v[164:165], v[160:161], v[162:163]
	ds_read_b128 v[160:163], v2 offset:992
	v_fmac_f64_e32 v[166:167], v[158:159], v[48:49]
	v_add_f64 v[232:233], v[164:165], v[166:167]
	ds_read_b128 v[164:167], v2 offset:1008
	v_mul_f64 v[174:175], v[190:191], v[174:175]
	s_waitcnt vmcnt(14) lgkmcnt(1)
	v_mul_f64 v[234:235], v[160:161], v[54:55]
	v_fmac_f64_e32 v[234:235], v[162:163], v[52:53]
	v_add_f64 v[232:233], v[232:233], v[234:235]
	s_waitcnt vmcnt(13) lgkmcnt(0)
	v_mul_f64 v[176:177], v[164:165], v[58:59]
	v_fmac_f64_e32 v[176:177], v[166:167], v[56:57]
	v_fma_f64 v[244:245], v[188:189], v[172:173], -v[174:175]
	ds_read_b128 v[172:175], v2 offset:1040
	s_waitcnt vmcnt(12)
	v_mul_f64 v[178:179], v[168:169], v[62:63]
	v_add_f64 v[176:177], v[232:233], v[176:177]
	v_fmac_f64_e32 v[178:179], v[170:171], v[60:61]
	v_add_f64 v[188:189], v[176:177], v[178:179]
	ds_read_b128 v[176:179], v2 offset:1056
	v_mul_f64 v[182:183], v[202:203], v[182:183]
	v_fma_f64 v[246:247], v[200:201], v[180:181], -v[182:183]
	ds_read_b128 v[180:183], v2 offset:1072
	s_waitcnt vmcnt(11) lgkmcnt(2)
	v_mul_f64 v[190:191], v[172:173], v[66:67]
	v_fmac_f64_e32 v[190:191], v[174:175], v[64:65]
	v_add_f64 v[188:189], v[188:189], v[190:191]
	s_waitcnt vmcnt(10) lgkmcnt(1)
	v_mul_f64 v[190:191], v[176:177], v[70:71]
	v_fmac_f64_e32 v[190:191], v[178:179], v[68:69]
	v_mul_f64 v[186:187], v[214:215], v[186:187]
	v_fma_f64 v[240:241], v[212:213], v[184:185], -v[186:187]
	ds_read_b128 v[184:187], v2 offset:1088
	v_add_f64 v[188:189], v[188:189], v[190:191]
	s_waitcnt vmcnt(9) lgkmcnt(1)
	v_mul_f64 v[190:191], v[180:181], v[74:75]
	v_fmac_f64_e32 v[190:191], v[182:183], v[72:73]
	v_add_f64 v[200:201], v[188:189], v[190:191]
	ds_read_b128 v[188:191], v2 offset:1104
	v_mul_f64 v[194:195], v[222:223], v[194:195]
	v_fma_f64 v[232:233], v[220:221], v[192:193], -v[194:195]
	ds_read_b128 v[192:195], v2 offset:1120
	s_waitcnt vmcnt(8) lgkmcnt(2)
	v_mul_f64 v[202:203], v[184:185], v[78:79]
	v_fmac_f64_e32 v[202:203], v[186:187], v[76:77]
	v_add_f64 v[200:201], v[200:201], v[202:203]
	s_waitcnt vmcnt(7) lgkmcnt(1)
	v_mul_f64 v[202:203], v[188:189], v[82:83]
	v_fmac_f64_e32 v[202:203], v[190:191], v[80:81]
	v_mul_f64 v[198:199], v[226:227], v[198:199]
	v_add_f64 v[200:201], v[200:201], v[202:203]
	v_fma_f64 v[234:235], v[224:225], v[196:197], -v[198:199]
	ds_read_b128 v[196:199], v2 offset:1136
	s_waitcnt vmcnt(6) lgkmcnt(1)
	v_mul_f64 v[202:203], v[192:193], v[86:87]
	v_fmac_f64_e32 v[202:203], v[194:195], v[84:85]
	v_add_f64 v[212:213], v[200:201], v[202:203]
	ds_read_b128 v[200:203], v2 offset:1152
	v_mul_f64 v[206:207], v[230:231], v[206:207]
	v_fma_f64 v[236:237], v[228:229], v[204:205], -v[206:207]
	ds_read_b128 v[204:207], v2 offset:1168
	s_waitcnt vmcnt(5) lgkmcnt(2)
	v_mul_f64 v[214:215], v[196:197], v[94:95]
	v_fmac_f64_e32 v[214:215], v[198:199], v[92:93]
	v_add_f64 v[212:213], v[212:213], v[214:215]
	s_waitcnt vmcnt(4) lgkmcnt(1)
	v_mul_f64 v[214:215], v[200:201], v[90:91]
	v_fmac_f64_e32 v[214:215], v[202:203], v[88:89]
	v_mul_f64 v[210:211], v[250:251], v[210:211]
	v_fma_f64 v[238:239], v[248:249], v[208:209], -v[210:211]
	ds_read_b128 v[208:211], v2 offset:1184
	v_add_f64 v[212:213], v[212:213], v[214:215]
	s_waitcnt vmcnt(3) lgkmcnt(1)
	v_mul_f64 v[214:215], v[204:205], v[106:107]
	v_fmac_f64_e32 v[214:215], v[206:207], v[104:105]
	v_add_f64 v[220:221], v[212:213], v[214:215]
	ds_read_b128 v[212:215], v2 offset:1200
	v_mul_f64 v[218:219], v[254:255], v[218:219]
	v_fma_f64 v[248:249], v[252:253], v[216:217], -v[218:219]
	ds_read_b128 v[216:219], v2 offset:1216
	ds_read_b128 v[224:227], v2 offset:1232
	s_waitcnt vmcnt(2) lgkmcnt(3)
	v_mul_f64 v[222:223], v[208:209], v[110:111]
	v_fmac_f64_e32 v[222:223], v[210:211], v[108:109]
	v_add_f64 v[220:221], v[220:221], v[222:223]
	s_waitcnt vmcnt(1) lgkmcnt(2)
	v_mul_f64 v[222:223], v[212:213], v[122:123]
	v_fmac_f64_e32 v[222:223], v[214:215], v[120:121]
	v_add_f64 v[220:221], v[220:221], v[222:223]
	;; [unrolled: 4-line block ×3, first 2 shown]
	scratch_load_dwordx4 v[220:223], off, off offset:624
	v_mul_f64 v[6:7], v[142:143], v[6:7]
	v_fma_f64 v[4:5], v[140:141], v[4:5], -v[6:7]
	v_mul_f64 v[6:7], v[138:139], v[10:11]
	v_fma_f64 v[6:7], v[136:137], v[8:9], -v[6:7]
	s_waitcnt vmcnt(0) lgkmcnt(0)
	v_mul_f64 v[230:231], v[224:225], v[222:223]
	v_fmac_f64_e32 v[230:231], v[226:227], v[220:221]
	v_add_f64 v[252:253], v[228:229], v[230:231]
	v_add_f64 v[228:229], v[242:243], 0
	;; [unrolled: 1-line block ×6, first 2 shown]
	scratch_load_dwordx4 v[228:231], off, off offset:32
	v_add_f64 v[232:233], v[250:251], v[234:235]
	v_add_f64 v[232:233], v[232:233], v[236:237]
	;; [unrolled: 1-line block ×6, first 2 shown]
	v_mul_f64 v[6:7], v[130:131], v[14:15]
	v_fma_f64 v[6:7], v[128:129], v[12:13], -v[6:7]
	v_add_f64 v[4:5], v[4:5], v[6:7]
	v_mul_f64 v[6:7], v[126:127], v[18:19]
	v_fma_f64 v[6:7], v[124:125], v[16:17], -v[6:7]
	v_add_f64 v[4:5], v[4:5], v[6:7]
	v_mul_f64 v[6:7], v[118:119], v[22:23]
	v_fma_f64 v[6:7], v[116:117], v[20:21], -v[6:7]
	v_add_f64 v[4:5], v[4:5], v[6:7]
	v_mul_f64 v[6:7], v[114:115], v[26:27]
	v_fma_f64 v[6:7], v[112:113], v[24:25], -v[6:7]
	v_add_f64 v[4:5], v[4:5], v[6:7]
	v_mul_f64 v[6:7], v[102:103], v[30:31]
	v_fma_f64 v[6:7], v[100:101], v[28:29], -v[6:7]
	v_add_f64 v[4:5], v[4:5], v[6:7]
	v_mul_f64 v[6:7], v[98:99], v[34:35]
	v_fma_f64 v[6:7], v[96:97], v[32:33], -v[6:7]
	v_add_f64 v[4:5], v[4:5], v[6:7]
	v_mul_f64 v[6:7], v[146:147], v[38:39]
	v_fma_f64 v[6:7], v[144:145], v[36:37], -v[6:7]
	v_add_f64 v[4:5], v[4:5], v[6:7]
	v_mul_f64 v[6:7], v[150:151], v[42:43]
	v_fma_f64 v[6:7], v[148:149], v[40:41], -v[6:7]
	v_add_f64 v[4:5], v[4:5], v[6:7]
	v_mul_f64 v[6:7], v[154:155], v[46:47]
	v_fma_f64 v[6:7], v[152:153], v[44:45], -v[6:7]
	v_add_f64 v[4:5], v[4:5], v[6:7]
	v_mul_f64 v[6:7], v[158:159], v[50:51]
	v_fma_f64 v[6:7], v[156:157], v[48:49], -v[6:7]
	v_add_f64 v[4:5], v[4:5], v[6:7]
	v_mul_f64 v[6:7], v[162:163], v[54:55]
	v_fma_f64 v[6:7], v[160:161], v[52:53], -v[6:7]
	v_add_f64 v[4:5], v[4:5], v[6:7]
	v_mul_f64 v[6:7], v[166:167], v[58:59]
	v_fma_f64 v[6:7], v[164:165], v[56:57], -v[6:7]
	v_add_f64 v[4:5], v[4:5], v[6:7]
	v_mul_f64 v[6:7], v[170:171], v[62:63]
	v_fma_f64 v[6:7], v[168:169], v[60:61], -v[6:7]
	v_add_f64 v[4:5], v[4:5], v[6:7]
	v_mul_f64 v[6:7], v[174:175], v[66:67]
	v_fma_f64 v[6:7], v[172:173], v[64:65], -v[6:7]
	v_add_f64 v[4:5], v[4:5], v[6:7]
	v_mul_f64 v[6:7], v[178:179], v[70:71]
	v_fma_f64 v[6:7], v[176:177], v[68:69], -v[6:7]
	v_add_f64 v[4:5], v[4:5], v[6:7]
	v_mul_f64 v[6:7], v[182:183], v[74:75]
	v_fma_f64 v[6:7], v[180:181], v[72:73], -v[6:7]
	v_add_f64 v[4:5], v[4:5], v[6:7]
	v_mul_f64 v[6:7], v[186:187], v[78:79]
	v_fma_f64 v[6:7], v[184:185], v[76:77], -v[6:7]
	v_add_f64 v[4:5], v[4:5], v[6:7]
	v_mul_f64 v[6:7], v[190:191], v[82:83]
	v_fma_f64 v[6:7], v[188:189], v[80:81], -v[6:7]
	v_add_f64 v[4:5], v[4:5], v[6:7]
	v_mul_f64 v[6:7], v[194:195], v[86:87]
	v_fma_f64 v[6:7], v[192:193], v[84:85], -v[6:7]
	v_add_f64 v[4:5], v[4:5], v[6:7]
	v_mul_f64 v[6:7], v[198:199], v[94:95]
	v_fma_f64 v[6:7], v[196:197], v[92:93], -v[6:7]
	v_add_f64 v[4:5], v[4:5], v[6:7]
	v_mul_f64 v[6:7], v[202:203], v[90:91]
	v_fma_f64 v[6:7], v[200:201], v[88:89], -v[6:7]
	v_add_f64 v[4:5], v[4:5], v[6:7]
	v_mul_f64 v[6:7], v[206:207], v[106:107]
	v_fma_f64 v[6:7], v[204:205], v[104:105], -v[6:7]
	v_add_f64 v[4:5], v[4:5], v[6:7]
	v_mul_f64 v[6:7], v[210:211], v[110:111]
	v_fma_f64 v[6:7], v[208:209], v[108:109], -v[6:7]
	v_add_f64 v[4:5], v[4:5], v[6:7]
	v_mul_f64 v[6:7], v[214:215], v[122:123]
	v_fma_f64 v[6:7], v[212:213], v[120:121], -v[6:7]
	v_add_f64 v[4:5], v[4:5], v[6:7]
	v_mul_f64 v[6:7], v[218:219], v[134:135]
	v_fma_f64 v[6:7], v[216:217], v[132:133], -v[6:7]
	v_add_f64 v[4:5], v[4:5], v[6:7]
	v_mul_f64 v[6:7], v[226:227], v[222:223]
	v_fma_f64 v[6:7], v[224:225], v[220:221], -v[6:7]
	v_add_f64 v[4:5], v[4:5], v[6:7]
	s_waitcnt vmcnt(0)
	v_add_f64 v[4:5], v[228:229], -v[4:5]
	v_add_f64 v[6:7], v[230:231], -v[252:253]
	scratch_store_dwordx4 off, v[4:7], off offset:32
	s_and_saveexec_b64 s[0:1], vcc
	s_cbranch_execz .LBB102_247
; %bb.246:
	scratch_load_dwordx4 v[6:9], off, off offset:16
	v_mov_b32_e32 v3, v2
	v_mov_b32_e32 v4, v2
	;; [unrolled: 1-line block ×3, first 2 shown]
	scratch_store_dwordx4 off, v[2:5], off offset:16
	s_waitcnt vmcnt(1)
	ds_write_b128 v1, v[6:9]
.LBB102_247:
	s_or_b64 exec, exec, s[0:1]
	s_waitcnt lgkmcnt(0)
	; wave barrier
	scratch_load_dwordx4 v[168:171], off, off offset:32
	scratch_load_dwordx4 v[172:175], off, off offset:48
	;; [unrolled: 1-line block ×16, first 2 shown]
	ds_read_b128 v[236:239], v2 offset:640
	ds_read_b128 v[176:179], v2 offset:656
	;; [unrolled: 1-line block ×3, first 2 shown]
	scratch_load_dwordx4 v[32:35], off, off offset:288
	ds_read_b128 v[228:231], v2 offset:688
	ds_read_b128 v[200:203], v2 offset:704
	scratch_load_dwordx4 v[36:39], off, off offset:304
	ds_read_b128 v[232:235], v2 offset:720
	ds_read_b128 v[224:227], v2 offset:736
	;; [unrolled: 1-line block ×5, first 2 shown]
	scratch_load_dwordx4 v[40:43], off, off offset:320
	ds_read_b128 v[64:67], v2 offset:800
	ds_read_b128 v[60:63], v2 offset:816
	;; [unrolled: 1-line block ×4, first 2 shown]
	scratch_load_dwordx4 v[48:51], off, off offset:336
	ds_read_b128 v[76:79], v2 offset:864
	ds_read_b128 v[72:75], v2 offset:880
	scratch_load_dwordx4 v[68:71], off, off offset:352
	scratch_load_dwordx4 v[80:83], off, off offset:368
	;; [unrolled: 1-line block ×12, first 2 shown]
	ds_read_b128 v[124:127], v2 offset:896
	s_and_b64 vcc, exec, s[10:11]
	s_waitcnt vmcnt(31) lgkmcnt(14)
	v_mul_f64 v[0:1], v[236:237], v[170:171]
	s_waitcnt vmcnt(30)
	v_mul_f64 v[128:129], v[176:177], v[174:175]
	v_fmac_f64_e32 v[0:1], v[238:239], v[168:169]
	s_waitcnt vmcnt(29)
	v_mul_f64 v[130:131], v[188:189], v[182:183]
	v_fmac_f64_e32 v[128:129], v[178:179], v[172:173]
	v_add_f64 v[0:1], v[0:1], 0
	s_waitcnt vmcnt(28) lgkmcnt(13)
	v_mul_f64 v[132:133], v[228:229], v[186:187]
	v_fmac_f64_e32 v[130:131], v[190:191], v[180:181]
	v_add_f64 v[0:1], v[0:1], v[128:129]
	s_waitcnt vmcnt(27) lgkmcnt(12)
	;; [unrolled: 4-line block ×11, first 2 shown]
	v_mul_f64 v[152:153], v[52:53], v[22:23]
	v_fmac_f64_e32 v[150:151], v[58:59], v[16:17]
	v_add_f64 v[0:1], v[0:1], v[148:149]
	ds_read_b128 v[144:147], v2 offset:912
	s_waitcnt vmcnt(17) lgkmcnt(3)
	v_mul_f64 v[154:155], v[76:77], v[26:27]
	v_fmac_f64_e32 v[152:153], v[54:55], v[20:21]
	v_add_f64 v[0:1], v[0:1], v[150:151]
	s_waitcnt vmcnt(16) lgkmcnt(2)
	v_mul_f64 v[156:157], v[72:73], v[30:31]
	v_fmac_f64_e32 v[154:155], v[78:79], v[24:25]
	v_add_f64 v[0:1], v[0:1], v[152:153]
	scratch_load_dwordx4 v[128:131], off, off offset:544
	v_add_f64 v[0:1], v[0:1], v[154:155]
	v_fmac_f64_e32 v[156:157], v[74:75], v[28:29]
	s_waitcnt vmcnt(16) lgkmcnt(1)
	v_mul_f64 v[132:133], v[124:125], v[34:35]
	v_add_f64 v[0:1], v[0:1], v[156:157]
	v_fmac_f64_e32 v[132:133], v[126:127], v[32:33]
	ds_read_b128 v[148:151], v2 offset:928
	ds_read_b128 v[152:155], v2 offset:944
	v_add_f64 v[0:1], v[0:1], v[132:133]
	s_waitcnt vmcnt(15) lgkmcnt(2)
	v_mul_f64 v[132:133], v[144:145], v[38:39]
	v_fmac_f64_e32 v[132:133], v[146:147], v[36:37]
	v_add_f64 v[0:1], v[0:1], v[132:133]
	scratch_load_dwordx4 v[132:135], off, off offset:560
	scratch_load_dwordx4 v[136:139], off, off offset:576
	s_waitcnt vmcnt(16) lgkmcnt(1)
	v_mul_f64 v[140:141], v[148:149], v[42:43]
	v_fmac_f64_e32 v[140:141], v[150:151], v[40:41]
	v_add_f64 v[0:1], v[0:1], v[140:141]
	scratch_load_dwordx4 v[140:143], off, off offset:592
	ds_read_b128 v[156:159], v2 offset:960
	s_waitcnt vmcnt(16) lgkmcnt(1)
	v_mul_f64 v[160:161], v[152:153], v[50:51]
	v_fmac_f64_e32 v[160:161], v[154:155], v[48:49]
	v_add_f64 v[0:1], v[0:1], v[160:161]
	ds_read_b128 v[160:163], v2 offset:976
	s_waitcnt vmcnt(15) lgkmcnt(1)
	v_mul_f64 v[164:165], v[156:157], v[70:71]
	v_fmac_f64_e32 v[164:165], v[158:159], v[68:69]
	v_add_f64 v[0:1], v[0:1], v[164:165]
	ds_read_b128 v[164:167], v2 offset:992
	v_mul_f64 v[170:171], v[238:239], v[170:171]
	v_fma_f64 v[240:241], v[236:237], v[168:169], -v[170:171]
	ds_read_b128 v[168:171], v2 offset:1008
	s_waitcnt vmcnt(14) lgkmcnt(2)
	v_mul_f64 v[236:237], v[160:161], v[82:83]
	v_fmac_f64_e32 v[236:237], v[162:163], v[80:81]
	v_add_f64 v[0:1], v[0:1], v[236:237]
	s_waitcnt vmcnt(13) lgkmcnt(1)
	v_mul_f64 v[236:237], v[164:165], v[86:87]
	v_mul_f64 v[174:175], v[178:179], v[174:175]
	v_fmac_f64_e32 v[236:237], v[166:167], v[84:85]
	v_fma_f64 v[242:243], v[176:177], v[172:173], -v[174:175]
	s_waitcnt vmcnt(12) lgkmcnt(0)
	v_mul_f64 v[176:177], v[168:169], v[90:91]
	v_add_f64 v[0:1], v[0:1], v[236:237]
	ds_read_b128 v[172:175], v2 offset:1024
	v_fmac_f64_e32 v[176:177], v[170:171], v[88:89]
	v_add_f64 v[0:1], v[0:1], v[176:177]
	ds_read_b128 v[176:179], v2 offset:1040
	v_mul_f64 v[182:183], v[190:191], v[182:183]
	v_fma_f64 v[244:245], v[188:189], v[180:181], -v[182:183]
	ds_read_b128 v[180:183], v2 offset:1056
	s_waitcnt vmcnt(11) lgkmcnt(2)
	v_mul_f64 v[236:237], v[172:173], v[94:95]
	v_fmac_f64_e32 v[236:237], v[174:175], v[92:93]
	s_waitcnt vmcnt(10) lgkmcnt(1)
	v_mul_f64 v[188:189], v[176:177], v[98:99]
	v_add_f64 v[0:1], v[0:1], v[236:237]
	v_fmac_f64_e32 v[188:189], v[178:179], v[96:97]
	v_mul_f64 v[186:187], v[230:231], v[186:187]
	v_add_f64 v[0:1], v[0:1], v[188:189]
	v_fma_f64 v[246:247], v[228:229], v[184:185], -v[186:187]
	ds_read_b128 v[184:187], v2 offset:1072
	s_waitcnt vmcnt(9) lgkmcnt(1)
	v_mul_f64 v[188:189], v[180:181], v[102:103]
	v_fmac_f64_e32 v[188:189], v[182:183], v[100:101]
	v_add_f64 v[0:1], v[0:1], v[188:189]
	ds_read_b128 v[188:191], v2 offset:1088
	v_mul_f64 v[194:195], v[202:203], v[194:195]
	v_fma_f64 v[250:251], v[200:201], v[192:193], -v[194:195]
	ds_read_b128 v[192:195], v2 offset:1104
	s_waitcnt vmcnt(8) lgkmcnt(2)
	v_mul_f64 v[200:201], v[184:185], v[106:107]
	v_fmac_f64_e32 v[200:201], v[186:187], v[104:105]
	v_add_f64 v[0:1], v[0:1], v[200:201]
	s_waitcnt vmcnt(7) lgkmcnt(1)
	v_mul_f64 v[200:201], v[188:189], v[110:111]
	v_fmac_f64_e32 v[200:201], v[190:191], v[108:109]
	v_add_f64 v[0:1], v[0:1], v[200:201]
	v_mul_f64 v[198:199], v[234:235], v[198:199]
	s_waitcnt vmcnt(6) lgkmcnt(0)
	v_mul_f64 v[200:201], v[192:193], v[114:115]
	v_fma_f64 v[232:233], v[232:233], v[196:197], -v[198:199]
	ds_read_b128 v[196:199], v2 offset:1120
	v_fmac_f64_e32 v[200:201], v[194:195], v[112:113]
	v_add_f64 v[0:1], v[0:1], v[200:201]
	ds_read_b128 v[200:203], v2 offset:1136
	v_mul_f64 v[206:207], v[226:227], v[206:207]
	v_add_f64 v[240:241], v[240:241], 0
	v_fma_f64 v[234:235], v[224:225], v[204:205], -v[206:207]
	ds_read_b128 v[204:207], v2 offset:1152
	v_add_f64 v[240:241], v[240:241], v[242:243]
	v_add_f64 v[240:241], v[240:241], v[244:245]
	;; [unrolled: 1-line block ×3, first 2 shown]
	s_waitcnt vmcnt(5) lgkmcnt(2)
	v_mul_f64 v[228:229], v[196:197], v[122:123]
	v_add_f64 v[240:241], v[240:241], v[250:251]
	v_fmac_f64_e32 v[228:229], v[198:199], v[120:121]
	s_waitcnt vmcnt(4) lgkmcnt(1)
	v_mul_f64 v[224:225], v[200:201], v[118:119]
	v_mul_f64 v[210:211], v[214:215], v[210:211]
	v_add_f64 v[232:233], v[240:241], v[232:233]
	v_add_f64 v[0:1], v[0:1], v[228:229]
	v_fmac_f64_e32 v[224:225], v[202:203], v[116:117]
	v_fma_f64 v[238:239], v[212:213], v[208:209], -v[210:211]
	ds_read_b128 v[208:211], v2 offset:1168
	v_add_f64 v[250:251], v[232:233], v[234:235]
	scratch_load_dwordx4 v[232:235], off, off offset:16
	s_waitcnt vmcnt(4) lgkmcnt(1)
	v_mul_f64 v[212:213], v[204:205], v[130:131]
	v_add_f64 v[0:1], v[0:1], v[224:225]
	v_fmac_f64_e32 v[212:213], v[206:207], v[128:129]
	v_add_f64 v[0:1], v[0:1], v[212:213]
	ds_read_b128 v[212:215], v2 offset:1184
	v_mul_f64 v[218:219], v[222:223], v[218:219]
	v_fma_f64 v[248:249], v[220:221], v[216:217], -v[218:219]
	ds_read_b128 v[216:219], v2 offset:1200
	s_waitcnt vmcnt(3) lgkmcnt(2)
	v_mul_f64 v[220:221], v[208:209], v[134:135]
	v_fmac_f64_e32 v[220:221], v[210:211], v[132:133]
	v_add_f64 v[0:1], v[0:1], v[220:221]
	s_waitcnt vmcnt(2) lgkmcnt(1)
	v_mul_f64 v[220:221], v[212:213], v[138:139]
	v_fmac_f64_e32 v[220:221], v[214:215], v[136:137]
	v_add_f64 v[0:1], v[0:1], v[220:221]
	;; [unrolled: 4-line block ×3, first 2 shown]
	scratch_load_dwordx4 v[220:223], off, off offset:608
	ds_read_b128 v[224:227], v2 offset:1216
	v_add_f64 v[238:239], v[250:251], v[238:239]
	v_mul_f64 v[6:7], v[46:47], v[6:7]
	v_add_f64 v[238:239], v[238:239], v[248:249]
	v_fma_f64 v[4:5], v[44:45], v[4:5], -v[6:7]
	v_mul_f64 v[6:7], v[66:67], v[10:11]
	v_add_f64 v[4:5], v[238:239], v[4:5]
	v_fma_f64 v[6:7], v[64:65], v[8:9], -v[6:7]
	v_add_f64 v[4:5], v[4:5], v[6:7]
	v_mul_f64 v[6:7], v[62:63], v[14:15]
	v_fma_f64 v[6:7], v[60:61], v[12:13], -v[6:7]
	v_add_f64 v[4:5], v[4:5], v[6:7]
	v_mul_f64 v[6:7], v[58:59], v[18:19]
	;; [unrolled: 3-line block ×24, first 2 shown]
	s_waitcnt vmcnt(0) lgkmcnt(0)
	v_mul_f64 v[228:229], v[224:225], v[222:223]
	v_fmac_f64_e32 v[228:229], v[226:227], v[220:221]
	v_add_f64 v[236:237], v[0:1], v[228:229]
	scratch_load_dwordx4 v[228:231], off, off offset:624
	ds_read_b128 v[0:3], v2 offset:1232
	v_fma_f64 v[6:7], v[212:213], v[136:137], -v[6:7]
	v_add_f64 v[4:5], v[4:5], v[6:7]
	v_mul_f64 v[6:7], v[218:219], v[142:143]
	v_fma_f64 v[6:7], v[216:217], v[140:141], -v[6:7]
	v_add_f64 v[4:5], v[4:5], v[6:7]
	v_mul_f64 v[6:7], v[226:227], v[222:223]
	v_fma_f64 v[6:7], v[224:225], v[220:221], -v[6:7]
	v_add_f64 v[4:5], v[4:5], v[6:7]
	s_waitcnt vmcnt(0) lgkmcnt(0)
	v_mul_f64 v[252:253], v[0:1], v[230:231]
	v_fmac_f64_e32 v[252:253], v[2:3], v[228:229]
	v_mul_f64 v[2:3], v[2:3], v[230:231]
	v_fma_f64 v[0:1], v[0:1], v[228:229], -v[2:3]
	v_add_f64 v[236:237], v[236:237], v[252:253]
	v_add_f64 v[0:1], v[4:5], v[0:1]
	v_add_f64 v[0:1], v[232:233], -v[0:1]
	v_add_f64 v[2:3], v[234:235], -v[236:237]
	scratch_store_dwordx4 off, v[0:3], off offset:16
	s_cbranch_vccz .LBB102_324
; %bb.248:
	s_nop 0
	v_mov_b32_e32 v0, 0
	global_load_dword v1, v0, s[8:9] offset:148
	s_waitcnt vmcnt(0)
	v_readfirstlane_b32 s0, v1
	s_add_i32 s0, s0, -1
	s_cmp_lg_u32 s0, 37
	s_cbranch_scc0 .LBB102_250
; %bb.249:
	s_lshl_b32 s0, s0, 4
	s_add_i32 s0, s0, 16
	scratch_load_dwordx4 v[2:5], off, s0
	scratch_load_dwordx4 v[6:9], off, s17
	s_waitcnt vmcnt(1)
	scratch_store_dwordx4 off, v[2:5], s17
	s_waitcnt vmcnt(1)
	scratch_store_dwordx4 off, v[6:9], s0
.LBB102_250:
	global_load_dword v0, v0, s[8:9] offset:144
	s_waitcnt vmcnt(0)
	v_readfirstlane_b32 s0, v0
	s_add_i32 s0, s0, -1
	s_cmp_eq_u32 s0, 36
	s_cbranch_scc1 .LBB102_252
; %bb.251:
	s_lshl_b32 s0, s0, 4
	s_add_i32 s0, s0, 16
	scratch_load_dwordx4 v[0:3], off, s0
	scratch_load_dwordx4 v[4:7], off, s18
	s_waitcnt vmcnt(1)
	scratch_store_dwordx4 off, v[0:3], s18
	s_waitcnt vmcnt(1)
	scratch_store_dwordx4 off, v[4:7], s0
.LBB102_252:
	v_mov_b32_e32 v0, 0
	global_load_dword v1, v0, s[8:9] offset:140
	s_waitcnt vmcnt(0)
	v_readfirstlane_b32 s0, v1
	s_add_i32 s0, s0, -1
	s_cmp_eq_u32 s0, 35
	s_cbranch_scc1 .LBB102_254
; %bb.253:
	s_lshl_b32 s0, s0, 4
	s_add_i32 s0, s0, 16
	scratch_load_dwordx4 v[2:5], off, s0
	scratch_load_dwordx4 v[6:9], off, s19
	s_waitcnt vmcnt(1)
	scratch_store_dwordx4 off, v[2:5], s19
	s_waitcnt vmcnt(1)
	scratch_store_dwordx4 off, v[6:9], s0
.LBB102_254:
	global_load_dword v0, v0, s[8:9] offset:136
	s_waitcnt vmcnt(0)
	v_readfirstlane_b32 s0, v0
	s_add_i32 s0, s0, -1
	s_cmp_eq_u32 s0, 34
	s_cbranch_scc1 .LBB102_256
; %bb.255:
	s_lshl_b32 s0, s0, 4
	s_add_i32 s0, s0, 16
	scratch_load_dwordx4 v[0:3], off, s0
	scratch_load_dwordx4 v[4:7], off, s20
	s_waitcnt vmcnt(1)
	scratch_store_dwordx4 off, v[0:3], s20
	s_waitcnt vmcnt(1)
	scratch_store_dwordx4 off, v[4:7], s0
.LBB102_256:
	v_mov_b32_e32 v0, 0
	global_load_dword v1, v0, s[8:9] offset:132
	s_waitcnt vmcnt(0)
	v_readfirstlane_b32 s0, v1
	s_add_i32 s0, s0, -1
	s_cmp_eq_u32 s0, 33
	s_cbranch_scc1 .LBB102_258
; %bb.257:
	s_lshl_b32 s0, s0, 4
	s_add_i32 s0, s0, 16
	scratch_load_dwordx4 v[2:5], off, s0
	scratch_load_dwordx4 v[6:9], off, s21
	s_waitcnt vmcnt(1)
	scratch_store_dwordx4 off, v[2:5], s21
	s_waitcnt vmcnt(1)
	scratch_store_dwordx4 off, v[6:9], s0
.LBB102_258:
	;; [unrolled: 33-line block ×18, first 2 shown]
	global_load_dword v0, v0, s[8:9]
	s_waitcnt vmcnt(0)
	v_readfirstlane_b32 s0, v0
	s_add_i32 s0, s0, -1
	s_cmp_eq_u32 s0, 0
	s_cbranch_scc1 .LBB102_324
; %bb.323:
	s_lshl_b32 s0, s0, 4
	s_add_i32 s0, s0, 16
	scratch_load_dwordx4 v[0:3], off, s0
	scratch_load_dwordx4 v[4:7], off, off offset:16
	s_waitcnt vmcnt(1)
	scratch_store_dwordx4 off, v[0:3], off offset:16
	s_waitcnt vmcnt(1)
	scratch_store_dwordx4 off, v[4:7], s0
.LBB102_324:
	scratch_load_dwordx4 v[0:3], off, off offset:16
	s_nop 0
	v_accvgpr_read_b32 v5, a1
	v_accvgpr_read_b32 v4, a0
	s_waitcnt vmcnt(0)
	flat_store_dwordx4 v[4:5], v[0:3]
	scratch_load_dwordx4 v[0:3], off, s54
	v_accvgpr_read_b32 v5, a3
	v_accvgpr_read_b32 v4, a2
	s_waitcnt vmcnt(0)
	flat_store_dwordx4 v[4:5], v[0:3]
	scratch_load_dwordx4 v[0:3], off, s53
	;; [unrolled: 5-line block ×38, first 2 shown]
	v_accvgpr_read_b32 v4, a76
	v_accvgpr_read_b32 v5, a77
	s_waitcnt vmcnt(0)
	flat_store_dwordx4 v[4:5], v[0:3]
	s_endpgm
	.section	.rodata,"a",@progbits
	.p2align	6, 0x0
	.amdhsa_kernel _ZN9rocsolver6v33100L18getri_kernel_smallILi39E19rocblas_complex_numIdEPKPS3_EEvT1_iilPiilS8_bb
		.amdhsa_group_segment_fixed_size 1256
		.amdhsa_private_segment_fixed_size 656
		.amdhsa_kernarg_size 60
		.amdhsa_user_sgpr_count 2
		.amdhsa_user_sgpr_dispatch_ptr 0
		.amdhsa_user_sgpr_queue_ptr 0
		.amdhsa_user_sgpr_kernarg_segment_ptr 1
		.amdhsa_user_sgpr_dispatch_id 0
		.amdhsa_user_sgpr_kernarg_preload_length 0
		.amdhsa_user_sgpr_kernarg_preload_offset 0
		.amdhsa_user_sgpr_private_segment_size 0
		.amdhsa_uses_dynamic_stack 0
		.amdhsa_enable_private_segment 1
		.amdhsa_system_sgpr_workgroup_id_x 1
		.amdhsa_system_sgpr_workgroup_id_y 0
		.amdhsa_system_sgpr_workgroup_id_z 0
		.amdhsa_system_sgpr_workgroup_info 0
		.amdhsa_system_vgpr_workitem_id 0
		.amdhsa_next_free_vgpr 334
		.amdhsa_next_free_sgpr 68
		.amdhsa_accum_offset 256
		.amdhsa_reserve_vcc 1
		.amdhsa_float_round_mode_32 0
		.amdhsa_float_round_mode_16_64 0
		.amdhsa_float_denorm_mode_32 3
		.amdhsa_float_denorm_mode_16_64 3
		.amdhsa_dx10_clamp 1
		.amdhsa_ieee_mode 1
		.amdhsa_fp16_overflow 0
		.amdhsa_tg_split 0
		.amdhsa_exception_fp_ieee_invalid_op 0
		.amdhsa_exception_fp_denorm_src 0
		.amdhsa_exception_fp_ieee_div_zero 0
		.amdhsa_exception_fp_ieee_overflow 0
		.amdhsa_exception_fp_ieee_underflow 0
		.amdhsa_exception_fp_ieee_inexact 0
		.amdhsa_exception_int_div_zero 0
	.end_amdhsa_kernel
	.section	.text._ZN9rocsolver6v33100L18getri_kernel_smallILi39E19rocblas_complex_numIdEPKPS3_EEvT1_iilPiilS8_bb,"axG",@progbits,_ZN9rocsolver6v33100L18getri_kernel_smallILi39E19rocblas_complex_numIdEPKPS3_EEvT1_iilPiilS8_bb,comdat
.Lfunc_end102:
	.size	_ZN9rocsolver6v33100L18getri_kernel_smallILi39E19rocblas_complex_numIdEPKPS3_EEvT1_iilPiilS8_bb, .Lfunc_end102-_ZN9rocsolver6v33100L18getri_kernel_smallILi39E19rocblas_complex_numIdEPKPS3_EEvT1_iilPiilS8_bb
                                        ; -- End function
	.set _ZN9rocsolver6v33100L18getri_kernel_smallILi39E19rocblas_complex_numIdEPKPS3_EEvT1_iilPiilS8_bb.num_vgpr, 256
	.set _ZN9rocsolver6v33100L18getri_kernel_smallILi39E19rocblas_complex_numIdEPKPS3_EEvT1_iilPiilS8_bb.num_agpr, 78
	.set _ZN9rocsolver6v33100L18getri_kernel_smallILi39E19rocblas_complex_numIdEPKPS3_EEvT1_iilPiilS8_bb.numbered_sgpr, 68
	.set _ZN9rocsolver6v33100L18getri_kernel_smallILi39E19rocblas_complex_numIdEPKPS3_EEvT1_iilPiilS8_bb.num_named_barrier, 0
	.set _ZN9rocsolver6v33100L18getri_kernel_smallILi39E19rocblas_complex_numIdEPKPS3_EEvT1_iilPiilS8_bb.private_seg_size, 656
	.set _ZN9rocsolver6v33100L18getri_kernel_smallILi39E19rocblas_complex_numIdEPKPS3_EEvT1_iilPiilS8_bb.uses_vcc, 1
	.set _ZN9rocsolver6v33100L18getri_kernel_smallILi39E19rocblas_complex_numIdEPKPS3_EEvT1_iilPiilS8_bb.uses_flat_scratch, 0
	.set _ZN9rocsolver6v33100L18getri_kernel_smallILi39E19rocblas_complex_numIdEPKPS3_EEvT1_iilPiilS8_bb.has_dyn_sized_stack, 0
	.set _ZN9rocsolver6v33100L18getri_kernel_smallILi39E19rocblas_complex_numIdEPKPS3_EEvT1_iilPiilS8_bb.has_recursion, 0
	.set _ZN9rocsolver6v33100L18getri_kernel_smallILi39E19rocblas_complex_numIdEPKPS3_EEvT1_iilPiilS8_bb.has_indirect_call, 0
	.section	.AMDGPU.csdata,"",@progbits
; Kernel info:
; codeLenInByte = 67052
; TotalNumSgprs: 74
; NumVgprs: 256
; NumAgprs: 78
; TotalNumVgprs: 334
; ScratchSize: 656
; MemoryBound: 0
; FloatMode: 240
; IeeeMode: 1
; LDSByteSize: 1256 bytes/workgroup (compile time only)
; SGPRBlocks: 9
; VGPRBlocks: 41
; NumSGPRsForWavesPerEU: 74
; NumVGPRsForWavesPerEU: 334
; AccumOffset: 256
; Occupancy: 1
; WaveLimiterHint : 1
; COMPUTE_PGM_RSRC2:SCRATCH_EN: 1
; COMPUTE_PGM_RSRC2:USER_SGPR: 2
; COMPUTE_PGM_RSRC2:TRAP_HANDLER: 0
; COMPUTE_PGM_RSRC2:TGID_X_EN: 1
; COMPUTE_PGM_RSRC2:TGID_Y_EN: 0
; COMPUTE_PGM_RSRC2:TGID_Z_EN: 0
; COMPUTE_PGM_RSRC2:TIDIG_COMP_CNT: 0
; COMPUTE_PGM_RSRC3_GFX90A:ACCUM_OFFSET: 63
; COMPUTE_PGM_RSRC3_GFX90A:TG_SPLIT: 0
	.section	.text._ZN9rocsolver6v33100L18getri_kernel_smallILi40E19rocblas_complex_numIdEPKPS3_EEvT1_iilPiilS8_bb,"axG",@progbits,_ZN9rocsolver6v33100L18getri_kernel_smallILi40E19rocblas_complex_numIdEPKPS3_EEvT1_iilPiilS8_bb,comdat
	.globl	_ZN9rocsolver6v33100L18getri_kernel_smallILi40E19rocblas_complex_numIdEPKPS3_EEvT1_iilPiilS8_bb ; -- Begin function _ZN9rocsolver6v33100L18getri_kernel_smallILi40E19rocblas_complex_numIdEPKPS3_EEvT1_iilPiilS8_bb
	.p2align	8
	.type	_ZN9rocsolver6v33100L18getri_kernel_smallILi40E19rocblas_complex_numIdEPKPS3_EEvT1_iilPiilS8_bb,@function
_ZN9rocsolver6v33100L18getri_kernel_smallILi40E19rocblas_complex_numIdEPKPS3_EEvT1_iilPiilS8_bb: ; @_ZN9rocsolver6v33100L18getri_kernel_smallILi40E19rocblas_complex_numIdEPKPS3_EEvT1_iilPiilS8_bb
; %bb.0:
	v_cmp_gt_u32_e32 vcc, 40, v0
	s_and_saveexec_b64 s[4:5], vcc
	s_cbranch_execz .LBB103_174
; %bb.1:
	s_load_dword s14, s[0:1], 0x38
	s_load_dwordx2 s[8:9], s[0:1], 0x0
	s_load_dwordx4 s[4:7], s[0:1], 0x28
	s_waitcnt lgkmcnt(0)
	s_bitcmp1_b32 s14, 8
	s_cselect_b64 s[10:11], -1, 0
	s_ashr_i32 s3, s2, 31
	s_lshl_b64 s[12:13], s[2:3], 3
	s_add_u32 s8, s8, s12
	s_addc_u32 s9, s9, s13
	s_load_dwordx2 s[12:13], s[8:9], 0x0
	s_bfe_u32 s8, s14, 0x10008
	s_cmp_eq_u32 s8, 0
                                        ; implicit-def: $sgpr8_sgpr9
	s_cbranch_scc1 .LBB103_3
; %bb.2:
	s_load_dword s8, s[0:1], 0x20
	s_load_dwordx2 s[14:15], s[0:1], 0x18
	s_mul_i32 s9, s4, s3
	s_mul_hi_u32 s16, s4, s2
	s_add_i32 s16, s16, s9
	s_mul_i32 s5, s5, s2
	s_add_i32 s5, s16, s5
	s_mul_i32 s4, s4, s2
	s_waitcnt lgkmcnt(0)
	s_ashr_i32 s9, s8, 31
	s_lshl_b64 s[4:5], s[4:5], 2
	s_add_u32 s14, s14, s4
	s_addc_u32 s15, s15, s5
	s_lshl_b64 s[4:5], s[8:9], 2
	s_add_u32 s8, s14, s4
	s_addc_u32 s9, s15, s5
.LBB103_3:
	s_load_dwordx2 s[4:5], s[0:1], 0x8
	s_load_dword s14, s[0:1], 0x38
	v_lshlrev_b32_e32 v14, 4, v0
	v_mov_b32_e32 v15, 0
	s_movk_i32 s15, 0xb0
	s_waitcnt lgkmcnt(0)
	s_ashr_i32 s1, s4, 31
	s_mov_b32 s0, s4
	s_lshl_b64 s[0:1], s[0:1], 4
	s_add_u32 s0, s12, s0
	s_addc_u32 s1, s13, s1
	v_lshl_add_u64 v[6:7], s[0:1], 0, v[14:15]
	flat_load_dwordx4 v[2:5], v[6:7]
	s_mov_b32 s12, s5
	s_ashr_i32 s13, s5, 31
	v_accvgpr_write_b32 a0, v6
	v_accvgpr_write_b32 a1, v7
	v_lshl_add_u64 v[6:7], s[12:13], 4, v[6:7]
	v_accvgpr_write_b32 a2, v6
	s_add_i32 s4, s5, s5
	v_accvgpr_write_b32 a3, v7
	s_movk_i32 s12, 0x90
	s_movk_i32 s13, 0xa0
	;; [unrolled: 1-line block ×30, first 2 shown]
	s_add_i32 s47, s12, 16
	s_add_i32 s46, s13, 16
	;; [unrolled: 1-line block ×31, first 2 shown]
	s_mov_b32 s55, 32
	s_mov_b32 s54, 48
	;; [unrolled: 1-line block ×3, first 2 shown]
	s_movk_i32 s52, 0x50
	s_waitcnt vmcnt(0) lgkmcnt(0)
	scratch_store_dwordx4 off, v[2:5], off offset:16
	flat_load_dwordx4 v[2:5], v[6:7]
	v_add_u32_e32 v6, s4, v0
	v_ashrrev_i32_e32 v7, 31, v6
	v_lshl_add_u64 v[8:9], v[6:7], 4, s[0:1]
	v_add_u32_e32 v6, s5, v6
	v_accvgpr_write_b32 a4, v8
	v_ashrrev_i32_e32 v7, 31, v6
	v_accvgpr_write_b32 a5, v9
	s_movk_i32 s4, 0x70
	s_add_i32 s49, s4, 16
	s_waitcnt vmcnt(0) lgkmcnt(0)
	scratch_store_dwordx4 off, v[2:5], off offset:32
	flat_load_dwordx4 v[2:5], v[8:9]
	v_lshl_add_u64 v[8:9], v[6:7], 4, s[0:1]
	v_add_u32_e32 v6, s5, v6
	v_accvgpr_write_b32 a6, v8
	v_ashrrev_i32_e32 v7, 31, v6
	v_accvgpr_write_b32 a7, v9
	s_waitcnt vmcnt(0) lgkmcnt(0)
	scratch_store_dwordx4 off, v[2:5], off offset:48
	flat_load_dwordx4 v[2:5], v[8:9]
	v_lshl_add_u64 v[8:9], v[6:7], 4, s[0:1]
	v_add_u32_e32 v6, s5, v6
	v_accvgpr_write_b32 a8, v8
	v_ashrrev_i32_e32 v7, 31, v6
	v_accvgpr_write_b32 a9, v9
	;; [unrolled: 8-line block ×35, first 2 shown]
	s_waitcnt vmcnt(0) lgkmcnt(0)
	scratch_store_dwordx4 off, v[2:5], off offset:592
	flat_load_dwordx4 v[2:5], v[8:9]
	v_lshl_add_u64 v[8:9], v[6:7], 4, s[0:1]
	v_add_u32_e32 v6, s5, v6
	v_ashrrev_i32_e32 v7, 31, v6
	v_lshl_add_u64 v[6:7], v[6:7], 4, s[0:1]
	s_movk_i32 s0, 0x50
	s_movk_i32 s1, 0x60
	;; [unrolled: 1-line block ×3, first 2 shown]
	v_accvgpr_write_b32 a77, v9
	v_accvgpr_write_b32 a79, v7
	s_add_i32 s51, s0, 16
	s_add_i32 s50, s1, 16
	;; [unrolled: 1-line block ×3, first 2 shown]
	v_accvgpr_write_b32 a76, v8
	v_accvgpr_write_b32 a78, v6
	s_bitcmp0_b32 s14, 0
	s_mov_b64 s[4:5], -1
	s_waitcnt vmcnt(0) lgkmcnt(0)
	scratch_store_dwordx4 off, v[2:5], off offset:608
	flat_load_dwordx4 v[2:5], v[8:9]
	s_waitcnt vmcnt(0) lgkmcnt(0)
	scratch_store_dwordx4 off, v[2:5], off offset:624
	flat_load_dwordx4 v[2:5], v[6:7]
	s_waitcnt vmcnt(0) lgkmcnt(0)
	scratch_store_dwordx4 off, v[2:5], off offset:640
	s_cbranch_scc1 .LBB103_172
; %bb.4:
	v_cmp_eq_u32_e64 s[0:1], 0, v0
	s_and_saveexec_b64 s[4:5], s[0:1]
; %bb.5:
	v_mov_b32_e32 v1, 0
	ds_write_b32 v1, v1 offset:1280
; %bb.6:
	s_or_b64 exec, exec, s[4:5]
	s_waitcnt lgkmcnt(0)
	; wave barrier
	scratch_load_dwordx4 v[2:5], v14, off offset:16
	s_waitcnt vmcnt(0)
	v_cmp_eq_f64_e32 vcc, 0, v[2:3]
	v_cmp_eq_f64_e64 s[4:5], 0, v[4:5]
	s_and_b64 s[4:5], vcc, s[4:5]
	s_and_saveexec_b64 s[12:13], s[4:5]
	s_cbranch_execz .LBB103_10
; %bb.7:
	v_mov_b32_e32 v1, 0
	ds_read_b32 v3, v1 offset:1280
	v_add_u32_e32 v2, 1, v0
	s_waitcnt lgkmcnt(0)
	v_readfirstlane_b32 s4, v3
	s_cmp_eq_u32 s4, 0
	s_cselect_b64 s[14:15], -1, 0
	v_cmp_gt_i32_e32 vcc, s4, v2
	s_or_b64 s[14:15], s[14:15], vcc
	s_and_b64 exec, exec, s[14:15]
	s_cbranch_execz .LBB103_10
; %bb.8:
	s_mov_b64 s[14:15], 0
	v_mov_b32_e32 v3, s4
.LBB103_9:                              ; =>This Inner Loop Header: Depth=1
	ds_cmpst_rtn_b32 v3, v1, v3, v2 offset:1280
	s_waitcnt lgkmcnt(0)
	v_cmp_ne_u32_e32 vcc, 0, v3
	v_cmp_le_i32_e64 s[4:5], v3, v2
	s_and_b64 s[4:5], vcc, s[4:5]
	s_and_b64 s[4:5], exec, s[4:5]
	s_or_b64 s[14:15], s[4:5], s[14:15]
	s_andn2_b64 exec, exec, s[14:15]
	s_cbranch_execnz .LBB103_9
.LBB103_10:
	s_or_b64 exec, exec, s[12:13]
	v_mov_b32_e32 v2, 0
	; wave barrier
	ds_read_b32 v1, v2 offset:1280
	s_and_saveexec_b64 s[4:5], s[0:1]
	s_cbranch_execz .LBB103_12
; %bb.11:
	s_lshl_b64 s[12:13], s[2:3], 2
	s_add_u32 s12, s6, s12
	s_addc_u32 s13, s7, s13
	s_waitcnt lgkmcnt(0)
	global_store_dword v2, v1, s[12:13]
.LBB103_12:
	s_or_b64 exec, exec, s[4:5]
	s_waitcnt lgkmcnt(0)
	v_cmp_ne_u32_e32 vcc, 0, v1
	s_mov_b64 s[4:5], 0
	s_cbranch_vccnz .LBB103_172
; %bb.13:
	v_add_u32_e32 v15, 16, v14
	scratch_load_dwordx4 v[2:5], v15, off
                                        ; implicit-def: $vgpr6_vgpr7
                                        ; implicit-def: $vgpr10_vgpr11
	s_waitcnt vmcnt(0)
	v_cmp_ngt_f64_e64 s[4:5], |v[2:3]|, |v[4:5]|
	s_and_saveexec_b64 s[12:13], s[4:5]
	s_xor_b64 s[4:5], exec, s[12:13]
	s_cbranch_execz .LBB103_15
; %bb.14:
	v_div_scale_f64 v[6:7], s[12:13], v[4:5], v[4:5], v[2:3]
	v_rcp_f64_e32 v[8:9], v[6:7]
	v_div_scale_f64 v[10:11], vcc, v[2:3], v[4:5], v[2:3]
	v_fma_f64 v[12:13], -v[6:7], v[8:9], 1.0
	v_fmac_f64_e32 v[8:9], v[8:9], v[12:13]
	v_fma_f64 v[12:13], -v[6:7], v[8:9], 1.0
	v_fmac_f64_e32 v[8:9], v[8:9], v[12:13]
	v_mul_f64 v[12:13], v[10:11], v[8:9]
	v_fma_f64 v[6:7], -v[6:7], v[12:13], v[10:11]
	v_div_fmas_f64 v[6:7], v[6:7], v[8:9], v[12:13]
	v_div_fixup_f64 v[6:7], v[6:7], v[4:5], v[2:3]
	v_fmac_f64_e32 v[4:5], v[2:3], v[6:7]
	v_div_scale_f64 v[2:3], s[12:13], v[4:5], v[4:5], 1.0
	v_rcp_f64_e32 v[8:9], v[2:3]
	s_nop 0
	v_fma_f64 v[10:11], -v[2:3], v[8:9], 1.0
	v_fmac_f64_e32 v[8:9], v[8:9], v[10:11]
	v_fma_f64 v[10:11], -v[2:3], v[8:9], 1.0
	v_fmac_f64_e32 v[8:9], v[8:9], v[10:11]
	v_div_scale_f64 v[10:11], vcc, 1.0, v[4:5], 1.0
	v_mul_f64 v[12:13], v[10:11], v[8:9]
	v_fma_f64 v[2:3], -v[2:3], v[12:13], v[10:11]
	s_nop 1
	v_div_fmas_f64 v[2:3], v[2:3], v[8:9], v[12:13]
	v_div_fixup_f64 v[8:9], v[2:3], v[4:5], 1.0
	v_mul_f64 v[6:7], v[6:7], v[8:9]
	v_xor_b32_e32 v9, 0x80000000, v9
	v_xor_b32_e32 v11, 0x80000000, v7
	v_mov_b32_e32 v10, v6
                                        ; implicit-def: $vgpr2_vgpr3
.LBB103_15:
	s_andn2_saveexec_b64 s[4:5], s[4:5]
	s_cbranch_execz .LBB103_17
; %bb.16:
	v_div_scale_f64 v[6:7], s[12:13], v[2:3], v[2:3], v[4:5]
	v_rcp_f64_e32 v[8:9], v[6:7]
	v_div_scale_f64 v[10:11], vcc, v[4:5], v[2:3], v[4:5]
	v_fma_f64 v[12:13], -v[6:7], v[8:9], 1.0
	v_fmac_f64_e32 v[8:9], v[8:9], v[12:13]
	v_fma_f64 v[12:13], -v[6:7], v[8:9], 1.0
	v_fmac_f64_e32 v[8:9], v[8:9], v[12:13]
	v_mul_f64 v[12:13], v[10:11], v[8:9]
	v_fma_f64 v[6:7], -v[6:7], v[12:13], v[10:11]
	v_div_fmas_f64 v[6:7], v[6:7], v[8:9], v[12:13]
	v_div_fixup_f64 v[8:9], v[6:7], v[2:3], v[4:5]
	v_fmac_f64_e32 v[2:3], v[4:5], v[8:9]
	v_div_scale_f64 v[4:5], s[12:13], v[2:3], v[2:3], 1.0
	v_rcp_f64_e32 v[6:7], v[4:5]
	s_nop 0
	v_fma_f64 v[10:11], -v[4:5], v[6:7], 1.0
	v_fmac_f64_e32 v[6:7], v[6:7], v[10:11]
	v_fma_f64 v[10:11], -v[4:5], v[6:7], 1.0
	v_fmac_f64_e32 v[6:7], v[6:7], v[10:11]
	v_div_scale_f64 v[10:11], vcc, 1.0, v[2:3], 1.0
	v_mul_f64 v[12:13], v[10:11], v[6:7]
	v_fma_f64 v[4:5], -v[4:5], v[12:13], v[10:11]
	s_nop 1
	v_div_fmas_f64 v[4:5], v[4:5], v[6:7], v[12:13]
	v_div_fixup_f64 v[6:7], v[4:5], v[2:3], 1.0
	v_xor_b32_e32 v11, 0x80000000, v7
	v_mov_b32_e32 v10, v6
	v_mul_f64 v[8:9], v[8:9], -v[6:7]
.LBB103_17:
	s_or_b64 exec, exec, s[4:5]
	scratch_store_dwordx4 v15, v[6:9], off
	scratch_load_dwordx4 v[2:5], off, s55
	v_xor_b32_e32 v13, 0x80000000, v9
	v_mov_b32_e32 v12, v8
	v_add_u32_e32 v1, 0x280, v14
	ds_write_b128 v14, v[10:13]
	s_waitcnt vmcnt(0)
	ds_write_b128 v14, v[2:5] offset:640
	s_waitcnt lgkmcnt(0)
	; wave barrier
	s_and_saveexec_b64 s[4:5], s[0:1]
	s_cbranch_execz .LBB103_19
; %bb.18:
	scratch_load_dwordx4 v[2:5], v15, off
	ds_read_b128 v[6:9], v1
	v_mov_b32_e32 v10, 0
	ds_read_b128 v[10:13], v10 offset:16
	s_waitcnt vmcnt(0) lgkmcnt(1)
	v_mul_f64 v[16:17], v[8:9], v[4:5]
	v_mul_f64 v[4:5], v[6:7], v[4:5]
	v_fma_f64 v[6:7], v[6:7], v[2:3], -v[16:17]
	v_fmac_f64_e32 v[4:5], v[8:9], v[2:3]
	v_add_f64 v[2:3], v[6:7], 0
	v_add_f64 v[6:7], v[4:5], 0
	s_waitcnt lgkmcnt(0)
	v_mul_f64 v[8:9], v[6:7], v[12:13]
	v_mul_f64 v[4:5], v[2:3], v[12:13]
	v_fma_f64 v[2:3], v[2:3], v[10:11], -v[8:9]
	v_fmac_f64_e32 v[4:5], v[6:7], v[10:11]
	scratch_store_dwordx4 off, v[2:5], off offset:32
.LBB103_19:
	s_or_b64 exec, exec, s[4:5]
	; wave barrier
	scratch_load_dwordx4 v[2:5], off, s54
	v_cmp_gt_u32_e32 vcc, 2, v0
	s_waitcnt vmcnt(0)
	ds_write_b128 v1, v[2:5]
	s_waitcnt lgkmcnt(0)
	; wave barrier
	s_and_saveexec_b64 s[4:5], vcc
	s_cbranch_execz .LBB103_23
; %bb.20:
	scratch_load_dwordx4 v[2:5], v15, off
	ds_read_b128 v[6:9], v1
	s_waitcnt vmcnt(0) lgkmcnt(0)
	v_mul_f64 v[10:11], v[8:9], v[4:5]
	v_mul_f64 v[12:13], v[6:7], v[4:5]
	v_fma_f64 v[4:5], v[6:7], v[2:3], -v[10:11]
	v_fmac_f64_e32 v[12:13], v[8:9], v[2:3]
	v_add_f64 v[4:5], v[4:5], 0
	v_add_f64 v[2:3], v[12:13], 0
	s_and_saveexec_b64 s[12:13], s[0:1]
	s_cbranch_execz .LBB103_22
; %bb.21:
	scratch_load_dwordx4 v[6:9], off, off offset:32
	v_mov_b32_e32 v10, 0
	ds_read_b128 v[10:13], v10 offset:656
	s_waitcnt vmcnt(0) lgkmcnt(0)
	v_mul_f64 v[16:17], v[10:11], v[8:9]
	v_mul_f64 v[8:9], v[12:13], v[8:9]
	v_fmac_f64_e32 v[16:17], v[12:13], v[6:7]
	v_fma_f64 v[6:7], v[10:11], v[6:7], -v[8:9]
	v_add_f64 v[2:3], v[2:3], v[16:17]
	v_add_f64 v[4:5], v[4:5], v[6:7]
.LBB103_22:
	s_or_b64 exec, exec, s[12:13]
	v_mov_b32_e32 v6, 0
	ds_read_b128 v[6:9], v6 offset:32
	s_waitcnt lgkmcnt(0)
	v_mul_f64 v[12:13], v[2:3], v[8:9]
	v_mul_f64 v[10:11], v[4:5], v[8:9]
	v_fma_f64 v[8:9], v[4:5], v[6:7], -v[12:13]
	v_fmac_f64_e32 v[10:11], v[2:3], v[6:7]
	scratch_store_dwordx4 off, v[8:11], off offset:48
.LBB103_23:
	s_or_b64 exec, exec, s[4:5]
	; wave barrier
	scratch_load_dwordx4 v[2:5], off, s53
	v_cmp_gt_u32_e32 vcc, 3, v0
	v_add_u32_e32 v6, -1, v0
	s_waitcnt vmcnt(0)
	ds_write_b128 v1, v[2:5]
	s_waitcnt lgkmcnt(0)
	; wave barrier
	s_and_saveexec_b64 s[0:1], vcc
	s_cbranch_execz .LBB103_27
; %bb.24:
	v_add_u32_e32 v7, -1, v0
	v_add_u32_e32 v8, 0x280, v14
	v_add_u32_e32 v9, 16, v14
	v_mov_b64_e32 v[2:3], 0
	s_mov_b64 s[4:5], 0
	v_mov_b64_e32 v[4:5], 0
.LBB103_25:                             ; =>This Inner Loop Header: Depth=1
	scratch_load_dwordx4 v[10:13], v9, off
	ds_read_b128 v[16:19], v8
	v_add_u32_e32 v7, 1, v7
	v_cmp_lt_u32_e32 vcc, 1, v7
	v_add_u32_e32 v8, 16, v8
	v_add_u32_e32 v9, 16, v9
	s_or_b64 s[4:5], vcc, s[4:5]
	s_waitcnt vmcnt(0) lgkmcnt(0)
	v_mul_f64 v[20:21], v[18:19], v[12:13]
	v_mul_f64 v[12:13], v[16:17], v[12:13]
	v_fma_f64 v[16:17], v[16:17], v[10:11], -v[20:21]
	v_fmac_f64_e32 v[12:13], v[18:19], v[10:11]
	v_add_f64 v[4:5], v[4:5], v[16:17]
	v_add_f64 v[2:3], v[2:3], v[12:13]
	s_andn2_b64 exec, exec, s[4:5]
	s_cbranch_execnz .LBB103_25
; %bb.26:
	s_or_b64 exec, exec, s[4:5]
	v_mov_b32_e32 v7, 0
	ds_read_b128 v[8:11], v7 offset:48
	s_waitcnt lgkmcnt(0)
	v_mul_f64 v[16:17], v[2:3], v[10:11]
	v_mul_f64 v[12:13], v[4:5], v[10:11]
	v_fma_f64 v[10:11], v[4:5], v[8:9], -v[16:17]
	v_fmac_f64_e32 v[12:13], v[2:3], v[8:9]
	scratch_store_dwordx4 off, v[10:13], off offset:64
.LBB103_27:
	s_or_b64 exec, exec, s[0:1]
	; wave barrier
	scratch_load_dwordx4 v[2:5], off, s52
	v_cmp_gt_u32_e32 vcc, 4, v0
	s_waitcnt vmcnt(0)
	ds_write_b128 v1, v[2:5]
	s_waitcnt lgkmcnt(0)
	; wave barrier
	s_and_saveexec_b64 s[0:1], vcc
	s_cbranch_execz .LBB103_31
; %bb.28:
	v_add_u32_e32 v7, -1, v0
	v_add_u32_e32 v8, 0x280, v14
	v_add_u32_e32 v9, 16, v14
	v_mov_b64_e32 v[2:3], 0
	s_mov_b64 s[4:5], 0
	v_mov_b64_e32 v[4:5], 0
.LBB103_29:                             ; =>This Inner Loop Header: Depth=1
	scratch_load_dwordx4 v[10:13], v9, off
	ds_read_b128 v[16:19], v8
	v_add_u32_e32 v7, 1, v7
	v_cmp_lt_u32_e32 vcc, 2, v7
	v_add_u32_e32 v8, 16, v8
	v_add_u32_e32 v9, 16, v9
	s_or_b64 s[4:5], vcc, s[4:5]
	s_waitcnt vmcnt(0) lgkmcnt(0)
	v_mul_f64 v[20:21], v[18:19], v[12:13]
	v_mul_f64 v[12:13], v[16:17], v[12:13]
	v_fma_f64 v[16:17], v[16:17], v[10:11], -v[20:21]
	v_fmac_f64_e32 v[12:13], v[18:19], v[10:11]
	v_add_f64 v[4:5], v[4:5], v[16:17]
	v_add_f64 v[2:3], v[2:3], v[12:13]
	s_andn2_b64 exec, exec, s[4:5]
	s_cbranch_execnz .LBB103_29
; %bb.30:
	s_or_b64 exec, exec, s[4:5]
	v_mov_b32_e32 v7, 0
	ds_read_b128 v[8:11], v7 offset:64
	s_waitcnt lgkmcnt(0)
	v_mul_f64 v[16:17], v[2:3], v[10:11]
	v_mul_f64 v[12:13], v[4:5], v[10:11]
	v_fma_f64 v[10:11], v[4:5], v[8:9], -v[16:17]
	v_fmac_f64_e32 v[12:13], v[2:3], v[8:9]
	scratch_store_dwordx4 off, v[10:13], off offset:80
.LBB103_31:
	s_or_b64 exec, exec, s[0:1]
	; wave barrier
	scratch_load_dwordx4 v[2:5], off, s51
	v_cmp_gt_u32_e32 vcc, 5, v0
	;; [unrolled: 45-line block ×19, first 2 shown]
	s_waitcnt vmcnt(0)
	ds_write_b128 v1, v[2:5]
	s_waitcnt lgkmcnt(0)
	; wave barrier
	s_and_saveexec_b64 s[0:1], vcc
	s_cbranch_execz .LBB103_103
; %bb.100:
	v_add_u32_e32 v7, -1, v0
	v_add_u32_e32 v8, 0x280, v14
	v_add_u32_e32 v9, 16, v14
	v_mov_b64_e32 v[2:3], 0
	s_mov_b64 s[4:5], 0
	v_mov_b64_e32 v[4:5], 0
.LBB103_101:                            ; =>This Inner Loop Header: Depth=1
	scratch_load_dwordx4 v[10:13], v9, off
	ds_read_b128 v[16:19], v8
	v_add_u32_e32 v7, 1, v7
	v_cmp_lt_u32_e32 vcc, 20, v7
	v_add_u32_e32 v8, 16, v8
	v_add_u32_e32 v9, 16, v9
	s_or_b64 s[4:5], vcc, s[4:5]
	s_waitcnt vmcnt(0) lgkmcnt(0)
	v_mul_f64 v[20:21], v[18:19], v[12:13]
	v_mul_f64 v[12:13], v[16:17], v[12:13]
	v_fma_f64 v[16:17], v[16:17], v[10:11], -v[20:21]
	v_fmac_f64_e32 v[12:13], v[18:19], v[10:11]
	v_add_f64 v[4:5], v[4:5], v[16:17]
	v_add_f64 v[2:3], v[2:3], v[12:13]
	s_andn2_b64 exec, exec, s[4:5]
	s_cbranch_execnz .LBB103_101
; %bb.102:
	s_or_b64 exec, exec, s[4:5]
	v_mov_b32_e32 v7, 0
	ds_read_b128 v[8:11], v7 offset:352
	s_waitcnt lgkmcnt(0)
	v_mul_f64 v[16:17], v[2:3], v[10:11]
	v_mul_f64 v[12:13], v[4:5], v[10:11]
	v_fma_f64 v[10:11], v[4:5], v[8:9], -v[16:17]
	v_fmac_f64_e32 v[12:13], v[2:3], v[8:9]
	scratch_store_dwordx4 off, v[10:13], off offset:368
.LBB103_103:
	s_or_b64 exec, exec, s[0:1]
	; wave barrier
	scratch_load_dwordx4 v[2:5], off, s33
	v_cmp_gt_u32_e32 vcc, 23, v0
	s_waitcnt vmcnt(0)
	ds_write_b128 v1, v[2:5]
	s_waitcnt lgkmcnt(0)
	; wave barrier
	s_and_saveexec_b64 s[0:1], vcc
	s_cbranch_execz .LBB103_107
; %bb.104:
	v_add_u32_e32 v7, -1, v0
	v_add_u32_e32 v8, 0x280, v14
	v_add_u32_e32 v9, 16, v14
	v_mov_b64_e32 v[2:3], 0
	s_mov_b64 s[4:5], 0
	v_mov_b64_e32 v[4:5], 0
.LBB103_105:                            ; =>This Inner Loop Header: Depth=1
	scratch_load_dwordx4 v[10:13], v9, off
	ds_read_b128 v[16:19], v8
	v_add_u32_e32 v7, 1, v7
	v_cmp_lt_u32_e32 vcc, 21, v7
	v_add_u32_e32 v8, 16, v8
	v_add_u32_e32 v9, 16, v9
	s_or_b64 s[4:5], vcc, s[4:5]
	s_waitcnt vmcnt(0) lgkmcnt(0)
	v_mul_f64 v[20:21], v[18:19], v[12:13]
	v_mul_f64 v[12:13], v[16:17], v[12:13]
	v_fma_f64 v[16:17], v[16:17], v[10:11], -v[20:21]
	v_fmac_f64_e32 v[12:13], v[18:19], v[10:11]
	v_add_f64 v[4:5], v[4:5], v[16:17]
	v_add_f64 v[2:3], v[2:3], v[12:13]
	s_andn2_b64 exec, exec, s[4:5]
	s_cbranch_execnz .LBB103_105
; %bb.106:
	s_or_b64 exec, exec, s[4:5]
	v_mov_b32_e32 v7, 0
	ds_read_b128 v[8:11], v7 offset:368
	s_waitcnt lgkmcnt(0)
	v_mul_f64 v[16:17], v[2:3], v[10:11]
	v_mul_f64 v[12:13], v[4:5], v[10:11]
	v_fma_f64 v[10:11], v[4:5], v[8:9], -v[16:17]
	v_fmac_f64_e32 v[12:13], v[2:3], v[8:9]
	scratch_store_dwordx4 off, v[10:13], off offset:384
.LBB103_107:
	s_or_b64 exec, exec, s[0:1]
	; wave barrier
	scratch_load_dwordx4 v[2:5], off, s31
	v_cmp_gt_u32_e32 vcc, 24, v0
	s_waitcnt vmcnt(0)
	ds_write_b128 v1, v[2:5]
	s_waitcnt lgkmcnt(0)
	; wave barrier
	s_and_saveexec_b64 s[0:1], vcc
	s_cbranch_execz .LBB103_111
; %bb.108:
	v_add_u32_e32 v7, -1, v0
	v_add_u32_e32 v8, 0x280, v14
	v_add_u32_e32 v9, 16, v14
	v_mov_b64_e32 v[2:3], 0
	s_mov_b64 s[4:5], 0
	v_mov_b64_e32 v[4:5], 0
.LBB103_109:                            ; =>This Inner Loop Header: Depth=1
	scratch_load_dwordx4 v[10:13], v9, off
	ds_read_b128 v[16:19], v8
	v_add_u32_e32 v7, 1, v7
	v_cmp_lt_u32_e32 vcc, 22, v7
	v_add_u32_e32 v8, 16, v8
	v_add_u32_e32 v9, 16, v9
	s_or_b64 s[4:5], vcc, s[4:5]
	s_waitcnt vmcnt(0) lgkmcnt(0)
	v_mul_f64 v[20:21], v[18:19], v[12:13]
	v_mul_f64 v[12:13], v[16:17], v[12:13]
	v_fma_f64 v[16:17], v[16:17], v[10:11], -v[20:21]
	v_fmac_f64_e32 v[12:13], v[18:19], v[10:11]
	v_add_f64 v[4:5], v[4:5], v[16:17]
	v_add_f64 v[2:3], v[2:3], v[12:13]
	s_andn2_b64 exec, exec, s[4:5]
	s_cbranch_execnz .LBB103_109
; %bb.110:
	s_or_b64 exec, exec, s[4:5]
	v_mov_b32_e32 v7, 0
	ds_read_b128 v[8:11], v7 offset:384
	s_waitcnt lgkmcnt(0)
	v_mul_f64 v[16:17], v[2:3], v[10:11]
	v_mul_f64 v[12:13], v[4:5], v[10:11]
	v_fma_f64 v[10:11], v[4:5], v[8:9], -v[16:17]
	v_fmac_f64_e32 v[12:13], v[2:3], v[8:9]
	scratch_store_dwordx4 off, v[10:13], off offset:400
.LBB103_111:
	s_or_b64 exec, exec, s[0:1]
	; wave barrier
	scratch_load_dwordx4 v[2:5], off, s30
	v_cmp_gt_u32_e32 vcc, 25, v0
	s_waitcnt vmcnt(0)
	ds_write_b128 v1, v[2:5]
	s_waitcnt lgkmcnt(0)
	; wave barrier
	s_and_saveexec_b64 s[0:1], vcc
	s_cbranch_execz .LBB103_115
; %bb.112:
	v_add_u32_e32 v7, -1, v0
	v_add_u32_e32 v8, 0x280, v14
	v_add_u32_e32 v9, 16, v14
	v_mov_b64_e32 v[2:3], 0
	s_mov_b64 s[4:5], 0
	v_mov_b64_e32 v[4:5], 0
.LBB103_113:                            ; =>This Inner Loop Header: Depth=1
	scratch_load_dwordx4 v[10:13], v9, off
	ds_read_b128 v[16:19], v8
	v_add_u32_e32 v7, 1, v7
	v_cmp_lt_u32_e32 vcc, 23, v7
	v_add_u32_e32 v8, 16, v8
	v_add_u32_e32 v9, 16, v9
	s_or_b64 s[4:5], vcc, s[4:5]
	s_waitcnt vmcnt(0) lgkmcnt(0)
	v_mul_f64 v[20:21], v[18:19], v[12:13]
	v_mul_f64 v[12:13], v[16:17], v[12:13]
	v_fma_f64 v[16:17], v[16:17], v[10:11], -v[20:21]
	v_fmac_f64_e32 v[12:13], v[18:19], v[10:11]
	v_add_f64 v[4:5], v[4:5], v[16:17]
	v_add_f64 v[2:3], v[2:3], v[12:13]
	s_andn2_b64 exec, exec, s[4:5]
	s_cbranch_execnz .LBB103_113
; %bb.114:
	s_or_b64 exec, exec, s[4:5]
	v_mov_b32_e32 v7, 0
	ds_read_b128 v[8:11], v7 offset:400
	s_waitcnt lgkmcnt(0)
	v_mul_f64 v[16:17], v[2:3], v[10:11]
	v_mul_f64 v[12:13], v[4:5], v[10:11]
	v_fma_f64 v[10:11], v[4:5], v[8:9], -v[16:17]
	v_fmac_f64_e32 v[12:13], v[2:3], v[8:9]
	scratch_store_dwordx4 off, v[10:13], off offset:416
.LBB103_115:
	s_or_b64 exec, exec, s[0:1]
	; wave barrier
	scratch_load_dwordx4 v[2:5], off, s29
	v_cmp_gt_u32_e32 vcc, 26, v0
	s_waitcnt vmcnt(0)
	ds_write_b128 v1, v[2:5]
	s_waitcnt lgkmcnt(0)
	; wave barrier
	s_and_saveexec_b64 s[0:1], vcc
	s_cbranch_execz .LBB103_119
; %bb.116:
	v_add_u32_e32 v7, -1, v0
	v_add_u32_e32 v8, 0x280, v14
	v_add_u32_e32 v9, 16, v14
	v_mov_b64_e32 v[2:3], 0
	s_mov_b64 s[4:5], 0
	v_mov_b64_e32 v[4:5], 0
.LBB103_117:                            ; =>This Inner Loop Header: Depth=1
	scratch_load_dwordx4 v[10:13], v9, off
	ds_read_b128 v[16:19], v8
	v_add_u32_e32 v7, 1, v7
	v_cmp_lt_u32_e32 vcc, 24, v7
	v_add_u32_e32 v8, 16, v8
	v_add_u32_e32 v9, 16, v9
	s_or_b64 s[4:5], vcc, s[4:5]
	s_waitcnt vmcnt(0) lgkmcnt(0)
	v_mul_f64 v[20:21], v[18:19], v[12:13]
	v_mul_f64 v[12:13], v[16:17], v[12:13]
	v_fma_f64 v[16:17], v[16:17], v[10:11], -v[20:21]
	v_fmac_f64_e32 v[12:13], v[18:19], v[10:11]
	v_add_f64 v[4:5], v[4:5], v[16:17]
	v_add_f64 v[2:3], v[2:3], v[12:13]
	s_andn2_b64 exec, exec, s[4:5]
	s_cbranch_execnz .LBB103_117
; %bb.118:
	s_or_b64 exec, exec, s[4:5]
	v_mov_b32_e32 v7, 0
	ds_read_b128 v[8:11], v7 offset:416
	s_waitcnt lgkmcnt(0)
	v_mul_f64 v[16:17], v[2:3], v[10:11]
	v_mul_f64 v[12:13], v[4:5], v[10:11]
	v_fma_f64 v[10:11], v[4:5], v[8:9], -v[16:17]
	v_fmac_f64_e32 v[12:13], v[2:3], v[8:9]
	scratch_store_dwordx4 off, v[10:13], off offset:432
.LBB103_119:
	s_or_b64 exec, exec, s[0:1]
	; wave barrier
	scratch_load_dwordx4 v[2:5], off, s28
	v_cmp_gt_u32_e32 vcc, 27, v0
	s_waitcnt vmcnt(0)
	ds_write_b128 v1, v[2:5]
	s_waitcnt lgkmcnt(0)
	; wave barrier
	s_and_saveexec_b64 s[0:1], vcc
	s_cbranch_execz .LBB103_123
; %bb.120:
	v_add_u32_e32 v7, -1, v0
	v_add_u32_e32 v8, 0x280, v14
	v_add_u32_e32 v9, 16, v14
	v_mov_b64_e32 v[2:3], 0
	s_mov_b64 s[4:5], 0
	v_mov_b64_e32 v[4:5], 0
.LBB103_121:                            ; =>This Inner Loop Header: Depth=1
	scratch_load_dwordx4 v[10:13], v9, off
	ds_read_b128 v[16:19], v8
	v_add_u32_e32 v7, 1, v7
	v_cmp_lt_u32_e32 vcc, 25, v7
	v_add_u32_e32 v8, 16, v8
	v_add_u32_e32 v9, 16, v9
	s_or_b64 s[4:5], vcc, s[4:5]
	s_waitcnt vmcnt(0) lgkmcnt(0)
	v_mul_f64 v[20:21], v[18:19], v[12:13]
	v_mul_f64 v[12:13], v[16:17], v[12:13]
	v_fma_f64 v[16:17], v[16:17], v[10:11], -v[20:21]
	v_fmac_f64_e32 v[12:13], v[18:19], v[10:11]
	v_add_f64 v[4:5], v[4:5], v[16:17]
	v_add_f64 v[2:3], v[2:3], v[12:13]
	s_andn2_b64 exec, exec, s[4:5]
	s_cbranch_execnz .LBB103_121
; %bb.122:
	s_or_b64 exec, exec, s[4:5]
	v_mov_b32_e32 v7, 0
	ds_read_b128 v[8:11], v7 offset:432
	s_waitcnt lgkmcnt(0)
	v_mul_f64 v[16:17], v[2:3], v[10:11]
	v_mul_f64 v[12:13], v[4:5], v[10:11]
	v_fma_f64 v[10:11], v[4:5], v[8:9], -v[16:17]
	v_fmac_f64_e32 v[12:13], v[2:3], v[8:9]
	scratch_store_dwordx4 off, v[10:13], off offset:448
.LBB103_123:
	s_or_b64 exec, exec, s[0:1]
	; wave barrier
	scratch_load_dwordx4 v[2:5], off, s27
	v_cmp_gt_u32_e32 vcc, 28, v0
	s_waitcnt vmcnt(0)
	ds_write_b128 v1, v[2:5]
	s_waitcnt lgkmcnt(0)
	; wave barrier
	s_and_saveexec_b64 s[0:1], vcc
	s_cbranch_execz .LBB103_127
; %bb.124:
	v_add_u32_e32 v7, -1, v0
	v_add_u32_e32 v8, 0x280, v14
	v_add_u32_e32 v9, 16, v14
	v_mov_b64_e32 v[2:3], 0
	s_mov_b64 s[4:5], 0
	v_mov_b64_e32 v[4:5], 0
.LBB103_125:                            ; =>This Inner Loop Header: Depth=1
	scratch_load_dwordx4 v[10:13], v9, off
	ds_read_b128 v[16:19], v8
	v_add_u32_e32 v7, 1, v7
	v_cmp_lt_u32_e32 vcc, 26, v7
	v_add_u32_e32 v8, 16, v8
	v_add_u32_e32 v9, 16, v9
	s_or_b64 s[4:5], vcc, s[4:5]
	s_waitcnt vmcnt(0) lgkmcnt(0)
	v_mul_f64 v[20:21], v[18:19], v[12:13]
	v_mul_f64 v[12:13], v[16:17], v[12:13]
	v_fma_f64 v[16:17], v[16:17], v[10:11], -v[20:21]
	v_fmac_f64_e32 v[12:13], v[18:19], v[10:11]
	v_add_f64 v[4:5], v[4:5], v[16:17]
	v_add_f64 v[2:3], v[2:3], v[12:13]
	s_andn2_b64 exec, exec, s[4:5]
	s_cbranch_execnz .LBB103_125
; %bb.126:
	s_or_b64 exec, exec, s[4:5]
	v_mov_b32_e32 v7, 0
	ds_read_b128 v[8:11], v7 offset:448
	s_waitcnt lgkmcnt(0)
	v_mul_f64 v[16:17], v[2:3], v[10:11]
	v_mul_f64 v[12:13], v[4:5], v[10:11]
	v_fma_f64 v[10:11], v[4:5], v[8:9], -v[16:17]
	v_fmac_f64_e32 v[12:13], v[2:3], v[8:9]
	scratch_store_dwordx4 off, v[10:13], off offset:464
.LBB103_127:
	s_or_b64 exec, exec, s[0:1]
	; wave barrier
	scratch_load_dwordx4 v[2:5], off, s26
	v_cmp_gt_u32_e32 vcc, 29, v0
	s_waitcnt vmcnt(0)
	ds_write_b128 v1, v[2:5]
	s_waitcnt lgkmcnt(0)
	; wave barrier
	s_and_saveexec_b64 s[0:1], vcc
	s_cbranch_execz .LBB103_131
; %bb.128:
	v_add_u32_e32 v7, -1, v0
	v_add_u32_e32 v8, 0x280, v14
	v_add_u32_e32 v9, 16, v14
	v_mov_b64_e32 v[2:3], 0
	s_mov_b64 s[4:5], 0
	v_mov_b64_e32 v[4:5], 0
.LBB103_129:                            ; =>This Inner Loop Header: Depth=1
	scratch_load_dwordx4 v[10:13], v9, off
	ds_read_b128 v[16:19], v8
	v_add_u32_e32 v7, 1, v7
	v_cmp_lt_u32_e32 vcc, 27, v7
	v_add_u32_e32 v8, 16, v8
	v_add_u32_e32 v9, 16, v9
	s_or_b64 s[4:5], vcc, s[4:5]
	s_waitcnt vmcnt(0) lgkmcnt(0)
	v_mul_f64 v[20:21], v[18:19], v[12:13]
	v_mul_f64 v[12:13], v[16:17], v[12:13]
	v_fma_f64 v[16:17], v[16:17], v[10:11], -v[20:21]
	v_fmac_f64_e32 v[12:13], v[18:19], v[10:11]
	v_add_f64 v[4:5], v[4:5], v[16:17]
	v_add_f64 v[2:3], v[2:3], v[12:13]
	s_andn2_b64 exec, exec, s[4:5]
	s_cbranch_execnz .LBB103_129
; %bb.130:
	s_or_b64 exec, exec, s[4:5]
	v_mov_b32_e32 v7, 0
	ds_read_b128 v[8:11], v7 offset:464
	s_waitcnt lgkmcnt(0)
	v_mul_f64 v[16:17], v[2:3], v[10:11]
	v_mul_f64 v[12:13], v[4:5], v[10:11]
	v_fma_f64 v[10:11], v[4:5], v[8:9], -v[16:17]
	v_fmac_f64_e32 v[12:13], v[2:3], v[8:9]
	scratch_store_dwordx4 off, v[10:13], off offset:480
.LBB103_131:
	s_or_b64 exec, exec, s[0:1]
	; wave barrier
	scratch_load_dwordx4 v[2:5], off, s25
	v_cmp_gt_u32_e32 vcc, 30, v0
	s_waitcnt vmcnt(0)
	ds_write_b128 v1, v[2:5]
	s_waitcnt lgkmcnt(0)
	; wave barrier
	s_and_saveexec_b64 s[0:1], vcc
	s_cbranch_execz .LBB103_135
; %bb.132:
	v_add_u32_e32 v7, -1, v0
	v_add_u32_e32 v8, 0x280, v14
	v_add_u32_e32 v9, 16, v14
	v_mov_b64_e32 v[2:3], 0
	s_mov_b64 s[4:5], 0
	v_mov_b64_e32 v[4:5], 0
.LBB103_133:                            ; =>This Inner Loop Header: Depth=1
	scratch_load_dwordx4 v[10:13], v9, off
	ds_read_b128 v[16:19], v8
	v_add_u32_e32 v7, 1, v7
	v_cmp_lt_u32_e32 vcc, 28, v7
	v_add_u32_e32 v8, 16, v8
	v_add_u32_e32 v9, 16, v9
	s_or_b64 s[4:5], vcc, s[4:5]
	s_waitcnt vmcnt(0) lgkmcnt(0)
	v_mul_f64 v[20:21], v[18:19], v[12:13]
	v_mul_f64 v[12:13], v[16:17], v[12:13]
	v_fma_f64 v[16:17], v[16:17], v[10:11], -v[20:21]
	v_fmac_f64_e32 v[12:13], v[18:19], v[10:11]
	v_add_f64 v[4:5], v[4:5], v[16:17]
	v_add_f64 v[2:3], v[2:3], v[12:13]
	s_andn2_b64 exec, exec, s[4:5]
	s_cbranch_execnz .LBB103_133
; %bb.134:
	s_or_b64 exec, exec, s[4:5]
	v_mov_b32_e32 v7, 0
	ds_read_b128 v[8:11], v7 offset:480
	s_waitcnt lgkmcnt(0)
	v_mul_f64 v[16:17], v[2:3], v[10:11]
	v_mul_f64 v[12:13], v[4:5], v[10:11]
	v_fma_f64 v[10:11], v[4:5], v[8:9], -v[16:17]
	v_fmac_f64_e32 v[12:13], v[2:3], v[8:9]
	scratch_store_dwordx4 off, v[10:13], off offset:496
.LBB103_135:
	s_or_b64 exec, exec, s[0:1]
	; wave barrier
	scratch_load_dwordx4 v[2:5], off, s24
	v_cmp_gt_u32_e32 vcc, 31, v0
	s_waitcnt vmcnt(0)
	ds_write_b128 v1, v[2:5]
	s_waitcnt lgkmcnt(0)
	; wave barrier
	s_and_saveexec_b64 s[0:1], vcc
	s_cbranch_execz .LBB103_139
; %bb.136:
	v_add_u32_e32 v7, -1, v0
	v_add_u32_e32 v8, 0x280, v14
	v_add_u32_e32 v9, 16, v14
	v_mov_b64_e32 v[2:3], 0
	s_mov_b64 s[4:5], 0
	v_mov_b64_e32 v[4:5], 0
.LBB103_137:                            ; =>This Inner Loop Header: Depth=1
	scratch_load_dwordx4 v[10:13], v9, off
	ds_read_b128 v[16:19], v8
	v_add_u32_e32 v7, 1, v7
	v_cmp_lt_u32_e32 vcc, 29, v7
	v_add_u32_e32 v8, 16, v8
	v_add_u32_e32 v9, 16, v9
	s_or_b64 s[4:5], vcc, s[4:5]
	s_waitcnt vmcnt(0) lgkmcnt(0)
	v_mul_f64 v[20:21], v[18:19], v[12:13]
	v_mul_f64 v[12:13], v[16:17], v[12:13]
	v_fma_f64 v[16:17], v[16:17], v[10:11], -v[20:21]
	v_fmac_f64_e32 v[12:13], v[18:19], v[10:11]
	v_add_f64 v[4:5], v[4:5], v[16:17]
	v_add_f64 v[2:3], v[2:3], v[12:13]
	s_andn2_b64 exec, exec, s[4:5]
	s_cbranch_execnz .LBB103_137
; %bb.138:
	s_or_b64 exec, exec, s[4:5]
	v_mov_b32_e32 v7, 0
	ds_read_b128 v[8:11], v7 offset:496
	s_waitcnt lgkmcnt(0)
	v_mul_f64 v[16:17], v[2:3], v[10:11]
	v_mul_f64 v[12:13], v[4:5], v[10:11]
	v_fma_f64 v[10:11], v[4:5], v[8:9], -v[16:17]
	v_fmac_f64_e32 v[12:13], v[2:3], v[8:9]
	scratch_store_dwordx4 off, v[10:13], off offset:512
.LBB103_139:
	s_or_b64 exec, exec, s[0:1]
	; wave barrier
	scratch_load_dwordx4 v[2:5], off, s23
	v_cmp_gt_u32_e32 vcc, 32, v0
	s_waitcnt vmcnt(0)
	ds_write_b128 v1, v[2:5]
	s_waitcnt lgkmcnt(0)
	; wave barrier
	s_and_saveexec_b64 s[0:1], vcc
	s_cbranch_execz .LBB103_143
; %bb.140:
	v_add_u32_e32 v7, -1, v0
	v_add_u32_e32 v8, 0x280, v14
	v_add_u32_e32 v9, 16, v14
	v_mov_b64_e32 v[2:3], 0
	s_mov_b64 s[4:5], 0
	v_mov_b64_e32 v[4:5], 0
.LBB103_141:                            ; =>This Inner Loop Header: Depth=1
	scratch_load_dwordx4 v[10:13], v9, off
	ds_read_b128 v[16:19], v8
	v_add_u32_e32 v7, 1, v7
	v_cmp_lt_u32_e32 vcc, 30, v7
	v_add_u32_e32 v8, 16, v8
	v_add_u32_e32 v9, 16, v9
	s_or_b64 s[4:5], vcc, s[4:5]
	s_waitcnt vmcnt(0) lgkmcnt(0)
	v_mul_f64 v[20:21], v[18:19], v[12:13]
	v_mul_f64 v[12:13], v[16:17], v[12:13]
	v_fma_f64 v[16:17], v[16:17], v[10:11], -v[20:21]
	v_fmac_f64_e32 v[12:13], v[18:19], v[10:11]
	v_add_f64 v[4:5], v[4:5], v[16:17]
	v_add_f64 v[2:3], v[2:3], v[12:13]
	s_andn2_b64 exec, exec, s[4:5]
	s_cbranch_execnz .LBB103_141
; %bb.142:
	s_or_b64 exec, exec, s[4:5]
	v_mov_b32_e32 v7, 0
	ds_read_b128 v[8:11], v7 offset:512
	s_waitcnt lgkmcnt(0)
	v_mul_f64 v[16:17], v[2:3], v[10:11]
	v_mul_f64 v[12:13], v[4:5], v[10:11]
	v_fma_f64 v[10:11], v[4:5], v[8:9], -v[16:17]
	v_fmac_f64_e32 v[12:13], v[2:3], v[8:9]
	scratch_store_dwordx4 off, v[10:13], off offset:528
.LBB103_143:
	s_or_b64 exec, exec, s[0:1]
	; wave barrier
	scratch_load_dwordx4 v[2:5], off, s22
	v_cmp_gt_u32_e32 vcc, 33, v0
	s_waitcnt vmcnt(0)
	ds_write_b128 v1, v[2:5]
	s_waitcnt lgkmcnt(0)
	; wave barrier
	s_and_saveexec_b64 s[0:1], vcc
	s_cbranch_execz .LBB103_147
; %bb.144:
	v_add_u32_e32 v7, -1, v0
	v_add_u32_e32 v8, 0x280, v14
	v_add_u32_e32 v9, 16, v14
	v_mov_b64_e32 v[2:3], 0
	s_mov_b64 s[4:5], 0
	v_mov_b64_e32 v[4:5], 0
.LBB103_145:                            ; =>This Inner Loop Header: Depth=1
	scratch_load_dwordx4 v[10:13], v9, off
	ds_read_b128 v[16:19], v8
	v_add_u32_e32 v7, 1, v7
	v_cmp_lt_u32_e32 vcc, 31, v7
	v_add_u32_e32 v8, 16, v8
	v_add_u32_e32 v9, 16, v9
	s_or_b64 s[4:5], vcc, s[4:5]
	s_waitcnt vmcnt(0) lgkmcnt(0)
	v_mul_f64 v[20:21], v[18:19], v[12:13]
	v_mul_f64 v[12:13], v[16:17], v[12:13]
	v_fma_f64 v[16:17], v[16:17], v[10:11], -v[20:21]
	v_fmac_f64_e32 v[12:13], v[18:19], v[10:11]
	v_add_f64 v[4:5], v[4:5], v[16:17]
	v_add_f64 v[2:3], v[2:3], v[12:13]
	s_andn2_b64 exec, exec, s[4:5]
	s_cbranch_execnz .LBB103_145
; %bb.146:
	s_or_b64 exec, exec, s[4:5]
	v_mov_b32_e32 v7, 0
	ds_read_b128 v[8:11], v7 offset:528
	s_waitcnt lgkmcnt(0)
	v_mul_f64 v[16:17], v[2:3], v[10:11]
	v_mul_f64 v[12:13], v[4:5], v[10:11]
	v_fma_f64 v[10:11], v[4:5], v[8:9], -v[16:17]
	v_fmac_f64_e32 v[12:13], v[2:3], v[8:9]
	scratch_store_dwordx4 off, v[10:13], off offset:544
.LBB103_147:
	s_or_b64 exec, exec, s[0:1]
	; wave barrier
	scratch_load_dwordx4 v[2:5], off, s21
	v_cmp_gt_u32_e32 vcc, 34, v0
	s_waitcnt vmcnt(0)
	ds_write_b128 v1, v[2:5]
	s_waitcnt lgkmcnt(0)
	; wave barrier
	s_and_saveexec_b64 s[0:1], vcc
	s_cbranch_execz .LBB103_151
; %bb.148:
	v_add_u32_e32 v7, -1, v0
	v_add_u32_e32 v8, 0x280, v14
	v_add_u32_e32 v9, 16, v14
	v_mov_b64_e32 v[2:3], 0
	s_mov_b64 s[4:5], 0
	v_mov_b64_e32 v[4:5], 0
.LBB103_149:                            ; =>This Inner Loop Header: Depth=1
	scratch_load_dwordx4 v[10:13], v9, off
	ds_read_b128 v[16:19], v8
	v_add_u32_e32 v7, 1, v7
	v_cmp_lt_u32_e32 vcc, 32, v7
	v_add_u32_e32 v8, 16, v8
	v_add_u32_e32 v9, 16, v9
	s_or_b64 s[4:5], vcc, s[4:5]
	s_waitcnt vmcnt(0) lgkmcnt(0)
	v_mul_f64 v[20:21], v[18:19], v[12:13]
	v_mul_f64 v[12:13], v[16:17], v[12:13]
	v_fma_f64 v[16:17], v[16:17], v[10:11], -v[20:21]
	v_fmac_f64_e32 v[12:13], v[18:19], v[10:11]
	v_add_f64 v[4:5], v[4:5], v[16:17]
	v_add_f64 v[2:3], v[2:3], v[12:13]
	s_andn2_b64 exec, exec, s[4:5]
	s_cbranch_execnz .LBB103_149
; %bb.150:
	s_or_b64 exec, exec, s[4:5]
	v_mov_b32_e32 v7, 0
	ds_read_b128 v[8:11], v7 offset:544
	s_waitcnt lgkmcnt(0)
	v_mul_f64 v[16:17], v[2:3], v[10:11]
	v_mul_f64 v[12:13], v[4:5], v[10:11]
	v_fma_f64 v[10:11], v[4:5], v[8:9], -v[16:17]
	v_fmac_f64_e32 v[12:13], v[2:3], v[8:9]
	scratch_store_dwordx4 off, v[10:13], off offset:560
.LBB103_151:
	s_or_b64 exec, exec, s[0:1]
	; wave barrier
	scratch_load_dwordx4 v[2:5], off, s20
	v_cmp_gt_u32_e32 vcc, 35, v0
	s_waitcnt vmcnt(0)
	ds_write_b128 v1, v[2:5]
	s_waitcnt lgkmcnt(0)
	; wave barrier
	s_and_saveexec_b64 s[0:1], vcc
	s_cbranch_execz .LBB103_155
; %bb.152:
	v_add_u32_e32 v7, -1, v0
	v_add_u32_e32 v8, 0x280, v14
	v_add_u32_e32 v9, 16, v14
	v_mov_b64_e32 v[2:3], 0
	s_mov_b64 s[4:5], 0
	v_mov_b64_e32 v[4:5], 0
.LBB103_153:                            ; =>This Inner Loop Header: Depth=1
	scratch_load_dwordx4 v[10:13], v9, off
	ds_read_b128 v[16:19], v8
	v_add_u32_e32 v7, 1, v7
	v_cmp_lt_u32_e32 vcc, 33, v7
	v_add_u32_e32 v8, 16, v8
	v_add_u32_e32 v9, 16, v9
	s_or_b64 s[4:5], vcc, s[4:5]
	s_waitcnt vmcnt(0) lgkmcnt(0)
	v_mul_f64 v[20:21], v[18:19], v[12:13]
	v_mul_f64 v[12:13], v[16:17], v[12:13]
	v_fma_f64 v[16:17], v[16:17], v[10:11], -v[20:21]
	v_fmac_f64_e32 v[12:13], v[18:19], v[10:11]
	v_add_f64 v[4:5], v[4:5], v[16:17]
	v_add_f64 v[2:3], v[2:3], v[12:13]
	s_andn2_b64 exec, exec, s[4:5]
	s_cbranch_execnz .LBB103_153
; %bb.154:
	s_or_b64 exec, exec, s[4:5]
	v_mov_b32_e32 v7, 0
	ds_read_b128 v[8:11], v7 offset:560
	s_waitcnt lgkmcnt(0)
	v_mul_f64 v[16:17], v[2:3], v[10:11]
	v_mul_f64 v[12:13], v[4:5], v[10:11]
	v_fma_f64 v[10:11], v[4:5], v[8:9], -v[16:17]
	v_fmac_f64_e32 v[12:13], v[2:3], v[8:9]
	scratch_store_dwordx4 off, v[10:13], off offset:576
.LBB103_155:
	s_or_b64 exec, exec, s[0:1]
	; wave barrier
	scratch_load_dwordx4 v[2:5], off, s19
	v_cmp_gt_u32_e32 vcc, 36, v0
	s_waitcnt vmcnt(0)
	ds_write_b128 v1, v[2:5]
	s_waitcnt lgkmcnt(0)
	; wave barrier
	s_and_saveexec_b64 s[0:1], vcc
	s_cbranch_execz .LBB103_159
; %bb.156:
	v_add_u32_e32 v7, -1, v0
	v_add_u32_e32 v8, 0x280, v14
	v_add_u32_e32 v9, 16, v14
	v_mov_b64_e32 v[2:3], 0
	s_mov_b64 s[4:5], 0
	v_mov_b64_e32 v[4:5], 0
.LBB103_157:                            ; =>This Inner Loop Header: Depth=1
	scratch_load_dwordx4 v[10:13], v9, off
	ds_read_b128 v[16:19], v8
	v_add_u32_e32 v7, 1, v7
	v_cmp_lt_u32_e32 vcc, 34, v7
	v_add_u32_e32 v8, 16, v8
	v_add_u32_e32 v9, 16, v9
	s_or_b64 s[4:5], vcc, s[4:5]
	s_waitcnt vmcnt(0) lgkmcnt(0)
	v_mul_f64 v[20:21], v[18:19], v[12:13]
	v_mul_f64 v[12:13], v[16:17], v[12:13]
	v_fma_f64 v[16:17], v[16:17], v[10:11], -v[20:21]
	v_fmac_f64_e32 v[12:13], v[18:19], v[10:11]
	v_add_f64 v[4:5], v[4:5], v[16:17]
	v_add_f64 v[2:3], v[2:3], v[12:13]
	s_andn2_b64 exec, exec, s[4:5]
	s_cbranch_execnz .LBB103_157
; %bb.158:
	s_or_b64 exec, exec, s[4:5]
	v_mov_b32_e32 v7, 0
	ds_read_b128 v[8:11], v7 offset:576
	s_waitcnt lgkmcnt(0)
	v_mul_f64 v[16:17], v[2:3], v[10:11]
	v_mul_f64 v[12:13], v[4:5], v[10:11]
	v_fma_f64 v[10:11], v[4:5], v[8:9], -v[16:17]
	v_fmac_f64_e32 v[12:13], v[2:3], v[8:9]
	scratch_store_dwordx4 off, v[10:13], off offset:592
.LBB103_159:
	s_or_b64 exec, exec, s[0:1]
	; wave barrier
	scratch_load_dwordx4 v[2:5], off, s18
	v_cmp_gt_u32_e32 vcc, 37, v0
	s_waitcnt vmcnt(0)
	ds_write_b128 v1, v[2:5]
	s_waitcnt lgkmcnt(0)
	; wave barrier
	s_and_saveexec_b64 s[0:1], vcc
	s_cbranch_execz .LBB103_163
; %bb.160:
	v_add_u32_e32 v7, -1, v0
	v_add_u32_e32 v8, 0x280, v14
	v_add_u32_e32 v9, 16, v14
	v_mov_b64_e32 v[2:3], 0
	s_mov_b64 s[4:5], 0
	v_mov_b64_e32 v[4:5], 0
.LBB103_161:                            ; =>This Inner Loop Header: Depth=1
	scratch_load_dwordx4 v[10:13], v9, off
	ds_read_b128 v[16:19], v8
	v_add_u32_e32 v7, 1, v7
	v_cmp_lt_u32_e32 vcc, 35, v7
	v_add_u32_e32 v8, 16, v8
	v_add_u32_e32 v9, 16, v9
	s_or_b64 s[4:5], vcc, s[4:5]
	s_waitcnt vmcnt(0) lgkmcnt(0)
	v_mul_f64 v[20:21], v[18:19], v[12:13]
	v_mul_f64 v[12:13], v[16:17], v[12:13]
	v_fma_f64 v[16:17], v[16:17], v[10:11], -v[20:21]
	v_fmac_f64_e32 v[12:13], v[18:19], v[10:11]
	v_add_f64 v[4:5], v[4:5], v[16:17]
	v_add_f64 v[2:3], v[2:3], v[12:13]
	s_andn2_b64 exec, exec, s[4:5]
	s_cbranch_execnz .LBB103_161
; %bb.162:
	s_or_b64 exec, exec, s[4:5]
	v_mov_b32_e32 v7, 0
	ds_read_b128 v[8:11], v7 offset:592
	s_waitcnt lgkmcnt(0)
	v_mul_f64 v[16:17], v[2:3], v[10:11]
	v_mul_f64 v[12:13], v[4:5], v[10:11]
	v_fma_f64 v[10:11], v[4:5], v[8:9], -v[16:17]
	v_fmac_f64_e32 v[12:13], v[2:3], v[8:9]
	scratch_store_dwordx4 off, v[10:13], off offset:608
.LBB103_163:
	s_or_b64 exec, exec, s[0:1]
	; wave barrier
	scratch_load_dwordx4 v[2:5], off, s17
	v_cmp_gt_u32_e32 vcc, 38, v0
	s_waitcnt vmcnt(0)
	ds_write_b128 v1, v[2:5]
	s_waitcnt lgkmcnt(0)
	; wave barrier
	s_and_saveexec_b64 s[0:1], vcc
	s_cbranch_execz .LBB103_167
; %bb.164:
	v_add_u32_e32 v7, -1, v0
	v_add_u32_e32 v8, 0x280, v14
	v_add_u32_e32 v9, 16, v14
	v_mov_b64_e32 v[2:3], 0
	s_mov_b64 s[4:5], 0
	v_mov_b64_e32 v[4:5], 0
.LBB103_165:                            ; =>This Inner Loop Header: Depth=1
	scratch_load_dwordx4 v[10:13], v9, off
	ds_read_b128 v[16:19], v8
	v_add_u32_e32 v7, 1, v7
	v_cmp_lt_u32_e32 vcc, 36, v7
	v_add_u32_e32 v8, 16, v8
	v_add_u32_e32 v9, 16, v9
	s_or_b64 s[4:5], vcc, s[4:5]
	s_waitcnt vmcnt(0) lgkmcnt(0)
	v_mul_f64 v[20:21], v[18:19], v[12:13]
	v_mul_f64 v[12:13], v[16:17], v[12:13]
	v_fma_f64 v[16:17], v[16:17], v[10:11], -v[20:21]
	v_fmac_f64_e32 v[12:13], v[18:19], v[10:11]
	v_add_f64 v[4:5], v[4:5], v[16:17]
	v_add_f64 v[2:3], v[2:3], v[12:13]
	s_andn2_b64 exec, exec, s[4:5]
	s_cbranch_execnz .LBB103_165
; %bb.166:
	s_or_b64 exec, exec, s[4:5]
	v_mov_b32_e32 v7, 0
	ds_read_b128 v[8:11], v7 offset:608
	s_waitcnt lgkmcnt(0)
	v_mul_f64 v[16:17], v[2:3], v[10:11]
	v_mul_f64 v[12:13], v[4:5], v[10:11]
	v_fma_f64 v[10:11], v[4:5], v[8:9], -v[16:17]
	v_fmac_f64_e32 v[12:13], v[2:3], v[8:9]
	scratch_store_dwordx4 off, v[10:13], off offset:624
.LBB103_167:
	s_or_b64 exec, exec, s[0:1]
	; wave barrier
	scratch_load_dwordx4 v[2:5], off, s16
	v_cmp_ne_u32_e32 vcc, 39, v0
	s_waitcnt vmcnt(0)
	ds_write_b128 v1, v[2:5]
	s_waitcnt lgkmcnt(0)
	; wave barrier
	s_and_saveexec_b64 s[0:1], vcc
	s_cbranch_execz .LBB103_171
; %bb.168:
	v_add_u32_e32 v1, 0x280, v14
	v_add_u32_e32 v7, 16, v14
	v_mov_b64_e32 v[2:3], 0
	s_mov_b64 s[4:5], 0
	v_mov_b64_e32 v[4:5], 0
.LBB103_169:                            ; =>This Inner Loop Header: Depth=1
	scratch_load_dwordx4 v[8:11], v7, off
	ds_read_b128 v[12:15], v1
	v_add_u32_e32 v6, 1, v6
	v_cmp_lt_u32_e32 vcc, 37, v6
	v_add_u32_e32 v1, 16, v1
	v_add_u32_e32 v7, 16, v7
	s_or_b64 s[4:5], vcc, s[4:5]
	s_waitcnt vmcnt(0) lgkmcnt(0)
	v_mul_f64 v[16:17], v[14:15], v[10:11]
	v_mul_f64 v[10:11], v[12:13], v[10:11]
	v_fma_f64 v[12:13], v[12:13], v[8:9], -v[16:17]
	v_fmac_f64_e32 v[10:11], v[14:15], v[8:9]
	v_add_f64 v[4:5], v[4:5], v[12:13]
	v_add_f64 v[2:3], v[2:3], v[10:11]
	s_andn2_b64 exec, exec, s[4:5]
	s_cbranch_execnz .LBB103_169
; %bb.170:
	s_or_b64 exec, exec, s[4:5]
	v_mov_b32_e32 v1, 0
	ds_read_b128 v[6:9], v1 offset:624
	s_waitcnt lgkmcnt(0)
	v_mul_f64 v[12:13], v[2:3], v[8:9]
	v_mul_f64 v[10:11], v[4:5], v[8:9]
	v_fma_f64 v[8:9], v[4:5], v[6:7], -v[12:13]
	v_fmac_f64_e32 v[10:11], v[2:3], v[6:7]
	scratch_store_dwordx4 off, v[8:11], off offset:640
.LBB103_171:
	s_or_b64 exec, exec, s[0:1]
	s_mov_b64 s[4:5], -1
	; wave barrier
.LBB103_172:
	s_and_b64 vcc, exec, s[4:5]
	s_cbranch_vccz .LBB103_174
; %bb.173:
	s_lshl_b64 s[0:1], s[2:3], 2
	s_add_u32 s0, s6, s0
	s_addc_u32 s1, s7, s1
	v_mov_b32_e32 v1, 0
	global_load_dword v1, v1, s[0:1]
	s_waitcnt vmcnt(0)
	v_cmp_ne_u32_e32 vcc, 0, v1
	s_cbranch_vccz .LBB103_175
.LBB103_174:
	s_endpgm
.LBB103_175:
	v_mov_b32_e32 v1, 0x280
	v_lshl_add_u32 v1, v0, 4, v1
	v_cmp_eq_u32_e32 vcc, 39, v0
	s_and_saveexec_b64 s[0:1], vcc
	s_cbranch_execz .LBB103_177
; %bb.176:
	scratch_load_dwordx4 v[2:5], off, s17
	v_mov_b32_e32 v6, 0
	v_mov_b32_e32 v7, v6
	;; [unrolled: 1-line block ×4, first 2 shown]
	scratch_store_dwordx4 off, v[6:9], off offset:624
	s_waitcnt vmcnt(1)
	ds_write_b128 v1, v[2:5]
.LBB103_177:
	s_or_b64 exec, exec, s[0:1]
	s_waitcnt lgkmcnt(0)
	; wave barrier
	scratch_load_dwordx4 v[4:7], off, off offset:640
	scratch_load_dwordx4 v[8:11], off, off offset:624
	v_mov_b32_e32 v2, 0
	ds_read_b128 v[12:15], v2 offset:1264
	v_cmp_lt_u32_e32 vcc, 37, v0
	s_waitcnt vmcnt(1) lgkmcnt(0)
	v_mul_f64 v[16:17], v[12:13], v[6:7]
	v_mul_f64 v[6:7], v[14:15], v[6:7]
	v_fmac_f64_e32 v[16:17], v[14:15], v[4:5]
	v_fma_f64 v[4:5], v[12:13], v[4:5], -v[6:7]
	v_add_f64 v[6:7], v[16:17], 0
	v_add_f64 v[4:5], v[4:5], 0
	s_waitcnt vmcnt(0)
	v_add_f64 v[4:5], v[8:9], -v[4:5]
	v_add_f64 v[6:7], v[10:11], -v[6:7]
	scratch_store_dwordx4 off, v[4:7], off offset:624
	s_and_saveexec_b64 s[0:1], vcc
	s_cbranch_execz .LBB103_179
; %bb.178:
	scratch_load_dwordx4 v[6:9], off, s18
	v_mov_b32_e32 v3, v2
	v_mov_b32_e32 v4, v2
	;; [unrolled: 1-line block ×3, first 2 shown]
	scratch_store_dwordx4 off, v[2:5], off offset:608
	s_waitcnt vmcnt(1)
	ds_write_b128 v1, v[6:9]
.LBB103_179:
	s_or_b64 exec, exec, s[0:1]
	s_waitcnt lgkmcnt(0)
	; wave barrier
	scratch_load_dwordx4 v[4:7], off, off offset:624
	scratch_load_dwordx4 v[8:11], off, off offset:640
	;; [unrolled: 1-line block ×3, first 2 shown]
	ds_read_b128 v[16:19], v2 offset:1248
	ds_read_b128 v[20:23], v2 offset:1264
	v_cmp_lt_u32_e32 vcc, 36, v0
	s_waitcnt vmcnt(2) lgkmcnt(1)
	v_mul_f64 v[2:3], v[16:17], v[6:7]
	v_mul_f64 v[6:7], v[18:19], v[6:7]
	s_waitcnt vmcnt(1) lgkmcnt(0)
	v_mul_f64 v[24:25], v[20:21], v[10:11]
	v_mul_f64 v[10:11], v[22:23], v[10:11]
	v_fmac_f64_e32 v[2:3], v[18:19], v[4:5]
	v_fma_f64 v[4:5], v[16:17], v[4:5], -v[6:7]
	v_fmac_f64_e32 v[24:25], v[22:23], v[8:9]
	v_fma_f64 v[6:7], v[20:21], v[8:9], -v[10:11]
	v_add_f64 v[2:3], v[2:3], 0
	v_add_f64 v[4:5], v[4:5], 0
	;; [unrolled: 1-line block ×4, first 2 shown]
	s_waitcnt vmcnt(0)
	v_add_f64 v[2:3], v[12:13], -v[2:3]
	v_add_f64 v[4:5], v[14:15], -v[8:9]
	scratch_store_dwordx4 off, v[2:5], off offset:608
	s_and_saveexec_b64 s[0:1], vcc
	s_cbranch_execz .LBB103_181
; %bb.180:
	scratch_load_dwordx4 v[2:5], off, s19
	v_mov_b32_e32 v6, 0
	v_mov_b32_e32 v7, v6
	;; [unrolled: 1-line block ×4, first 2 shown]
	scratch_store_dwordx4 off, v[6:9], off offset:592
	s_waitcnt vmcnt(1)
	ds_write_b128 v1, v[2:5]
.LBB103_181:
	s_or_b64 exec, exec, s[0:1]
	s_waitcnt lgkmcnt(0)
	; wave barrier
	scratch_load_dwordx4 v[4:7], off, off offset:608
	scratch_load_dwordx4 v[8:11], off, off offset:624
	;; [unrolled: 1-line block ×4, first 2 shown]
	v_mov_b32_e32 v2, 0
	ds_read_b128 v[20:23], v2 offset:1232
	ds_read_b128 v[24:27], v2 offset:1248
	;; [unrolled: 1-line block ×3, first 2 shown]
	v_cmp_lt_u32_e32 vcc, 35, v0
	s_waitcnt vmcnt(3) lgkmcnt(2)
	v_mul_f64 v[32:33], v[20:21], v[6:7]
	v_mul_f64 v[6:7], v[22:23], v[6:7]
	s_waitcnt vmcnt(2) lgkmcnt(1)
	v_mul_f64 v[34:35], v[24:25], v[10:11]
	v_mul_f64 v[10:11], v[26:27], v[10:11]
	v_fmac_f64_e32 v[32:33], v[22:23], v[4:5]
	v_fma_f64 v[4:5], v[20:21], v[4:5], -v[6:7]
	s_waitcnt vmcnt(1) lgkmcnt(0)
	v_mul_f64 v[36:37], v[28:29], v[14:15]
	v_mul_f64 v[14:15], v[30:31], v[14:15]
	v_fmac_f64_e32 v[34:35], v[26:27], v[8:9]
	v_fma_f64 v[6:7], v[24:25], v[8:9], -v[10:11]
	v_add_f64 v[10:11], v[32:33], 0
	v_add_f64 v[4:5], v[4:5], 0
	v_fmac_f64_e32 v[36:37], v[30:31], v[12:13]
	v_fma_f64 v[8:9], v[28:29], v[12:13], -v[14:15]
	v_add_f64 v[10:11], v[10:11], v[34:35]
	v_add_f64 v[4:5], v[4:5], v[6:7]
	;; [unrolled: 1-line block ×4, first 2 shown]
	s_waitcnt vmcnt(0)
	v_add_f64 v[4:5], v[16:17], -v[4:5]
	v_add_f64 v[6:7], v[18:19], -v[6:7]
	scratch_store_dwordx4 off, v[4:7], off offset:592
	s_and_saveexec_b64 s[0:1], vcc
	s_cbranch_execz .LBB103_183
; %bb.182:
	scratch_load_dwordx4 v[6:9], off, s20
	v_mov_b32_e32 v3, v2
	v_mov_b32_e32 v4, v2
	v_mov_b32_e32 v5, v2
	scratch_store_dwordx4 off, v[2:5], off offset:576
	s_waitcnt vmcnt(1)
	ds_write_b128 v1, v[6:9]
.LBB103_183:
	s_or_b64 exec, exec, s[0:1]
	s_waitcnt lgkmcnt(0)
	; wave barrier
	scratch_load_dwordx4 v[4:7], off, off offset:592
	scratch_load_dwordx4 v[8:11], off, off offset:608
	;; [unrolled: 1-line block ×5, first 2 shown]
	ds_read_b128 v[24:27], v2 offset:1216
	ds_read_b128 v[28:31], v2 offset:1232
	;; [unrolled: 1-line block ×4, first 2 shown]
	v_cmp_lt_u32_e32 vcc, 34, v0
	s_waitcnt vmcnt(4) lgkmcnt(3)
	v_mul_f64 v[2:3], v[24:25], v[6:7]
	v_mul_f64 v[6:7], v[26:27], v[6:7]
	s_waitcnt vmcnt(3) lgkmcnt(2)
	v_mul_f64 v[40:41], v[28:29], v[10:11]
	v_mul_f64 v[10:11], v[30:31], v[10:11]
	v_fmac_f64_e32 v[2:3], v[26:27], v[4:5]
	v_fma_f64 v[4:5], v[24:25], v[4:5], -v[6:7]
	s_waitcnt vmcnt(2) lgkmcnt(1)
	v_mul_f64 v[42:43], v[32:33], v[14:15]
	v_mul_f64 v[14:15], v[34:35], v[14:15]
	v_fmac_f64_e32 v[40:41], v[30:31], v[8:9]
	v_fma_f64 v[6:7], v[28:29], v[8:9], -v[10:11]
	v_add_f64 v[2:3], v[2:3], 0
	v_add_f64 v[4:5], v[4:5], 0
	s_waitcnt vmcnt(1) lgkmcnt(0)
	v_mul_f64 v[44:45], v[36:37], v[18:19]
	v_mul_f64 v[18:19], v[38:39], v[18:19]
	v_fmac_f64_e32 v[42:43], v[34:35], v[12:13]
	v_fma_f64 v[8:9], v[32:33], v[12:13], -v[14:15]
	v_add_f64 v[2:3], v[2:3], v[40:41]
	v_add_f64 v[4:5], v[4:5], v[6:7]
	v_fmac_f64_e32 v[44:45], v[38:39], v[16:17]
	v_fma_f64 v[10:11], v[36:37], v[16:17], -v[18:19]
	v_add_f64 v[2:3], v[2:3], v[42:43]
	v_add_f64 v[4:5], v[4:5], v[8:9]
	;; [unrolled: 1-line block ×4, first 2 shown]
	s_waitcnt vmcnt(0)
	v_add_f64 v[2:3], v[20:21], -v[2:3]
	v_add_f64 v[4:5], v[22:23], -v[6:7]
	scratch_store_dwordx4 off, v[2:5], off offset:576
	s_and_saveexec_b64 s[0:1], vcc
	s_cbranch_execz .LBB103_185
; %bb.184:
	scratch_load_dwordx4 v[2:5], off, s21
	v_mov_b32_e32 v6, 0
	v_mov_b32_e32 v7, v6
	;; [unrolled: 1-line block ×4, first 2 shown]
	scratch_store_dwordx4 off, v[6:9], off offset:560
	s_waitcnt vmcnt(1)
	ds_write_b128 v1, v[2:5]
.LBB103_185:
	s_or_b64 exec, exec, s[0:1]
	s_waitcnt lgkmcnt(0)
	; wave barrier
	scratch_load_dwordx4 v[4:7], off, off offset:576
	scratch_load_dwordx4 v[8:11], off, off offset:592
	;; [unrolled: 1-line block ×6, first 2 shown]
	v_mov_b32_e32 v2, 0
	ds_read_b128 v[28:31], v2 offset:1200
	ds_read_b128 v[32:35], v2 offset:1216
	;; [unrolled: 1-line block ×5, first 2 shown]
	v_cmp_lt_u32_e32 vcc, 33, v0
	s_waitcnt vmcnt(5) lgkmcnt(4)
	v_mul_f64 v[48:49], v[28:29], v[6:7]
	v_mul_f64 v[6:7], v[30:31], v[6:7]
	s_waitcnt vmcnt(4) lgkmcnt(3)
	v_mul_f64 v[50:51], v[32:33], v[10:11]
	s_waitcnt vmcnt(3) lgkmcnt(2)
	v_mul_f64 v[52:53], v[36:37], v[14:15]
	v_mul_f64 v[10:11], v[34:35], v[10:11]
	;; [unrolled: 1-line block ×3, first 2 shown]
	v_fmac_f64_e32 v[48:49], v[30:31], v[4:5]
	v_fma_f64 v[4:5], v[28:29], v[4:5], -v[6:7]
	v_fmac_f64_e32 v[50:51], v[34:35], v[8:9]
	v_fma_f64 v[6:7], v[32:33], v[8:9], -v[10:11]
	v_fma_f64 v[8:9], v[36:37], v[12:13], -v[14:15]
	v_add_f64 v[14:15], v[48:49], 0
	v_add_f64 v[4:5], v[4:5], 0
	s_waitcnt vmcnt(2) lgkmcnt(1)
	v_mul_f64 v[54:55], v[40:41], v[18:19]
	v_mul_f64 v[18:19], v[42:43], v[18:19]
	v_fmac_f64_e32 v[52:53], v[38:39], v[12:13]
	v_add_f64 v[14:15], v[14:15], v[50:51]
	v_add_f64 v[4:5], v[4:5], v[6:7]
	s_waitcnt vmcnt(1) lgkmcnt(0)
	v_mul_f64 v[56:57], v[44:45], v[22:23]
	v_mul_f64 v[22:23], v[46:47], v[22:23]
	v_fmac_f64_e32 v[54:55], v[42:43], v[16:17]
	v_fma_f64 v[10:11], v[40:41], v[16:17], -v[18:19]
	v_add_f64 v[6:7], v[14:15], v[52:53]
	v_add_f64 v[4:5], v[4:5], v[8:9]
	v_fmac_f64_e32 v[56:57], v[46:47], v[20:21]
	v_fma_f64 v[12:13], v[44:45], v[20:21], -v[22:23]
	v_add_f64 v[6:7], v[6:7], v[54:55]
	v_add_f64 v[4:5], v[4:5], v[10:11]
	;; [unrolled: 1-line block ×4, first 2 shown]
	s_waitcnt vmcnt(0)
	v_add_f64 v[4:5], v[24:25], -v[4:5]
	v_add_f64 v[6:7], v[26:27], -v[6:7]
	scratch_store_dwordx4 off, v[4:7], off offset:560
	s_and_saveexec_b64 s[0:1], vcc
	s_cbranch_execz .LBB103_187
; %bb.186:
	scratch_load_dwordx4 v[6:9], off, s22
	v_mov_b32_e32 v3, v2
	v_mov_b32_e32 v4, v2
	;; [unrolled: 1-line block ×3, first 2 shown]
	scratch_store_dwordx4 off, v[2:5], off offset:544
	s_waitcnt vmcnt(1)
	ds_write_b128 v1, v[6:9]
.LBB103_187:
	s_or_b64 exec, exec, s[0:1]
	s_waitcnt lgkmcnt(0)
	; wave barrier
	scratch_load_dwordx4 v[4:7], off, off offset:560
	scratch_load_dwordx4 v[8:11], off, off offset:576
	;; [unrolled: 1-line block ×7, first 2 shown]
	ds_read_b128 v[32:35], v2 offset:1184
	ds_read_b128 v[36:39], v2 offset:1200
	ds_read_b128 v[40:43], v2 offset:1216
	ds_read_b128 v[44:47], v2 offset:1232
	ds_read_b128 v[48:51], v2 offset:1248
	ds_read_b128 v[52:55], v2 offset:1264
	v_cmp_lt_u32_e32 vcc, 32, v0
	s_waitcnt vmcnt(6) lgkmcnt(5)
	v_mul_f64 v[2:3], v[32:33], v[6:7]
	v_mul_f64 v[6:7], v[34:35], v[6:7]
	s_waitcnt vmcnt(5) lgkmcnt(4)
	v_mul_f64 v[56:57], v[36:37], v[10:11]
	v_mul_f64 v[10:11], v[38:39], v[10:11]
	v_fmac_f64_e32 v[2:3], v[34:35], v[4:5]
	v_fma_f64 v[4:5], v[32:33], v[4:5], -v[6:7]
	s_waitcnt vmcnt(4) lgkmcnt(3)
	v_mul_f64 v[58:59], v[40:41], v[14:15]
	v_mul_f64 v[14:15], v[42:43], v[14:15]
	v_fmac_f64_e32 v[56:57], v[38:39], v[8:9]
	v_fma_f64 v[6:7], v[36:37], v[8:9], -v[10:11]
	v_add_f64 v[2:3], v[2:3], 0
	v_add_f64 v[4:5], v[4:5], 0
	s_waitcnt vmcnt(3) lgkmcnt(2)
	v_mul_f64 v[60:61], v[44:45], v[18:19]
	v_mul_f64 v[18:19], v[46:47], v[18:19]
	v_fmac_f64_e32 v[58:59], v[42:43], v[12:13]
	v_fma_f64 v[8:9], v[40:41], v[12:13], -v[14:15]
	v_add_f64 v[2:3], v[2:3], v[56:57]
	v_add_f64 v[4:5], v[4:5], v[6:7]
	s_waitcnt vmcnt(2) lgkmcnt(1)
	v_mul_f64 v[62:63], v[48:49], v[22:23]
	v_mul_f64 v[22:23], v[50:51], v[22:23]
	v_fmac_f64_e32 v[60:61], v[46:47], v[16:17]
	v_fma_f64 v[10:11], v[44:45], v[16:17], -v[18:19]
	v_add_f64 v[2:3], v[2:3], v[58:59]
	v_add_f64 v[4:5], v[4:5], v[8:9]
	s_waitcnt vmcnt(1) lgkmcnt(0)
	v_mul_f64 v[64:65], v[52:53], v[26:27]
	v_mul_f64 v[26:27], v[54:55], v[26:27]
	v_fmac_f64_e32 v[62:63], v[50:51], v[20:21]
	v_fma_f64 v[12:13], v[48:49], v[20:21], -v[22:23]
	v_add_f64 v[2:3], v[2:3], v[60:61]
	v_add_f64 v[4:5], v[4:5], v[10:11]
	v_fmac_f64_e32 v[64:65], v[54:55], v[24:25]
	v_fma_f64 v[14:15], v[52:53], v[24:25], -v[26:27]
	v_add_f64 v[2:3], v[2:3], v[62:63]
	v_add_f64 v[4:5], v[4:5], v[12:13]
	;; [unrolled: 1-line block ×4, first 2 shown]
	s_waitcnt vmcnt(0)
	v_add_f64 v[2:3], v[28:29], -v[2:3]
	v_add_f64 v[4:5], v[30:31], -v[6:7]
	scratch_store_dwordx4 off, v[2:5], off offset:544
	s_and_saveexec_b64 s[0:1], vcc
	s_cbranch_execz .LBB103_189
; %bb.188:
	scratch_load_dwordx4 v[2:5], off, s23
	v_mov_b32_e32 v6, 0
	v_mov_b32_e32 v7, v6
	;; [unrolled: 1-line block ×4, first 2 shown]
	scratch_store_dwordx4 off, v[6:9], off offset:528
	s_waitcnt vmcnt(1)
	ds_write_b128 v1, v[2:5]
.LBB103_189:
	s_or_b64 exec, exec, s[0:1]
	s_waitcnt lgkmcnt(0)
	; wave barrier
	scratch_load_dwordx4 v[4:7], off, off offset:544
	scratch_load_dwordx4 v[8:11], off, off offset:560
	;; [unrolled: 1-line block ×8, first 2 shown]
	v_mov_b32_e32 v2, 0
	ds_read_b128 v[36:39], v2 offset:1168
	ds_read_b128 v[40:43], v2 offset:1184
	;; [unrolled: 1-line block ×7, first 2 shown]
	v_cmp_lt_u32_e32 vcc, 31, v0
	s_waitcnt vmcnt(7) lgkmcnt(6)
	v_mul_f64 v[64:65], v[36:37], v[6:7]
	v_mul_f64 v[6:7], v[38:39], v[6:7]
	s_waitcnt vmcnt(6) lgkmcnt(5)
	v_mul_f64 v[66:67], v[40:41], v[10:11]
	s_waitcnt vmcnt(4) lgkmcnt(3)
	v_mul_f64 v[70:71], v[48:49], v[18:19]
	v_mul_f64 v[10:11], v[42:43], v[10:11]
	;; [unrolled: 1-line block ×3, first 2 shown]
	v_fmac_f64_e32 v[64:65], v[38:39], v[4:5]
	v_fma_f64 v[4:5], v[36:37], v[4:5], -v[6:7]
	v_mul_f64 v[68:69], v[44:45], v[14:15]
	v_mul_f64 v[14:15], v[46:47], v[14:15]
	v_fmac_f64_e32 v[66:67], v[42:43], v[8:9]
	v_fma_f64 v[6:7], v[40:41], v[8:9], -v[10:11]
	v_fma_f64 v[10:11], v[48:49], v[16:17], -v[18:19]
	v_add_f64 v[18:19], v[64:65], 0
	v_add_f64 v[4:5], v[4:5], 0
	v_fmac_f64_e32 v[68:69], v[46:47], v[12:13]
	v_fma_f64 v[8:9], v[44:45], v[12:13], -v[14:15]
	v_add_f64 v[18:19], v[18:19], v[66:67]
	v_add_f64 v[4:5], v[4:5], v[6:7]
	s_waitcnt vmcnt(3) lgkmcnt(2)
	v_mul_f64 v[72:73], v[52:53], v[22:23]
	v_mul_f64 v[22:23], v[54:55], v[22:23]
	v_fmac_f64_e32 v[70:71], v[50:51], v[16:17]
	v_add_f64 v[6:7], v[18:19], v[68:69]
	v_add_f64 v[4:5], v[4:5], v[8:9]
	s_waitcnt vmcnt(2) lgkmcnt(1)
	v_mul_f64 v[74:75], v[56:57], v[26:27]
	v_mul_f64 v[26:27], v[58:59], v[26:27]
	v_fmac_f64_e32 v[72:73], v[54:55], v[20:21]
	v_fma_f64 v[12:13], v[52:53], v[20:21], -v[22:23]
	v_add_f64 v[6:7], v[6:7], v[70:71]
	v_add_f64 v[4:5], v[4:5], v[10:11]
	s_waitcnt vmcnt(1) lgkmcnt(0)
	v_mul_f64 v[76:77], v[60:61], v[30:31]
	v_mul_f64 v[30:31], v[62:63], v[30:31]
	v_fmac_f64_e32 v[74:75], v[58:59], v[24:25]
	v_fma_f64 v[14:15], v[56:57], v[24:25], -v[26:27]
	v_add_f64 v[6:7], v[6:7], v[72:73]
	v_add_f64 v[4:5], v[4:5], v[12:13]
	v_fmac_f64_e32 v[76:77], v[62:63], v[28:29]
	v_fma_f64 v[16:17], v[60:61], v[28:29], -v[30:31]
	v_add_f64 v[6:7], v[6:7], v[74:75]
	v_add_f64 v[4:5], v[4:5], v[14:15]
	;; [unrolled: 1-line block ×4, first 2 shown]
	s_waitcnt vmcnt(0)
	v_add_f64 v[4:5], v[32:33], -v[4:5]
	v_add_f64 v[6:7], v[34:35], -v[6:7]
	scratch_store_dwordx4 off, v[4:7], off offset:528
	s_and_saveexec_b64 s[0:1], vcc
	s_cbranch_execz .LBB103_191
; %bb.190:
	scratch_load_dwordx4 v[6:9], off, s24
	v_mov_b32_e32 v3, v2
	v_mov_b32_e32 v4, v2
	;; [unrolled: 1-line block ×3, first 2 shown]
	scratch_store_dwordx4 off, v[2:5], off offset:512
	s_waitcnt vmcnt(1)
	ds_write_b128 v1, v[6:9]
.LBB103_191:
	s_or_b64 exec, exec, s[0:1]
	s_waitcnt lgkmcnt(0)
	; wave barrier
	scratch_load_dwordx4 v[4:7], off, off offset:528
	scratch_load_dwordx4 v[8:11], off, off offset:544
	;; [unrolled: 1-line block ×9, first 2 shown]
	ds_read_b128 v[40:43], v2 offset:1152
	ds_read_b128 v[44:47], v2 offset:1168
	;; [unrolled: 1-line block ×8, first 2 shown]
	v_cmp_lt_u32_e32 vcc, 30, v0
	s_waitcnt vmcnt(8) lgkmcnt(7)
	v_mul_f64 v[2:3], v[40:41], v[6:7]
	v_mul_f64 v[6:7], v[42:43], v[6:7]
	s_waitcnt vmcnt(7) lgkmcnt(6)
	v_mul_f64 v[72:73], v[44:45], v[10:11]
	v_mul_f64 v[10:11], v[46:47], v[10:11]
	v_fmac_f64_e32 v[2:3], v[42:43], v[4:5]
	v_fma_f64 v[4:5], v[40:41], v[4:5], -v[6:7]
	s_waitcnt vmcnt(6) lgkmcnt(5)
	v_mul_f64 v[74:75], v[48:49], v[14:15]
	v_mul_f64 v[14:15], v[50:51], v[14:15]
	v_fmac_f64_e32 v[72:73], v[46:47], v[8:9]
	v_fma_f64 v[6:7], v[44:45], v[8:9], -v[10:11]
	v_add_f64 v[2:3], v[2:3], 0
	v_add_f64 v[4:5], v[4:5], 0
	s_waitcnt vmcnt(5) lgkmcnt(4)
	v_mul_f64 v[76:77], v[52:53], v[18:19]
	v_mul_f64 v[18:19], v[54:55], v[18:19]
	v_fmac_f64_e32 v[74:75], v[50:51], v[12:13]
	v_fma_f64 v[8:9], v[48:49], v[12:13], -v[14:15]
	v_add_f64 v[2:3], v[2:3], v[72:73]
	v_add_f64 v[4:5], v[4:5], v[6:7]
	;; [unrolled: 7-line block ×6, first 2 shown]
	v_fmac_f64_e32 v[84:85], v[70:71], v[32:33]
	v_fma_f64 v[18:19], v[68:69], v[32:33], -v[34:35]
	v_add_f64 v[2:3], v[2:3], v[82:83]
	v_add_f64 v[4:5], v[4:5], v[16:17]
	;; [unrolled: 1-line block ×4, first 2 shown]
	s_waitcnt vmcnt(0)
	v_add_f64 v[2:3], v[36:37], -v[2:3]
	v_add_f64 v[4:5], v[38:39], -v[6:7]
	scratch_store_dwordx4 off, v[2:5], off offset:512
	s_and_saveexec_b64 s[0:1], vcc
	s_cbranch_execz .LBB103_193
; %bb.192:
	scratch_load_dwordx4 v[2:5], off, s25
	v_mov_b32_e32 v6, 0
	v_mov_b32_e32 v7, v6
	;; [unrolled: 1-line block ×4, first 2 shown]
	scratch_store_dwordx4 off, v[6:9], off offset:496
	s_waitcnt vmcnt(1)
	ds_write_b128 v1, v[2:5]
.LBB103_193:
	s_or_b64 exec, exec, s[0:1]
	v_mov_b32_e32 v2, 0
	s_waitcnt lgkmcnt(0)
	; wave barrier
	ds_read_b128 v[4:7], v2 offset:1136
	ds_read_b128 v[8:11], v2 offset:1152
	;; [unrolled: 1-line block ×4, first 2 shown]
	scratch_load_dwordx4 v[20:23], off, off offset:512
	scratch_load_dwordx4 v[40:43], off, off offset:576
	;; [unrolled: 1-line block ×3, first 2 shown]
	v_cmp_lt_u32_e32 vcc, 29, v0
	scratch_load_dwordx4 v[48:51], off, off offset:592
	scratch_load_dwordx4 v[56:59], off, off offset:608
	;; [unrolled: 1-line block ×3, first 2 shown]
	s_waitcnt vmcnt(5) lgkmcnt(3)
	v_mul_f64 v[24:25], v[4:5], v[22:23]
	v_fmac_f64_e32 v[24:25], v[6:7], v[20:21]
	v_add_f64 v[28:29], v[24:25], 0
	scratch_load_dwordx4 v[24:27], off, off offset:528
	v_mul_f64 v[6:7], v[6:7], v[22:23]
	v_fma_f64 v[4:5], v[4:5], v[20:21], -v[6:7]
	v_add_f64 v[4:5], v[4:5], 0
	s_waitcnt vmcnt(0) lgkmcnt(2)
	v_mul_f64 v[30:31], v[8:9], v[26:27]
	v_fmac_f64_e32 v[30:31], v[10:11], v[24:25]
	v_add_f64 v[32:33], v[28:29], v[30:31]
	scratch_load_dwordx4 v[28:31], off, off offset:544
	v_mul_f64 v[6:7], v[10:11], v[26:27]
	v_fma_f64 v[6:7], v[8:9], v[24:25], -v[6:7]
	v_add_f64 v[4:5], v[4:5], v[6:7]
	s_waitcnt vmcnt(0) lgkmcnt(1)
	v_mul_f64 v[34:35], v[12:13], v[30:31]
	v_fmac_f64_e32 v[34:35], v[14:15], v[28:29]
	v_add_f64 v[36:37], v[32:33], v[34:35]
	scratch_load_dwordx4 v[32:35], off, off offset:560
	v_mul_f64 v[6:7], v[14:15], v[30:31]
	v_fma_f64 v[6:7], v[12:13], v[28:29], -v[6:7]
	v_add_f64 v[4:5], v[4:5], v[6:7]
	s_waitcnt vmcnt(0) lgkmcnt(0)
	v_mul_f64 v[38:39], v[16:17], v[34:35]
	v_fmac_f64_e32 v[38:39], v[18:19], v[32:33]
	v_add_f64 v[44:45], v[36:37], v[38:39]
	ds_read_b128 v[36:39], v2 offset:1200
	v_mul_f64 v[6:7], v[18:19], v[34:35]
	v_fma_f64 v[6:7], v[16:17], v[32:33], -v[6:7]
	v_add_f64 v[4:5], v[4:5], v[6:7]
	s_waitcnt lgkmcnt(0)
	v_mul_f64 v[46:47], v[36:37], v[42:43]
	v_fmac_f64_e32 v[46:47], v[38:39], v[40:41]
	v_add_f64 v[52:53], v[44:45], v[46:47]
	ds_read_b128 v[44:47], v2 offset:1216
	v_mul_f64 v[6:7], v[38:39], v[42:43]
	v_fma_f64 v[6:7], v[36:37], v[40:41], -v[6:7]
	v_add_f64 v[4:5], v[4:5], v[6:7]
	s_waitcnt lgkmcnt(0)
	;; [unrolled: 8-line block ×5, first 2 shown]
	v_mul_f64 v[6:7], v[70:71], v[74:75]
	v_fma_f64 v[6:7], v[68:69], v[72:73], -v[6:7]
	v_add_f64 v[8:9], v[4:5], v[6:7]
	scratch_load_dwordx4 v[4:7], off, off offset:496
	v_mul_f64 v[78:79], v[68:69], v[74:75]
	v_fmac_f64_e32 v[78:79], v[70:71], v[72:73]
	v_add_f64 v[76:77], v[76:77], v[78:79]
	s_waitcnt vmcnt(0)
	v_add_f64 v[4:5], v[4:5], -v[8:9]
	v_add_f64 v[6:7], v[6:7], -v[76:77]
	scratch_store_dwordx4 off, v[4:7], off offset:496
	s_and_saveexec_b64 s[0:1], vcc
	s_cbranch_execz .LBB103_195
; %bb.194:
	scratch_load_dwordx4 v[6:9], off, s26
	v_mov_b32_e32 v3, v2
	v_mov_b32_e32 v4, v2
	;; [unrolled: 1-line block ×3, first 2 shown]
	scratch_store_dwordx4 off, v[2:5], off offset:480
	s_waitcnt vmcnt(1)
	ds_write_b128 v1, v[6:9]
.LBB103_195:
	s_or_b64 exec, exec, s[0:1]
	s_waitcnt lgkmcnt(0)
	; wave barrier
	ds_read_b128 v[4:7], v2 offset:1120
	ds_read_b128 v[8:11], v2 offset:1136
	;; [unrolled: 1-line block ×4, first 2 shown]
	scratch_load_dwordx4 v[20:23], off, off offset:496
	scratch_load_dwordx4 v[40:43], off, off offset:560
	;; [unrolled: 1-line block ×4, first 2 shown]
	v_cmp_lt_u32_e32 vcc, 28, v0
	scratch_load_dwordx4 v[48:51], off, off offset:576
	scratch_load_dwordx4 v[56:59], off, off offset:592
	;; [unrolled: 1-line block ×3, first 2 shown]
	s_waitcnt vmcnt(6) lgkmcnt(3)
	v_mul_f64 v[24:25], v[4:5], v[22:23]
	v_fmac_f64_e32 v[24:25], v[6:7], v[20:21]
	v_add_f64 v[28:29], v[24:25], 0
	scratch_load_dwordx4 v[24:27], off, off offset:512
	s_waitcnt vmcnt(0) lgkmcnt(2)
	v_mul_f64 v[30:31], v[8:9], v[26:27]
	v_fmac_f64_e32 v[30:31], v[10:11], v[24:25]
	v_add_f64 v[32:33], v[28:29], v[30:31]
	scratch_load_dwordx4 v[28:31], off, off offset:528
	;; [unrolled: 5-line block ×3, first 2 shown]
	s_waitcnt vmcnt(0) lgkmcnt(0)
	v_mul_f64 v[38:39], v[16:17], v[34:35]
	v_fmac_f64_e32 v[38:39], v[18:19], v[32:33]
	v_add_f64 v[44:45], v[36:37], v[38:39]
	ds_read_b128 v[36:39], v2 offset:1184
	s_waitcnt lgkmcnt(0)
	v_mul_f64 v[46:47], v[36:37], v[42:43]
	v_fmac_f64_e32 v[46:47], v[38:39], v[40:41]
	v_add_f64 v[52:53], v[44:45], v[46:47]
	ds_read_b128 v[44:47], v2 offset:1200
	s_waitcnt lgkmcnt(0)
	;; [unrolled: 5-line block ×6, first 2 shown]
	v_mul_f64 v[2:3], v[76:77], v[82:83]
	v_fmac_f64_e32 v[2:3], v[78:79], v[80:81]
	v_add_f64 v[84:85], v[84:85], v[2:3]
	v_mul_f64 v[2:3], v[6:7], v[22:23]
	v_fma_f64 v[2:3], v[4:5], v[20:21], -v[2:3]
	v_mul_f64 v[4:5], v[10:11], v[26:27]
	v_add_f64 v[2:3], v[2:3], 0
	v_fma_f64 v[4:5], v[8:9], v[24:25], -v[4:5]
	v_add_f64 v[2:3], v[2:3], v[4:5]
	v_mul_f64 v[4:5], v[14:15], v[30:31]
	v_fma_f64 v[4:5], v[12:13], v[28:29], -v[4:5]
	v_add_f64 v[2:3], v[2:3], v[4:5]
	v_mul_f64 v[4:5], v[18:19], v[34:35]
	;; [unrolled: 3-line block ×8, first 2 shown]
	v_fma_f64 v[4:5], v[76:77], v[80:81], -v[4:5]
	v_add_f64 v[6:7], v[2:3], v[4:5]
	scratch_load_dwordx4 v[2:5], off, off offset:480
	s_waitcnt vmcnt(0)
	v_add_f64 v[2:3], v[2:3], -v[6:7]
	v_add_f64 v[4:5], v[4:5], -v[84:85]
	scratch_store_dwordx4 off, v[2:5], off offset:480
	s_and_saveexec_b64 s[0:1], vcc
	s_cbranch_execz .LBB103_197
; %bb.196:
	scratch_load_dwordx4 v[2:5], off, s27
	v_mov_b32_e32 v6, 0
	v_mov_b32_e32 v7, v6
	;; [unrolled: 1-line block ×4, first 2 shown]
	scratch_store_dwordx4 off, v[6:9], off offset:464
	s_waitcnt vmcnt(1)
	ds_write_b128 v1, v[2:5]
.LBB103_197:
	s_or_b64 exec, exec, s[0:1]
	s_waitcnt lgkmcnt(0)
	; wave barrier
	scratch_load_dwordx4 v[4:7], off, off offset:480
	scratch_load_dwordx4 v[8:11], off, off offset:496
	;; [unrolled: 1-line block ×12, first 2 shown]
	v_mov_b32_e32 v2, 0
	ds_read_b128 v[52:55], v2 offset:1104
	ds_read_b128 v[56:59], v2 offset:1120
	;; [unrolled: 1-line block ×11, first 2 shown]
	v_cmp_lt_u32_e32 vcc, 27, v0
	s_waitcnt vmcnt(11) lgkmcnt(10)
	v_mul_f64 v[96:97], v[52:53], v[6:7]
	v_mul_f64 v[6:7], v[54:55], v[6:7]
	s_waitcnt vmcnt(10) lgkmcnt(9)
	v_mul_f64 v[98:99], v[56:57], v[10:11]
	s_waitcnt vmcnt(9) lgkmcnt(8)
	v_mul_f64 v[100:101], v[60:61], v[14:15]
	v_mul_f64 v[10:11], v[58:59], v[10:11]
	s_waitcnt vmcnt(6) lgkmcnt(5)
	v_mul_f64 v[106:107], v[72:73], v[26:27]
	v_mul_f64 v[14:15], v[62:63], v[14:15]
	;; [unrolled: 1-line block ×3, first 2 shown]
	v_fmac_f64_e32 v[96:97], v[54:55], v[4:5]
	v_fma_f64 v[4:5], v[52:53], v[4:5], -v[6:7]
	v_fmac_f64_e32 v[98:99], v[58:59], v[8:9]
	v_fma_f64 v[6:7], v[56:57], v[8:9], -v[10:11]
	v_fma_f64 v[8:9], v[60:61], v[12:13], -v[14:15]
	;; [unrolled: 1-line block ×3, first 2 shown]
	v_add_f64 v[26:27], v[96:97], 0
	v_add_f64 v[4:5], v[4:5], 0
	v_mul_f64 v[102:103], v[64:65], v[18:19]
	v_mul_f64 v[18:19], v[66:67], v[18:19]
	v_fmac_f64_e32 v[100:101], v[62:63], v[12:13]
	v_add_f64 v[26:27], v[26:27], v[98:99]
	v_add_f64 v[4:5], v[4:5], v[6:7]
	v_mul_f64 v[104:105], v[68:69], v[22:23]
	v_mul_f64 v[22:23], v[70:71], v[22:23]
	v_fmac_f64_e32 v[102:103], v[66:67], v[16:17]
	v_fma_f64 v[10:11], v[64:65], v[16:17], -v[18:19]
	v_add_f64 v[6:7], v[26:27], v[100:101]
	v_add_f64 v[4:5], v[4:5], v[8:9]
	v_fmac_f64_e32 v[104:105], v[70:71], v[20:21]
	v_fma_f64 v[12:13], v[68:69], v[20:21], -v[22:23]
	v_add_f64 v[6:7], v[6:7], v[102:103]
	v_add_f64 v[4:5], v[4:5], v[10:11]
	s_waitcnt vmcnt(5) lgkmcnt(4)
	v_mul_f64 v[108:109], v[76:77], v[30:31]
	v_mul_f64 v[30:31], v[78:79], v[30:31]
	v_fmac_f64_e32 v[106:107], v[74:75], v[24:25]
	v_add_f64 v[6:7], v[6:7], v[104:105]
	v_add_f64 v[4:5], v[4:5], v[12:13]
	s_waitcnt vmcnt(4) lgkmcnt(3)
	v_mul_f64 v[110:111], v[80:81], v[34:35]
	v_mul_f64 v[34:35], v[82:83], v[34:35]
	v_fmac_f64_e32 v[108:109], v[78:79], v[28:29]
	v_fma_f64 v[16:17], v[76:77], v[28:29], -v[30:31]
	v_add_f64 v[6:7], v[6:7], v[106:107]
	v_add_f64 v[4:5], v[4:5], v[14:15]
	s_waitcnt vmcnt(3) lgkmcnt(2)
	v_mul_f64 v[112:113], v[84:85], v[38:39]
	v_mul_f64 v[38:39], v[86:87], v[38:39]
	v_fmac_f64_e32 v[110:111], v[82:83], v[32:33]
	v_fma_f64 v[18:19], v[80:81], v[32:33], -v[34:35]
	;; [unrolled: 7-line block ×4, first 2 shown]
	v_add_f64 v[6:7], v[6:7], v[112:113]
	v_add_f64 v[4:5], v[4:5], v[20:21]
	v_fmac_f64_e32 v[116:117], v[94:95], v[44:45]
	v_fma_f64 v[24:25], v[92:93], v[44:45], -v[46:47]
	v_add_f64 v[6:7], v[6:7], v[114:115]
	v_add_f64 v[4:5], v[4:5], v[22:23]
	;; [unrolled: 1-line block ×4, first 2 shown]
	s_waitcnt vmcnt(0)
	v_add_f64 v[4:5], v[48:49], -v[4:5]
	v_add_f64 v[6:7], v[50:51], -v[6:7]
	scratch_store_dwordx4 off, v[4:7], off offset:464
	s_and_saveexec_b64 s[0:1], vcc
	s_cbranch_execz .LBB103_199
; %bb.198:
	scratch_load_dwordx4 v[6:9], off, s28
	v_mov_b32_e32 v3, v2
	v_mov_b32_e32 v4, v2
	;; [unrolled: 1-line block ×3, first 2 shown]
	scratch_store_dwordx4 off, v[2:5], off offset:448
	s_waitcnt vmcnt(1)
	ds_write_b128 v1, v[6:9]
.LBB103_199:
	s_or_b64 exec, exec, s[0:1]
	s_waitcnt lgkmcnt(0)
	; wave barrier
	scratch_load_dwordx4 v[4:7], off, off offset:464
	scratch_load_dwordx4 v[8:11], off, off offset:480
	;; [unrolled: 1-line block ×12, first 2 shown]
	ds_read_b128 v[52:55], v2 offset:1088
	ds_read_b128 v[56:59], v2 offset:1104
	;; [unrolled: 1-line block ×4, first 2 shown]
	scratch_load_dwordx4 v[68:71], off, off offset:448
	ds_read_b128 v[72:75], v2 offset:1152
	ds_read_b128 v[76:79], v2 offset:1168
	;; [unrolled: 1-line block ×8, first 2 shown]
	v_cmp_lt_u32_e32 vcc, 26, v0
	s_waitcnt vmcnt(12) lgkmcnt(11)
	v_mul_f64 v[2:3], v[52:53], v[6:7]
	s_waitcnt vmcnt(11) lgkmcnt(10)
	v_mul_f64 v[104:105], v[56:57], v[10:11]
	v_fmac_f64_e32 v[2:3], v[54:55], v[4:5]
	s_waitcnt vmcnt(10) lgkmcnt(9)
	v_mul_f64 v[106:107], v[60:61], v[14:15]
	v_mul_f64 v[6:7], v[54:55], v[6:7]
	v_fmac_f64_e32 v[104:105], v[58:59], v[8:9]
	v_add_f64 v[2:3], v[2:3], 0
	s_waitcnt vmcnt(9) lgkmcnt(8)
	v_mul_f64 v[108:109], v[64:65], v[18:19]
	v_mul_f64 v[10:11], v[58:59], v[10:11]
	v_fmac_f64_e32 v[106:107], v[62:63], v[12:13]
	v_fma_f64 v[4:5], v[52:53], v[4:5], -v[6:7]
	v_add_f64 v[2:3], v[2:3], v[104:105]
	s_waitcnt vmcnt(8) lgkmcnt(7)
	v_mul_f64 v[110:111], v[72:73], v[22:23]
	v_mul_f64 v[14:15], v[62:63], v[14:15]
	v_fmac_f64_e32 v[108:109], v[66:67], v[16:17]
	v_fma_f64 v[6:7], v[56:57], v[8:9], -v[10:11]
	v_add_f64 v[4:5], v[4:5], 0
	v_add_f64 v[2:3], v[2:3], v[106:107]
	s_waitcnt vmcnt(7) lgkmcnt(6)
	v_mul_f64 v[112:113], v[76:77], v[26:27]
	v_mul_f64 v[18:19], v[66:67], v[18:19]
	v_fmac_f64_e32 v[110:111], v[74:75], v[20:21]
	v_fma_f64 v[8:9], v[60:61], v[12:13], -v[14:15]
	v_add_f64 v[4:5], v[4:5], v[6:7]
	;; [unrolled: 7-line block ×8, first 2 shown]
	v_add_f64 v[2:3], v[2:3], v[120:121]
	v_mul_f64 v[46:47], v[98:99], v[46:47]
	v_fmac_f64_e32 v[124:125], v[102:103], v[48:49]
	v_fma_f64 v[22:23], v[92:93], v[40:41], -v[42:43]
	v_add_f64 v[4:5], v[4:5], v[20:21]
	v_add_f64 v[2:3], v[2:3], v[122:123]
	;; [unrolled: 1-line block ×4, first 2 shown]
	v_fma_f64 v[2:3], v[96:97], v[44:45], -v[46:47]
	v_add_f64 v[2:3], v[4:5], v[2:3]
	v_mul_f64 v[4:5], v[102:103], v[50:51]
	v_fma_f64 v[4:5], v[100:101], v[48:49], -v[4:5]
	v_add_f64 v[2:3], v[2:3], v[4:5]
	s_waitcnt vmcnt(0)
	v_add_f64 v[2:3], v[68:69], -v[2:3]
	v_add_f64 v[4:5], v[70:71], -v[6:7]
	scratch_store_dwordx4 off, v[2:5], off offset:448
	s_and_saveexec_b64 s[0:1], vcc
	s_cbranch_execz .LBB103_201
; %bb.200:
	scratch_load_dwordx4 v[2:5], off, s29
	v_mov_b32_e32 v6, 0
	v_mov_b32_e32 v7, v6
	;; [unrolled: 1-line block ×4, first 2 shown]
	scratch_store_dwordx4 off, v[6:9], off offset:432
	s_waitcnt vmcnt(1)
	ds_write_b128 v1, v[2:5]
.LBB103_201:
	s_or_b64 exec, exec, s[0:1]
	s_waitcnt lgkmcnt(0)
	; wave barrier
	scratch_load_dwordx4 v[4:7], off, off offset:448
	scratch_load_dwordx4 v[8:11], off, off offset:464
	scratch_load_dwordx4 v[12:15], off, off offset:480
	scratch_load_dwordx4 v[16:19], off, off offset:496
	scratch_load_dwordx4 v[20:23], off, off offset:512
	scratch_load_dwordx4 v[24:27], off, off offset:528
	scratch_load_dwordx4 v[28:31], off, off offset:544
	scratch_load_dwordx4 v[32:35], off, off offset:560
	scratch_load_dwordx4 v[36:39], off, off offset:576
	scratch_load_dwordx4 v[40:43], off, off offset:592
	scratch_load_dwordx4 v[44:47], off, off offset:608
	scratch_load_dwordx4 v[48:51], off, off offset:624
	scratch_load_dwordx4 v[52:55], off, off offset:640
	scratch_load_dwordx4 v[56:59], off, off offset:432
	v_mov_b32_e32 v2, 0
	ds_read_b128 v[60:63], v2 offset:1072
	ds_read_b128 v[64:67], v2 offset:1088
	;; [unrolled: 1-line block ×13, first 2 shown]
	v_cmp_lt_u32_e32 vcc, 25, v0
	s_waitcnt vmcnt(13) lgkmcnt(12)
	v_mul_f64 v[112:113], v[60:61], v[6:7]
	v_mul_f64 v[6:7], v[62:63], v[6:7]
	s_waitcnt vmcnt(12) lgkmcnt(11)
	v_mul_f64 v[114:115], v[64:65], v[10:11]
	v_mul_f64 v[10:11], v[66:67], v[10:11]
	v_fmac_f64_e32 v[112:113], v[62:63], v[4:5]
	v_fma_f64 v[4:5], v[60:61], v[4:5], -v[6:7]
	s_waitcnt vmcnt(11) lgkmcnt(10)
	v_mul_f64 v[116:117], v[68:69], v[14:15]
	v_mul_f64 v[14:15], v[70:71], v[14:15]
	v_fma_f64 v[6:7], v[64:65], v[8:9], -v[10:11]
	v_add_f64 v[4:5], v[4:5], 0
	s_waitcnt vmcnt(10) lgkmcnt(9)
	v_mul_f64 v[118:119], v[72:73], v[18:19]
	v_mul_f64 v[18:19], v[74:75], v[18:19]
	v_fmac_f64_e32 v[114:115], v[66:67], v[8:9]
	v_fma_f64 v[8:9], v[68:69], v[12:13], -v[14:15]
	v_add_f64 v[4:5], v[4:5], v[6:7]
	s_waitcnt vmcnt(9) lgkmcnt(8)
	v_mul_f64 v[120:121], v[76:77], v[22:23]
	v_mul_f64 v[22:23], v[78:79], v[22:23]
	v_fma_f64 v[10:11], v[72:73], v[16:17], -v[18:19]
	v_add_f64 v[4:5], v[4:5], v[8:9]
	s_waitcnt vmcnt(8) lgkmcnt(7)
	v_mul_f64 v[122:123], v[80:81], v[26:27]
	v_mul_f64 v[26:27], v[82:83], v[26:27]
	v_fmac_f64_e32 v[116:117], v[70:71], v[12:13]
	v_fma_f64 v[12:13], v[76:77], v[20:21], -v[22:23]
	v_add_f64 v[22:23], v[112:113], 0
	v_add_f64 v[4:5], v[4:5], v[10:11]
	s_waitcnt vmcnt(7) lgkmcnt(6)
	v_mul_f64 v[124:125], v[84:85], v[30:31]
	v_mul_f64 v[30:31], v[86:87], v[30:31]
	v_fma_f64 v[14:15], v[80:81], v[24:25], -v[26:27]
	v_add_f64 v[22:23], v[22:23], v[114:115]
	v_add_f64 v[4:5], v[4:5], v[12:13]
	s_waitcnt vmcnt(6) lgkmcnt(5)
	v_mul_f64 v[126:127], v[88:89], v[34:35]
	v_mul_f64 v[34:35], v[90:91], v[34:35]
	v_fmac_f64_e32 v[118:119], v[74:75], v[16:17]
	v_fma_f64 v[16:17], v[84:85], v[28:29], -v[30:31]
	v_add_f64 v[6:7], v[22:23], v[116:117]
	v_add_f64 v[4:5], v[4:5], v[14:15]
	s_waitcnt vmcnt(5) lgkmcnt(4)
	v_mul_f64 v[128:129], v[92:93], v[38:39]
	v_mul_f64 v[38:39], v[94:95], v[38:39]
	v_fmac_f64_e32 v[120:121], v[78:79], v[20:21]
	v_fma_f64 v[18:19], v[88:89], v[32:33], -v[34:35]
	v_add_f64 v[6:7], v[6:7], v[118:119]
	v_add_f64 v[4:5], v[4:5], v[16:17]
	v_fmac_f64_e32 v[122:123], v[82:83], v[24:25]
	v_fma_f64 v[20:21], v[92:93], v[36:37], -v[38:39]
	v_add_f64 v[6:7], v[6:7], v[120:121]
	v_add_f64 v[4:5], v[4:5], v[18:19]
	s_waitcnt vmcnt(4) lgkmcnt(3)
	v_mul_f64 v[8:9], v[98:99], v[42:43]
	v_fmac_f64_e32 v[124:125], v[86:87], v[28:29]
	v_add_f64 v[6:7], v[6:7], v[122:123]
	v_add_f64 v[4:5], v[4:5], v[20:21]
	v_fma_f64 v[8:9], v[96:97], v[40:41], -v[8:9]
	v_fmac_f64_e32 v[126:127], v[90:91], v[32:33]
	v_add_f64 v[6:7], v[6:7], v[124:125]
	v_add_f64 v[4:5], v[4:5], v[8:9]
	s_waitcnt vmcnt(3) lgkmcnt(2)
	v_mul_f64 v[8:9], v[102:103], v[46:47]
	v_mul_f64 v[130:131], v[96:97], v[42:43]
	v_fmac_f64_e32 v[128:129], v[94:95], v[36:37]
	v_add_f64 v[6:7], v[6:7], v[126:127]
	v_fma_f64 v[8:9], v[100:101], v[44:45], -v[8:9]
	v_mul_f64 v[132:133], v[100:101], v[46:47]
	v_fmac_f64_e32 v[130:131], v[98:99], v[40:41]
	v_add_f64 v[6:7], v[6:7], v[128:129]
	v_add_f64 v[4:5], v[4:5], v[8:9]
	s_waitcnt vmcnt(2) lgkmcnt(1)
	v_mul_f64 v[8:9], v[106:107], v[50:51]
	v_mul_f64 v[134:135], v[104:105], v[50:51]
	v_fmac_f64_e32 v[132:133], v[102:103], v[44:45]
	v_add_f64 v[6:7], v[6:7], v[130:131]
	v_fma_f64 v[8:9], v[104:105], v[48:49], -v[8:9]
	s_waitcnt vmcnt(1) lgkmcnt(0)
	v_mul_f64 v[136:137], v[108:109], v[54:55]
	v_fmac_f64_e32 v[134:135], v[106:107], v[48:49]
	v_add_f64 v[6:7], v[6:7], v[132:133]
	v_add_f64 v[4:5], v[4:5], v[8:9]
	v_mul_f64 v[8:9], v[110:111], v[54:55]
	v_fmac_f64_e32 v[136:137], v[110:111], v[52:53]
	v_add_f64 v[6:7], v[6:7], v[134:135]
	v_fma_f64 v[8:9], v[108:109], v[52:53], -v[8:9]
	v_add_f64 v[6:7], v[6:7], v[136:137]
	v_add_f64 v[4:5], v[4:5], v[8:9]
	s_waitcnt vmcnt(0)
	v_add_f64 v[4:5], v[56:57], -v[4:5]
	v_add_f64 v[6:7], v[58:59], -v[6:7]
	scratch_store_dwordx4 off, v[4:7], off offset:432
	s_and_saveexec_b64 s[0:1], vcc
	s_cbranch_execz .LBB103_203
; %bb.202:
	scratch_load_dwordx4 v[6:9], off, s30
	v_mov_b32_e32 v3, v2
	v_mov_b32_e32 v4, v2
	;; [unrolled: 1-line block ×3, first 2 shown]
	scratch_store_dwordx4 off, v[2:5], off offset:416
	s_waitcnt vmcnt(1)
	ds_write_b128 v1, v[6:9]
.LBB103_203:
	s_or_b64 exec, exec, s[0:1]
	s_waitcnt lgkmcnt(0)
	; wave barrier
	scratch_load_dwordx4 v[4:7], off, off offset:432
	scratch_load_dwordx4 v[8:11], off, off offset:448
	scratch_load_dwordx4 v[12:15], off, off offset:464
	scratch_load_dwordx4 v[16:19], off, off offset:480
	scratch_load_dwordx4 v[20:23], off, off offset:496
	scratch_load_dwordx4 v[24:27], off, off offset:512
	scratch_load_dwordx4 v[28:31], off, off offset:528
	scratch_load_dwordx4 v[32:35], off, off offset:544
	scratch_load_dwordx4 v[36:39], off, off offset:560
	scratch_load_dwordx4 v[40:43], off, off offset:576
	scratch_load_dwordx4 v[44:47], off, off offset:592
	scratch_load_dwordx4 v[48:51], off, off offset:608
	scratch_load_dwordx4 v[52:55], off, off offset:624
	scratch_load_dwordx4 v[56:59], off, off offset:640
	ds_read_b128 v[60:63], v2 offset:1056
	ds_read_b128 v[64:67], v2 offset:1072
	;; [unrolled: 1-line block ×14, first 2 shown]
	scratch_load_dwordx4 v[116:119], off, off offset:416
	v_cmp_lt_u32_e32 vcc, 24, v0
	s_waitcnt vmcnt(14) lgkmcnt(13)
	v_mul_f64 v[2:3], v[60:61], v[6:7]
	s_waitcnt vmcnt(13) lgkmcnt(12)
	v_mul_f64 v[120:121], v[64:65], v[10:11]
	v_fmac_f64_e32 v[2:3], v[62:63], v[4:5]
	s_waitcnt vmcnt(12) lgkmcnt(11)
	v_mul_f64 v[122:123], v[68:69], v[14:15]
	v_fmac_f64_e32 v[120:121], v[66:67], v[8:9]
	v_add_f64 v[2:3], v[2:3], 0
	s_waitcnt vmcnt(11) lgkmcnt(10)
	v_mul_f64 v[124:125], v[72:73], v[18:19]
	v_fmac_f64_e32 v[122:123], v[70:71], v[12:13]
	v_add_f64 v[2:3], v[2:3], v[120:121]
	s_waitcnt vmcnt(10) lgkmcnt(9)
	v_mul_f64 v[126:127], v[76:77], v[22:23]
	v_fmac_f64_e32 v[124:125], v[74:75], v[16:17]
	v_add_f64 v[2:3], v[2:3], v[122:123]
	s_waitcnt vmcnt(9) lgkmcnt(8)
	v_mul_f64 v[128:129], v[80:81], v[26:27]
	v_fmac_f64_e32 v[126:127], v[78:79], v[20:21]
	v_add_f64 v[2:3], v[2:3], v[124:125]
	s_waitcnt vmcnt(8) lgkmcnt(7)
	v_mul_f64 v[130:131], v[84:85], v[30:31]
	v_mul_f64 v[6:7], v[62:63], v[6:7]
	v_fmac_f64_e32 v[128:129], v[82:83], v[24:25]
	v_add_f64 v[2:3], v[2:3], v[126:127]
	s_waitcnt vmcnt(7) lgkmcnt(6)
	v_mul_f64 v[132:133], v[88:89], v[34:35]
	v_mul_f64 v[10:11], v[66:67], v[10:11]
	v_fmac_f64_e32 v[130:131], v[86:87], v[28:29]
	v_fma_f64 v[4:5], v[60:61], v[4:5], -v[6:7]
	v_add_f64 v[2:3], v[2:3], v[128:129]
	s_waitcnt vmcnt(6) lgkmcnt(5)
	v_mul_f64 v[134:135], v[92:93], v[38:39]
	v_mul_f64 v[14:15], v[70:71], v[14:15]
	v_fmac_f64_e32 v[132:133], v[90:91], v[32:33]
	v_fma_f64 v[6:7], v[64:65], v[8:9], -v[10:11]
	v_add_f64 v[4:5], v[4:5], 0
	v_add_f64 v[2:3], v[2:3], v[130:131]
	s_waitcnt vmcnt(5) lgkmcnt(4)
	v_mul_f64 v[136:137], v[96:97], v[42:43]
	v_mul_f64 v[18:19], v[74:75], v[18:19]
	v_fmac_f64_e32 v[134:135], v[94:95], v[36:37]
	v_fma_f64 v[8:9], v[68:69], v[12:13], -v[14:15]
	v_add_f64 v[4:5], v[4:5], v[6:7]
	;; [unrolled: 7-line block ×6, first 2 shown]
	v_add_f64 v[2:3], v[2:3], v[140:141]
	v_fmac_f64_e32 v[144:145], v[114:115], v[56:57]
	v_fma_f64 v[18:19], v[88:89], v[32:33], -v[34:35]
	v_add_f64 v[4:5], v[4:5], v[16:17]
	v_add_f64 v[2:3], v[2:3], v[142:143]
	;; [unrolled: 1-line block ×4, first 2 shown]
	v_mul_f64 v[4:5], v[94:95], v[38:39]
	v_fma_f64 v[4:5], v[92:93], v[36:37], -v[4:5]
	v_add_f64 v[2:3], v[2:3], v[4:5]
	v_mul_f64 v[4:5], v[98:99], v[42:43]
	v_fma_f64 v[4:5], v[96:97], v[40:41], -v[4:5]
	v_add_f64 v[2:3], v[2:3], v[4:5]
	;; [unrolled: 3-line block ×6, first 2 shown]
	s_waitcnt vmcnt(0)
	v_add_f64 v[2:3], v[116:117], -v[2:3]
	v_add_f64 v[4:5], v[118:119], -v[6:7]
	scratch_store_dwordx4 off, v[2:5], off offset:416
	s_and_saveexec_b64 s[0:1], vcc
	s_cbranch_execz .LBB103_205
; %bb.204:
	scratch_load_dwordx4 v[2:5], off, s31
	v_mov_b32_e32 v6, 0
	v_mov_b32_e32 v7, v6
	;; [unrolled: 1-line block ×4, first 2 shown]
	scratch_store_dwordx4 off, v[6:9], off offset:400
	s_waitcnt vmcnt(1)
	ds_write_b128 v1, v[2:5]
.LBB103_205:
	s_or_b64 exec, exec, s[0:1]
	s_waitcnt lgkmcnt(0)
	; wave barrier
	scratch_load_dwordx4 v[4:7], off, off offset:416
	scratch_load_dwordx4 v[8:11], off, off offset:432
	;; [unrolled: 1-line block ×16, first 2 shown]
	v_mov_b32_e32 v2, 0
	ds_read_b128 v[68:71], v2 offset:1040
	ds_read_b128 v[72:75], v2 offset:1056
	;; [unrolled: 1-line block ×15, first 2 shown]
	v_cmp_lt_u32_e32 vcc, 23, v0
	s_waitcnt vmcnt(15) lgkmcnt(14)
	v_mul_f64 v[128:129], v[68:69], v[6:7]
	v_mul_f64 v[6:7], v[70:71], v[6:7]
	s_waitcnt vmcnt(14) lgkmcnt(13)
	v_mul_f64 v[130:131], v[72:73], v[10:11]
	v_mul_f64 v[10:11], v[74:75], v[10:11]
	v_fmac_f64_e32 v[128:129], v[70:71], v[4:5]
	v_fma_f64 v[4:5], v[68:69], v[4:5], -v[6:7]
	s_waitcnt vmcnt(13) lgkmcnt(12)
	v_mul_f64 v[132:133], v[76:77], v[14:15]
	v_mul_f64 v[14:15], v[78:79], v[14:15]
	v_fma_f64 v[6:7], v[72:73], v[8:9], -v[10:11]
	v_add_f64 v[4:5], v[4:5], 0
	s_waitcnt vmcnt(12) lgkmcnt(11)
	v_mul_f64 v[134:135], v[80:81], v[18:19]
	v_mul_f64 v[18:19], v[82:83], v[18:19]
	v_fmac_f64_e32 v[130:131], v[74:75], v[8:9]
	v_fma_f64 v[8:9], v[76:77], v[12:13], -v[14:15]
	v_add_f64 v[4:5], v[4:5], v[6:7]
	s_waitcnt vmcnt(11) lgkmcnt(10)
	v_mul_f64 v[136:137], v[84:85], v[22:23]
	v_mul_f64 v[22:23], v[86:87], v[22:23]
	v_fma_f64 v[10:11], v[80:81], v[16:17], -v[18:19]
	v_add_f64 v[4:5], v[4:5], v[8:9]
	s_waitcnt vmcnt(10) lgkmcnt(9)
	v_mul_f64 v[138:139], v[88:89], v[26:27]
	v_mul_f64 v[26:27], v[90:91], v[26:27]
	v_fmac_f64_e32 v[132:133], v[78:79], v[12:13]
	v_fma_f64 v[12:13], v[84:85], v[20:21], -v[22:23]
	v_add_f64 v[4:5], v[4:5], v[10:11]
	v_fma_f64 v[14:15], v[88:89], v[24:25], -v[26:27]
	v_add_f64 v[4:5], v[4:5], v[12:13]
	s_waitcnt vmcnt(9) lgkmcnt(8)
	v_mul_f64 v[8:9], v[94:95], v[30:31]
	v_add_f64 v[4:5], v[4:5], v[14:15]
	v_fma_f64 v[8:9], v[92:93], v[28:29], -v[8:9]
	v_add_f64 v[4:5], v[4:5], v[8:9]
	s_waitcnt vmcnt(8) lgkmcnt(7)
	v_mul_f64 v[8:9], v[98:99], v[34:35]
	v_fma_f64 v[8:9], v[96:97], v[32:33], -v[8:9]
	v_fmac_f64_e32 v[134:135], v[82:83], v[16:17]
	v_add_f64 v[16:17], v[128:129], 0
	v_add_f64 v[4:5], v[4:5], v[8:9]
	s_waitcnt vmcnt(7) lgkmcnt(6)
	v_mul_f64 v[8:9], v[102:103], v[38:39]
	v_add_f64 v[16:17], v[16:17], v[130:131]
	v_fma_f64 v[8:9], v[100:101], v[36:37], -v[8:9]
	v_add_f64 v[6:7], v[16:17], v[132:133]
	v_add_f64 v[4:5], v[4:5], v[8:9]
	s_waitcnt vmcnt(6) lgkmcnt(5)
	v_mul_f64 v[8:9], v[106:107], v[42:43]
	v_fmac_f64_e32 v[136:137], v[86:87], v[20:21]
	v_add_f64 v[6:7], v[6:7], v[134:135]
	v_fma_f64 v[8:9], v[104:105], v[40:41], -v[8:9]
	v_mul_f64 v[140:141], v[92:93], v[30:31]
	v_fmac_f64_e32 v[138:139], v[90:91], v[24:25]
	v_add_f64 v[6:7], v[6:7], v[136:137]
	v_add_f64 v[4:5], v[4:5], v[8:9]
	s_waitcnt vmcnt(5) lgkmcnt(4)
	v_mul_f64 v[8:9], v[110:111], v[46:47]
	v_mul_f64 v[142:143], v[96:97], v[34:35]
	v_fmac_f64_e32 v[140:141], v[94:95], v[28:29]
	v_add_f64 v[6:7], v[6:7], v[138:139]
	v_fma_f64 v[8:9], v[108:109], v[44:45], -v[8:9]
	v_mul_f64 v[144:145], v[100:101], v[38:39]
	v_fmac_f64_e32 v[142:143], v[98:99], v[32:33]
	v_add_f64 v[6:7], v[6:7], v[140:141]
	v_add_f64 v[4:5], v[4:5], v[8:9]
	s_waitcnt vmcnt(4) lgkmcnt(3)
	v_mul_f64 v[8:9], v[114:115], v[50:51]
	v_mul_f64 v[146:147], v[104:105], v[42:43]
	v_fmac_f64_e32 v[144:145], v[102:103], v[36:37]
	v_add_f64 v[6:7], v[6:7], v[142:143]
	v_fma_f64 v[8:9], v[112:113], v[48:49], -v[8:9]
	v_mul_f64 v[148:149], v[108:109], v[46:47]
	v_fmac_f64_e32 v[146:147], v[106:107], v[40:41]
	v_add_f64 v[6:7], v[6:7], v[144:145]
	v_add_f64 v[4:5], v[4:5], v[8:9]
	s_waitcnt vmcnt(3) lgkmcnt(2)
	v_mul_f64 v[8:9], v[118:119], v[54:55]
	v_mul_f64 v[150:151], v[112:113], v[50:51]
	v_fmac_f64_e32 v[148:149], v[110:111], v[44:45]
	v_add_f64 v[6:7], v[6:7], v[146:147]
	v_fma_f64 v[8:9], v[116:117], v[52:53], -v[8:9]
	v_mul_f64 v[152:153], v[116:117], v[54:55]
	v_fmac_f64_e32 v[150:151], v[114:115], v[48:49]
	v_add_f64 v[6:7], v[6:7], v[148:149]
	v_add_f64 v[4:5], v[4:5], v[8:9]
	s_waitcnt vmcnt(2) lgkmcnt(1)
	v_mul_f64 v[8:9], v[122:123], v[58:59]
	v_mul_f64 v[154:155], v[120:121], v[58:59]
	v_fmac_f64_e32 v[152:153], v[118:119], v[52:53]
	v_add_f64 v[6:7], v[6:7], v[150:151]
	v_fma_f64 v[8:9], v[120:121], v[56:57], -v[8:9]
	s_waitcnt vmcnt(1) lgkmcnt(0)
	v_mul_f64 v[156:157], v[124:125], v[62:63]
	v_fmac_f64_e32 v[154:155], v[122:123], v[56:57]
	v_add_f64 v[6:7], v[6:7], v[152:153]
	v_add_f64 v[4:5], v[4:5], v[8:9]
	v_mul_f64 v[8:9], v[126:127], v[62:63]
	v_fmac_f64_e32 v[156:157], v[126:127], v[60:61]
	v_add_f64 v[6:7], v[6:7], v[154:155]
	v_fma_f64 v[8:9], v[124:125], v[60:61], -v[8:9]
	v_add_f64 v[6:7], v[6:7], v[156:157]
	v_add_f64 v[4:5], v[4:5], v[8:9]
	s_waitcnt vmcnt(0)
	v_add_f64 v[4:5], v[64:65], -v[4:5]
	v_add_f64 v[6:7], v[66:67], -v[6:7]
	scratch_store_dwordx4 off, v[4:7], off offset:400
	s_and_saveexec_b64 s[0:1], vcc
	s_cbranch_execz .LBB103_207
; %bb.206:
	scratch_load_dwordx4 v[6:9], off, s33
	v_mov_b32_e32 v3, v2
	v_mov_b32_e32 v4, v2
	;; [unrolled: 1-line block ×3, first 2 shown]
	scratch_store_dwordx4 off, v[2:5], off offset:384
	s_waitcnt vmcnt(1)
	ds_write_b128 v1, v[6:9]
.LBB103_207:
	s_or_b64 exec, exec, s[0:1]
	s_waitcnt lgkmcnt(0)
	; wave barrier
	scratch_load_dwordx4 v[4:7], off, off offset:400
	scratch_load_dwordx4 v[8:11], off, off offset:416
	;; [unrolled: 1-line block ×16, first 2 shown]
	ds_read_b128 v[68:71], v2 offset:1024
	ds_read_b128 v[72:75], v2 offset:1040
	;; [unrolled: 1-line block ×16, first 2 shown]
	scratch_load_dwordx4 v[132:135], off, off offset:384
	v_cmp_lt_u32_e32 vcc, 22, v0
	s_waitcnt vmcnt(16) lgkmcnt(14)
	v_mul_f64 v[2:3], v[68:69], v[6:7]
	s_waitcnt vmcnt(15)
	v_mul_f64 v[136:137], v[72:73], v[10:11]
	v_fmac_f64_e32 v[2:3], v[70:71], v[4:5]
	s_waitcnt vmcnt(14) lgkmcnt(13)
	v_mul_f64 v[138:139], v[76:77], v[14:15]
	v_fmac_f64_e32 v[136:137], v[74:75], v[8:9]
	v_add_f64 v[2:3], v[2:3], 0
	s_waitcnt vmcnt(13) lgkmcnt(12)
	v_mul_f64 v[140:141], v[80:81], v[18:19]
	v_fmac_f64_e32 v[138:139], v[78:79], v[12:13]
	v_add_f64 v[2:3], v[2:3], v[136:137]
	;; [unrolled: 4-line block ×10, first 2 shown]
	s_waitcnt vmcnt(4) lgkmcnt(3)
	v_mul_f64 v[158:159], v[116:117], v[54:55]
	v_mul_f64 v[6:7], v[70:71], v[6:7]
	v_fmac_f64_e32 v[156:157], v[114:115], v[48:49]
	v_add_f64 v[2:3], v[2:3], v[154:155]
	s_waitcnt vmcnt(3) lgkmcnt(2)
	v_mul_f64 v[160:161], v[120:121], v[58:59]
	v_mul_f64 v[10:11], v[74:75], v[10:11]
	v_fmac_f64_e32 v[158:159], v[118:119], v[52:53]
	v_fma_f64 v[4:5], v[68:69], v[4:5], -v[6:7]
	v_add_f64 v[2:3], v[2:3], v[156:157]
	s_waitcnt vmcnt(2) lgkmcnt(1)
	v_mul_f64 v[162:163], v[124:125], v[62:63]
	v_mul_f64 v[14:15], v[78:79], v[14:15]
	v_fmac_f64_e32 v[160:161], v[122:123], v[56:57]
	v_fma_f64 v[6:7], v[72:73], v[8:9], -v[10:11]
	v_add_f64 v[4:5], v[4:5], 0
	v_add_f64 v[2:3], v[2:3], v[158:159]
	s_waitcnt vmcnt(1) lgkmcnt(0)
	v_mul_f64 v[164:165], v[128:129], v[66:67]
	v_mul_f64 v[18:19], v[82:83], v[18:19]
	v_fmac_f64_e32 v[162:163], v[126:127], v[60:61]
	v_fma_f64 v[8:9], v[76:77], v[12:13], -v[14:15]
	v_add_f64 v[4:5], v[4:5], v[6:7]
	v_add_f64 v[2:3], v[2:3], v[160:161]
	v_mul_f64 v[26:27], v[86:87], v[26:27]
	v_fmac_f64_e32 v[164:165], v[130:131], v[64:65]
	v_fma_f64 v[10:11], v[80:81], v[16:17], -v[18:19]
	v_add_f64 v[4:5], v[4:5], v[8:9]
	v_add_f64 v[2:3], v[2:3], v[162:163]
	v_fma_f64 v[12:13], v[84:85], v[24:25], -v[26:27]
	v_add_f64 v[4:5], v[4:5], v[10:11]
	v_add_f64 v[6:7], v[2:3], v[164:165]
	v_mul_f64 v[2:3], v[90:91], v[22:23]
	v_add_f64 v[4:5], v[4:5], v[12:13]
	v_fma_f64 v[2:3], v[88:89], v[20:21], -v[2:3]
	v_add_f64 v[2:3], v[4:5], v[2:3]
	v_mul_f64 v[4:5], v[94:95], v[30:31]
	v_fma_f64 v[4:5], v[92:93], v[28:29], -v[4:5]
	v_add_f64 v[2:3], v[2:3], v[4:5]
	v_mul_f64 v[4:5], v[98:99], v[34:35]
	;; [unrolled: 3-line block ×10, first 2 shown]
	v_fma_f64 v[4:5], v[128:129], v[64:65], -v[4:5]
	v_add_f64 v[2:3], v[2:3], v[4:5]
	s_waitcnt vmcnt(0)
	v_add_f64 v[2:3], v[132:133], -v[2:3]
	v_add_f64 v[4:5], v[134:135], -v[6:7]
	scratch_store_dwordx4 off, v[2:5], off offset:384
	s_and_saveexec_b64 s[0:1], vcc
	s_cbranch_execz .LBB103_209
; %bb.208:
	scratch_load_dwordx4 v[2:5], off, s34
	v_mov_b32_e32 v6, 0
	v_mov_b32_e32 v7, v6
	;; [unrolled: 1-line block ×4, first 2 shown]
	scratch_store_dwordx4 off, v[6:9], off offset:368
	s_waitcnt vmcnt(1)
	ds_write_b128 v1, v[2:5]
.LBB103_209:
	s_or_b64 exec, exec, s[0:1]
	v_mov_b32_e32 v2, 0
	s_waitcnt lgkmcnt(0)
	; wave barrier
	ds_read_b128 v[16:19], v2 offset:1008
	ds_read_b128 v[12:15], v2 offset:1024
	;; [unrolled: 1-line block ×4, first 2 shown]
	scratch_load_dwordx4 v[20:23], off, off offset:384
	scratch_load_dwordx4 v[40:43], off, off offset:448
	;; [unrolled: 1-line block ×11, first 2 shown]
	v_cmp_lt_u32_e32 vcc, 21, v0
	scratch_load_dwordx4 v[48:51], off, off offset:464
	scratch_load_dwordx4 v[56:59], off, off offset:480
	;; [unrolled: 1-line block ×3, first 2 shown]
	s_waitcnt vmcnt(13) lgkmcnt(3)
	v_mul_f64 v[24:25], v[16:17], v[22:23]
	v_fmac_f64_e32 v[24:25], v[18:19], v[20:21]
	v_add_f64 v[28:29], v[24:25], 0
	scratch_load_dwordx4 v[24:27], off, off offset:400
	v_mul_f64 v[18:19], v[18:19], v[22:23]
	v_fma_f64 v[16:17], v[16:17], v[20:21], -v[18:19]
	v_add_f64 v[16:17], v[16:17], 0
	s_waitcnt vmcnt(0) lgkmcnt(2)
	v_mul_f64 v[30:31], v[12:13], v[26:27]
	v_fmac_f64_e32 v[30:31], v[14:15], v[24:25]
	v_add_f64 v[32:33], v[28:29], v[30:31]
	scratch_load_dwordx4 v[28:31], off, off offset:416
	v_mul_f64 v[14:15], v[14:15], v[26:27]
	v_fma_f64 v[12:13], v[12:13], v[24:25], -v[14:15]
	v_add_f64 v[12:13], v[16:17], v[12:13]
	;; [unrolled: 8-line block ×3, first 2 shown]
	s_waitcnt vmcnt(0) lgkmcnt(0)
	v_mul_f64 v[38:39], v[4:5], v[34:35]
	v_fmac_f64_e32 v[38:39], v[6:7], v[32:33]
	v_add_f64 v[44:45], v[36:37], v[38:39]
	ds_read_b128 v[36:39], v2 offset:1072
	v_mul_f64 v[6:7], v[6:7], v[34:35]
	v_fma_f64 v[4:5], v[4:5], v[32:33], -v[6:7]
	v_add_f64 v[4:5], v[8:9], v[4:5]
	s_waitcnt lgkmcnt(0)
	v_mul_f64 v[46:47], v[36:37], v[42:43]
	v_fmac_f64_e32 v[46:47], v[38:39], v[40:41]
	v_add_f64 v[52:53], v[44:45], v[46:47]
	ds_read_b128 v[44:47], v2 offset:1088
	v_mul_f64 v[6:7], v[38:39], v[42:43]
	v_fma_f64 v[6:7], v[36:37], v[40:41], -v[6:7]
	v_add_f64 v[4:5], v[4:5], v[6:7]
	s_waitcnt lgkmcnt(0)
	;; [unrolled: 8-line block ×13, first 2 shown]
	v_mul_f64 v[6:7], v[136:137], v[140:141]
	v_fma_f64 v[6:7], v[134:135], v[138:139], -v[6:7]
	v_add_f64 v[8:9], v[4:5], v[6:7]
	scratch_load_dwordx4 v[4:7], off, off offset:368
	v_mul_f64 v[142:143], v[134:135], v[140:141]
	v_fmac_f64_e32 v[142:143], v[136:137], v[138:139]
	v_add_f64 v[72:73], v[72:73], v[142:143]
	s_waitcnt vmcnt(0)
	v_add_f64 v[4:5], v[4:5], -v[8:9]
	v_add_f64 v[6:7], v[6:7], -v[72:73]
	scratch_store_dwordx4 off, v[4:7], off offset:368
	s_and_saveexec_b64 s[0:1], vcc
	s_cbranch_execz .LBB103_211
; %bb.210:
	scratch_load_dwordx4 v[6:9], off, s35
	v_mov_b32_e32 v3, v2
	v_mov_b32_e32 v4, v2
	;; [unrolled: 1-line block ×3, first 2 shown]
	scratch_store_dwordx4 off, v[2:5], off offset:352
	s_waitcnt vmcnt(1)
	ds_write_b128 v1, v[6:9]
.LBB103_211:
	s_or_b64 exec, exec, s[0:1]
	s_waitcnt lgkmcnt(0)
	; wave barrier
	ds_read_b128 v[16:19], v2 offset:992
	ds_read_b128 v[12:15], v2 offset:1008
	;; [unrolled: 1-line block ×4, first 2 shown]
	scratch_load_dwordx4 v[20:23], off, off offset:368
	scratch_load_dwordx4 v[40:43], off, off offset:432
	scratch_load_dwordx4 v[72:75], off, off offset:496
	scratch_load_dwordx4 v[82:85], off, off offset:512
	scratch_load_dwordx4 v[90:93], off, off offset:528
	scratch_load_dwordx4 v[98:101], off, off offset:544
	scratch_load_dwordx4 v[106:109], off, off offset:560
	scratch_load_dwordx4 v[114:117], off, off offset:576
	scratch_load_dwordx4 v[122:125], off, off offset:592
	scratch_load_dwordx4 v[130:133], off, off offset:608
	scratch_load_dwordx4 v[138:141], off, off offset:624
	scratch_load_dwordx4 v[146:149], off, off offset:640
	v_cmp_lt_u32_e32 vcc, 20, v0
	scratch_load_dwordx4 v[48:51], off, off offset:448
	scratch_load_dwordx4 v[56:59], off, off offset:464
	;; [unrolled: 1-line block ×3, first 2 shown]
	s_waitcnt vmcnt(14) lgkmcnt(3)
	v_mul_f64 v[24:25], v[16:17], v[22:23]
	v_fmac_f64_e32 v[24:25], v[18:19], v[20:21]
	v_add_f64 v[28:29], v[24:25], 0
	scratch_load_dwordx4 v[24:27], off, off offset:384
	s_waitcnt vmcnt(0) lgkmcnt(2)
	v_mul_f64 v[30:31], v[12:13], v[26:27]
	v_fmac_f64_e32 v[30:31], v[14:15], v[24:25]
	v_add_f64 v[32:33], v[28:29], v[30:31]
	scratch_load_dwordx4 v[28:31], off, off offset:400
	v_mul_f64 v[14:15], v[14:15], v[26:27]
	v_fma_f64 v[12:13], v[12:13], v[24:25], -v[14:15]
	s_waitcnt vmcnt(0) lgkmcnt(1)
	v_mul_f64 v[34:35], v[8:9], v[30:31]
	v_fmac_f64_e32 v[34:35], v[10:11], v[28:29]
	v_add_f64 v[36:37], v[32:33], v[34:35]
	scratch_load_dwordx4 v[32:35], off, off offset:416
	v_mul_f64 v[10:11], v[10:11], v[30:31]
	v_fma_f64 v[8:9], v[8:9], v[28:29], -v[10:11]
	s_waitcnt vmcnt(0) lgkmcnt(0)
	v_mul_f64 v[38:39], v[4:5], v[34:35]
	v_fmac_f64_e32 v[38:39], v[6:7], v[32:33]
	v_add_f64 v[44:45], v[36:37], v[38:39]
	ds_read_b128 v[36:39], v2 offset:1056
	v_mul_f64 v[6:7], v[6:7], v[34:35]
	v_fma_f64 v[4:5], v[4:5], v[32:33], -v[6:7]
	s_waitcnt lgkmcnt(0)
	v_mul_f64 v[46:47], v[36:37], v[42:43]
	v_fmac_f64_e32 v[46:47], v[38:39], v[40:41]
	v_add_f64 v[52:53], v[44:45], v[46:47]
	ds_read_b128 v[44:47], v2 offset:1072
	s_waitcnt lgkmcnt(0)
	v_mul_f64 v[54:55], v[44:45], v[50:51]
	v_fmac_f64_e32 v[54:55], v[46:47], v[48:49]
	v_add_f64 v[60:61], v[52:53], v[54:55]
	ds_read_b128 v[52:55], v2 offset:1088
	;; [unrolled: 5-line block ×13, first 2 shown]
	s_waitcnt lgkmcnt(0)
	v_mul_f64 v[2:3], v[142:143], v[148:149]
	v_fmac_f64_e32 v[2:3], v[144:145], v[146:147]
	v_add_f64 v[80:81], v[80:81], v[2:3]
	v_mul_f64 v[2:3], v[18:19], v[22:23]
	v_fma_f64 v[2:3], v[16:17], v[20:21], -v[2:3]
	v_add_f64 v[2:3], v[2:3], 0
	v_add_f64 v[2:3], v[2:3], v[12:13]
	;; [unrolled: 1-line block ×4, first 2 shown]
	v_mul_f64 v[4:5], v[38:39], v[42:43]
	v_fma_f64 v[4:5], v[36:37], v[40:41], -v[4:5]
	v_add_f64 v[2:3], v[2:3], v[4:5]
	v_mul_f64 v[4:5], v[46:47], v[50:51]
	v_fma_f64 v[4:5], v[44:45], v[48:49], -v[4:5]
	v_add_f64 v[2:3], v[2:3], v[4:5]
	;; [unrolled: 3-line block ×14, first 2 shown]
	scratch_load_dwordx4 v[2:5], off, off offset:352
	s_waitcnt vmcnt(0)
	v_add_f64 v[2:3], v[2:3], -v[6:7]
	v_add_f64 v[4:5], v[4:5], -v[80:81]
	scratch_store_dwordx4 off, v[2:5], off offset:352
	s_and_saveexec_b64 s[0:1], vcc
	s_cbranch_execz .LBB103_213
; %bb.212:
	scratch_load_dwordx4 v[2:5], off, s36
	v_mov_b32_e32 v6, 0
	v_mov_b32_e32 v7, v6
	;; [unrolled: 1-line block ×4, first 2 shown]
	scratch_store_dwordx4 off, v[6:9], off offset:336
	s_waitcnt vmcnt(1)
	ds_write_b128 v1, v[2:5]
.LBB103_213:
	s_or_b64 exec, exec, s[0:1]
	v_mov_b32_e32 v2, 0
	s_waitcnt lgkmcnt(0)
	; wave barrier
	ds_read_b128 v[16:19], v2 offset:976
	ds_read_b128 v[12:15], v2 offset:992
	;; [unrolled: 1-line block ×4, first 2 shown]
	scratch_load_dwordx4 v[20:23], off, off offset:352
	scratch_load_dwordx4 v[40:43], off, off offset:416
	;; [unrolled: 1-line block ×13, first 2 shown]
	v_cmp_lt_u32_e32 vcc, 19, v0
	scratch_load_dwordx4 v[48:51], off, off offset:432
	scratch_load_dwordx4 v[56:59], off, off offset:448
	;; [unrolled: 1-line block ×3, first 2 shown]
	s_waitcnt vmcnt(15) lgkmcnt(3)
	v_mul_f64 v[24:25], v[16:17], v[22:23]
	v_fmac_f64_e32 v[24:25], v[18:19], v[20:21]
	v_add_f64 v[28:29], v[24:25], 0
	scratch_load_dwordx4 v[24:27], off, off offset:368
	v_mul_f64 v[18:19], v[18:19], v[22:23]
	v_fma_f64 v[16:17], v[16:17], v[20:21], -v[18:19]
	v_add_f64 v[16:17], v[16:17], 0
	s_waitcnt vmcnt(0) lgkmcnt(2)
	v_mul_f64 v[30:31], v[12:13], v[26:27]
	v_fmac_f64_e32 v[30:31], v[14:15], v[24:25]
	v_add_f64 v[32:33], v[28:29], v[30:31]
	scratch_load_dwordx4 v[28:31], off, off offset:384
	v_mul_f64 v[14:15], v[14:15], v[26:27]
	v_fma_f64 v[12:13], v[12:13], v[24:25], -v[14:15]
	v_add_f64 v[12:13], v[16:17], v[12:13]
	;; [unrolled: 8-line block ×3, first 2 shown]
	s_waitcnt vmcnt(0) lgkmcnt(0)
	v_mul_f64 v[38:39], v[4:5], v[34:35]
	v_fmac_f64_e32 v[38:39], v[6:7], v[32:33]
	v_add_f64 v[44:45], v[36:37], v[38:39]
	ds_read_b128 v[36:39], v2 offset:1040
	v_mul_f64 v[6:7], v[6:7], v[34:35]
	v_fma_f64 v[4:5], v[4:5], v[32:33], -v[6:7]
	v_add_f64 v[4:5], v[8:9], v[4:5]
	s_waitcnt lgkmcnt(0)
	v_mul_f64 v[46:47], v[36:37], v[42:43]
	v_fmac_f64_e32 v[46:47], v[38:39], v[40:41]
	v_add_f64 v[52:53], v[44:45], v[46:47]
	ds_read_b128 v[44:47], v2 offset:1056
	v_mul_f64 v[6:7], v[38:39], v[42:43]
	v_fma_f64 v[6:7], v[36:37], v[40:41], -v[6:7]
	v_add_f64 v[4:5], v[4:5], v[6:7]
	s_waitcnt lgkmcnt(0)
	v_mul_f64 v[54:55], v[44:45], v[50:51]
	v_fmac_f64_e32 v[54:55], v[46:47], v[48:49]
	v_add_f64 v[60:61], v[52:53], v[54:55]
	ds_read_b128 v[52:55], v2 offset:1072
	v_mul_f64 v[6:7], v[46:47], v[50:51]
	v_fma_f64 v[6:7], v[44:45], v[48:49], -v[6:7]
	v_add_f64 v[4:5], v[4:5], v[6:7]
	s_waitcnt lgkmcnt(0)
	v_mul_f64 v[62:63], v[52:53], v[58:59]
	v_fmac_f64_e32 v[62:63], v[54:55], v[56:57]
	v_add_f64 v[68:69], v[60:61], v[62:63]
	ds_read_b128 v[60:63], v2 offset:1088
	v_mul_f64 v[6:7], v[54:55], v[58:59]
	v_fma_f64 v[6:7], v[52:53], v[56:57], -v[6:7]
	v_add_f64 v[4:5], v[4:5], v[6:7]
	s_waitcnt lgkmcnt(0)
	v_mul_f64 v[70:71], v[60:61], v[66:67]
	v_fmac_f64_e32 v[70:71], v[62:63], v[64:65]
	v_add_f64 v[76:77], v[68:69], v[70:71]
	ds_read_b128 v[68:71], v2 offset:1104
	v_mul_f64 v[6:7], v[62:63], v[66:67]
	v_fma_f64 v[6:7], v[60:61], v[64:65], -v[6:7]
	v_add_f64 v[4:5], v[4:5], v[6:7]
	s_waitcnt lgkmcnt(0)
	v_mul_f64 v[78:79], v[68:69], v[74:75]
	v_fmac_f64_e32 v[78:79], v[70:71], v[72:73]
	v_add_f64 v[84:85], v[76:77], v[78:79]
	ds_read_b128 v[76:79], v2 offset:1120
	v_mul_f64 v[6:7], v[70:71], v[74:75]
	v_fma_f64 v[6:7], v[68:69], v[72:73], -v[6:7]
	v_add_f64 v[4:5], v[4:5], v[6:7]
	s_waitcnt lgkmcnt(0)
	v_mul_f64 v[86:87], v[76:77], v[82:83]
	v_fmac_f64_e32 v[86:87], v[78:79], v[80:81]
	v_add_f64 v[88:89], v[84:85], v[86:87]
	ds_read_b128 v[84:87], v2 offset:1136
	v_mul_f64 v[6:7], v[78:79], v[82:83]
	v_fma_f64 v[6:7], v[76:77], v[80:81], -v[6:7]
	v_add_f64 v[4:5], v[4:5], v[6:7]
	s_waitcnt lgkmcnt(0)
	v_mul_f64 v[94:95], v[84:85], v[92:93]
	v_fmac_f64_e32 v[94:95], v[86:87], v[90:91]
	v_add_f64 v[88:89], v[88:89], v[94:95]
	ds_read_b128 v[94:97], v2 offset:1152
	v_mul_f64 v[6:7], v[86:87], v[92:93]
	v_fma_f64 v[6:7], v[84:85], v[90:91], -v[6:7]
	v_add_f64 v[4:5], v[4:5], v[6:7]
	s_waitcnt lgkmcnt(0)
	v_mul_f64 v[102:103], v[94:95], v[100:101]
	v_fmac_f64_e32 v[102:103], v[96:97], v[98:99]
	v_add_f64 v[88:89], v[88:89], v[102:103]
	ds_read_b128 v[102:105], v2 offset:1168
	v_mul_f64 v[6:7], v[96:97], v[100:101]
	v_fma_f64 v[6:7], v[94:95], v[98:99], -v[6:7]
	v_add_f64 v[4:5], v[4:5], v[6:7]
	s_waitcnt lgkmcnt(0)
	v_mul_f64 v[110:111], v[102:103], v[108:109]
	v_fmac_f64_e32 v[110:111], v[104:105], v[106:107]
	v_add_f64 v[88:89], v[88:89], v[110:111]
	ds_read_b128 v[110:113], v2 offset:1184
	v_mul_f64 v[6:7], v[104:105], v[108:109]
	v_fma_f64 v[6:7], v[102:103], v[106:107], -v[6:7]
	v_add_f64 v[4:5], v[4:5], v[6:7]
	s_waitcnt lgkmcnt(0)
	v_mul_f64 v[118:119], v[110:111], v[116:117]
	v_fmac_f64_e32 v[118:119], v[112:113], v[114:115]
	v_add_f64 v[88:89], v[88:89], v[118:119]
	ds_read_b128 v[118:121], v2 offset:1200
	v_mul_f64 v[6:7], v[112:113], v[116:117]
	v_fma_f64 v[6:7], v[110:111], v[114:115], -v[6:7]
	v_add_f64 v[4:5], v[4:5], v[6:7]
	s_waitcnt lgkmcnt(0)
	v_mul_f64 v[126:127], v[118:119], v[124:125]
	v_fmac_f64_e32 v[126:127], v[120:121], v[122:123]
	v_add_f64 v[88:89], v[88:89], v[126:127]
	ds_read_b128 v[126:129], v2 offset:1216
	v_mul_f64 v[6:7], v[120:121], v[124:125]
	v_fma_f64 v[6:7], v[118:119], v[122:123], -v[6:7]
	v_add_f64 v[4:5], v[4:5], v[6:7]
	s_waitcnt lgkmcnt(0)
	v_mul_f64 v[134:135], v[126:127], v[132:133]
	v_fmac_f64_e32 v[134:135], v[128:129], v[130:131]
	v_add_f64 v[88:89], v[88:89], v[134:135]
	ds_read_b128 v[134:137], v2 offset:1232
	v_mul_f64 v[6:7], v[128:129], v[132:133]
	v_fma_f64 v[6:7], v[126:127], v[130:131], -v[6:7]
	v_add_f64 v[4:5], v[4:5], v[6:7]
	s_waitcnt lgkmcnt(0)
	v_mul_f64 v[142:143], v[134:135], v[140:141]
	v_fmac_f64_e32 v[142:143], v[136:137], v[138:139]
	v_add_f64 v[88:89], v[88:89], v[142:143]
	ds_read_b128 v[142:145], v2 offset:1248
	v_mul_f64 v[6:7], v[136:137], v[140:141]
	v_fma_f64 v[6:7], v[134:135], v[138:139], -v[6:7]
	v_add_f64 v[4:5], v[4:5], v[6:7]
	s_waitcnt lgkmcnt(0)
	v_mul_f64 v[150:151], v[142:143], v[148:149]
	v_fmac_f64_e32 v[150:151], v[144:145], v[146:147]
	v_add_f64 v[88:89], v[88:89], v[150:151]
	ds_read_b128 v[150:153], v2 offset:1264
	v_mul_f64 v[6:7], v[144:145], v[148:149]
	v_fma_f64 v[6:7], v[142:143], v[146:147], -v[6:7]
	v_add_f64 v[4:5], v[4:5], v[6:7]
	s_waitcnt lgkmcnt(0)
	v_mul_f64 v[6:7], v[152:153], v[156:157]
	v_fma_f64 v[6:7], v[150:151], v[154:155], -v[6:7]
	v_add_f64 v[8:9], v[4:5], v[6:7]
	scratch_load_dwordx4 v[4:7], off, off offset:336
	v_mul_f64 v[158:159], v[150:151], v[156:157]
	v_fmac_f64_e32 v[158:159], v[152:153], v[154:155]
	v_add_f64 v[88:89], v[88:89], v[158:159]
	s_waitcnt vmcnt(0)
	v_add_f64 v[4:5], v[4:5], -v[8:9]
	v_add_f64 v[6:7], v[6:7], -v[88:89]
	scratch_store_dwordx4 off, v[4:7], off offset:336
	s_and_saveexec_b64 s[0:1], vcc
	s_cbranch_execz .LBB103_215
; %bb.214:
	scratch_load_dwordx4 v[6:9], off, s37
	v_mov_b32_e32 v3, v2
	v_mov_b32_e32 v4, v2
	;; [unrolled: 1-line block ×3, first 2 shown]
	scratch_store_dwordx4 off, v[2:5], off offset:320
	s_waitcnt vmcnt(1)
	ds_write_b128 v1, v[6:9]
.LBB103_215:
	s_or_b64 exec, exec, s[0:1]
	s_waitcnt lgkmcnt(0)
	; wave barrier
	ds_read_b128 v[16:19], v2 offset:960
	ds_read_b128 v[12:15], v2 offset:976
	;; [unrolled: 1-line block ×4, first 2 shown]
	scratch_load_dwordx4 v[20:23], off, off offset:336
	scratch_load_dwordx4 v[40:43], off, off offset:400
	;; [unrolled: 1-line block ×14, first 2 shown]
	v_cmp_lt_u32_e32 vcc, 18, v0
	scratch_load_dwordx4 v[48:51], off, off offset:416
	scratch_load_dwordx4 v[56:59], off, off offset:432
	;; [unrolled: 1-line block ×3, first 2 shown]
	s_waitcnt vmcnt(16) lgkmcnt(3)
	v_mul_f64 v[24:25], v[16:17], v[22:23]
	v_fmac_f64_e32 v[24:25], v[18:19], v[20:21]
	v_add_f64 v[28:29], v[24:25], 0
	scratch_load_dwordx4 v[24:27], off, off offset:352
	s_waitcnt vmcnt(0) lgkmcnt(2)
	v_mul_f64 v[30:31], v[12:13], v[26:27]
	v_fmac_f64_e32 v[30:31], v[14:15], v[24:25]
	v_add_f64 v[32:33], v[28:29], v[30:31]
	scratch_load_dwordx4 v[28:31], off, off offset:368
	v_mul_f64 v[14:15], v[14:15], v[26:27]
	v_fma_f64 v[12:13], v[12:13], v[24:25], -v[14:15]
	s_waitcnt vmcnt(0) lgkmcnt(1)
	v_mul_f64 v[34:35], v[8:9], v[30:31]
	v_fmac_f64_e32 v[34:35], v[10:11], v[28:29]
	v_add_f64 v[36:37], v[32:33], v[34:35]
	scratch_load_dwordx4 v[32:35], off, off offset:384
	v_mul_f64 v[10:11], v[10:11], v[30:31]
	v_fma_f64 v[8:9], v[8:9], v[28:29], -v[10:11]
	s_waitcnt vmcnt(0) lgkmcnt(0)
	v_mul_f64 v[38:39], v[4:5], v[34:35]
	v_fmac_f64_e32 v[38:39], v[6:7], v[32:33]
	v_add_f64 v[44:45], v[36:37], v[38:39]
	ds_read_b128 v[36:39], v2 offset:1024
	v_mul_f64 v[6:7], v[6:7], v[34:35]
	v_fma_f64 v[4:5], v[4:5], v[32:33], -v[6:7]
	s_waitcnt lgkmcnt(0)
	v_mul_f64 v[46:47], v[36:37], v[42:43]
	v_fmac_f64_e32 v[46:47], v[38:39], v[40:41]
	v_add_f64 v[52:53], v[44:45], v[46:47]
	ds_read_b128 v[44:47], v2 offset:1040
	s_waitcnt lgkmcnt(0)
	v_mul_f64 v[54:55], v[44:45], v[50:51]
	v_fmac_f64_e32 v[54:55], v[46:47], v[48:49]
	v_add_f64 v[60:61], v[52:53], v[54:55]
	ds_read_b128 v[52:55], v2 offset:1056
	s_waitcnt lgkmcnt(0)
	v_mul_f64 v[62:63], v[52:53], v[58:59]
	v_fmac_f64_e32 v[62:63], v[54:55], v[56:57]
	v_add_f64 v[68:69], v[60:61], v[62:63]
	ds_read_b128 v[60:63], v2 offset:1072
	s_waitcnt lgkmcnt(0)
	v_mul_f64 v[70:71], v[60:61], v[66:67]
	v_fmac_f64_e32 v[70:71], v[62:63], v[64:65]
	v_add_f64 v[76:77], v[68:69], v[70:71]
	ds_read_b128 v[68:71], v2 offset:1088
	s_waitcnt lgkmcnt(0)
	v_mul_f64 v[78:79], v[68:69], v[74:75]
	v_fmac_f64_e32 v[78:79], v[70:71], v[72:73]
	v_add_f64 v[84:85], v[76:77], v[78:79]
	ds_read_b128 v[76:79], v2 offset:1104
	s_waitcnt lgkmcnt(0)
	v_mul_f64 v[86:87], v[76:77], v[82:83]
	v_fmac_f64_e32 v[86:87], v[78:79], v[80:81]
	v_add_f64 v[92:93], v[84:85], v[86:87]
	ds_read_b128 v[84:87], v2 offset:1120
	s_waitcnt lgkmcnt(0)
	v_mul_f64 v[94:95], v[84:85], v[90:91]
	v_fmac_f64_e32 v[94:95], v[86:87], v[88:89]
	v_add_f64 v[96:97], v[92:93], v[94:95]
	ds_read_b128 v[92:95], v2 offset:1136
	s_waitcnt lgkmcnt(0)
	v_mul_f64 v[102:103], v[92:93], v[100:101]
	v_fmac_f64_e32 v[102:103], v[94:95], v[98:99]
	v_add_f64 v[96:97], v[96:97], v[102:103]
	ds_read_b128 v[102:105], v2 offset:1152
	s_waitcnt lgkmcnt(0)
	v_mul_f64 v[110:111], v[102:103], v[108:109]
	v_fmac_f64_e32 v[110:111], v[104:105], v[106:107]
	v_add_f64 v[96:97], v[96:97], v[110:111]
	ds_read_b128 v[110:113], v2 offset:1168
	s_waitcnt lgkmcnt(0)
	v_mul_f64 v[118:119], v[110:111], v[116:117]
	v_fmac_f64_e32 v[118:119], v[112:113], v[114:115]
	v_add_f64 v[96:97], v[96:97], v[118:119]
	ds_read_b128 v[118:121], v2 offset:1184
	s_waitcnt lgkmcnt(0)
	v_mul_f64 v[126:127], v[118:119], v[124:125]
	v_fmac_f64_e32 v[126:127], v[120:121], v[122:123]
	v_add_f64 v[96:97], v[96:97], v[126:127]
	ds_read_b128 v[126:129], v2 offset:1200
	s_waitcnt lgkmcnt(0)
	v_mul_f64 v[134:135], v[126:127], v[132:133]
	v_fmac_f64_e32 v[134:135], v[128:129], v[130:131]
	v_add_f64 v[96:97], v[96:97], v[134:135]
	ds_read_b128 v[134:137], v2 offset:1216
	s_waitcnt lgkmcnt(0)
	v_mul_f64 v[142:143], v[134:135], v[140:141]
	v_fmac_f64_e32 v[142:143], v[136:137], v[138:139]
	v_add_f64 v[96:97], v[96:97], v[142:143]
	ds_read_b128 v[142:145], v2 offset:1232
	s_waitcnt lgkmcnt(0)
	v_mul_f64 v[150:151], v[142:143], v[148:149]
	v_fmac_f64_e32 v[150:151], v[144:145], v[146:147]
	v_add_f64 v[96:97], v[96:97], v[150:151]
	ds_read_b128 v[150:153], v2 offset:1248
	s_waitcnt lgkmcnt(0)
	v_mul_f64 v[158:159], v[150:151], v[156:157]
	v_fmac_f64_e32 v[158:159], v[152:153], v[154:155]
	v_add_f64 v[96:97], v[96:97], v[158:159]
	ds_read_b128 v[158:161], v2 offset:1264
	s_waitcnt lgkmcnt(0)
	v_mul_f64 v[2:3], v[158:159], v[164:165]
	v_fmac_f64_e32 v[2:3], v[160:161], v[162:163]
	v_add_f64 v[96:97], v[96:97], v[2:3]
	v_mul_f64 v[2:3], v[18:19], v[22:23]
	v_fma_f64 v[2:3], v[16:17], v[20:21], -v[2:3]
	v_add_f64 v[2:3], v[2:3], 0
	v_add_f64 v[2:3], v[2:3], v[12:13]
	v_add_f64 v[2:3], v[2:3], v[8:9]
	v_add_f64 v[2:3], v[2:3], v[4:5]
	v_mul_f64 v[4:5], v[38:39], v[42:43]
	v_fma_f64 v[4:5], v[36:37], v[40:41], -v[4:5]
	v_add_f64 v[2:3], v[2:3], v[4:5]
	v_mul_f64 v[4:5], v[46:47], v[50:51]
	v_fma_f64 v[4:5], v[44:45], v[48:49], -v[4:5]
	v_add_f64 v[2:3], v[2:3], v[4:5]
	;; [unrolled: 3-line block ×16, first 2 shown]
	scratch_load_dwordx4 v[2:5], off, off offset:320
	s_waitcnt vmcnt(0)
	v_add_f64 v[2:3], v[2:3], -v[6:7]
	v_add_f64 v[4:5], v[4:5], -v[96:97]
	scratch_store_dwordx4 off, v[2:5], off offset:320
	s_and_saveexec_b64 s[0:1], vcc
	s_cbranch_execz .LBB103_217
; %bb.216:
	scratch_load_dwordx4 v[2:5], off, s38
	v_mov_b32_e32 v6, 0
	v_mov_b32_e32 v7, v6
	;; [unrolled: 1-line block ×4, first 2 shown]
	scratch_store_dwordx4 off, v[6:9], off offset:304
	s_waitcnt vmcnt(1)
	ds_write_b128 v1, v[2:5]
.LBB103_217:
	s_or_b64 exec, exec, s[0:1]
	v_mov_b32_e32 v2, 0
	s_waitcnt lgkmcnt(0)
	; wave barrier
	ds_read_b128 v[16:19], v2 offset:944
	ds_read_b128 v[12:15], v2 offset:960
	;; [unrolled: 1-line block ×4, first 2 shown]
	scratch_load_dwordx4 v[20:23], off, off offset:320
	scratch_load_dwordx4 v[40:43], off, off offset:384
	;; [unrolled: 1-line block ×15, first 2 shown]
	v_cmp_lt_u32_e32 vcc, 17, v0
	scratch_load_dwordx4 v[48:51], off, off offset:400
	scratch_load_dwordx4 v[56:59], off, off offset:416
	;; [unrolled: 1-line block ×3, first 2 shown]
	s_waitcnt vmcnt(17) lgkmcnt(3)
	v_mul_f64 v[24:25], v[16:17], v[22:23]
	v_fmac_f64_e32 v[24:25], v[18:19], v[20:21]
	v_add_f64 v[28:29], v[24:25], 0
	scratch_load_dwordx4 v[24:27], off, off offset:336
	v_mul_f64 v[18:19], v[18:19], v[22:23]
	v_fma_f64 v[16:17], v[16:17], v[20:21], -v[18:19]
	v_add_f64 v[16:17], v[16:17], 0
	s_waitcnt vmcnt(0) lgkmcnt(2)
	v_mul_f64 v[30:31], v[12:13], v[26:27]
	v_fmac_f64_e32 v[30:31], v[14:15], v[24:25]
	v_add_f64 v[32:33], v[28:29], v[30:31]
	scratch_load_dwordx4 v[28:31], off, off offset:352
	v_mul_f64 v[14:15], v[14:15], v[26:27]
	v_fma_f64 v[12:13], v[12:13], v[24:25], -v[14:15]
	v_add_f64 v[12:13], v[16:17], v[12:13]
	;; [unrolled: 8-line block ×3, first 2 shown]
	s_waitcnt vmcnt(0) lgkmcnt(0)
	v_mul_f64 v[38:39], v[4:5], v[34:35]
	v_fmac_f64_e32 v[38:39], v[6:7], v[32:33]
	v_add_f64 v[44:45], v[36:37], v[38:39]
	ds_read_b128 v[36:39], v2 offset:1008
	v_mul_f64 v[6:7], v[6:7], v[34:35]
	v_fma_f64 v[4:5], v[4:5], v[32:33], -v[6:7]
	v_add_f64 v[4:5], v[8:9], v[4:5]
	s_waitcnt lgkmcnt(0)
	v_mul_f64 v[46:47], v[36:37], v[42:43]
	v_fmac_f64_e32 v[46:47], v[38:39], v[40:41]
	v_add_f64 v[52:53], v[44:45], v[46:47]
	ds_read_b128 v[44:47], v2 offset:1024
	v_mul_f64 v[6:7], v[38:39], v[42:43]
	v_fma_f64 v[6:7], v[36:37], v[40:41], -v[6:7]
	v_add_f64 v[4:5], v[4:5], v[6:7]
	s_waitcnt lgkmcnt(0)
	;; [unrolled: 8-line block ×17, first 2 shown]
	v_mul_f64 v[6:7], v[168:169], v[172:173]
	v_fma_f64 v[6:7], v[166:167], v[170:171], -v[6:7]
	v_add_f64 v[8:9], v[4:5], v[6:7]
	scratch_load_dwordx4 v[4:7], off, off offset:304
	v_mul_f64 v[174:175], v[166:167], v[172:173]
	v_fmac_f64_e32 v[174:175], v[168:169], v[170:171]
	v_add_f64 v[104:105], v[104:105], v[174:175]
	s_waitcnt vmcnt(0)
	v_add_f64 v[4:5], v[4:5], -v[8:9]
	v_add_f64 v[6:7], v[6:7], -v[104:105]
	scratch_store_dwordx4 off, v[4:7], off offset:304
	s_and_saveexec_b64 s[0:1], vcc
	s_cbranch_execz .LBB103_219
; %bb.218:
	scratch_load_dwordx4 v[6:9], off, s39
	v_mov_b32_e32 v3, v2
	v_mov_b32_e32 v4, v2
	;; [unrolled: 1-line block ×3, first 2 shown]
	scratch_store_dwordx4 off, v[2:5], off offset:288
	s_waitcnt vmcnt(1)
	ds_write_b128 v1, v[6:9]
.LBB103_219:
	s_or_b64 exec, exec, s[0:1]
	s_waitcnt lgkmcnt(0)
	; wave barrier
	ds_read_b128 v[16:19], v2 offset:928
	ds_read_b128 v[12:15], v2 offset:944
	;; [unrolled: 1-line block ×4, first 2 shown]
	scratch_load_dwordx4 v[20:23], off, off offset:304
	scratch_load_dwordx4 v[40:43], off, off offset:368
	;; [unrolled: 1-line block ×16, first 2 shown]
	v_cmp_lt_u32_e32 vcc, 16, v0
	scratch_load_dwordx4 v[48:51], off, off offset:384
	scratch_load_dwordx4 v[56:59], off, off offset:400
	;; [unrolled: 1-line block ×3, first 2 shown]
	s_waitcnt vmcnt(18) lgkmcnt(3)
	v_mul_f64 v[24:25], v[16:17], v[22:23]
	v_fmac_f64_e32 v[24:25], v[18:19], v[20:21]
	v_add_f64 v[28:29], v[24:25], 0
	scratch_load_dwordx4 v[24:27], off, off offset:320
	s_waitcnt vmcnt(0) lgkmcnt(2)
	v_mul_f64 v[30:31], v[12:13], v[26:27]
	v_fmac_f64_e32 v[30:31], v[14:15], v[24:25]
	v_add_f64 v[32:33], v[28:29], v[30:31]
	scratch_load_dwordx4 v[28:31], off, off offset:336
	v_mul_f64 v[14:15], v[14:15], v[26:27]
	v_fma_f64 v[12:13], v[12:13], v[24:25], -v[14:15]
	s_waitcnt vmcnt(0) lgkmcnt(1)
	v_mul_f64 v[34:35], v[8:9], v[30:31]
	v_fmac_f64_e32 v[34:35], v[10:11], v[28:29]
	v_add_f64 v[36:37], v[32:33], v[34:35]
	scratch_load_dwordx4 v[32:35], off, off offset:352
	v_mul_f64 v[10:11], v[10:11], v[30:31]
	v_fma_f64 v[8:9], v[8:9], v[28:29], -v[10:11]
	s_waitcnt vmcnt(0) lgkmcnt(0)
	v_mul_f64 v[38:39], v[4:5], v[34:35]
	v_fmac_f64_e32 v[38:39], v[6:7], v[32:33]
	v_add_f64 v[44:45], v[36:37], v[38:39]
	ds_read_b128 v[36:39], v2 offset:992
	v_mul_f64 v[6:7], v[6:7], v[34:35]
	v_fma_f64 v[4:5], v[4:5], v[32:33], -v[6:7]
	s_waitcnt lgkmcnt(0)
	v_mul_f64 v[46:47], v[36:37], v[42:43]
	v_fmac_f64_e32 v[46:47], v[38:39], v[40:41]
	v_add_f64 v[52:53], v[44:45], v[46:47]
	ds_read_b128 v[44:47], v2 offset:1008
	s_waitcnt lgkmcnt(0)
	v_mul_f64 v[54:55], v[44:45], v[50:51]
	v_fmac_f64_e32 v[54:55], v[46:47], v[48:49]
	v_add_f64 v[60:61], v[52:53], v[54:55]
	ds_read_b128 v[52:55], v2 offset:1024
	;; [unrolled: 5-line block ×17, first 2 shown]
	s_waitcnt lgkmcnt(0)
	v_mul_f64 v[2:3], v[174:175], v[180:181]
	v_fmac_f64_e32 v[2:3], v[176:177], v[178:179]
	v_add_f64 v[120:121], v[120:121], v[2:3]
	v_mul_f64 v[2:3], v[18:19], v[22:23]
	v_fma_f64 v[2:3], v[16:17], v[20:21], -v[2:3]
	v_add_f64 v[2:3], v[2:3], 0
	v_add_f64 v[2:3], v[2:3], v[12:13]
	;; [unrolled: 1-line block ×4, first 2 shown]
	v_mul_f64 v[4:5], v[38:39], v[42:43]
	v_fma_f64 v[4:5], v[36:37], v[40:41], -v[4:5]
	v_add_f64 v[2:3], v[2:3], v[4:5]
	v_mul_f64 v[4:5], v[46:47], v[50:51]
	v_fma_f64 v[4:5], v[44:45], v[48:49], -v[4:5]
	v_add_f64 v[2:3], v[2:3], v[4:5]
	;; [unrolled: 3-line block ×18, first 2 shown]
	scratch_load_dwordx4 v[2:5], off, off offset:288
	s_waitcnt vmcnt(0)
	v_add_f64 v[2:3], v[2:3], -v[6:7]
	v_add_f64 v[4:5], v[4:5], -v[120:121]
	scratch_store_dwordx4 off, v[2:5], off offset:288
	s_and_saveexec_b64 s[0:1], vcc
	s_cbranch_execz .LBB103_221
; %bb.220:
	scratch_load_dwordx4 v[2:5], off, s40
	v_mov_b32_e32 v6, 0
	v_mov_b32_e32 v7, v6
	v_mov_b32_e32 v8, v6
	v_mov_b32_e32 v9, v6
	scratch_store_dwordx4 off, v[6:9], off offset:272
	s_waitcnt vmcnt(1)
	ds_write_b128 v1, v[2:5]
.LBB103_221:
	s_or_b64 exec, exec, s[0:1]
	v_mov_b32_e32 v2, 0
	s_waitcnt lgkmcnt(0)
	; wave barrier
	ds_read_b128 v[16:19], v2 offset:912
	ds_read_b128 v[12:15], v2 offset:928
	;; [unrolled: 1-line block ×4, first 2 shown]
	scratch_load_dwordx4 v[20:23], off, off offset:288
	scratch_load_dwordx4 v[40:43], off, off offset:352
	;; [unrolled: 1-line block ×17, first 2 shown]
	v_cmp_lt_u32_e32 vcc, 15, v0
	scratch_load_dwordx4 v[48:51], off, off offset:368
	scratch_load_dwordx4 v[56:59], off, off offset:384
	;; [unrolled: 1-line block ×3, first 2 shown]
	s_waitcnt vmcnt(19) lgkmcnt(3)
	v_mul_f64 v[24:25], v[16:17], v[22:23]
	v_fmac_f64_e32 v[24:25], v[18:19], v[20:21]
	v_add_f64 v[28:29], v[24:25], 0
	scratch_load_dwordx4 v[24:27], off, off offset:304
	v_mul_f64 v[18:19], v[18:19], v[22:23]
	v_fma_f64 v[16:17], v[16:17], v[20:21], -v[18:19]
	v_add_f64 v[16:17], v[16:17], 0
	s_waitcnt vmcnt(0) lgkmcnt(2)
	v_mul_f64 v[30:31], v[12:13], v[26:27]
	v_fmac_f64_e32 v[30:31], v[14:15], v[24:25]
	v_add_f64 v[32:33], v[28:29], v[30:31]
	scratch_load_dwordx4 v[28:31], off, off offset:320
	v_mul_f64 v[14:15], v[14:15], v[26:27]
	v_fma_f64 v[12:13], v[12:13], v[24:25], -v[14:15]
	v_add_f64 v[12:13], v[16:17], v[12:13]
	;; [unrolled: 8-line block ×3, first 2 shown]
	s_waitcnt vmcnt(0) lgkmcnt(0)
	v_mul_f64 v[38:39], v[4:5], v[34:35]
	v_fmac_f64_e32 v[38:39], v[6:7], v[32:33]
	v_add_f64 v[44:45], v[36:37], v[38:39]
	ds_read_b128 v[36:39], v2 offset:976
	v_mul_f64 v[6:7], v[6:7], v[34:35]
	v_fma_f64 v[4:5], v[4:5], v[32:33], -v[6:7]
	v_add_f64 v[4:5], v[8:9], v[4:5]
	s_waitcnt lgkmcnt(0)
	v_mul_f64 v[46:47], v[36:37], v[42:43]
	v_fmac_f64_e32 v[46:47], v[38:39], v[40:41]
	v_add_f64 v[52:53], v[44:45], v[46:47]
	ds_read_b128 v[44:47], v2 offset:992
	v_mul_f64 v[6:7], v[38:39], v[42:43]
	v_fma_f64 v[6:7], v[36:37], v[40:41], -v[6:7]
	v_add_f64 v[4:5], v[4:5], v[6:7]
	s_waitcnt lgkmcnt(0)
	;; [unrolled: 8-line block ×19, first 2 shown]
	v_mul_f64 v[6:7], v[184:185], v[188:189]
	v_fma_f64 v[6:7], v[182:183], v[186:187], -v[6:7]
	v_add_f64 v[8:9], v[4:5], v[6:7]
	scratch_load_dwordx4 v[4:7], off, off offset:272
	v_mul_f64 v[190:191], v[182:183], v[188:189]
	v_fmac_f64_e32 v[190:191], v[184:185], v[186:187]
	v_add_f64 v[128:129], v[128:129], v[190:191]
	s_waitcnt vmcnt(0)
	v_add_f64 v[4:5], v[4:5], -v[8:9]
	v_add_f64 v[6:7], v[6:7], -v[128:129]
	scratch_store_dwordx4 off, v[4:7], off offset:272
	s_and_saveexec_b64 s[0:1], vcc
	s_cbranch_execz .LBB103_223
; %bb.222:
	scratch_load_dwordx4 v[6:9], off, s41
	v_mov_b32_e32 v3, v2
	v_mov_b32_e32 v4, v2
	;; [unrolled: 1-line block ×3, first 2 shown]
	scratch_store_dwordx4 off, v[2:5], off offset:256
	s_waitcnt vmcnt(1)
	ds_write_b128 v1, v[6:9]
.LBB103_223:
	s_or_b64 exec, exec, s[0:1]
	s_waitcnt lgkmcnt(0)
	; wave barrier
	ds_read_b128 v[16:19], v2 offset:896
	ds_read_b128 v[12:15], v2 offset:912
	;; [unrolled: 1-line block ×4, first 2 shown]
	scratch_load_dwordx4 v[20:23], off, off offset:272
	scratch_load_dwordx4 v[40:43], off, off offset:336
	;; [unrolled: 1-line block ×18, first 2 shown]
	v_cmp_lt_u32_e32 vcc, 14, v0
	scratch_load_dwordx4 v[48:51], off, off offset:352
	scratch_load_dwordx4 v[56:59], off, off offset:368
	;; [unrolled: 1-line block ×3, first 2 shown]
	s_waitcnt vmcnt(20) lgkmcnt(3)
	v_mul_f64 v[24:25], v[16:17], v[22:23]
	v_fmac_f64_e32 v[24:25], v[18:19], v[20:21]
	v_add_f64 v[28:29], v[24:25], 0
	scratch_load_dwordx4 v[24:27], off, off offset:288
	s_waitcnt vmcnt(0) lgkmcnt(2)
	v_mul_f64 v[30:31], v[12:13], v[26:27]
	v_fmac_f64_e32 v[30:31], v[14:15], v[24:25]
	v_add_f64 v[32:33], v[28:29], v[30:31]
	scratch_load_dwordx4 v[28:31], off, off offset:304
	v_mul_f64 v[14:15], v[14:15], v[26:27]
	v_fma_f64 v[12:13], v[12:13], v[24:25], -v[14:15]
	s_waitcnt vmcnt(0) lgkmcnt(1)
	v_mul_f64 v[34:35], v[8:9], v[30:31]
	v_fmac_f64_e32 v[34:35], v[10:11], v[28:29]
	v_add_f64 v[36:37], v[32:33], v[34:35]
	scratch_load_dwordx4 v[32:35], off, off offset:320
	v_mul_f64 v[10:11], v[10:11], v[30:31]
	v_fma_f64 v[8:9], v[8:9], v[28:29], -v[10:11]
	s_waitcnt vmcnt(0) lgkmcnt(0)
	v_mul_f64 v[38:39], v[4:5], v[34:35]
	v_fmac_f64_e32 v[38:39], v[6:7], v[32:33]
	v_add_f64 v[44:45], v[36:37], v[38:39]
	ds_read_b128 v[36:39], v2 offset:960
	v_mul_f64 v[6:7], v[6:7], v[34:35]
	v_fma_f64 v[4:5], v[4:5], v[32:33], -v[6:7]
	s_waitcnt lgkmcnt(0)
	v_mul_f64 v[46:47], v[36:37], v[42:43]
	v_fmac_f64_e32 v[46:47], v[38:39], v[40:41]
	v_add_f64 v[52:53], v[44:45], v[46:47]
	ds_read_b128 v[44:47], v2 offset:976
	s_waitcnt lgkmcnt(0)
	v_mul_f64 v[54:55], v[44:45], v[50:51]
	v_fmac_f64_e32 v[54:55], v[46:47], v[48:49]
	v_add_f64 v[60:61], v[52:53], v[54:55]
	ds_read_b128 v[52:55], v2 offset:992
	;; [unrolled: 5-line block ×19, first 2 shown]
	s_waitcnt lgkmcnt(0)
	v_mul_f64 v[2:3], v[190:191], v[196:197]
	v_fmac_f64_e32 v[2:3], v[192:193], v[194:195]
	v_add_f64 v[148:149], v[148:149], v[2:3]
	v_mul_f64 v[2:3], v[18:19], v[22:23]
	v_fma_f64 v[2:3], v[16:17], v[20:21], -v[2:3]
	v_add_f64 v[2:3], v[2:3], 0
	v_add_f64 v[2:3], v[2:3], v[12:13]
	;; [unrolled: 1-line block ×4, first 2 shown]
	v_mul_f64 v[4:5], v[38:39], v[42:43]
	v_fma_f64 v[4:5], v[36:37], v[40:41], -v[4:5]
	v_add_f64 v[2:3], v[2:3], v[4:5]
	v_mul_f64 v[4:5], v[46:47], v[50:51]
	v_fma_f64 v[4:5], v[44:45], v[48:49], -v[4:5]
	v_add_f64 v[2:3], v[2:3], v[4:5]
	;; [unrolled: 3-line block ×20, first 2 shown]
	scratch_load_dwordx4 v[2:5], off, off offset:256
	s_waitcnt vmcnt(0)
	v_add_f64 v[2:3], v[2:3], -v[6:7]
	v_add_f64 v[4:5], v[4:5], -v[148:149]
	scratch_store_dwordx4 off, v[2:5], off offset:256
	s_and_saveexec_b64 s[0:1], vcc
	s_cbranch_execz .LBB103_225
; %bb.224:
	scratch_load_dwordx4 v[2:5], off, s42
	v_mov_b32_e32 v6, 0
	v_mov_b32_e32 v7, v6
	;; [unrolled: 1-line block ×4, first 2 shown]
	scratch_store_dwordx4 off, v[6:9], off offset:240
	s_waitcnt vmcnt(1)
	ds_write_b128 v1, v[2:5]
.LBB103_225:
	s_or_b64 exec, exec, s[0:1]
	v_mov_b32_e32 v2, 0
	s_waitcnt lgkmcnt(0)
	; wave barrier
	ds_read_b128 v[16:19], v2 offset:880
	ds_read_b128 v[12:15], v2 offset:896
	;; [unrolled: 1-line block ×4, first 2 shown]
	scratch_load_dwordx4 v[20:23], off, off offset:256
	scratch_load_dwordx4 v[40:43], off, off offset:320
	;; [unrolled: 1-line block ×19, first 2 shown]
	v_cmp_lt_u32_e32 vcc, 13, v0
	scratch_load_dwordx4 v[48:51], off, off offset:336
	scratch_load_dwordx4 v[56:59], off, off offset:352
	;; [unrolled: 1-line block ×3, first 2 shown]
	s_waitcnt vmcnt(21) lgkmcnt(3)
	v_mul_f64 v[24:25], v[16:17], v[22:23]
	v_fmac_f64_e32 v[24:25], v[18:19], v[20:21]
	v_add_f64 v[28:29], v[24:25], 0
	scratch_load_dwordx4 v[24:27], off, off offset:272
	v_mul_f64 v[18:19], v[18:19], v[22:23]
	v_fma_f64 v[16:17], v[16:17], v[20:21], -v[18:19]
	v_add_f64 v[16:17], v[16:17], 0
	s_waitcnt vmcnt(0) lgkmcnt(2)
	v_mul_f64 v[30:31], v[12:13], v[26:27]
	v_fmac_f64_e32 v[30:31], v[14:15], v[24:25]
	v_add_f64 v[32:33], v[28:29], v[30:31]
	scratch_load_dwordx4 v[28:31], off, off offset:288
	v_mul_f64 v[14:15], v[14:15], v[26:27]
	v_fma_f64 v[12:13], v[12:13], v[24:25], -v[14:15]
	v_add_f64 v[12:13], v[16:17], v[12:13]
	;; [unrolled: 8-line block ×3, first 2 shown]
	s_waitcnt vmcnt(0) lgkmcnt(0)
	v_mul_f64 v[38:39], v[4:5], v[34:35]
	v_fmac_f64_e32 v[38:39], v[6:7], v[32:33]
	v_add_f64 v[44:45], v[36:37], v[38:39]
	ds_read_b128 v[36:39], v2 offset:944
	v_mul_f64 v[6:7], v[6:7], v[34:35]
	v_fma_f64 v[4:5], v[4:5], v[32:33], -v[6:7]
	v_add_f64 v[4:5], v[8:9], v[4:5]
	s_waitcnt lgkmcnt(0)
	v_mul_f64 v[46:47], v[36:37], v[42:43]
	v_fmac_f64_e32 v[46:47], v[38:39], v[40:41]
	v_add_f64 v[52:53], v[44:45], v[46:47]
	ds_read_b128 v[44:47], v2 offset:960
	v_mul_f64 v[6:7], v[38:39], v[42:43]
	v_fma_f64 v[6:7], v[36:37], v[40:41], -v[6:7]
	v_add_f64 v[4:5], v[4:5], v[6:7]
	s_waitcnt lgkmcnt(0)
	;; [unrolled: 8-line block ×21, first 2 shown]
	v_mul_f64 v[6:7], v[200:201], v[204:205]
	v_fma_f64 v[6:7], v[198:199], v[202:203], -v[6:7]
	v_add_f64 v[8:9], v[4:5], v[6:7]
	scratch_load_dwordx4 v[4:7], off, off offset:240
	v_mul_f64 v[206:207], v[198:199], v[204:205]
	v_fmac_f64_e32 v[206:207], v[200:201], v[202:203]
	v_add_f64 v[144:145], v[144:145], v[206:207]
	s_waitcnt vmcnt(0)
	v_add_f64 v[4:5], v[4:5], -v[8:9]
	v_add_f64 v[6:7], v[6:7], -v[144:145]
	scratch_store_dwordx4 off, v[4:7], off offset:240
	s_and_saveexec_b64 s[0:1], vcc
	s_cbranch_execz .LBB103_227
; %bb.226:
	scratch_load_dwordx4 v[6:9], off, s43
	v_mov_b32_e32 v3, v2
	v_mov_b32_e32 v4, v2
	;; [unrolled: 1-line block ×3, first 2 shown]
	scratch_store_dwordx4 off, v[2:5], off offset:224
	s_waitcnt vmcnt(1)
	ds_write_b128 v1, v[6:9]
.LBB103_227:
	s_or_b64 exec, exec, s[0:1]
	s_waitcnt lgkmcnt(0)
	; wave barrier
	ds_read_b128 v[16:19], v2 offset:864
	ds_read_b128 v[12:15], v2 offset:880
	;; [unrolled: 1-line block ×4, first 2 shown]
	scratch_load_dwordx4 v[20:23], off, off offset:240
	scratch_load_dwordx4 v[40:43], off, off offset:304
	scratch_load_dwordx4 v[72:75], off, off offset:368
	scratch_load_dwordx4 v[80:83], off, off offset:384
	scratch_load_dwordx4 v[88:91], off, off offset:400
	scratch_load_dwordx4 v[96:99], off, off offset:416
	scratch_load_dwordx4 v[104:107], off, off offset:432
	scratch_load_dwordx4 v[112:115], off, off offset:448
	scratch_load_dwordx4 v[120:123], off, off offset:464
	scratch_load_dwordx4 v[128:131], off, off offset:480
	scratch_load_dwordx4 v[136:139], off, off offset:496
	scratch_load_dwordx4 v[144:147], off, off offset:512
	scratch_load_dwordx4 v[152:155], off, off offset:528
	scratch_load_dwordx4 v[160:163], off, off offset:544
	scratch_load_dwordx4 v[170:173], off, off offset:560
	scratch_load_dwordx4 v[178:181], off, off offset:576
	scratch_load_dwordx4 v[186:189], off, off offset:592
	scratch_load_dwordx4 v[194:197], off, off offset:608
	scratch_load_dwordx4 v[202:205], off, off offset:624
	scratch_load_dwordx4 v[210:213], off, off offset:640
	v_cmp_lt_u32_e32 vcc, 12, v0
	scratch_load_dwordx4 v[48:51], off, off offset:320
	scratch_load_dwordx4 v[56:59], off, off offset:336
	;; [unrolled: 1-line block ×3, first 2 shown]
	s_waitcnt vmcnt(22) lgkmcnt(3)
	v_mul_f64 v[24:25], v[16:17], v[22:23]
	v_fmac_f64_e32 v[24:25], v[18:19], v[20:21]
	v_add_f64 v[28:29], v[24:25], 0
	scratch_load_dwordx4 v[24:27], off, off offset:256
	s_waitcnt vmcnt(0) lgkmcnt(2)
	v_mul_f64 v[30:31], v[12:13], v[26:27]
	v_fmac_f64_e32 v[30:31], v[14:15], v[24:25]
	v_add_f64 v[32:33], v[28:29], v[30:31]
	scratch_load_dwordx4 v[28:31], off, off offset:272
	v_mul_f64 v[14:15], v[14:15], v[26:27]
	v_fma_f64 v[12:13], v[12:13], v[24:25], -v[14:15]
	s_waitcnt vmcnt(0) lgkmcnt(1)
	v_mul_f64 v[34:35], v[8:9], v[30:31]
	v_fmac_f64_e32 v[34:35], v[10:11], v[28:29]
	v_add_f64 v[36:37], v[32:33], v[34:35]
	scratch_load_dwordx4 v[32:35], off, off offset:288
	v_mul_f64 v[10:11], v[10:11], v[30:31]
	v_fma_f64 v[8:9], v[8:9], v[28:29], -v[10:11]
	s_waitcnt vmcnt(0) lgkmcnt(0)
	v_mul_f64 v[38:39], v[4:5], v[34:35]
	v_fmac_f64_e32 v[38:39], v[6:7], v[32:33]
	v_add_f64 v[44:45], v[36:37], v[38:39]
	ds_read_b128 v[36:39], v2 offset:928
	v_mul_f64 v[6:7], v[6:7], v[34:35]
	v_fma_f64 v[4:5], v[4:5], v[32:33], -v[6:7]
	s_waitcnt lgkmcnt(0)
	v_mul_f64 v[46:47], v[36:37], v[42:43]
	v_fmac_f64_e32 v[46:47], v[38:39], v[40:41]
	v_add_f64 v[52:53], v[44:45], v[46:47]
	ds_read_b128 v[44:47], v2 offset:944
	s_waitcnt lgkmcnt(0)
	v_mul_f64 v[54:55], v[44:45], v[50:51]
	v_fmac_f64_e32 v[54:55], v[46:47], v[48:49]
	v_add_f64 v[60:61], v[52:53], v[54:55]
	ds_read_b128 v[52:55], v2 offset:960
	;; [unrolled: 5-line block ×21, first 2 shown]
	s_waitcnt lgkmcnt(0)
	v_mul_f64 v[2:3], v[206:207], v[212:213]
	v_fmac_f64_e32 v[2:3], v[208:209], v[210:211]
	v_add_f64 v[168:169], v[168:169], v[2:3]
	v_mul_f64 v[2:3], v[18:19], v[22:23]
	v_fma_f64 v[2:3], v[16:17], v[20:21], -v[2:3]
	v_add_f64 v[2:3], v[2:3], 0
	v_add_f64 v[2:3], v[2:3], v[12:13]
	;; [unrolled: 1-line block ×4, first 2 shown]
	v_mul_f64 v[4:5], v[38:39], v[42:43]
	v_fma_f64 v[4:5], v[36:37], v[40:41], -v[4:5]
	v_add_f64 v[2:3], v[2:3], v[4:5]
	v_mul_f64 v[4:5], v[46:47], v[50:51]
	v_fma_f64 v[4:5], v[44:45], v[48:49], -v[4:5]
	v_add_f64 v[2:3], v[2:3], v[4:5]
	;; [unrolled: 3-line block ×22, first 2 shown]
	scratch_load_dwordx4 v[2:5], off, off offset:224
	s_waitcnt vmcnt(0)
	v_add_f64 v[2:3], v[2:3], -v[6:7]
	v_add_f64 v[4:5], v[4:5], -v[168:169]
	scratch_store_dwordx4 off, v[2:5], off offset:224
	s_and_saveexec_b64 s[0:1], vcc
	s_cbranch_execz .LBB103_229
; %bb.228:
	scratch_load_dwordx4 v[2:5], off, s44
	v_mov_b32_e32 v6, 0
	v_mov_b32_e32 v7, v6
	;; [unrolled: 1-line block ×4, first 2 shown]
	scratch_store_dwordx4 off, v[6:9], off offset:208
	s_waitcnt vmcnt(1)
	ds_write_b128 v1, v[2:5]
.LBB103_229:
	s_or_b64 exec, exec, s[0:1]
	v_mov_b32_e32 v2, 0
	s_waitcnt lgkmcnt(0)
	; wave barrier
	ds_read_b128 v[16:19], v2 offset:848
	ds_read_b128 v[12:15], v2 offset:864
	ds_read_b128 v[8:11], v2 offset:880
	ds_read_b128 v[4:7], v2 offset:896
	scratch_load_dwordx4 v[20:23], off, off offset:224
	scratch_load_dwordx4 v[40:43], off, off offset:288
	scratch_load_dwordx4 v[72:75], off, off offset:352
	scratch_load_dwordx4 v[80:83], off, off offset:368
	scratch_load_dwordx4 v[88:91], off, off offset:384
	scratch_load_dwordx4 v[96:99], off, off offset:400
	scratch_load_dwordx4 v[104:107], off, off offset:416
	scratch_load_dwordx4 v[112:115], off, off offset:432
	scratch_load_dwordx4 v[120:123], off, off offset:448
	scratch_load_dwordx4 v[128:131], off, off offset:464
	scratch_load_dwordx4 v[136:139], off, off offset:480
	scratch_load_dwordx4 v[144:147], off, off offset:496
	scratch_load_dwordx4 v[152:155], off, off offset:512
	scratch_load_dwordx4 v[162:165], off, off offset:528
	scratch_load_dwordx4 v[170:173], off, off offset:544
	scratch_load_dwordx4 v[178:181], off, off offset:560
	scratch_load_dwordx4 v[186:189], off, off offset:576
	scratch_load_dwordx4 v[194:197], off, off offset:592
	scratch_load_dwordx4 v[202:205], off, off offset:608
	scratch_load_dwordx4 v[210:213], off, off offset:624
	scratch_load_dwordx4 v[218:221], off, off offset:640
	v_cmp_lt_u32_e32 vcc, 11, v0
	scratch_load_dwordx4 v[48:51], off, off offset:304
	scratch_load_dwordx4 v[56:59], off, off offset:320
	;; [unrolled: 1-line block ×3, first 2 shown]
	s_waitcnt vmcnt(23) lgkmcnt(3)
	v_mul_f64 v[24:25], v[16:17], v[22:23]
	v_fmac_f64_e32 v[24:25], v[18:19], v[20:21]
	v_add_f64 v[28:29], v[24:25], 0
	scratch_load_dwordx4 v[24:27], off, off offset:240
	v_mul_f64 v[18:19], v[18:19], v[22:23]
	v_fma_f64 v[16:17], v[16:17], v[20:21], -v[18:19]
	v_add_f64 v[16:17], v[16:17], 0
	s_waitcnt vmcnt(0) lgkmcnt(2)
	v_mul_f64 v[30:31], v[12:13], v[26:27]
	v_fmac_f64_e32 v[30:31], v[14:15], v[24:25]
	v_add_f64 v[32:33], v[28:29], v[30:31]
	scratch_load_dwordx4 v[28:31], off, off offset:256
	v_mul_f64 v[14:15], v[14:15], v[26:27]
	v_fma_f64 v[12:13], v[12:13], v[24:25], -v[14:15]
	v_add_f64 v[12:13], v[16:17], v[12:13]
	;; [unrolled: 8-line block ×3, first 2 shown]
	s_waitcnt vmcnt(0) lgkmcnt(0)
	v_mul_f64 v[38:39], v[4:5], v[34:35]
	v_fmac_f64_e32 v[38:39], v[6:7], v[32:33]
	v_add_f64 v[44:45], v[36:37], v[38:39]
	ds_read_b128 v[36:39], v2 offset:912
	v_mul_f64 v[6:7], v[6:7], v[34:35]
	v_fma_f64 v[4:5], v[4:5], v[32:33], -v[6:7]
	v_add_f64 v[4:5], v[8:9], v[4:5]
	s_waitcnt lgkmcnt(0)
	v_mul_f64 v[46:47], v[36:37], v[42:43]
	v_fmac_f64_e32 v[46:47], v[38:39], v[40:41]
	v_add_f64 v[52:53], v[44:45], v[46:47]
	ds_read_b128 v[44:47], v2 offset:928
	v_mul_f64 v[6:7], v[38:39], v[42:43]
	v_fma_f64 v[6:7], v[36:37], v[40:41], -v[6:7]
	v_add_f64 v[4:5], v[4:5], v[6:7]
	s_waitcnt lgkmcnt(0)
	;; [unrolled: 8-line block ×23, first 2 shown]
	v_mul_f64 v[6:7], v[216:217], v[220:221]
	v_fma_f64 v[6:7], v[214:215], v[218:219], -v[6:7]
	v_add_f64 v[8:9], v[4:5], v[6:7]
	scratch_load_dwordx4 v[4:7], off, off offset:208
	v_mul_f64 v[222:223], v[214:215], v[220:221]
	v_fmac_f64_e32 v[222:223], v[216:217], v[218:219]
	v_add_f64 v[160:161], v[160:161], v[222:223]
	s_waitcnt vmcnt(0)
	v_add_f64 v[4:5], v[4:5], -v[8:9]
	v_add_f64 v[6:7], v[6:7], -v[160:161]
	scratch_store_dwordx4 off, v[4:7], off offset:208
	s_and_saveexec_b64 s[0:1], vcc
	s_cbranch_execz .LBB103_231
; %bb.230:
	scratch_load_dwordx4 v[6:9], off, s45
	v_mov_b32_e32 v3, v2
	v_mov_b32_e32 v4, v2
	v_mov_b32_e32 v5, v2
	scratch_store_dwordx4 off, v[2:5], off offset:192
	s_waitcnt vmcnt(1)
	ds_write_b128 v1, v[6:9]
.LBB103_231:
	s_or_b64 exec, exec, s[0:1]
	s_waitcnt lgkmcnt(0)
	; wave barrier
	ds_read_b128 v[16:19], v2 offset:832
	ds_read_b128 v[12:15], v2 offset:848
	;; [unrolled: 1-line block ×4, first 2 shown]
	scratch_load_dwordx4 v[20:23], off, off offset:208
	scratch_load_dwordx4 v[40:43], off, off offset:272
	;; [unrolled: 1-line block ×22, first 2 shown]
	v_cmp_lt_u32_e32 vcc, 10, v0
	scratch_load_dwordx4 v[48:51], off, off offset:288
	scratch_load_dwordx4 v[56:59], off, off offset:304
	scratch_load_dwordx4 v[64:67], off, off offset:320
	s_waitcnt vmcnt(24) lgkmcnt(3)
	v_mul_f64 v[24:25], v[16:17], v[22:23]
	v_fmac_f64_e32 v[24:25], v[18:19], v[20:21]
	v_add_f64 v[28:29], v[24:25], 0
	scratch_load_dwordx4 v[24:27], off, off offset:224
	s_waitcnt vmcnt(0) lgkmcnt(2)
	v_mul_f64 v[30:31], v[12:13], v[26:27]
	v_fmac_f64_e32 v[30:31], v[14:15], v[24:25]
	v_add_f64 v[32:33], v[28:29], v[30:31]
	scratch_load_dwordx4 v[28:31], off, off offset:240
	v_mul_f64 v[14:15], v[14:15], v[26:27]
	v_fma_f64 v[12:13], v[12:13], v[24:25], -v[14:15]
	s_waitcnt vmcnt(0) lgkmcnt(1)
	v_mul_f64 v[34:35], v[8:9], v[30:31]
	v_fmac_f64_e32 v[34:35], v[10:11], v[28:29]
	v_add_f64 v[36:37], v[32:33], v[34:35]
	scratch_load_dwordx4 v[32:35], off, off offset:256
	v_mul_f64 v[10:11], v[10:11], v[30:31]
	v_fma_f64 v[8:9], v[8:9], v[28:29], -v[10:11]
	s_waitcnt vmcnt(0) lgkmcnt(0)
	v_mul_f64 v[38:39], v[4:5], v[34:35]
	v_fmac_f64_e32 v[38:39], v[6:7], v[32:33]
	v_add_f64 v[44:45], v[36:37], v[38:39]
	ds_read_b128 v[36:39], v2 offset:896
	v_mul_f64 v[6:7], v[6:7], v[34:35]
	v_fma_f64 v[4:5], v[4:5], v[32:33], -v[6:7]
	s_waitcnt lgkmcnt(0)
	v_mul_f64 v[46:47], v[36:37], v[42:43]
	v_fmac_f64_e32 v[46:47], v[38:39], v[40:41]
	v_add_f64 v[52:53], v[44:45], v[46:47]
	ds_read_b128 v[44:47], v2 offset:912
	s_waitcnt lgkmcnt(0)
	v_mul_f64 v[54:55], v[44:45], v[50:51]
	v_fmac_f64_e32 v[54:55], v[46:47], v[48:49]
	v_add_f64 v[60:61], v[52:53], v[54:55]
	ds_read_b128 v[52:55], v2 offset:928
	;; [unrolled: 5-line block ×23, first 2 shown]
	s_waitcnt lgkmcnt(0)
	v_mul_f64 v[2:3], v[222:223], v[228:229]
	v_fmac_f64_e32 v[2:3], v[224:225], v[226:227]
	v_add_f64 v[176:177], v[176:177], v[2:3]
	v_mul_f64 v[2:3], v[18:19], v[22:23]
	v_fma_f64 v[2:3], v[16:17], v[20:21], -v[2:3]
	v_add_f64 v[2:3], v[2:3], 0
	v_add_f64 v[2:3], v[2:3], v[12:13]
	;; [unrolled: 1-line block ×4, first 2 shown]
	v_mul_f64 v[4:5], v[38:39], v[42:43]
	v_fma_f64 v[4:5], v[36:37], v[40:41], -v[4:5]
	v_add_f64 v[2:3], v[2:3], v[4:5]
	v_mul_f64 v[4:5], v[46:47], v[50:51]
	v_fma_f64 v[4:5], v[44:45], v[48:49], -v[4:5]
	v_add_f64 v[2:3], v[2:3], v[4:5]
	;; [unrolled: 3-line block ×24, first 2 shown]
	scratch_load_dwordx4 v[2:5], off, off offset:192
	s_waitcnt vmcnt(0)
	v_add_f64 v[2:3], v[2:3], -v[6:7]
	v_add_f64 v[4:5], v[4:5], -v[176:177]
	scratch_store_dwordx4 off, v[2:5], off offset:192
	s_and_saveexec_b64 s[0:1], vcc
	s_cbranch_execz .LBB103_233
; %bb.232:
	scratch_load_dwordx4 v[2:5], off, s46
	v_mov_b32_e32 v6, 0
	v_mov_b32_e32 v7, v6
	;; [unrolled: 1-line block ×4, first 2 shown]
	scratch_store_dwordx4 off, v[6:9], off offset:176
	s_waitcnt vmcnt(1)
	ds_write_b128 v1, v[2:5]
.LBB103_233:
	s_or_b64 exec, exec, s[0:1]
	v_mov_b32_e32 v2, 0
	s_waitcnt lgkmcnt(0)
	; wave barrier
	ds_read_b128 v[16:19], v2 offset:816
	ds_read_b128 v[12:15], v2 offset:832
	;; [unrolled: 1-line block ×4, first 2 shown]
	scratch_load_dwordx4 v[20:23], off, off offset:192
	scratch_load_dwordx4 v[40:43], off, off offset:256
	;; [unrolled: 1-line block ×23, first 2 shown]
	v_cmp_lt_u32_e32 vcc, 9, v0
	scratch_load_dwordx4 v[48:51], off, off offset:272
	scratch_load_dwordx4 v[56:59], off, off offset:288
	;; [unrolled: 1-line block ×3, first 2 shown]
	s_waitcnt vmcnt(25) lgkmcnt(3)
	v_mul_f64 v[24:25], v[16:17], v[22:23]
	v_fmac_f64_e32 v[24:25], v[18:19], v[20:21]
	v_add_f64 v[28:29], v[24:25], 0
	scratch_load_dwordx4 v[24:27], off, off offset:208
	v_mul_f64 v[18:19], v[18:19], v[22:23]
	v_fma_f64 v[16:17], v[16:17], v[20:21], -v[18:19]
	v_add_f64 v[16:17], v[16:17], 0
	s_waitcnt vmcnt(0) lgkmcnt(2)
	v_mul_f64 v[30:31], v[12:13], v[26:27]
	v_fmac_f64_e32 v[30:31], v[14:15], v[24:25]
	v_add_f64 v[32:33], v[28:29], v[30:31]
	scratch_load_dwordx4 v[28:31], off, off offset:224
	v_mul_f64 v[14:15], v[14:15], v[26:27]
	v_fma_f64 v[12:13], v[12:13], v[24:25], -v[14:15]
	v_add_f64 v[12:13], v[16:17], v[12:13]
	s_waitcnt vmcnt(0) lgkmcnt(1)
	v_mul_f64 v[34:35], v[8:9], v[30:31]
	v_fmac_f64_e32 v[34:35], v[10:11], v[28:29]
	v_add_f64 v[36:37], v[32:33], v[34:35]
	scratch_load_dwordx4 v[32:35], off, off offset:240
	v_mul_f64 v[10:11], v[10:11], v[30:31]
	v_fma_f64 v[8:9], v[8:9], v[28:29], -v[10:11]
	v_add_f64 v[8:9], v[12:13], v[8:9]
	s_waitcnt vmcnt(0) lgkmcnt(0)
	v_mul_f64 v[38:39], v[4:5], v[34:35]
	v_fmac_f64_e32 v[38:39], v[6:7], v[32:33]
	v_add_f64 v[44:45], v[36:37], v[38:39]
	ds_read_b128 v[36:39], v2 offset:880
	v_mul_f64 v[6:7], v[6:7], v[34:35]
	v_fma_f64 v[4:5], v[4:5], v[32:33], -v[6:7]
	v_add_f64 v[4:5], v[8:9], v[4:5]
	s_waitcnt lgkmcnt(0)
	v_mul_f64 v[46:47], v[36:37], v[42:43]
	v_fmac_f64_e32 v[46:47], v[38:39], v[40:41]
	v_add_f64 v[52:53], v[44:45], v[46:47]
	ds_read_b128 v[44:47], v2 offset:896
	v_mul_f64 v[6:7], v[38:39], v[42:43]
	v_fma_f64 v[6:7], v[36:37], v[40:41], -v[6:7]
	v_add_f64 v[4:5], v[4:5], v[6:7]
	s_waitcnt lgkmcnt(0)
	;; [unrolled: 8-line block ×25, first 2 shown]
	v_mul_f64 v[6:7], v[232:233], v[236:237]
	v_fma_f64 v[6:7], v[230:231], v[234:235], -v[6:7]
	v_add_f64 v[8:9], v[4:5], v[6:7]
	scratch_load_dwordx4 v[4:7], off, off offset:176
	v_mul_f64 v[238:239], v[230:231], v[236:237]
	v_fmac_f64_e32 v[238:239], v[232:233], v[234:235]
	v_add_f64 v[176:177], v[176:177], v[238:239]
	s_waitcnt vmcnt(0)
	v_add_f64 v[4:5], v[4:5], -v[8:9]
	v_add_f64 v[6:7], v[6:7], -v[176:177]
	scratch_store_dwordx4 off, v[4:7], off offset:176
	s_and_saveexec_b64 s[0:1], vcc
	s_cbranch_execz .LBB103_235
; %bb.234:
	scratch_load_dwordx4 v[6:9], off, s47
	v_mov_b32_e32 v3, v2
	v_mov_b32_e32 v4, v2
	;; [unrolled: 1-line block ×3, first 2 shown]
	scratch_store_dwordx4 off, v[2:5], off offset:160
	s_waitcnt vmcnt(1)
	ds_write_b128 v1, v[6:9]
.LBB103_235:
	s_or_b64 exec, exec, s[0:1]
	s_waitcnt lgkmcnt(0)
	; wave barrier
	ds_read_b128 v[16:19], v2 offset:800
	ds_read_b128 v[12:15], v2 offset:816
	;; [unrolled: 1-line block ×4, first 2 shown]
	scratch_load_dwordx4 v[20:23], off, off offset:176
	scratch_load_dwordx4 v[40:43], off, off offset:240
	;; [unrolled: 1-line block ×24, first 2 shown]
	v_cmp_lt_u32_e32 vcc, 8, v0
	scratch_load_dwordx4 v[48:51], off, off offset:256
	scratch_load_dwordx4 v[56:59], off, off offset:272
	;; [unrolled: 1-line block ×3, first 2 shown]
	ds_read_b128 v[250:253], v2 offset:1264
	s_waitcnt vmcnt(26) lgkmcnt(4)
	v_mul_f64 v[24:25], v[16:17], v[22:23]
	v_fmac_f64_e32 v[24:25], v[18:19], v[20:21]
	v_add_f64 v[28:29], v[24:25], 0
	scratch_load_dwordx4 v[24:27], off, off offset:192
	s_waitcnt vmcnt(0) lgkmcnt(3)
	v_mul_f64 v[30:31], v[12:13], v[26:27]
	v_fmac_f64_e32 v[30:31], v[14:15], v[24:25]
	v_add_f64 v[32:33], v[28:29], v[30:31]
	scratch_load_dwordx4 v[28:31], off, off offset:208
	v_mul_f64 v[14:15], v[14:15], v[26:27]
	v_fma_f64 v[12:13], v[12:13], v[24:25], -v[14:15]
	s_waitcnt vmcnt(0) lgkmcnt(2)
	v_mul_f64 v[34:35], v[8:9], v[30:31]
	v_fmac_f64_e32 v[34:35], v[10:11], v[28:29]
	v_add_f64 v[36:37], v[32:33], v[34:35]
	scratch_load_dwordx4 v[32:35], off, off offset:224
	v_mul_f64 v[10:11], v[10:11], v[30:31]
	v_fma_f64 v[8:9], v[8:9], v[28:29], -v[10:11]
	s_waitcnt vmcnt(0) lgkmcnt(1)
	v_mul_f64 v[38:39], v[4:5], v[34:35]
	v_fmac_f64_e32 v[38:39], v[6:7], v[32:33]
	v_add_f64 v[44:45], v[36:37], v[38:39]
	ds_read_b128 v[36:39], v2 offset:864
	v_mul_f64 v[6:7], v[6:7], v[34:35]
	v_fma_f64 v[4:5], v[4:5], v[32:33], -v[6:7]
	s_waitcnt lgkmcnt(0)
	v_mul_f64 v[46:47], v[36:37], v[42:43]
	v_fmac_f64_e32 v[46:47], v[38:39], v[40:41]
	v_add_f64 v[52:53], v[44:45], v[46:47]
	ds_read_b128 v[44:47], v2 offset:880
	s_waitcnt lgkmcnt(0)
	v_mul_f64 v[54:55], v[44:45], v[50:51]
	v_fmac_f64_e32 v[54:55], v[46:47], v[48:49]
	v_add_f64 v[60:61], v[52:53], v[54:55]
	ds_read_b128 v[52:55], v2 offset:896
	;; [unrolled: 5-line block ×24, first 2 shown]
	v_mul_f64 v[2:3], v[250:251], v[244:245]
	v_fmac_f64_e32 v[2:3], v[252:253], v[242:243]
	s_waitcnt lgkmcnt(0)
	v_mul_f64 v[238:239], v[230:231], v[236:237]
	v_fmac_f64_e32 v[238:239], v[232:233], v[234:235]
	v_add_f64 v[184:185], v[184:185], v[238:239]
	v_add_f64 v[184:185], v[184:185], v[2:3]
	v_mul_f64 v[2:3], v[18:19], v[22:23]
	v_fma_f64 v[2:3], v[16:17], v[20:21], -v[2:3]
	v_add_f64 v[2:3], v[2:3], 0
	v_add_f64 v[2:3], v[2:3], v[12:13]
	;; [unrolled: 1-line block ×4, first 2 shown]
	v_mul_f64 v[4:5], v[38:39], v[42:43]
	v_fma_f64 v[4:5], v[36:37], v[40:41], -v[4:5]
	v_add_f64 v[2:3], v[2:3], v[4:5]
	v_mul_f64 v[4:5], v[46:47], v[50:51]
	v_fma_f64 v[4:5], v[44:45], v[48:49], -v[4:5]
	v_add_f64 v[2:3], v[2:3], v[4:5]
	;; [unrolled: 3-line block ×26, first 2 shown]
	scratch_load_dwordx4 v[2:5], off, off offset:160
	s_waitcnt vmcnt(0)
	v_add_f64 v[2:3], v[2:3], -v[6:7]
	v_add_f64 v[4:5], v[4:5], -v[184:185]
	scratch_store_dwordx4 off, v[2:5], off offset:160
	s_and_saveexec_b64 s[0:1], vcc
	s_cbranch_execz .LBB103_237
; %bb.236:
	scratch_load_dwordx4 v[2:5], off, s48
	v_mov_b32_e32 v6, 0
	v_mov_b32_e32 v7, v6
	;; [unrolled: 1-line block ×4, first 2 shown]
	scratch_store_dwordx4 off, v[6:9], off offset:144
	s_waitcnt vmcnt(1)
	ds_write_b128 v1, v[2:5]
.LBB103_237:
	s_or_b64 exec, exec, s[0:1]
	s_waitcnt lgkmcnt(0)
	; wave barrier
	scratch_load_dwordx4 v[16:19], off, off offset:160
	scratch_load_dwordx4 v[12:15], off, off offset:176
	;; [unrolled: 1-line block ×32, first 2 shown]
	v_mov_b32_e32 v2, 0
	ds_read_b128 v[132:135], v2 offset:784
	ds_read_b128 v[136:139], v2 offset:800
	;; [unrolled: 1-line block ×17, first 2 shown]
	v_cmp_lt_u32_e32 vcc, 7, v0
	s_waitcnt vmcnt(31) lgkmcnt(14)
	v_mul_f64 v[200:201], v[132:133], v[18:19]
	s_waitcnt vmcnt(30)
	v_mul_f64 v[202:203], v[136:137], v[14:15]
	v_fmac_f64_e32 v[200:201], v[134:135], v[16:17]
	s_waitcnt vmcnt(29)
	v_mul_f64 v[204:205], v[140:141], v[10:11]
	v_fmac_f64_e32 v[202:203], v[138:139], v[12:13]
	v_add_f64 v[200:201], v[200:201], 0
	s_waitcnt vmcnt(28) lgkmcnt(13)
	v_mul_f64 v[206:207], v[144:145], v[6:7]
	v_fmac_f64_e32 v[204:205], v[142:143], v[8:9]
	v_add_f64 v[200:201], v[200:201], v[202:203]
	s_waitcnt vmcnt(27) lgkmcnt(12)
	;; [unrolled: 4-line block ×12, first 2 shown]
	v_mul_f64 v[228:229], v[188:189], v[62:63]
	v_fmac_f64_e32 v[226:227], v[186:187], v[56:57]
	v_add_f64 v[200:201], v[200:201], v[224:225]
	v_fmac_f64_e32 v[228:229], v[190:191], v[60:61]
	v_add_f64 v[200:201], v[200:201], v[226:227]
	s_waitcnt vmcnt(16) lgkmcnt(1)
	v_mul_f64 v[202:203], v[192:193], v[66:67]
	v_add_f64 v[200:201], v[200:201], v[228:229]
	v_fmac_f64_e32 v[202:203], v[194:195], v[64:65]
	s_waitcnt vmcnt(15) lgkmcnt(0)
	v_mul_f64 v[206:207], v[196:197], v[70:71]
	v_add_f64 v[204:205], v[200:201], v[202:203]
	ds_read_b128 v[200:203], v2 offset:1056
	v_fmac_f64_e32 v[206:207], v[198:199], v[68:69]
	v_add_f64 v[208:209], v[204:205], v[206:207]
	ds_read_b128 v[204:207], v2 offset:1072
	v_mul_f64 v[18:19], v[134:135], v[18:19]
	s_waitcnt vmcnt(14) lgkmcnt(1)
	v_mul_f64 v[210:211], v[200:201], v[74:75]
	v_fmac_f64_e32 v[210:211], v[202:203], v[72:73]
	v_add_f64 v[212:213], v[208:209], v[210:211]
	s_waitcnt vmcnt(13) lgkmcnt(0)
	v_mul_f64 v[214:215], v[204:205], v[78:79]
	ds_read_b128 v[208:211], v2 offset:1088
	v_fmac_f64_e32 v[214:215], v[206:207], v[76:77]
	v_add_f64 v[216:217], v[212:213], v[214:215]
	ds_read_b128 v[212:215], v2 offset:1104
	v_fma_f64 v[244:245], v[132:133], v[16:17], -v[18:19]
	s_waitcnt vmcnt(12) lgkmcnt(1)
	v_mul_f64 v[218:219], v[208:209], v[82:83]
	v_fmac_f64_e32 v[218:219], v[210:211], v[80:81]
	v_add_f64 v[220:221], v[216:217], v[218:219]
	s_waitcnt vmcnt(11) lgkmcnt(0)
	v_mul_f64 v[222:223], v[212:213], v[86:87]
	ds_read_b128 v[216:219], v2 offset:1120
	v_fmac_f64_e32 v[222:223], v[214:215], v[84:85]
	v_add_f64 v[224:225], v[220:221], v[222:223]
	ds_read_b128 v[220:223], v2 offset:1136
	ds_read_b128 v[16:19], v2 offset:1216
	s_waitcnt vmcnt(10) lgkmcnt(2)
	v_mul_f64 v[226:227], v[216:217], v[90:91]
	v_fmac_f64_e32 v[226:227], v[218:219], v[88:89]
	v_add_f64 v[228:229], v[224:225], v[226:227]
	s_waitcnt vmcnt(9) lgkmcnt(1)
	v_mul_f64 v[230:231], v[220:221], v[94:95]
	ds_read_b128 v[224:227], v2 offset:1152
	v_fmac_f64_e32 v[230:231], v[222:223], v[92:93]
	v_add_f64 v[232:233], v[228:229], v[230:231]
	ds_read_b128 v[228:231], v2 offset:1168
	v_mul_f64 v[14:15], v[138:139], v[14:15]
	s_waitcnt vmcnt(8) lgkmcnt(1)
	v_mul_f64 v[234:235], v[224:225], v[98:99]
	v_fmac_f64_e32 v[234:235], v[226:227], v[96:97]
	v_add_f64 v[236:237], v[232:233], v[234:235]
	s_waitcnt vmcnt(7) lgkmcnt(0)
	v_mul_f64 v[238:239], v[228:229], v[102:103]
	ds_read_b128 v[232:235], v2 offset:1184
	v_fmac_f64_e32 v[238:239], v[230:231], v[100:101]
	v_add_f64 v[242:243], v[236:237], v[238:239]
	ds_read_b128 v[236:239], v2 offset:1200
	v_fma_f64 v[136:137], v[136:137], v[12:13], -v[14:15]
	s_waitcnt vmcnt(6) lgkmcnt(1)
	v_mul_f64 v[132:133], v[232:233], v[106:107]
	v_fmac_f64_e32 v[132:133], v[234:235], v[104:105]
	v_add_f64 v[132:133], v[242:243], v[132:133]
	s_waitcnt vmcnt(5) lgkmcnt(0)
	v_mul_f64 v[134:135], v[236:237], v[110:111]
	v_fmac_f64_e32 v[134:135], v[238:239], v[108:109]
	v_add_f64 v[132:133], v[132:133], v[134:135]
	ds_read_b128 v[12:15], v2 offset:1232
	s_waitcnt vmcnt(4)
	v_mul_f64 v[134:135], v[16:17], v[114:115]
	v_fmac_f64_e32 v[134:135], v[18:19], v[112:113]
	v_add_f64 v[138:139], v[132:133], v[134:135]
	ds_read_b128 v[132:135], v2 offset:1248
	v_mul_f64 v[10:11], v[142:143], v[10:11]
	v_fma_f64 v[140:141], v[140:141], v[8:9], -v[10:11]
	ds_read_b128 v[8:11], v2 offset:1264
	s_waitcnt vmcnt(3) lgkmcnt(2)
	v_mul_f64 v[142:143], v[12:13], v[118:119]
	v_fmac_f64_e32 v[142:143], v[14:15], v[116:117]
	v_add_f64 v[138:139], v[138:139], v[142:143]
	s_waitcnt vmcnt(2) lgkmcnt(1)
	v_mul_f64 v[142:143], v[132:133], v[122:123]
	v_fmac_f64_e32 v[142:143], v[134:135], v[120:121]
	v_add_f64 v[138:139], v[138:139], v[142:143]
	;; [unrolled: 4-line block ×3, first 2 shown]
	v_add_f64 v[142:143], v[244:245], 0
	v_add_f64 v[136:137], v[142:143], v[136:137]
	v_mul_f64 v[6:7], v[146:147], v[6:7]
	v_add_f64 v[136:137], v[136:137], v[140:141]
	v_fma_f64 v[4:5], v[144:145], v[4:5], -v[6:7]
	v_mul_f64 v[6:7], v[150:151], v[22:23]
	v_add_f64 v[4:5], v[136:137], v[4:5]
	v_fma_f64 v[6:7], v[148:149], v[20:21], -v[6:7]
	v_add_f64 v[4:5], v[4:5], v[6:7]
	v_mul_f64 v[6:7], v[154:155], v[26:27]
	v_fma_f64 v[6:7], v[152:153], v[24:25], -v[6:7]
	v_add_f64 v[4:5], v[4:5], v[6:7]
	v_mul_f64 v[6:7], v[158:159], v[30:31]
	;; [unrolled: 3-line block ×26, first 2 shown]
	v_fma_f64 v[6:7], v[8:9], v[124:125], -v[6:7]
	v_add_f64 v[4:5], v[4:5], v[6:7]
	s_waitcnt vmcnt(0)
	v_add_f64 v[4:5], v[128:129], -v[4:5]
	v_add_f64 v[6:7], v[130:131], -v[138:139]
	scratch_store_dwordx4 off, v[4:7], off offset:144
	s_and_saveexec_b64 s[0:1], vcc
	s_cbranch_execz .LBB103_239
; %bb.238:
	scratch_load_dwordx4 v[6:9], off, s49
	v_mov_b32_e32 v3, v2
	v_mov_b32_e32 v4, v2
	v_mov_b32_e32 v5, v2
	scratch_store_dwordx4 off, v[2:5], off offset:128
	s_waitcnt vmcnt(1)
	ds_write_b128 v1, v[6:9]
.LBB103_239:
	s_or_b64 exec, exec, s[0:1]
	s_waitcnt lgkmcnt(0)
	; wave barrier
	scratch_load_dwordx4 v[140:143], off, off offset:144
	scratch_load_dwordx4 v[148:151], off, off offset:160
	;; [unrolled: 1-line block ×16, first 2 shown]
	ds_read_b128 v[188:191], v2 offset:768
	ds_read_b128 v[184:187], v2 offset:784
	scratch_load_dwordx4 v[56:59], off, off offset:400
	ds_read_b128 v[192:195], v2 offset:800
	ds_read_b128 v[68:71], v2 offset:816
	scratch_load_dwordx4 v[60:63], off, off offset:416
	ds_read_b128 v[88:91], v2 offset:832
	ds_read_b128 v[84:87], v2 offset:848
	;; [unrolled: 1-line block ×4, first 2 shown]
	scratch_load_dwordx4 v[64:67], off, off offset:432
	ds_read_b128 v[100:103], v2 offset:896
	ds_read_b128 v[96:99], v2 offset:912
	scratch_load_dwordx4 v[72:75], off, off offset:448
	ds_read_b128 v[116:119], v2 offset:928
	ds_read_b128 v[112:115], v2 offset:944
	;; [unrolled: 1-line block ×4, first 2 shown]
	scratch_load_dwordx4 v[92:95], off, off offset:464
	ds_read_b128 v[132:135], v2 offset:992
	ds_read_b128 v[128:131], v2 offset:1008
	ds_read_b128 v[124:127], v2 offset:1024
	scratch_load_dwordx4 v[120:123], off, off offset:480
	scratch_load_dwordx4 v[136:139], off, off offset:496
	;; [unrolled: 1-line block ×11, first 2 shown]
	v_cmp_lt_u32_e32 vcc, 6, v0
	s_waitcnt vmcnt(31) lgkmcnt(14)
	v_mul_f64 v[200:201], v[188:189], v[142:143]
	s_waitcnt vmcnt(30)
	v_mul_f64 v[202:203], v[184:185], v[150:151]
	v_fmac_f64_e32 v[200:201], v[190:191], v[140:141]
	s_waitcnt vmcnt(29)
	v_mul_f64 v[204:205], v[192:193], v[154:155]
	v_fmac_f64_e32 v[202:203], v[186:187], v[148:149]
	v_add_f64 v[200:201], v[200:201], 0
	s_waitcnt vmcnt(28) lgkmcnt(13)
	v_mul_f64 v[206:207], v[68:69], v[6:7]
	v_fmac_f64_e32 v[204:205], v[194:195], v[152:153]
	v_add_f64 v[200:201], v[200:201], v[202:203]
	s_waitcnt vmcnt(27) lgkmcnt(12)
	;; [unrolled: 4-line block ×13, first 2 shown]
	v_mul_f64 v[230:231], v[128:129], v[54:55]
	v_fmac_f64_e32 v[228:229], v[134:135], v[48:49]
	v_add_f64 v[200:201], v[200:201], v[226:227]
	v_add_f64 v[200:201], v[200:201], v[228:229]
	v_fmac_f64_e32 v[230:231], v[130:131], v[52:53]
	s_waitcnt vmcnt(15) lgkmcnt(0)
	v_mul_f64 v[206:207], v[124:125], v[58:59]
	v_add_f64 v[204:205], v[200:201], v[230:231]
	ds_read_b128 v[200:203], v2 offset:1040
	v_fmac_f64_e32 v[206:207], v[126:127], v[56:57]
	v_add_f64 v[208:209], v[204:205], v[206:207]
	ds_read_b128 v[204:207], v2 offset:1056
	v_mul_f64 v[142:143], v[190:191], v[142:143]
	s_waitcnt vmcnt(14) lgkmcnt(1)
	v_mul_f64 v[210:211], v[200:201], v[62:63]
	v_fmac_f64_e32 v[210:211], v[202:203], v[60:61]
	v_add_f64 v[212:213], v[208:209], v[210:211]
	s_waitcnt vmcnt(13) lgkmcnt(0)
	v_mul_f64 v[214:215], v[204:205], v[66:67]
	ds_read_b128 v[208:211], v2 offset:1072
	v_fmac_f64_e32 v[214:215], v[206:207], v[64:65]
	v_add_f64 v[216:217], v[212:213], v[214:215]
	ds_read_b128 v[212:215], v2 offset:1088
	v_fma_f64 v[250:251], v[188:189], v[140:141], -v[142:143]
	s_waitcnt vmcnt(12) lgkmcnt(1)
	v_mul_f64 v[218:219], v[208:209], v[74:75]
	v_fmac_f64_e32 v[218:219], v[210:211], v[72:73]
	v_add_f64 v[220:221], v[216:217], v[218:219]
	s_waitcnt vmcnt(11) lgkmcnt(0)
	v_mul_f64 v[222:223], v[212:213], v[94:95]
	ds_read_b128 v[216:219], v2 offset:1104
	v_fmac_f64_e32 v[222:223], v[214:215], v[92:93]
	v_add_f64 v[224:225], v[220:221], v[222:223]
	ds_read_b128 v[220:223], v2 offset:1120
	ds_read_b128 v[140:143], v2 offset:1200
	s_waitcnt vmcnt(10) lgkmcnt(2)
	v_mul_f64 v[226:227], v[216:217], v[122:123]
	v_fmac_f64_e32 v[226:227], v[218:219], v[120:121]
	v_add_f64 v[228:229], v[224:225], v[226:227]
	s_waitcnt vmcnt(9) lgkmcnt(1)
	v_mul_f64 v[230:231], v[220:221], v[138:139]
	ds_read_b128 v[224:227], v2 offset:1136
	v_fmac_f64_e32 v[230:231], v[222:223], v[136:137]
	v_add_f64 v[232:233], v[228:229], v[230:231]
	ds_read_b128 v[228:231], v2 offset:1152
	v_mul_f64 v[150:151], v[186:187], v[150:151]
	s_waitcnt vmcnt(8) lgkmcnt(1)
	v_mul_f64 v[234:235], v[224:225], v[146:147]
	v_fmac_f64_e32 v[234:235], v[226:227], v[144:145]
	v_add_f64 v[236:237], v[232:233], v[234:235]
	s_waitcnt vmcnt(7) lgkmcnt(0)
	v_mul_f64 v[238:239], v[228:229], v[158:159]
	ds_read_b128 v[232:235], v2 offset:1168
	v_fmac_f64_e32 v[238:239], v[230:231], v[156:157]
	v_add_f64 v[242:243], v[236:237], v[238:239]
	ds_read_b128 v[236:239], v2 offset:1184
	v_fma_f64 v[252:253], v[184:185], v[148:149], -v[150:151]
	s_waitcnt vmcnt(6) lgkmcnt(1)
	v_mul_f64 v[244:245], v[232:233], v[162:163]
	v_fmac_f64_e32 v[244:245], v[234:235], v[160:161]
	ds_read_b128 v[148:151], v2 offset:1216
	s_waitcnt vmcnt(5) lgkmcnt(1)
	v_mul_f64 v[188:189], v[236:237], v[166:167]
	v_add_f64 v[242:243], v[242:243], v[244:245]
	v_fmac_f64_e32 v[188:189], v[238:239], v[164:165]
	s_waitcnt vmcnt(4)
	v_mul_f64 v[184:185], v[140:141], v[170:171]
	v_add_f64 v[188:189], v[242:243], v[188:189]
	v_fmac_f64_e32 v[184:185], v[142:143], v[168:169]
	v_add_f64 v[188:189], v[188:189], v[184:185]
	ds_read_b128 v[184:187], v2 offset:1232
	v_mul_f64 v[154:155], v[194:195], v[154:155]
	s_waitcnt vmcnt(3) lgkmcnt(1)
	v_mul_f64 v[190:191], v[148:149], v[174:175]
	v_fma_f64 v[244:245], v[192:193], v[152:153], -v[154:155]
	ds_read_b128 v[152:155], v2 offset:1248
	v_fmac_f64_e32 v[190:191], v[150:151], v[172:173]
	v_add_f64 v[242:243], v[188:189], v[190:191]
	ds_read_b128 v[188:191], v2 offset:1264
	s_waitcnt vmcnt(2) lgkmcnt(2)
	v_mul_f64 v[192:193], v[184:185], v[178:179]
	v_fmac_f64_e32 v[192:193], v[186:187], v[176:177]
	v_add_f64 v[2:3], v[242:243], v[192:193]
	s_waitcnt vmcnt(1) lgkmcnt(1)
	v_mul_f64 v[192:193], v[152:153], v[182:183]
	v_fmac_f64_e32 v[192:193], v[154:155], v[180:181]
	v_add_f64 v[2:3], v[2:3], v[192:193]
	;; [unrolled: 4-line block ×3, first 2 shown]
	scratch_load_dwordx4 v[192:195], off, off offset:128
	v_add_f64 v[242:243], v[250:251], 0
	v_add_f64 v[242:243], v[242:243], v[252:253]
	v_mul_f64 v[6:7], v[70:71], v[6:7]
	v_add_f64 v[242:243], v[242:243], v[244:245]
	v_fma_f64 v[4:5], v[68:69], v[4:5], -v[6:7]
	v_mul_f64 v[6:7], v[90:91], v[10:11]
	v_add_f64 v[4:5], v[242:243], v[4:5]
	v_fma_f64 v[6:7], v[88:89], v[8:9], -v[6:7]
	v_add_f64 v[4:5], v[4:5], v[6:7]
	v_mul_f64 v[6:7], v[86:87], v[14:15]
	v_fma_f64 v[6:7], v[84:85], v[12:13], -v[6:7]
	v_add_f64 v[4:5], v[4:5], v[6:7]
	v_mul_f64 v[6:7], v[82:83], v[18:19]
	;; [unrolled: 3-line block ×27, first 2 shown]
	v_fma_f64 v[6:7], v[188:189], v[196:197], -v[6:7]
	v_add_f64 v[4:5], v[4:5], v[6:7]
	s_waitcnt vmcnt(0)
	v_add_f64 v[4:5], v[192:193], -v[4:5]
	v_add_f64 v[6:7], v[194:195], -v[2:3]
	scratch_store_dwordx4 off, v[4:7], off offset:128
	s_and_saveexec_b64 s[0:1], vcc
	s_cbranch_execz .LBB103_241
; %bb.240:
	scratch_load_dwordx4 v[2:5], off, s50
	v_mov_b32_e32 v6, 0
	v_mov_b32_e32 v7, v6
	;; [unrolled: 1-line block ×4, first 2 shown]
	scratch_store_dwordx4 off, v[6:9], off offset:112
	s_waitcnt vmcnt(1)
	ds_write_b128 v1, v[2:5]
.LBB103_241:
	s_or_b64 exec, exec, s[0:1]
	s_waitcnt lgkmcnt(0)
	; wave barrier
	scratch_load_dwordx4 v[108:111], off, off offset:128
	scratch_load_dwordx4 v[116:119], off, off offset:144
	;; [unrolled: 1-line block ×33, first 2 shown]
	v_mov_b32_e32 v2, 0
	ds_read_b128 v[220:223], v2 offset:752
	ds_read_b128 v[224:227], v2 offset:768
	;; [unrolled: 1-line block ×16, first 2 shown]
	v_cmp_lt_u32_e32 vcc, 5, v0
	s_waitcnt vmcnt(32) lgkmcnt(14)
	v_mul_f64 v[180:181], v[220:221], v[110:111]
	s_waitcnt vmcnt(31)
	v_mul_f64 v[182:183], v[224:225], v[118:119]
	v_fmac_f64_e32 v[180:181], v[222:223], v[108:109]
	s_waitcnt vmcnt(30) lgkmcnt(13)
	v_mul_f64 v[184:185], v[234:235], v[122:123]
	v_fmac_f64_e32 v[182:183], v[226:227], v[116:117]
	v_add_f64 v[180:181], v[180:181], 0
	s_waitcnt vmcnt(29) lgkmcnt(12)
	v_mul_f64 v[186:187], v[242:243], v[126:127]
	v_fmac_f64_e32 v[184:185], v[236:237], v[120:121]
	v_add_f64 v[180:181], v[180:181], v[182:183]
	s_waitcnt vmcnt(28) lgkmcnt(11)
	v_mul_f64 v[188:189], v[250:251], v[130:131]
	v_fmac_f64_e32 v[186:187], v[244:245], v[124:125]
	v_add_f64 v[180:181], v[180:181], v[184:185]
	s_waitcnt vmcnt(27) lgkmcnt(10)
	v_mul_f64 v[190:191], v[176:177], v[6:7]
	v_fmac_f64_e32 v[188:189], v[252:253], v[128:129]
	v_add_f64 v[180:181], v[180:181], v[186:187]
	s_waitcnt vmcnt(26) lgkmcnt(9)
	v_mul_f64 v[192:193], v[172:173], v[10:11]
	v_fmac_f64_e32 v[190:191], v[178:179], v[4:5]
	v_add_f64 v[180:181], v[180:181], v[188:189]
	s_waitcnt vmcnt(25) lgkmcnt(8)
	v_mul_f64 v[194:195], v[168:169], v[14:15]
	v_fmac_f64_e32 v[192:193], v[174:175], v[8:9]
	v_add_f64 v[180:181], v[180:181], v[190:191]
	s_waitcnt vmcnt(24) lgkmcnt(7)
	v_mul_f64 v[196:197], v[164:165], v[18:19]
	v_fmac_f64_e32 v[194:195], v[170:171], v[12:13]
	v_add_f64 v[180:181], v[180:181], v[192:193]
	s_waitcnt vmcnt(23) lgkmcnt(6)
	v_mul_f64 v[198:199], v[160:161], v[22:23]
	v_fmac_f64_e32 v[196:197], v[166:167], v[16:17]
	v_add_f64 v[180:181], v[180:181], v[194:195]
	s_waitcnt vmcnt(22) lgkmcnt(5)
	v_mul_f64 v[200:201], v[156:157], v[26:27]
	v_fmac_f64_e32 v[198:199], v[162:163], v[20:21]
	v_add_f64 v[180:181], v[180:181], v[196:197]
	s_waitcnt vmcnt(21) lgkmcnt(4)
	v_mul_f64 v[202:203], v[152:153], v[30:31]
	v_fmac_f64_e32 v[200:201], v[158:159], v[24:25]
	v_add_f64 v[180:181], v[180:181], v[198:199]
	s_waitcnt vmcnt(20) lgkmcnt(3)
	v_mul_f64 v[204:205], v[148:149], v[34:35]
	v_fmac_f64_e32 v[202:203], v[154:155], v[28:29]
	v_add_f64 v[180:181], v[180:181], v[200:201]
	s_waitcnt vmcnt(19) lgkmcnt(2)
	v_mul_f64 v[206:207], v[144:145], v[38:39]
	v_fmac_f64_e32 v[204:205], v[150:151], v[32:33]
	v_add_f64 v[180:181], v[180:181], v[202:203]
	s_waitcnt vmcnt(18) lgkmcnt(1)
	v_mul_f64 v[208:209], v[140:141], v[42:43]
	v_fmac_f64_e32 v[206:207], v[146:147], v[36:37]
	v_add_f64 v[180:181], v[180:181], v[204:205]
	v_fmac_f64_e32 v[208:209], v[142:143], v[40:41]
	v_add_f64 v[180:181], v[180:181], v[206:207]
	v_add_f64 v[184:185], v[180:181], v[208:209]
	ds_read_b128 v[180:183], v2 offset:1008
	s_waitcnt vmcnt(17) lgkmcnt(1)
	v_mul_f64 v[186:187], v[136:137], v[46:47]
	v_fmac_f64_e32 v[186:187], v[138:139], v[44:45]
	v_add_f64 v[188:189], v[184:185], v[186:187]
	ds_read_b128 v[184:187], v2 offset:1024
	s_waitcnt vmcnt(16) lgkmcnt(1)
	v_mul_f64 v[190:191], v[180:181], v[50:51]
	v_fmac_f64_e32 v[190:191], v[182:183], v[48:49]
	;; [unrolled: 5-line block ×10, first 2 shown]
	v_mul_f64 v[110:111], v[222:223], v[110:111]
	v_add_f64 v[228:229], v[228:229], v[230:231]
	v_fma_f64 v[230:231], v[220:221], v[108:109], -v[110:111]
	ds_read_b128 v[108:111], v2 offset:1168
	s_waitcnt vmcnt(7) lgkmcnt(1)
	v_mul_f64 v[220:221], v[216:217], v[86:87]
	v_mul_f64 v[118:119], v[226:227], v[118:119]
	v_fmac_f64_e32 v[220:221], v[218:219], v[84:85]
	v_fma_f64 v[232:233], v[224:225], v[116:117], -v[118:119]
	ds_read_b128 v[116:119], v2 offset:1184
	s_waitcnt vmcnt(6) lgkmcnt(1)
	v_mul_f64 v[222:223], v[108:109], v[90:91]
	v_add_f64 v[220:221], v[228:229], v[220:221]
	v_fmac_f64_e32 v[222:223], v[110:111], v[88:89]
	v_add_f64 v[224:225], v[220:221], v[222:223]
	ds_read_b128 v[220:223], v2 offset:1200
	v_mul_f64 v[122:123], v[236:237], v[122:123]
	v_fma_f64 v[234:235], v[234:235], v[120:121], -v[122:123]
	ds_read_b128 v[120:123], v2 offset:1216
	s_waitcnt vmcnt(5) lgkmcnt(2)
	v_mul_f64 v[226:227], v[116:117], v[94:95]
	v_fmac_f64_e32 v[226:227], v[118:119], v[92:93]
	v_mul_f64 v[126:127], v[244:245], v[126:127]
	v_add_f64 v[224:225], v[224:225], v[226:227]
	s_waitcnt vmcnt(4) lgkmcnt(1)
	v_mul_f64 v[226:227], v[220:221], v[98:99]
	v_fma_f64 v[236:237], v[242:243], v[124:125], -v[126:127]
	ds_read_b128 v[124:127], v2 offset:1232
	v_fmac_f64_e32 v[226:227], v[222:223], v[96:97]
	v_add_f64 v[228:229], v[224:225], v[226:227]
	s_waitcnt vmcnt(3) lgkmcnt(1)
	v_mul_f64 v[238:239], v[120:121], v[102:103]
	ds_read_b128 v[224:227], v2 offset:1248
	v_fmac_f64_e32 v[238:239], v[122:123], v[100:101]
	v_mul_f64 v[130:131], v[252:253], v[130:131]
	v_add_f64 v[228:229], v[228:229], v[238:239]
	v_fma_f64 v[238:239], v[250:251], v[128:129], -v[130:131]
	ds_read_b128 v[128:131], v2 offset:1264
	s_waitcnt vmcnt(2) lgkmcnt(2)
	v_mul_f64 v[242:243], v[124:125], v[106:107]
	v_fmac_f64_e32 v[242:243], v[126:127], v[104:105]
	v_add_f64 v[228:229], v[228:229], v[242:243]
	s_waitcnt vmcnt(1) lgkmcnt(1)
	v_mul_f64 v[242:243], v[224:225], v[114:115]
	v_fmac_f64_e32 v[242:243], v[226:227], v[112:113]
	v_add_f64 v[228:229], v[228:229], v[242:243]
	;; [unrolled: 4-line block ×3, first 2 shown]
	scratch_load_dwordx4 v[242:245], off, off offset:112
	v_add_f64 v[230:231], v[230:231], 0
	v_add_f64 v[230:231], v[230:231], v[232:233]
	;; [unrolled: 1-line block ×4, first 2 shown]
	v_mul_f64 v[6:7], v[178:179], v[6:7]
	v_add_f64 v[230:231], v[230:231], v[238:239]
	v_fma_f64 v[4:5], v[176:177], v[4:5], -v[6:7]
	v_mul_f64 v[6:7], v[174:175], v[10:11]
	v_add_f64 v[4:5], v[230:231], v[4:5]
	v_fma_f64 v[6:7], v[172:173], v[8:9], -v[6:7]
	v_add_f64 v[4:5], v[4:5], v[6:7]
	v_mul_f64 v[6:7], v[170:171], v[14:15]
	v_fma_f64 v[6:7], v[168:169], v[12:13], -v[6:7]
	v_add_f64 v[4:5], v[4:5], v[6:7]
	v_mul_f64 v[6:7], v[166:167], v[18:19]
	;; [unrolled: 3-line block ×26, first 2 shown]
	v_fma_f64 v[6:7], v[128:129], v[132:133], -v[6:7]
	v_add_f64 v[4:5], v[4:5], v[6:7]
	s_waitcnt vmcnt(0)
	v_add_f64 v[4:5], v[242:243], -v[4:5]
	v_add_f64 v[6:7], v[244:245], -v[228:229]
	scratch_store_dwordx4 off, v[4:7], off offset:112
	s_and_saveexec_b64 s[0:1], vcc
	s_cbranch_execz .LBB103_243
; %bb.242:
	scratch_load_dwordx4 v[6:9], off, s51
	v_mov_b32_e32 v3, v2
	v_mov_b32_e32 v4, v2
	;; [unrolled: 1-line block ×3, first 2 shown]
	scratch_store_dwordx4 off, v[2:5], off offset:96
	s_waitcnt vmcnt(1)
	ds_write_b128 v1, v[6:9]
.LBB103_243:
	s_or_b64 exec, exec, s[0:1]
	s_waitcnt lgkmcnt(0)
	; wave barrier
	scratch_load_dwordx4 v[144:147], off, off offset:112
	scratch_load_dwordx4 v[152:155], off, off offset:128
	;; [unrolled: 1-line block ×16, first 2 shown]
	ds_read_b128 v[196:199], v2 offset:736
	ds_read_b128 v[188:191], v2 offset:752
	ds_read_b128 v[180:183], v2 offset:768
	scratch_load_dwordx4 v[48:51], off, off offset:368
	ds_read_b128 v[192:195], v2 offset:784
	ds_read_b128 v[184:187], v2 offset:800
	ds_read_b128 v[64:67], v2 offset:816
	scratch_load_dwordx4 v[52:55], off, off offset:384
	;; [unrolled: 4-line block ×5, first 2 shown]
	ds_read_b128 v[116:119], v2 offset:976
	ds_read_b128 v[112:115], v2 offset:992
	scratch_load_dwordx4 v[108:111], off, off offset:448
	scratch_load_dwordx4 v[120:123], off, off offset:464
	;; [unrolled: 1-line block ×12, first 2 shown]
	v_cmp_lt_u32_e32 vcc, 4, v0
	s_waitcnt vmcnt(32) lgkmcnt(14)
	v_mul_f64 v[204:205], v[196:197], v[146:147]
	s_waitcnt vmcnt(31)
	v_mul_f64 v[206:207], v[188:189], v[154:155]
	v_fmac_f64_e32 v[204:205], v[198:199], v[144:145]
	s_waitcnt vmcnt(30)
	v_mul_f64 v[208:209], v[180:181], v[158:159]
	v_fmac_f64_e32 v[206:207], v[190:191], v[152:153]
	v_add_f64 v[204:205], v[204:205], 0
	s_waitcnt vmcnt(29) lgkmcnt(13)
	v_mul_f64 v[210:211], v[192:193], v[162:163]
	v_fmac_f64_e32 v[208:209], v[182:183], v[156:157]
	v_add_f64 v[204:205], v[204:205], v[206:207]
	s_waitcnt vmcnt(28) lgkmcnt(12)
	;; [unrolled: 4-line block ×12, first 2 shown]
	v_mul_f64 v[232:233], v[96:97], v[42:43]
	v_fmac_f64_e32 v[230:231], v[102:103], v[36:37]
	v_add_f64 v[204:205], v[204:205], v[228:229]
	v_fmac_f64_e32 v[232:233], v[98:99], v[40:41]
	v_add_f64 v[204:205], v[204:205], v[230:231]
	s_waitcnt vmcnt(17) lgkmcnt(1)
	v_mul_f64 v[206:207], v[116:117], v[46:47]
	v_add_f64 v[204:205], v[204:205], v[232:233]
	v_fmac_f64_e32 v[206:207], v[118:119], v[44:45]
	s_waitcnt vmcnt(16) lgkmcnt(0)
	v_mul_f64 v[210:211], v[112:113], v[50:51]
	v_add_f64 v[208:209], v[204:205], v[206:207]
	ds_read_b128 v[204:207], v2 offset:1008
	v_fmac_f64_e32 v[210:211], v[114:115], v[48:49]
	v_add_f64 v[212:213], v[208:209], v[210:211]
	ds_read_b128 v[208:211], v2 offset:1024
	v_mul_f64 v[146:147], v[198:199], v[146:147]
	s_waitcnt vmcnt(15) lgkmcnt(1)
	v_mul_f64 v[214:215], v[204:205], v[54:55]
	v_fmac_f64_e32 v[214:215], v[206:207], v[52:53]
	v_add_f64 v[216:217], v[212:213], v[214:215]
	s_waitcnt vmcnt(14) lgkmcnt(0)
	v_mul_f64 v[218:219], v[208:209], v[58:59]
	ds_read_b128 v[212:215], v2 offset:1040
	v_fmac_f64_e32 v[218:219], v[210:211], v[56:57]
	v_add_f64 v[220:221], v[216:217], v[218:219]
	ds_read_b128 v[216:219], v2 offset:1056
	v_mul_f64 v[154:155], v[190:191], v[154:155]
	s_waitcnt vmcnt(13) lgkmcnt(1)
	v_mul_f64 v[222:223], v[212:213], v[62:63]
	v_fmac_f64_e32 v[222:223], v[214:215], v[60:61]
	v_add_f64 v[224:225], v[220:221], v[222:223]
	s_waitcnt vmcnt(12) lgkmcnt(0)
	v_mul_f64 v[226:227], v[216:217], v[94:95]
	ds_read_b128 v[220:223], v2 offset:1072
	v_fmac_f64_e32 v[226:227], v[218:219], v[92:93]
	v_add_f64 v[228:229], v[224:225], v[226:227]
	ds_read_b128 v[224:227], v2 offset:1088
	v_fma_f64 v[250:251], v[188:189], v[152:153], -v[154:155]
	s_waitcnt vmcnt(11) lgkmcnt(1)
	v_mul_f64 v[230:231], v[220:221], v[110:111]
	v_fmac_f64_e32 v[230:231], v[222:223], v[108:109]
	v_add_f64 v[232:233], v[228:229], v[230:231]
	s_waitcnt vmcnt(10) lgkmcnt(0)
	v_mul_f64 v[234:235], v[224:225], v[122:123]
	ds_read_b128 v[228:231], v2 offset:1104
	v_fmac_f64_e32 v[234:235], v[226:227], v[120:121]
	v_add_f64 v[236:237], v[232:233], v[234:235]
	ds_read_b128 v[232:235], v2 offset:1120
	ds_read_b128 v[152:155], v2 offset:1168
	s_waitcnt vmcnt(9) lgkmcnt(2)
	v_mul_f64 v[238:239], v[228:229], v[126:127]
	v_fmac_f64_e32 v[238:239], v[230:231], v[124:125]
	v_add_f64 v[242:243], v[236:237], v[238:239]
	s_waitcnt vmcnt(8) lgkmcnt(1)
	v_mul_f64 v[244:245], v[232:233], v[130:131]
	ds_read_b128 v[236:239], v2 offset:1136
	v_fmac_f64_e32 v[244:245], v[234:235], v[128:129]
	v_add_f64 v[242:243], v[242:243], v[244:245]
	v_fma_f64 v[244:245], v[196:197], v[144:145], -v[146:147]
	ds_read_b128 v[144:147], v2 offset:1152
	s_waitcnt vmcnt(7) lgkmcnt(1)
	v_mul_f64 v[196:197], v[236:237], v[134:135]
	v_fmac_f64_e32 v[196:197], v[238:239], v[132:133]
	v_add_f64 v[188:189], v[242:243], v[196:197]
	v_mul_f64 v[158:159], v[182:183], v[158:159]
	s_waitcnt vmcnt(6) lgkmcnt(0)
	v_mul_f64 v[190:191], v[144:145], v[138:139]
	v_fmac_f64_e32 v[190:191], v[146:147], v[136:137]
	v_add_f64 v[196:197], v[188:189], v[190:191]
	ds_read_b128 v[188:191], v2 offset:1184
	v_fma_f64 v[242:243], v[180:181], v[156:157], -v[158:159]
	ds_read_b128 v[156:159], v2 offset:1200
	s_waitcnt vmcnt(5)
	v_mul_f64 v[198:199], v[152:153], v[142:143]
	v_fmac_f64_e32 v[198:199], v[154:155], v[140:141]
	s_waitcnt vmcnt(4) lgkmcnt(1)
	v_mul_f64 v[180:181], v[188:189], v[150:151]
	v_add_f64 v[196:197], v[196:197], v[198:199]
	v_fmac_f64_e32 v[180:181], v[190:191], v[148:149]
	v_mul_f64 v[162:163], v[194:195], v[162:163]
	v_add_f64 v[198:199], v[196:197], v[180:181]
	v_fma_f64 v[196:197], v[192:193], v[160:161], -v[162:163]
	ds_read_b128 v[160:163], v2 offset:1216
	s_waitcnt vmcnt(3) lgkmcnt(1)
	v_mul_f64 v[192:193], v[156:157], v[166:167]
	ds_read_b128 v[180:183], v2 offset:1232
	v_fmac_f64_e32 v[192:193], v[158:159], v[164:165]
	v_mul_f64 v[170:171], v[186:187], v[170:171]
	v_add_f64 v[192:193], v[198:199], v[192:193]
	v_fma_f64 v[198:199], v[184:185], v[168:169], -v[170:171]
	ds_read_b128 v[168:171], v2 offset:1248
	s_waitcnt vmcnt(2) lgkmcnt(2)
	v_mul_f64 v[184:185], v[160:161], v[174:175]
	v_fmac_f64_e32 v[184:185], v[162:163], v[172:173]
	s_waitcnt vmcnt(1) lgkmcnt(1)
	v_mul_f64 v[186:187], v[180:181], v[178:179]
	v_add_f64 v[184:185], v[192:193], v[184:185]
	v_fmac_f64_e32 v[186:187], v[182:183], v[176:177]
	v_add_f64 v[184:185], v[184:185], v[186:187]
	s_waitcnt vmcnt(0) lgkmcnt(0)
	v_mul_f64 v[186:187], v[168:169], v[202:203]
	v_fmac_f64_e32 v[186:187], v[170:171], v[200:201]
	v_add_f64 v[252:253], v[184:185], v[186:187]
	scratch_load_dwordx4 v[184:187], off, off offset:640
	v_add_f64 v[244:245], v[244:245], 0
	v_add_f64 v[244:245], v[244:245], v[250:251]
	;; [unrolled: 1-line block ×3, first 2 shown]
	scratch_load_dwordx4 v[242:245], off, off offset:96
	v_add_f64 v[196:197], v[250:251], v[196:197]
	v_mul_f64 v[6:7], v[66:67], v[6:7]
	v_add_f64 v[196:197], v[196:197], v[198:199]
	v_fma_f64 v[4:5], v[64:65], v[4:5], -v[6:7]
	v_mul_f64 v[6:7], v[78:79], v[10:11]
	v_add_f64 v[4:5], v[196:197], v[4:5]
	v_fma_f64 v[6:7], v[76:77], v[8:9], -v[6:7]
	v_add_f64 v[4:5], v[4:5], v[6:7]
	v_mul_f64 v[6:7], v[74:75], v[14:15]
	v_fma_f64 v[6:7], v[72:73], v[12:13], -v[6:7]
	v_add_f64 v[4:5], v[4:5], v[6:7]
	v_mul_f64 v[6:7], v[70:71], v[18:19]
	;; [unrolled: 3-line block ×24, first 2 shown]
	ds_read_b128 v[192:195], v2 offset:1264
	v_fma_f64 v[6:7], v[160:161], v[172:173], -v[6:7]
	v_add_f64 v[4:5], v[4:5], v[6:7]
	v_mul_f64 v[6:7], v[182:183], v[178:179]
	v_fma_f64 v[6:7], v[180:181], v[176:177], -v[6:7]
	v_add_f64 v[4:5], v[4:5], v[6:7]
	v_mul_f64 v[6:7], v[170:171], v[202:203]
	v_fma_f64 v[6:7], v[168:169], v[200:201], -v[6:7]
	s_waitcnt vmcnt(1) lgkmcnt(0)
	v_mul_f64 v[2:3], v[192:193], v[186:187]
	v_add_f64 v[4:5], v[4:5], v[6:7]
	v_mul_f64 v[6:7], v[194:195], v[186:187]
	v_fmac_f64_e32 v[2:3], v[194:195], v[184:185]
	v_fma_f64 v[6:7], v[192:193], v[184:185], -v[6:7]
	v_add_f64 v[2:3], v[252:253], v[2:3]
	v_add_f64 v[4:5], v[4:5], v[6:7]
	s_waitcnt vmcnt(0)
	v_add_f64 v[4:5], v[242:243], -v[4:5]
	v_add_f64 v[6:7], v[244:245], -v[2:3]
	scratch_store_dwordx4 off, v[4:7], off offset:96
	s_and_saveexec_b64 s[0:1], vcc
	s_cbranch_execz .LBB103_245
; %bb.244:
	scratch_load_dwordx4 v[2:5], off, s52
	v_mov_b32_e32 v6, 0
	v_mov_b32_e32 v7, v6
	;; [unrolled: 1-line block ×4, first 2 shown]
	scratch_store_dwordx4 off, v[6:9], off offset:80
	s_waitcnt vmcnt(1)
	ds_write_b128 v1, v[2:5]
.LBB103_245:
	s_or_b64 exec, exec, s[0:1]
	s_waitcnt lgkmcnt(0)
	; wave barrier
	scratch_load_dwordx4 v[184:187], off, off offset:96
	scratch_load_dwordx4 v[188:191], off, off offset:112
	;; [unrolled: 1-line block ×32, first 2 shown]
	v_mov_b32_e32 v2, 0
	ds_read_b128 v[192:195], v2 offset:720
	ds_read_b128 v[204:207], v2 offset:736
	;; [unrolled: 1-line block ×16, first 2 shown]
	v_cmp_lt_u32_e32 vcc, 3, v0
	s_waitcnt vmcnt(31) lgkmcnt(14)
	v_mul_f64 v[104:105], v[192:193], v[186:187]
	s_waitcnt vmcnt(30)
	v_mul_f64 v[106:107], v[204:205], v[190:191]
	v_fmac_f64_e32 v[104:105], v[194:195], v[184:185]
	s_waitcnt vmcnt(29) lgkmcnt(13)
	v_mul_f64 v[112:113], v[216:217], v[198:199]
	v_fmac_f64_e32 v[106:107], v[206:207], v[188:189]
	v_add_f64 v[104:105], v[104:105], 0
	s_waitcnt vmcnt(28) lgkmcnt(12)
	v_mul_f64 v[114:115], v[224:225], v[202:203]
	v_fmac_f64_e32 v[112:113], v[218:219], v[196:197]
	v_add_f64 v[104:105], v[104:105], v[106:107]
	s_waitcnt vmcnt(27) lgkmcnt(11)
	v_mul_f64 v[128:129], v[228:229], v[210:211]
	v_fmac_f64_e32 v[114:115], v[226:227], v[200:201]
	v_add_f64 v[104:105], v[104:105], v[112:113]
	s_waitcnt vmcnt(26) lgkmcnt(10)
	v_mul_f64 v[130:131], v[242:243], v[214:215]
	v_fmac_f64_e32 v[128:129], v[230:231], v[208:209]
	v_add_f64 v[104:105], v[104:105], v[114:115]
	s_waitcnt vmcnt(25) lgkmcnt(9)
	v_mul_f64 v[152:153], v[250:251], v[222:223]
	v_fmac_f64_e32 v[130:131], v[244:245], v[212:213]
	v_add_f64 v[104:105], v[104:105], v[128:129]
	s_waitcnt vmcnt(24) lgkmcnt(8)
	v_mul_f64 v[154:155], v[148:149], v[6:7]
	v_fmac_f64_e32 v[152:153], v[252:253], v[220:221]
	v_add_f64 v[104:105], v[104:105], v[130:131]
	s_waitcnt vmcnt(23) lgkmcnt(7)
	v_mul_f64 v[156:157], v[144:145], v[10:11]
	v_fmac_f64_e32 v[154:155], v[150:151], v[4:5]
	v_add_f64 v[104:105], v[104:105], v[152:153]
	s_waitcnt vmcnt(22) lgkmcnt(6)
	v_mul_f64 v[158:159], v[140:141], v[14:15]
	v_fmac_f64_e32 v[156:157], v[146:147], v[8:9]
	v_add_f64 v[104:105], v[104:105], v[154:155]
	s_waitcnt vmcnt(21) lgkmcnt(5)
	v_mul_f64 v[160:161], v[136:137], v[18:19]
	v_fmac_f64_e32 v[158:159], v[142:143], v[12:13]
	v_add_f64 v[104:105], v[104:105], v[156:157]
	s_waitcnt vmcnt(20) lgkmcnt(4)
	v_mul_f64 v[162:163], v[132:133], v[22:23]
	v_fmac_f64_e32 v[160:161], v[138:139], v[16:17]
	v_add_f64 v[104:105], v[104:105], v[158:159]
	ds_read_b128 v[152:155], v2 offset:976
	ds_read_b128 v[156:159], v2 offset:992
	s_waitcnt vmcnt(19) lgkmcnt(5)
	v_mul_f64 v[164:165], v[124:125], v[26:27]
	v_fmac_f64_e32 v[162:163], v[134:135], v[20:21]
	v_add_f64 v[104:105], v[104:105], v[160:161]
	s_waitcnt vmcnt(18) lgkmcnt(4)
	v_mul_f64 v[166:167], v[120:121], v[30:31]
	v_fmac_f64_e32 v[164:165], v[126:127], v[24:25]
	v_add_f64 v[104:105], v[104:105], v[162:163]
	;; [unrolled: 4-line block ×4, first 2 shown]
	v_add_f64 v[112:113], v[104:105], v[168:169]
	v_fmac_f64_e32 v[170:171], v[110:111], v[36:37]
	scratch_load_dwordx4 v[104:107], off, off offset:608
	s_waitcnt vmcnt(16) lgkmcnt(1)
	v_mul_f64 v[114:115], v[152:153], v[42:43]
	v_add_f64 v[112:113], v[112:113], v[170:171]
	v_fmac_f64_e32 v[114:115], v[154:155], v[40:41]
	v_add_f64 v[128:129], v[112:113], v[114:115]
	scratch_load_dwordx4 v[112:115], off, off offset:624
	s_waitcnt vmcnt(16) lgkmcnt(0)
	v_mul_f64 v[130:131], v[156:157], v[46:47]
	v_fmac_f64_e32 v[130:131], v[158:159], v[44:45]
	v_add_f64 v[168:169], v[128:129], v[130:131]
	scratch_load_dwordx4 v[128:131], off, off offset:640
	ds_read_b128 v[160:163], v2 offset:1008
	ds_read_b128 v[164:167], v2 offset:1024
	v_mul_f64 v[186:187], v[194:195], v[186:187]
	v_fma_f64 v[254:255], v[192:193], v[184:185], -v[186:187]
	ds_read_b128 v[184:187], v2 offset:1104
	s_waitcnt vmcnt(16) lgkmcnt(2)
	v_mul_f64 v[170:171], v[160:161], v[50:51]
	v_fmac_f64_e32 v[170:171], v[162:163], v[48:49]
	s_waitcnt vmcnt(15) lgkmcnt(1)
	v_mul_f64 v[174:175], v[164:165], v[54:55]
	v_add_f64 v[172:173], v[168:169], v[170:171]
	ds_read_b128 v[168:171], v2 offset:1040
	v_fmac_f64_e32 v[174:175], v[166:167], v[52:53]
	v_add_f64 v[176:177], v[172:173], v[174:175]
	ds_read_b128 v[172:175], v2 offset:1056
	v_mul_f64 v[190:191], v[206:207], v[190:191]
	s_waitcnt vmcnt(14) lgkmcnt(1)
	v_mul_f64 v[178:179], v[168:169], v[58:59]
	v_fmac_f64_e32 v[178:179], v[170:171], v[56:57]
	v_add_f64 v[180:181], v[176:177], v[178:179]
	s_waitcnt vmcnt(13) lgkmcnt(0)
	v_mul_f64 v[182:183], v[172:173], v[62:63]
	ds_read_b128 v[176:179], v2 offset:1072
	v_fmac_f64_e32 v[182:183], v[174:175], v[60:61]
	v_add_f64 v[232:233], v[180:181], v[182:183]
	ds_read_b128 v[180:183], v2 offset:1088
	v_fma_f64 v[246:247], v[204:205], v[188:189], -v[190:191]
	s_waitcnt vmcnt(12) lgkmcnt(1)
	v_mul_f64 v[234:235], v[176:177], v[66:67]
	v_fmac_f64_e32 v[234:235], v[178:179], v[64:65]
	v_add_f64 v[232:233], v[232:233], v[234:235]
	s_waitcnt vmcnt(11) lgkmcnt(0)
	v_mul_f64 v[192:193], v[180:181], v[70:71]
	v_fmac_f64_e32 v[192:193], v[182:183], v[68:69]
	ds_read_b128 v[188:191], v2 offset:1120
	s_waitcnt vmcnt(10)
	v_mul_f64 v[194:195], v[184:185], v[74:75]
	v_add_f64 v[192:193], v[232:233], v[192:193]
	v_fmac_f64_e32 v[194:195], v[186:187], v[72:73]
	v_add_f64 v[204:205], v[192:193], v[194:195]
	ds_read_b128 v[192:195], v2 offset:1136
	v_mul_f64 v[198:199], v[218:219], v[198:199]
	v_fma_f64 v[248:249], v[216:217], v[196:197], -v[198:199]
	ds_read_b128 v[196:199], v2 offset:1152
	s_waitcnt vmcnt(9) lgkmcnt(2)
	v_mul_f64 v[206:207], v[188:189], v[78:79]
	v_fmac_f64_e32 v[206:207], v[190:191], v[76:77]
	v_add_f64 v[204:205], v[204:205], v[206:207]
	s_waitcnt vmcnt(8) lgkmcnt(1)
	v_mul_f64 v[206:207], v[192:193], v[82:83]
	v_fmac_f64_e32 v[206:207], v[194:195], v[80:81]
	v_mul_f64 v[202:203], v[226:227], v[202:203]
	v_add_f64 v[204:205], v[204:205], v[206:207]
	v_fma_f64 v[234:235], v[224:225], v[200:201], -v[202:203]
	ds_read_b128 v[200:203], v2 offset:1168
	s_waitcnt vmcnt(7) lgkmcnt(1)
	v_mul_f64 v[206:207], v[196:197], v[86:87]
	v_fmac_f64_e32 v[206:207], v[198:199], v[84:85]
	v_add_f64 v[216:217], v[204:205], v[206:207]
	ds_read_b128 v[204:207], v2 offset:1184
	v_mul_f64 v[210:211], v[230:231], v[210:211]
	v_fma_f64 v[236:237], v[228:229], v[208:209], -v[210:211]
	ds_read_b128 v[208:211], v2 offset:1200
	s_waitcnt vmcnt(6) lgkmcnt(2)
	v_mul_f64 v[218:219], v[200:201], v[90:91]
	v_fmac_f64_e32 v[218:219], v[202:203], v[88:89]
	v_add_f64 v[216:217], v[216:217], v[218:219]
	s_waitcnt vmcnt(5) lgkmcnt(1)
	v_mul_f64 v[218:219], v[204:205], v[94:95]
	v_fmac_f64_e32 v[218:219], v[206:207], v[92:93]
	v_mul_f64 v[214:215], v[244:245], v[214:215]
	v_fma_f64 v[238:239], v[242:243], v[212:213], -v[214:215]
	ds_read_b128 v[212:215], v2 offset:1216
	v_add_f64 v[216:217], v[216:217], v[218:219]
	s_waitcnt vmcnt(4) lgkmcnt(1)
	v_mul_f64 v[218:219], v[208:209], v[102:103]
	v_fmac_f64_e32 v[218:219], v[210:211], v[100:101]
	v_add_f64 v[224:225], v[216:217], v[218:219]
	ds_read_b128 v[216:219], v2 offset:1232
	v_mul_f64 v[222:223], v[252:253], v[222:223]
	v_fma_f64 v[250:251], v[250:251], v[220:221], -v[222:223]
	ds_read_b128 v[220:223], v2 offset:1248
	s_waitcnt vmcnt(3) lgkmcnt(2)
	v_mul_f64 v[226:227], v[212:213], v[98:99]
	v_fmac_f64_e32 v[226:227], v[214:215], v[96:97]
	v_add_f64 v[224:225], v[224:225], v[226:227]
	s_waitcnt vmcnt(2) lgkmcnt(1)
	v_mul_f64 v[226:227], v[216:217], v[106:107]
	v_fmac_f64_e32 v[226:227], v[218:219], v[104:105]
	v_add_f64 v[224:225], v[224:225], v[226:227]
	;; [unrolled: 4-line block ×3, first 2 shown]
	ds_read_b128 v[224:227], v2 offset:1264
	v_mul_f64 v[6:7], v[150:151], v[6:7]
	v_fma_f64 v[4:5], v[148:149], v[4:5], -v[6:7]
	v_mul_f64 v[6:7], v[146:147], v[10:11]
	v_fma_f64 v[6:7], v[144:145], v[8:9], -v[6:7]
	s_waitcnt vmcnt(0) lgkmcnt(0)
	v_mul_f64 v[230:231], v[224:225], v[130:131]
	v_fmac_f64_e32 v[230:231], v[226:227], v[128:129]
	v_add_f64 v[232:233], v[228:229], v[230:231]
	v_add_f64 v[228:229], v[254:255], 0
	;; [unrolled: 1-line block ×4, first 2 shown]
	scratch_load_dwordx4 v[228:231], off, off offset:80
	v_add_f64 v[234:235], v[252:253], v[234:235]
	v_add_f64 v[234:235], v[234:235], v[236:237]
	v_add_f64 v[234:235], v[234:235], v[238:239]
	v_add_f64 v[234:235], v[234:235], v[250:251]
	v_add_f64 v[4:5], v[234:235], v[4:5]
	v_add_f64 v[4:5], v[4:5], v[6:7]
	v_mul_f64 v[6:7], v[142:143], v[14:15]
	v_fma_f64 v[6:7], v[140:141], v[12:13], -v[6:7]
	v_add_f64 v[4:5], v[4:5], v[6:7]
	v_mul_f64 v[6:7], v[138:139], v[18:19]
	v_fma_f64 v[6:7], v[136:137], v[16:17], -v[6:7]
	v_add_f64 v[4:5], v[4:5], v[6:7]
	;; [unrolled: 3-line block ×26, first 2 shown]
	s_waitcnt vmcnt(0)
	v_add_f64 v[4:5], v[228:229], -v[4:5]
	v_add_f64 v[6:7], v[230:231], -v[232:233]
	scratch_store_dwordx4 off, v[4:7], off offset:80
	s_and_saveexec_b64 s[0:1], vcc
	s_cbranch_execz .LBB103_247
; %bb.246:
	scratch_load_dwordx4 v[6:9], off, s53
	v_mov_b32_e32 v3, v2
	v_mov_b32_e32 v4, v2
	;; [unrolled: 1-line block ×3, first 2 shown]
	scratch_store_dwordx4 off, v[2:5], off offset:64
	s_waitcnt vmcnt(1)
	ds_write_b128 v1, v[6:9]
.LBB103_247:
	s_or_b64 exec, exec, s[0:1]
	s_waitcnt lgkmcnt(0)
	; wave barrier
	scratch_load_dwordx4 v[140:143], off, off offset:80
	scratch_load_dwordx4 v[144:147], off, off offset:96
	;; [unrolled: 1-line block ×16, first 2 shown]
	ds_read_b128 v[208:211], v2 offset:704
	ds_read_b128 v[200:203], v2 offset:720
	;; [unrolled: 1-line block ×3, first 2 shown]
	scratch_load_dwordx4 v[40:43], off, off offset:336
	ds_read_b128 v[204:207], v2 offset:752
	ds_read_b128 v[192:195], v2 offset:768
	;; [unrolled: 1-line block ×3, first 2 shown]
	scratch_load_dwordx4 v[44:47], off, off offset:352
	ds_read_b128 v[196:199], v2 offset:800
	ds_read_b128 v[64:67], v2 offset:816
	;; [unrolled: 1-line block ×4, first 2 shown]
	scratch_load_dwordx4 v[48:51], off, off offset:368
	ds_read_b128 v[72:75], v2 offset:864
	ds_read_b128 v[68:71], v2 offset:880
	scratch_load_dwordx4 v[56:59], off, off offset:384
	ds_read_b128 v[92:95], v2 offset:896
	ds_read_b128 v[88:91], v2 offset:912
	;; [unrolled: 1-line block ×4, first 2 shown]
	scratch_load_dwordx4 v[76:79], off, off offset:400
	scratch_load_dwordx4 v[96:99], off, off offset:416
	;; [unrolled: 1-line block ×12, first 2 shown]
	ds_read_b128 v[168:171], v2 offset:960
	v_cmp_lt_u32_e32 vcc, 2, v0
	s_waitcnt vmcnt(31) lgkmcnt(14)
	v_mul_f64 v[172:173], v[208:209], v[142:143]
	s_waitcnt vmcnt(30)
	v_mul_f64 v[174:175], v[200:201], v[146:147]
	v_fmac_f64_e32 v[172:173], v[210:211], v[140:141]
	s_waitcnt vmcnt(29)
	v_mul_f64 v[176:177], v[188:189], v[150:151]
	v_fmac_f64_e32 v[174:175], v[202:203], v[144:145]
	v_add_f64 v[172:173], v[172:173], 0
	s_waitcnt vmcnt(28) lgkmcnt(13)
	v_mul_f64 v[178:179], v[204:205], v[154:155]
	v_fmac_f64_e32 v[176:177], v[190:191], v[148:149]
	v_add_f64 v[172:173], v[172:173], v[174:175]
	s_waitcnt vmcnt(27) lgkmcnt(12)
	;; [unrolled: 4-line block ×10, first 2 shown]
	v_mul_f64 v[224:225], v[92:93], v[26:27]
	v_fmac_f64_e32 v[222:223], v[70:71], v[20:21]
	v_add_f64 v[172:173], v[172:173], v[220:221]
	ds_read_b128 v[212:215], v2 offset:976
	s_waitcnt vmcnt(18) lgkmcnt(4)
	v_mul_f64 v[226:227], v[88:89], v[30:31]
	v_fmac_f64_e32 v[224:225], v[94:95], v[24:25]
	v_add_f64 v[172:173], v[172:173], v[222:223]
	ds_read_b128 v[216:219], v2 offset:992
	ds_read_b128 v[220:223], v2 offset:1008
	s_waitcnt vmcnt(17) lgkmcnt(5)
	v_mul_f64 v[228:229], v[84:85], v[34:35]
	v_fmac_f64_e32 v[226:227], v[90:91], v[28:29]
	v_add_f64 v[172:173], v[172:173], v[224:225]
	s_waitcnt vmcnt(16) lgkmcnt(4)
	v_mul_f64 v[230:231], v[80:81], v[38:39]
	v_fmac_f64_e32 v[228:229], v[86:87], v[32:33]
	v_add_f64 v[172:173], v[172:173], v[226:227]
	v_add_f64 v[176:177], v[172:173], v[228:229]
	v_fmac_f64_e32 v[230:231], v[82:83], v[36:37]
	s_waitcnt vmcnt(15) lgkmcnt(3)
	v_mul_f64 v[178:179], v[168:169], v[42:43]
	v_add_f64 v[176:177], v[176:177], v[230:231]
	v_fmac_f64_e32 v[178:179], v[170:171], v[40:41]
	s_waitcnt vmcnt(14) lgkmcnt(2)
	v_mul_f64 v[182:183], v[212:213], v[46:47]
	;; [unrolled: 4-line block ×3, first 2 shown]
	v_add_f64 v[224:225], v[180:181], v[182:183]
	v_fmac_f64_e32 v[226:227], v[218:219], v[48:49]
	v_add_f64 v[228:229], v[224:225], v[226:227]
	ds_read_b128 v[224:227], v2 offset:1024
	s_waitcnt vmcnt(12) lgkmcnt(1)
	v_mul_f64 v[230:231], v[220:221], v[58:59]
	v_fmac_f64_e32 v[230:231], v[222:223], v[56:57]
	v_add_f64 v[232:233], v[228:229], v[230:231]
	ds_read_b128 v[228:231], v2 offset:1040
	s_waitcnt vmcnt(11) lgkmcnt(1)
	v_mul_f64 v[234:235], v[224:225], v[78:79]
	v_fmac_f64_e32 v[234:235], v[226:227], v[76:77]
	v_add_f64 v[236:237], v[232:233], v[234:235]
	ds_read_b128 v[232:235], v2 offset:1056
	s_waitcnt vmcnt(10) lgkmcnt(1)
	v_mul_f64 v[238:239], v[228:229], v[98:99]
	v_fmac_f64_e32 v[238:239], v[230:231], v[96:97]
	v_add_f64 v[242:243], v[236:237], v[238:239]
	ds_read_b128 v[236:239], v2 offset:1072
	s_waitcnt vmcnt(9) lgkmcnt(1)
	v_mul_f64 v[244:245], v[232:233], v[102:103]
	v_fmac_f64_e32 v[244:245], v[234:235], v[100:101]
	v_mul_f64 v[142:143], v[210:211], v[142:143]
	v_add_f64 v[242:243], v[242:243], v[244:245]
	v_fma_f64 v[244:245], v[208:209], v[140:141], -v[142:143]
	ds_read_b128 v[140:143], v2 offset:1088
	s_waitcnt vmcnt(8) lgkmcnt(1)
	v_mul_f64 v[208:209], v[236:237], v[106:107]
	v_fmac_f64_e32 v[208:209], v[238:239], v[104:105]
	v_mul_f64 v[146:147], v[202:203], v[146:147]
	v_add_f64 v[208:209], v[242:243], v[208:209]
	v_fma_f64 v[242:243], v[200:201], v[144:145], -v[146:147]
	ds_read_b128 v[144:147], v2 offset:1104
	s_waitcnt vmcnt(7) lgkmcnt(1)
	v_mul_f64 v[200:201], v[140:141], v[110:111]
	scratch_load_dwordx4 v[172:175], off, off offset:592
	v_fmac_f64_e32 v[200:201], v[142:143], v[108:109]
	v_add_f64 v[208:209], v[208:209], v[200:201]
	ds_read_b128 v[200:203], v2 offset:1120
	v_mul_f64 v[150:151], v[190:191], v[150:151]
	scratch_load_dwordx4 v[176:179], off, off offset:608
	scratch_load_dwordx4 v[180:183], off, off offset:624
	v_fma_f64 v[246:247], v[188:189], v[148:149], -v[150:151]
	ds_read_b128 v[148:151], v2 offset:1136
	s_waitcnt vmcnt(9) lgkmcnt(2)
	v_mul_f64 v[210:211], v[144:145], v[114:115]
	v_fmac_f64_e32 v[210:211], v[146:147], v[112:113]
	s_waitcnt vmcnt(8) lgkmcnt(1)
	v_mul_f64 v[188:189], v[200:201], v[118:119]
	v_add_f64 v[208:209], v[208:209], v[210:211]
	v_fmac_f64_e32 v[188:189], v[202:203], v[116:117]
	v_mul_f64 v[154:155], v[206:207], v[154:155]
	s_waitcnt vmcnt(7) lgkmcnt(0)
	v_mul_f64 v[190:191], v[148:149], v[122:123]
	v_add_f64 v[188:189], v[208:209], v[188:189]
	v_fma_f64 v[248:249], v[204:205], v[152:153], -v[154:155]
	ds_read_b128 v[152:155], v2 offset:1152
	v_fmac_f64_e32 v[190:191], v[150:151], v[120:121]
	v_add_f64 v[204:205], v[188:189], v[190:191]
	ds_read_b128 v[188:191], v2 offset:1168
	v_mul_f64 v[158:159], v[194:195], v[158:159]
	s_waitcnt vmcnt(6) lgkmcnt(1)
	v_mul_f64 v[206:207], v[152:153], v[126:127]
	v_fmac_f64_e32 v[206:207], v[154:155], v[124:125]
	v_fma_f64 v[250:251], v[192:193], v[156:157], -v[158:159]
	s_waitcnt vmcnt(5) lgkmcnt(0)
	v_mul_f64 v[192:193], v[188:189], v[130:131]
	v_add_f64 v[204:205], v[204:205], v[206:207]
	v_fmac_f64_e32 v[192:193], v[190:191], v[128:129]
	v_mul_f64 v[162:163], v[186:187], v[162:163]
	v_add_f64 v[244:245], v[244:245], 0
	v_fma_f64 v[208:209], v[184:185], v[160:161], -v[162:163]
	v_add_f64 v[184:185], v[204:205], v[192:193]
	scratch_load_dwordx4 v[204:207], off, off offset:640
	v_add_f64 v[242:243], v[244:245], v[242:243]
	v_add_f64 v[242:243], v[242:243], v[246:247]
	;; [unrolled: 1-line block ×4, first 2 shown]
	scratch_load_dwordx4 v[242:245], off, off offset:64
	v_mul_f64 v[166:167], v[198:199], v[166:167]
	v_fma_f64 v[210:211], v[196:197], v[164:165], -v[166:167]
	v_add_f64 v[208:209], v[250:251], v[208:209]
	v_mul_f64 v[6:7], v[66:67], v[6:7]
	v_add_f64 v[208:209], v[208:209], v[210:211]
	v_fma_f64 v[4:5], v[64:65], v[4:5], -v[6:7]
	v_mul_f64 v[6:7], v[62:63], v[10:11]
	v_add_f64 v[4:5], v[208:209], v[4:5]
	v_fma_f64 v[6:7], v[60:61], v[8:9], -v[6:7]
	v_add_f64 v[4:5], v[4:5], v[6:7]
	v_mul_f64 v[6:7], v[54:55], v[14:15]
	v_fma_f64 v[6:7], v[52:53], v[12:13], -v[6:7]
	v_add_f64 v[4:5], v[4:5], v[6:7]
	v_mul_f64 v[6:7], v[74:75], v[18:19]
	;; [unrolled: 3-line block ×12, first 2 shown]
	v_fma_f64 v[6:7], v[224:225], v[76:77], -v[6:7]
	ds_read_b128 v[156:159], v2 offset:1184
	ds_read_b128 v[160:163], v2 offset:1200
	v_add_f64 v[4:5], v[4:5], v[6:7]
	v_mul_f64 v[6:7], v[230:231], v[98:99]
	v_fma_f64 v[6:7], v[228:229], v[96:97], -v[6:7]
	v_add_f64 v[4:5], v[4:5], v[6:7]
	v_mul_f64 v[6:7], v[234:235], v[102:103]
	v_fma_f64 v[6:7], v[232:233], v[100:101], -v[6:7]
	v_add_f64 v[4:5], v[4:5], v[6:7]
	v_mul_f64 v[6:7], v[238:239], v[106:107]
	s_waitcnt vmcnt(6) lgkmcnt(1)
	v_mul_f64 v[186:187], v[156:157], v[138:139]
	v_fma_f64 v[6:7], v[236:237], v[104:105], -v[6:7]
	v_fmac_f64_e32 v[186:187], v[158:159], v[136:137]
	v_add_f64 v[4:5], v[4:5], v[6:7]
	v_mul_f64 v[6:7], v[142:143], v[110:111]
	v_add_f64 v[192:193], v[184:185], v[186:187]
	ds_read_b128 v[184:187], v2 offset:1216
	ds_read_b128 v[164:167], v2 offset:1232
	v_fma_f64 v[6:7], v[140:141], v[108:109], -v[6:7]
	v_add_f64 v[4:5], v[4:5], v[6:7]
	v_mul_f64 v[6:7], v[146:147], v[114:115]
	v_fma_f64 v[6:7], v[144:145], v[112:113], -v[6:7]
	s_waitcnt vmcnt(5) lgkmcnt(2)
	v_mul_f64 v[194:195], v[160:161], v[134:135]
	v_add_f64 v[4:5], v[4:5], v[6:7]
	v_mul_f64 v[6:7], v[202:203], v[118:119]
	v_fmac_f64_e32 v[194:195], v[162:163], v[132:133]
	v_fma_f64 v[6:7], v[200:201], v[116:117], -v[6:7]
	v_add_f64 v[192:193], v[192:193], v[194:195]
	s_waitcnt vmcnt(4) lgkmcnt(1)
	v_mul_f64 v[194:195], v[184:185], v[174:175]
	v_add_f64 v[4:5], v[4:5], v[6:7]
	v_mul_f64 v[6:7], v[150:151], v[122:123]
	v_fmac_f64_e32 v[194:195], v[186:187], v[172:173]
	v_fma_f64 v[6:7], v[148:149], v[120:121], -v[6:7]
	v_add_f64 v[192:193], v[192:193], v[194:195]
	;; [unrolled: 7-line block ×3, first 2 shown]
	ds_read_b128 v[192:195], v2 offset:1248
	v_add_f64 v[4:5], v[4:5], v[6:7]
	v_mul_f64 v[6:7], v[190:191], v[130:131]
	v_fma_f64 v[6:7], v[188:189], v[128:129], -v[6:7]
	v_add_f64 v[4:5], v[4:5], v[6:7]
	v_mul_f64 v[6:7], v[158:159], v[138:139]
	v_fma_f64 v[6:7], v[156:157], v[136:137], -v[6:7]
	v_add_f64 v[4:5], v[4:5], v[6:7]
	v_mul_f64 v[6:7], v[162:163], v[134:135]
	s_waitcnt vmcnt(2) lgkmcnt(0)
	v_mul_f64 v[198:199], v[192:193], v[182:183]
	v_fma_f64 v[6:7], v[160:161], v[132:133], -v[6:7]
	v_fmac_f64_e32 v[198:199], v[194:195], v[180:181]
	v_add_f64 v[4:5], v[4:5], v[6:7]
	v_mul_f64 v[6:7], v[186:187], v[174:175]
	v_add_f64 v[252:253], v[196:197], v[198:199]
	ds_read_b128 v[196:199], v2 offset:1264
	v_fma_f64 v[6:7], v[184:185], v[172:173], -v[6:7]
	v_add_f64 v[4:5], v[4:5], v[6:7]
	v_mul_f64 v[6:7], v[166:167], v[178:179]
	v_fma_f64 v[6:7], v[164:165], v[176:177], -v[6:7]
	v_add_f64 v[4:5], v[4:5], v[6:7]
	v_mul_f64 v[6:7], v[194:195], v[182:183]
	v_fma_f64 v[6:7], v[192:193], v[180:181], -v[6:7]
	s_waitcnt vmcnt(1) lgkmcnt(0)
	v_mul_f64 v[2:3], v[196:197], v[206:207]
	v_add_f64 v[4:5], v[4:5], v[6:7]
	v_mul_f64 v[6:7], v[198:199], v[206:207]
	v_fmac_f64_e32 v[2:3], v[198:199], v[204:205]
	v_fma_f64 v[6:7], v[196:197], v[204:205], -v[6:7]
	v_add_f64 v[2:3], v[252:253], v[2:3]
	v_add_f64 v[4:5], v[4:5], v[6:7]
	s_waitcnt vmcnt(0)
	v_add_f64 v[4:5], v[242:243], -v[4:5]
	v_add_f64 v[6:7], v[244:245], -v[2:3]
	scratch_store_dwordx4 off, v[4:7], off offset:64
	s_and_saveexec_b64 s[0:1], vcc
	s_cbranch_execz .LBB103_249
; %bb.248:
	scratch_load_dwordx4 v[2:5], off, s54
	v_mov_b32_e32 v6, 0
	v_mov_b32_e32 v7, v6
	;; [unrolled: 1-line block ×4, first 2 shown]
	scratch_store_dwordx4 off, v[6:9], off offset:48
	s_waitcnt vmcnt(1)
	ds_write_b128 v1, v[2:5]
.LBB103_249:
	s_or_b64 exec, exec, s[0:1]
	s_waitcnt lgkmcnt(0)
	; wave barrier
	scratch_load_dwordx4 v[168:171], off, off offset:64
	scratch_load_dwordx4 v[172:175], off, off offset:80
	;; [unrolled: 1-line block ×32, first 2 shown]
	v_mov_b32_e32 v2, 0
	ds_read_b128 v[176:179], v2 offset:688
	ds_read_b128 v[188:191], v2 offset:704
	;; [unrolled: 1-line block ×17, first 2 shown]
	v_cmp_lt_u32_e32 vcc, 1, v0
	s_waitcnt vmcnt(31) lgkmcnt(14)
	v_mul_f64 v[104:105], v[176:177], v[170:171]
	s_waitcnt vmcnt(30)
	v_mul_f64 v[106:107], v[188:189], v[174:175]
	v_fmac_f64_e32 v[104:105], v[178:179], v[168:169]
	s_waitcnt vmcnt(29)
	v_mul_f64 v[108:109], v[200:201], v[182:183]
	v_fmac_f64_e32 v[106:107], v[190:191], v[172:173]
	v_add_f64 v[104:105], v[104:105], 0
	s_waitcnt vmcnt(28) lgkmcnt(13)
	v_mul_f64 v[110:111], v[212:213], v[186:187]
	v_fmac_f64_e32 v[108:109], v[202:203], v[180:181]
	v_add_f64 v[104:105], v[104:105], v[106:107]
	s_waitcnt vmcnt(27) lgkmcnt(12)
	;; [unrolled: 4-line block ×12, first 2 shown]
	v_mul_f64 v[156:157], v[112:113], v[26:27]
	v_fmac_f64_e32 v[154:155], v[118:119], v[20:21]
	v_add_f64 v[104:105], v[104:105], v[152:153]
	v_fmac_f64_e32 v[156:157], v[114:115], v[24:25]
	v_add_f64 v[104:105], v[104:105], v[154:155]
	s_waitcnt vmcnt(16) lgkmcnt(1)
	v_mul_f64 v[106:107], v[100:101], v[30:31]
	v_add_f64 v[104:105], v[104:105], v[156:157]
	v_fmac_f64_e32 v[106:107], v[102:103], v[28:29]
	v_add_f64 v[108:109], v[104:105], v[106:107]
	ds_read_b128 v[144:147], v2 offset:960
	ds_read_b128 v[148:151], v2 offset:976
	scratch_load_dwordx4 v[104:107], off, off offset:576
	s_waitcnt vmcnt(16) lgkmcnt(2)
	v_mul_f64 v[110:111], v[96:97], v[34:35]
	v_fmac_f64_e32 v[110:111], v[98:99], v[32:33]
	v_add_f64 v[120:121], v[108:109], v[110:111]
	scratch_load_dwordx4 v[108:111], off, off offset:592
	s_waitcnt vmcnt(16) lgkmcnt(1)
	v_mul_f64 v[122:123], v[144:145], v[38:39]
	v_fmac_f64_e32 v[122:123], v[146:147], v[36:37]
	v_add_f64 v[132:133], v[120:121], v[122:123]
	s_waitcnt vmcnt(15) lgkmcnt(0)
	v_mul_f64 v[134:135], v[148:149], v[42:43]
	scratch_load_dwordx4 v[120:123], off, off offset:608
	v_fmac_f64_e32 v[134:135], v[150:151], v[40:41]
	v_add_f64 v[160:161], v[132:133], v[134:135]
	scratch_load_dwordx4 v[132:135], off, off offset:624
	ds_read_b128 v[152:155], v2 offset:992
	ds_read_b128 v[156:159], v2 offset:1008
	v_mul_f64 v[170:171], v[178:179], v[170:171]
	v_fma_f64 v[246:247], v[176:177], v[168:169], -v[170:171]
	ds_read_b128 v[168:171], v2 offset:1056
	s_waitcnt vmcnt(16) lgkmcnt(2)
	v_mul_f64 v[162:163], v[152:153], v[46:47]
	v_fmac_f64_e32 v[162:163], v[154:155], v[44:45]
	s_waitcnt vmcnt(15) lgkmcnt(1)
	v_mul_f64 v[166:167], v[156:157], v[50:51]
	v_add_f64 v[164:165], v[160:161], v[162:163]
	ds_read_b128 v[160:163], v2 offset:1024
	v_fmac_f64_e32 v[166:167], v[158:159], v[48:49]
	v_add_f64 v[232:233], v[164:165], v[166:167]
	ds_read_b128 v[164:167], v2 offset:1040
	v_mul_f64 v[174:175], v[190:191], v[174:175]
	s_waitcnt vmcnt(14) lgkmcnt(1)
	v_mul_f64 v[234:235], v[160:161], v[54:55]
	v_fmac_f64_e32 v[234:235], v[162:163], v[52:53]
	v_add_f64 v[232:233], v[232:233], v[234:235]
	s_waitcnt vmcnt(13) lgkmcnt(0)
	v_mul_f64 v[176:177], v[164:165], v[58:59]
	v_fmac_f64_e32 v[176:177], v[166:167], v[56:57]
	v_fma_f64 v[248:249], v[188:189], v[172:173], -v[174:175]
	ds_read_b128 v[172:175], v2 offset:1072
	s_waitcnt vmcnt(12)
	v_mul_f64 v[178:179], v[168:169], v[62:63]
	v_add_f64 v[176:177], v[232:233], v[176:177]
	v_fmac_f64_e32 v[178:179], v[170:171], v[60:61]
	v_add_f64 v[188:189], v[176:177], v[178:179]
	ds_read_b128 v[176:179], v2 offset:1088
	v_mul_f64 v[182:183], v[202:203], v[182:183]
	v_fma_f64 v[254:255], v[200:201], v[180:181], -v[182:183]
	ds_read_b128 v[180:183], v2 offset:1104
	s_waitcnt vmcnt(11) lgkmcnt(2)
	v_mul_f64 v[190:191], v[172:173], v[66:67]
	v_fmac_f64_e32 v[190:191], v[174:175], v[64:65]
	v_add_f64 v[188:189], v[188:189], v[190:191]
	s_waitcnt vmcnt(10) lgkmcnt(1)
	v_mul_f64 v[190:191], v[176:177], v[70:71]
	v_fmac_f64_e32 v[190:191], v[178:179], v[68:69]
	v_mul_f64 v[186:187], v[214:215], v[186:187]
	v_fma_f64 v[240:241], v[212:213], v[184:185], -v[186:187]
	ds_read_b128 v[184:187], v2 offset:1120
	v_add_f64 v[188:189], v[188:189], v[190:191]
	s_waitcnt vmcnt(9) lgkmcnt(1)
	v_mul_f64 v[190:191], v[180:181], v[74:75]
	v_fmac_f64_e32 v[190:191], v[182:183], v[72:73]
	v_add_f64 v[200:201], v[188:189], v[190:191]
	ds_read_b128 v[188:191], v2 offset:1136
	v_mul_f64 v[194:195], v[222:223], v[194:195]
	v_fma_f64 v[232:233], v[220:221], v[192:193], -v[194:195]
	ds_read_b128 v[192:195], v2 offset:1152
	s_waitcnt vmcnt(8) lgkmcnt(2)
	v_mul_f64 v[202:203], v[184:185], v[78:79]
	v_fmac_f64_e32 v[202:203], v[186:187], v[76:77]
	v_add_f64 v[200:201], v[200:201], v[202:203]
	s_waitcnt vmcnt(7) lgkmcnt(1)
	v_mul_f64 v[202:203], v[188:189], v[82:83]
	v_fmac_f64_e32 v[202:203], v[190:191], v[80:81]
	v_mul_f64 v[198:199], v[226:227], v[198:199]
	v_add_f64 v[200:201], v[200:201], v[202:203]
	v_fma_f64 v[234:235], v[224:225], v[196:197], -v[198:199]
	ds_read_b128 v[196:199], v2 offset:1168
	s_waitcnt vmcnt(6) lgkmcnt(1)
	v_mul_f64 v[202:203], v[192:193], v[86:87]
	v_fmac_f64_e32 v[202:203], v[194:195], v[84:85]
	v_add_f64 v[212:213], v[200:201], v[202:203]
	ds_read_b128 v[200:203], v2 offset:1184
	v_mul_f64 v[206:207], v[230:231], v[206:207]
	v_fma_f64 v[236:237], v[228:229], v[204:205], -v[206:207]
	ds_read_b128 v[204:207], v2 offset:1200
	s_waitcnt vmcnt(5) lgkmcnt(2)
	v_mul_f64 v[214:215], v[196:197], v[94:95]
	v_fmac_f64_e32 v[214:215], v[198:199], v[92:93]
	v_add_f64 v[212:213], v[212:213], v[214:215]
	s_waitcnt vmcnt(4) lgkmcnt(1)
	v_mul_f64 v[214:215], v[200:201], v[90:91]
	v_fmac_f64_e32 v[214:215], v[202:203], v[88:89]
	v_mul_f64 v[210:211], v[244:245], v[210:211]
	v_fma_f64 v[238:239], v[242:243], v[208:209], -v[210:211]
	ds_read_b128 v[208:211], v2 offset:1216
	v_add_f64 v[212:213], v[212:213], v[214:215]
	s_waitcnt vmcnt(3) lgkmcnt(1)
	v_mul_f64 v[214:215], v[204:205], v[106:107]
	v_fmac_f64_e32 v[214:215], v[206:207], v[104:105]
	v_add_f64 v[220:221], v[212:213], v[214:215]
	ds_read_b128 v[212:215], v2 offset:1232
	v_mul_f64 v[218:219], v[252:253], v[218:219]
	v_fma_f64 v[250:251], v[250:251], v[216:217], -v[218:219]
	ds_read_b128 v[216:219], v2 offset:1248
	ds_read_b128 v[224:227], v2 offset:1264
	s_waitcnt vmcnt(2) lgkmcnt(3)
	v_mul_f64 v[222:223], v[208:209], v[110:111]
	v_fmac_f64_e32 v[222:223], v[210:211], v[108:109]
	v_add_f64 v[220:221], v[220:221], v[222:223]
	s_waitcnt vmcnt(1) lgkmcnt(2)
	v_mul_f64 v[222:223], v[212:213], v[122:123]
	v_fmac_f64_e32 v[222:223], v[214:215], v[120:121]
	v_add_f64 v[220:221], v[220:221], v[222:223]
	;; [unrolled: 4-line block ×3, first 2 shown]
	scratch_load_dwordx4 v[220:223], off, off offset:640
	v_mul_f64 v[6:7], v[142:143], v[6:7]
	v_fma_f64 v[4:5], v[140:141], v[4:5], -v[6:7]
	v_mul_f64 v[6:7], v[138:139], v[10:11]
	v_fma_f64 v[6:7], v[136:137], v[8:9], -v[6:7]
	s_waitcnt vmcnt(0) lgkmcnt(0)
	v_mul_f64 v[230:231], v[224:225], v[222:223]
	v_fmac_f64_e32 v[230:231], v[226:227], v[220:221]
	v_add_f64 v[242:243], v[228:229], v[230:231]
	v_add_f64 v[228:229], v[246:247], 0
	v_add_f64 v[228:229], v[228:229], v[248:249]
	v_add_f64 v[228:229], v[228:229], v[254:255]
	v_add_f64 v[228:229], v[228:229], v[240:241]
	v_add_f64 v[252:253], v[228:229], v[232:233]
	scratch_load_dwordx4 v[228:231], off, off offset:48
	v_add_f64 v[232:233], v[252:253], v[234:235]
	v_add_f64 v[232:233], v[232:233], v[236:237]
	;; [unrolled: 1-line block ×6, first 2 shown]
	v_mul_f64 v[6:7], v[130:131], v[14:15]
	v_fma_f64 v[6:7], v[128:129], v[12:13], -v[6:7]
	v_add_f64 v[4:5], v[4:5], v[6:7]
	v_mul_f64 v[6:7], v[126:127], v[18:19]
	v_fma_f64 v[6:7], v[124:125], v[16:17], -v[6:7]
	v_add_f64 v[4:5], v[4:5], v[6:7]
	;; [unrolled: 3-line block ×26, first 2 shown]
	s_waitcnt vmcnt(0)
	v_add_f64 v[4:5], v[228:229], -v[4:5]
	v_add_f64 v[6:7], v[230:231], -v[242:243]
	scratch_store_dwordx4 off, v[4:7], off offset:48
	s_and_saveexec_b64 s[0:1], vcc
	s_cbranch_execz .LBB103_251
; %bb.250:
	scratch_load_dwordx4 v[6:9], off, s55
	v_mov_b32_e32 v3, v2
	v_mov_b32_e32 v4, v2
	;; [unrolled: 1-line block ×3, first 2 shown]
	scratch_store_dwordx4 off, v[2:5], off offset:32
	s_waitcnt vmcnt(1)
	ds_write_b128 v1, v[6:9]
.LBB103_251:
	s_or_b64 exec, exec, s[0:1]
	s_waitcnt lgkmcnt(0)
	; wave barrier
	scratch_load_dwordx4 v[168:171], off, off offset:48
	scratch_load_dwordx4 v[172:175], off, off offset:64
	;; [unrolled: 1-line block ×16, first 2 shown]
	ds_read_b128 v[232:235], v2 offset:672
	ds_read_b128 v[176:179], v2 offset:688
	scratch_load_dwordx4 v[32:35], off, off offset:304
	ds_read_b128 v[236:239], v2 offset:704
	ds_read_b128 v[188:191], v2 offset:720
	;; [unrolled: 1-line block ×5, first 2 shown]
	scratch_load_dwordx4 v[36:39], off, off offset:320
	ds_read_b128 v[224:227], v2 offset:784
	ds_read_b128 v[220:223], v2 offset:800
	;; [unrolled: 1-line block ×3, first 2 shown]
	scratch_load_dwordx4 v[40:43], off, off offset:336
	ds_read_b128 v[64:67], v2 offset:832
	ds_read_b128 v[60:63], v2 offset:848
	;; [unrolled: 1-line block ×4, first 2 shown]
	scratch_load_dwordx4 v[48:51], off, off offset:352
	ds_read_b128 v[80:83], v2 offset:896
	ds_read_b128 v[72:75], v2 offset:912
	;; [unrolled: 1-line block ×3, first 2 shown]
	scratch_load_dwordx4 v[76:79], off, off offset:368
	scratch_load_dwordx4 v[84:87], off, off offset:384
	;; [unrolled: 1-line block ×12, first 2 shown]
	v_cmp_ne_u32_e32 vcc, 0, v0
	s_waitcnt vmcnt(31) lgkmcnt(14)
	v_mul_f64 v[128:129], v[232:233], v[170:171]
	s_waitcnt vmcnt(30)
	v_mul_f64 v[130:131], v[176:177], v[174:175]
	v_fmac_f64_e32 v[128:129], v[234:235], v[168:169]
	s_waitcnt vmcnt(29)
	v_mul_f64 v[132:133], v[236:237], v[182:183]
	v_fmac_f64_e32 v[130:131], v[178:179], v[172:173]
	v_add_f64 v[128:129], v[128:129], 0
	s_waitcnt vmcnt(28) lgkmcnt(13)
	v_mul_f64 v[134:135], v[188:189], v[186:187]
	v_fmac_f64_e32 v[132:133], v[238:239], v[180:181]
	v_add_f64 v[128:129], v[128:129], v[130:131]
	s_waitcnt vmcnt(27) lgkmcnt(12)
	;; [unrolled: 4-line block ×13, first 2 shown]
	v_mul_f64 v[158:159], v[72:73], v[30:31]
	v_fmac_f64_e32 v[156:157], v[82:83], v[24:25]
	v_add_f64 v[128:129], v[128:129], v[154:155]
	v_add_f64 v[128:129], v[128:129], v[156:157]
	v_fmac_f64_e32 v[158:159], v[74:75], v[28:29]
	v_add_f64 v[132:133], v[128:129], v[158:159]
	ds_read_b128 v[144:147], v2 offset:944
	ds_read_b128 v[148:151], v2 offset:960
	scratch_load_dwordx4 v[128:131], off, off offset:560
	s_waitcnt vmcnt(16) lgkmcnt(2)
	v_mul_f64 v[134:135], v[68:69], v[34:35]
	v_fmac_f64_e32 v[134:135], v[70:71], v[32:33]
	s_waitcnt vmcnt(15) lgkmcnt(1)
	v_mul_f64 v[138:139], v[144:145], v[38:39]
	v_add_f64 v[136:137], v[132:133], v[134:135]
	scratch_load_dwordx4 v[132:135], off, off offset:576
	v_fmac_f64_e32 v[138:139], v[146:147], v[36:37]
	v_add_f64 v[140:141], v[136:137], v[138:139]
	s_waitcnt vmcnt(15) lgkmcnt(0)
	v_mul_f64 v[142:143], v[148:149], v[42:43]
	scratch_load_dwordx4 v[136:139], off, off offset:592
	v_fmac_f64_e32 v[142:143], v[150:151], v[40:41]
	v_add_f64 v[160:161], v[140:141], v[142:143]
	scratch_load_dwordx4 v[140:143], off, off offset:608
	ds_read_b128 v[152:155], v2 offset:976
	ds_read_b128 v[156:159], v2 offset:992
	v_mul_f64 v[170:171], v[234:235], v[170:171]
	v_mul_f64 v[174:175], v[178:179], v[174:175]
	;; [unrolled: 1-line block ×3, first 2 shown]
	s_waitcnt vmcnt(16) lgkmcnt(1)
	v_mul_f64 v[162:163], v[152:153], v[50:51]
	v_fmac_f64_e32 v[162:163], v[154:155], v[48:49]
	v_add_f64 v[164:165], v[160:161], v[162:163]
	ds_read_b128 v[160:163], v2 offset:1008
	s_waitcnt vmcnt(15) lgkmcnt(1)
	v_mul_f64 v[166:167], v[156:157], v[78:79]
	v_fmac_f64_e32 v[166:167], v[158:159], v[76:77]
	v_add_f64 v[240:241], v[164:165], v[166:167]
	ds_read_b128 v[164:167], v2 offset:1024
	s_waitcnt vmcnt(14) lgkmcnt(1)
	v_mul_f64 v[242:243], v[160:161], v[86:87]
	v_fmac_f64_e32 v[242:243], v[162:163], v[84:85]
	v_add_f64 v[240:241], v[240:241], v[242:243]
	v_fma_f64 v[242:243], v[232:233], v[168:169], -v[170:171]
	ds_read_b128 v[168:171], v2 offset:1040
	s_waitcnt vmcnt(13) lgkmcnt(1)
	v_mul_f64 v[232:233], v[164:165], v[90:91]
	v_fmac_f64_e32 v[232:233], v[166:167], v[88:89]
	v_add_f64 v[232:233], v[240:241], v[232:233]
	v_fma_f64 v[240:241], v[176:177], v[172:173], -v[174:175]
	ds_read_b128 v[172:175], v2 offset:1056
	s_waitcnt vmcnt(12) lgkmcnt(1)
	v_mul_f64 v[176:177], v[168:169], v[94:95]
	v_fmac_f64_e32 v[176:177], v[170:171], v[92:93]
	v_add_f64 v[232:233], v[232:233], v[176:177]
	ds_read_b128 v[176:179], v2 offset:1072
	v_fma_f64 v[236:237], v[236:237], v[180:181], -v[182:183]
	ds_read_b128 v[180:183], v2 offset:1088
	s_waitcnt vmcnt(11) lgkmcnt(2)
	v_mul_f64 v[234:235], v[172:173], v[98:99]
	v_fmac_f64_e32 v[234:235], v[174:175], v[96:97]
	v_add_f64 v[232:233], v[232:233], v[234:235]
	s_waitcnt vmcnt(10) lgkmcnt(1)
	v_mul_f64 v[234:235], v[176:177], v[102:103]
	v_fmac_f64_e32 v[234:235], v[178:179], v[100:101]
	v_mul_f64 v[186:187], v[190:191], v[186:187]
	s_waitcnt vmcnt(9) lgkmcnt(0)
	v_mul_f64 v[190:191], v[180:181], v[106:107]
	v_fma_f64 v[238:239], v[188:189], v[184:185], -v[186:187]
	ds_read_b128 v[184:187], v2 offset:1104
	v_add_f64 v[188:189], v[232:233], v[234:235]
	v_fmac_f64_e32 v[190:191], v[182:183], v[104:105]
	v_add_f64 v[232:233], v[188:189], v[190:191]
	ds_read_b128 v[188:191], v2 offset:1120
	v_mul_f64 v[194:195], v[230:231], v[194:195]
	v_fma_f64 v[244:245], v[228:229], v[192:193], -v[194:195]
	ds_read_b128 v[192:195], v2 offset:1136
	s_waitcnt vmcnt(8) lgkmcnt(2)
	v_mul_f64 v[234:235], v[184:185], v[110:111]
	v_fmac_f64_e32 v[234:235], v[186:187], v[108:109]
	s_waitcnt vmcnt(7) lgkmcnt(1)
	v_mul_f64 v[228:229], v[188:189], v[114:115]
	v_mul_f64 v[198:199], v[202:203], v[198:199]
	v_add_f64 v[232:233], v[232:233], v[234:235]
	v_fmac_f64_e32 v[228:229], v[190:191], v[112:113]
	v_fma_f64 v[246:247], v[200:201], v[196:197], -v[198:199]
	ds_read_b128 v[196:199], v2 offset:1152
	s_waitcnt vmcnt(6) lgkmcnt(1)
	v_mul_f64 v[200:201], v[192:193], v[118:119]
	v_add_f64 v[228:229], v[232:233], v[228:229]
	v_fmac_f64_e32 v[200:201], v[194:195], v[116:117]
	v_add_f64 v[228:229], v[228:229], v[200:201]
	ds_read_b128 v[200:203], v2 offset:1168
	v_mul_f64 v[206:207], v[214:215], v[206:207]
	v_fma_f64 v[248:249], v[212:213], v[204:205], -v[206:207]
	ds_read_b128 v[204:207], v2 offset:1184
	s_waitcnt vmcnt(5) lgkmcnt(2)
	v_mul_f64 v[230:231], v[196:197], v[126:127]
	v_fmac_f64_e32 v[230:231], v[198:199], v[124:125]
	s_waitcnt vmcnt(4) lgkmcnt(1)
	v_mul_f64 v[212:213], v[200:201], v[122:123]
	v_add_f64 v[228:229], v[228:229], v[230:231]
	v_fmac_f64_e32 v[212:213], v[202:203], v[120:121]
	v_mul_f64 v[210:211], v[226:227], v[210:211]
	s_waitcnt vmcnt(3) lgkmcnt(0)
	v_mul_f64 v[214:215], v[204:205], v[130:131]
	v_fma_f64 v[250:251], v[224:225], v[208:209], -v[210:211]
	ds_read_b128 v[208:211], v2 offset:1200
	v_add_f64 v[212:213], v[228:229], v[212:213]
	v_fmac_f64_e32 v[214:215], v[206:207], v[128:129]
	v_add_f64 v[224:225], v[212:213], v[214:215]
	ds_read_b128 v[212:215], v2 offset:1216
	v_mul_f64 v[218:219], v[222:223], v[218:219]
	v_fma_f64 v[252:253], v[220:221], v[216:217], -v[218:219]
	ds_read_b128 v[216:219], v2 offset:1232
	s_waitcnt vmcnt(2) lgkmcnt(2)
	v_mul_f64 v[220:221], v[208:209], v[134:135]
	v_fmac_f64_e32 v[220:221], v[210:211], v[132:133]
	s_waitcnt vmcnt(1) lgkmcnt(1)
	v_mul_f64 v[222:223], v[212:213], v[138:139]
	v_add_f64 v[220:221], v[224:225], v[220:221]
	v_fmac_f64_e32 v[222:223], v[214:215], v[136:137]
	v_add_f64 v[220:221], v[220:221], v[222:223]
	ds_read_b128 v[224:227], v2 offset:1248
	s_waitcnt vmcnt(0) lgkmcnt(1)
	v_mul_f64 v[222:223], v[216:217], v[142:143]
	v_fmac_f64_e32 v[222:223], v[218:219], v[140:141]
	v_add_f64 v[228:229], v[220:221], v[222:223]
	scratch_load_dwordx4 v[220:223], off, off offset:624
	scratch_load_dwordx4 v[232:235], off, off offset:640
	v_add_f64 v[242:243], v[242:243], 0
	v_add_f64 v[240:241], v[242:243], v[240:241]
	v_add_f64 v[236:237], v[240:241], v[236:237]
	v_add_f64 v[236:237], v[236:237], v[238:239]
	v_add_f64 v[236:237], v[236:237], v[244:245]
	v_add_f64 v[236:237], v[236:237], v[246:247]
	v_mul_f64 v[6:7], v[46:47], v[6:7]
	v_fma_f64 v[4:5], v[44:45], v[4:5], -v[6:7]
	v_mul_f64 v[6:7], v[66:67], v[10:11]
	v_fma_f64 v[6:7], v[64:65], v[8:9], -v[6:7]
	s_waitcnt vmcnt(1) lgkmcnt(0)
	v_mul_f64 v[230:231], v[224:225], v[222:223]
	v_fmac_f64_e32 v[230:231], v[226:227], v[220:221]
	v_add_f64 v[254:255], v[228:229], v[230:231]
	ds_read_b128 v[228:231], v2 offset:1264
	s_waitcnt vmcnt(0) lgkmcnt(0)
	v_mul_f64 v[2:3], v[228:229], v[234:235]
	v_fmac_f64_e32 v[2:3], v[230:231], v[232:233]
	v_add_f64 v[2:3], v[254:255], v[2:3]
	v_add_f64 v[254:255], v[236:237], v[248:249]
	scratch_load_dwordx4 v[236:239], off, off offset:32
	v_add_f64 v[240:241], v[254:255], v[250:251]
	v_add_f64 v[240:241], v[240:241], v[252:253]
	v_add_f64 v[4:5], v[240:241], v[4:5]
	v_add_f64 v[4:5], v[4:5], v[6:7]
	v_mul_f64 v[6:7], v[62:63], v[14:15]
	v_fma_f64 v[6:7], v[60:61], v[12:13], -v[6:7]
	v_add_f64 v[4:5], v[4:5], v[6:7]
	v_mul_f64 v[6:7], v[58:59], v[18:19]
	v_fma_f64 v[6:7], v[56:57], v[16:17], -v[6:7]
	v_add_f64 v[4:5], v[4:5], v[6:7]
	;; [unrolled: 3-line block ×27, first 2 shown]
	s_waitcnt vmcnt(0)
	v_add_f64 v[4:5], v[236:237], -v[4:5]
	v_add_f64 v[6:7], v[238:239], -v[2:3]
	scratch_store_dwordx4 off, v[4:7], off offset:32
	s_and_saveexec_b64 s[0:1], vcc
	s_cbranch_execz .LBB103_253
; %bb.252:
	scratch_load_dwordx4 v[2:5], off, off offset:16
	v_mov_b32_e32 v6, 0
	v_mov_b32_e32 v7, v6
	;; [unrolled: 1-line block ×4, first 2 shown]
	scratch_store_dwordx4 off, v[6:9], off offset:16
	s_waitcnt vmcnt(1)
	ds_write_b128 v1, v[2:5]
.LBB103_253:
	s_or_b64 exec, exec, s[0:1]
	s_waitcnt lgkmcnt(0)
	; wave barrier
	scratch_load_dwordx4 v[136:139], off, off offset:32
	scratch_load_dwordx4 v[168:171], off, off offset:48
	;; [unrolled: 1-line block ×31, first 2 shown]
	v_mov_b32_e32 v254, 0
	ds_read_b128 v[160:163], v254 offset:656
	ds_read_b128 v[180:183], v254 offset:672
	;; [unrolled: 1-line block ×18, first 2 shown]
	s_and_b64 vcc, exec, s[10:11]
	ds_read_b128 v[148:151], v254 offset:944
	ds_read_b128 v[152:155], v254 offset:976
	s_waitcnt vmcnt(30) lgkmcnt(14)
	v_mul_f64 v[96:97], v[160:161], v[138:139]
	s_waitcnt vmcnt(29)
	v_mul_f64 v[98:99], v[180:181], v[170:171]
	v_fmac_f64_e32 v[96:97], v[162:163], v[136:137]
	s_waitcnt vmcnt(28)
	v_mul_f64 v[104:105], v[192:193], v[174:175]
	v_fmac_f64_e32 v[98:99], v[182:183], v[168:169]
	v_add_f64 v[96:97], v[96:97], 0
	s_waitcnt vmcnt(27)
	v_mul_f64 v[106:107], v[204:205], v[178:179]
	v_fmac_f64_e32 v[104:105], v[194:195], v[172:173]
	v_add_f64 v[96:97], v[96:97], v[98:99]
	;; [unrolled: 4-line block ×4, first 2 shown]
	s_waitcnt vmcnt(24) lgkmcnt(13)
	v_mul_f64 v[124:125], v[224:225], v[198:199]
	v_fmac_f64_e32 v[114:115], v[222:223], v[188:189]
	v_add_f64 v[96:97], v[96:97], v[112:113]
	s_waitcnt vmcnt(23) lgkmcnt(12)
	v_mul_f64 v[126:127], v[228:229], v[202:203]
	v_fmac_f64_e32 v[124:125], v[226:227], v[196:197]
	v_add_f64 v[96:97], v[96:97], v[114:115]
	;; [unrolled: 4-line block ×10, first 2 shown]
	v_add_f64 v[96:97], v[96:97], v[144:145]
	v_fmac_f64_e32 v[146:147], v[90:91], v[20:21]
	v_add_f64 v[104:105], v[96:97], v[146:147]
	scratch_load_dwordx4 v[96:99], off, off offset:528
	s_waitcnt vmcnt(15) lgkmcnt(3)
	v_mul_f64 v[106:107], v[84:85], v[26:27]
	ds_read_b128 v[140:143], v254 offset:928
	v_fmac_f64_e32 v[106:107], v[86:87], v[24:25]
	v_add_f64 v[124:125], v[104:105], v[106:107]
	scratch_load_dwordx4 v[104:107], off, off offset:544
	ds_read_b128 v[144:147], v254 offset:960
	s_waitcnt vmcnt(15) lgkmcnt(1)
	v_mul_f64 v[126:127], v[140:141], v[30:31]
	v_fmac_f64_e32 v[126:127], v[142:143], v[28:29]
	scratch_load_dwordx4 v[112:115], off, off offset:560
	v_add_f64 v[124:125], v[124:125], v[126:127]
	s_waitcnt vmcnt(15)
	v_mul_f64 v[126:127], v[148:149], v[34:35]
	v_fmac_f64_e32 v[126:127], v[150:151], v[32:33]
	v_add_f64 v[128:129], v[124:125], v[126:127]
	s_waitcnt vmcnt(14) lgkmcnt(0)
	v_mul_f64 v[130:131], v[144:145], v[38:39]
	scratch_load_dwordx4 v[124:127], off, off offset:576
	v_fmac_f64_e32 v[130:131], v[146:147], v[36:37]
	v_add_f64 v[132:133], v[128:129], v[130:131]
	scratch_load_dwordx4 v[128:131], off, off offset:592
	s_waitcnt vmcnt(15)
	v_mul_f64 v[134:135], v[152:153], v[42:43]
	v_fmac_f64_e32 v[134:135], v[154:155], v[40:41]
	v_add_f64 v[236:237], v[132:133], v[134:135]
	scratch_load_dwordx4 v[132:135], off, off offset:608
	v_mul_f64 v[138:139], v[162:163], v[138:139]
	v_fma_f64 v[240:241], v[160:161], v[136:137], -v[138:139]
	v_mul_f64 v[136:137], v[182:183], v[170:171]
	ds_read_b128 v[164:167], v254 offset:1008
	ds_read_b128 v[160:163], v254 offset:1024
	v_fma_f64 v[246:247], v[180:181], v[168:169], -v[136:137]
	scratch_load_dwordx4 v[136:139], off, off offset:624
	s_waitcnt vmcnt(16)
	v_mul_f64 v[238:239], v[156:157], v[46:47]
	v_fmac_f64_e32 v[238:239], v[158:159], v[44:45]
	s_waitcnt vmcnt(15) lgkmcnt(1)
	v_mul_f64 v[168:169], v[164:165], v[50:51]
	v_add_f64 v[236:237], v[236:237], v[238:239]
	v_fmac_f64_e32 v[168:169], v[166:167], v[48:49]
	v_add_f64 v[180:181], v[236:237], v[168:169]
	ds_read_b128 v[168:171], v254 offset:1040
	v_mul_f64 v[174:175], v[194:195], v[174:175]
	v_fma_f64 v[248:249], v[192:193], v[172:173], -v[174:175]
	ds_read_b128 v[172:175], v254 offset:1056
	s_waitcnt vmcnt(14) lgkmcnt(2)
	v_mul_f64 v[182:183], v[160:161], v[54:55]
	v_fmac_f64_e32 v[182:183], v[162:163], v[52:53]
	v_add_f64 v[180:181], v[180:181], v[182:183]
	s_waitcnt vmcnt(13) lgkmcnt(1)
	v_mul_f64 v[182:183], v[168:169], v[58:59]
	v_fmac_f64_e32 v[182:183], v[170:171], v[56:57]
	v_mul_f64 v[178:179], v[206:207], v[178:179]
	v_add_f64 v[180:181], v[180:181], v[182:183]
	v_fma_f64 v[252:253], v[204:205], v[176:177], -v[178:179]
	ds_read_b128 v[176:179], v254 offset:1072
	s_waitcnt vmcnt(12) lgkmcnt(1)
	v_mul_f64 v[182:183], v[172:173], v[62:63]
	v_fmac_f64_e32 v[182:183], v[174:175], v[60:61]
	v_add_f64 v[192:193], v[180:181], v[182:183]
	ds_read_b128 v[180:183], v254 offset:1088
	v_mul_f64 v[186:187], v[218:219], v[186:187]
	v_fma_f64 v[236:237], v[216:217], v[184:185], -v[186:187]
	ds_read_b128 v[184:187], v254 offset:1104
	s_waitcnt vmcnt(11) lgkmcnt(2)
	v_mul_f64 v[194:195], v[176:177], v[66:67]
	v_fmac_f64_e32 v[194:195], v[178:179], v[64:65]
	v_add_f64 v[192:193], v[192:193], v[194:195]
	s_waitcnt vmcnt(10) lgkmcnt(1)
	v_mul_f64 v[194:195], v[180:181], v[70:71]
	v_fmac_f64_e32 v[194:195], v[182:183], v[68:69]
	v_mul_f64 v[190:191], v[222:223], v[190:191]
	v_fma_f64 v[250:251], v[220:221], v[188:189], -v[190:191]
	ds_read_b128 v[188:191], v254 offset:1120
	v_add_f64 v[192:193], v[192:193], v[194:195]
	s_waitcnt vmcnt(9) lgkmcnt(1)
	v_mul_f64 v[194:195], v[184:185], v[74:75]
	v_fmac_f64_e32 v[194:195], v[186:187], v[72:73]
	v_add_f64 v[204:205], v[192:193], v[194:195]
	ds_read_b128 v[192:195], v254 offset:1136
	v_accvgpr_write_b32 a83, v3
	v_mul_f64 v[198:199], v[226:227], v[198:199]
	v_accvgpr_write_b32 a82, v2
	v_accvgpr_write_b32 a81, v1
	v_accvgpr_write_b32 a80, v0
	v_fma_f64 v[0:1], v[224:225], v[196:197], -v[198:199]
	ds_read_b128 v[196:199], v254 offset:1152
	v_mul_f64 v[202:203], v[230:231], v[202:203]
	s_waitcnt vmcnt(8) lgkmcnt(2)
	v_mul_f64 v[206:207], v[188:189], v[78:79]
	v_fma_f64 v[238:239], v[228:229], v[200:201], -v[202:203]
	ds_read_b128 v[200:203], v254 offset:1168
	v_fmac_f64_e32 v[206:207], v[190:191], v[76:77]
	s_waitcnt vmcnt(7) lgkmcnt(2)
	v_mul_f64 v[2:3], v[192:193], v[82:83]
	v_add_f64 v[204:205], v[204:205], v[206:207]
	v_fmac_f64_e32 v[2:3], v[194:195], v[80:81]
	v_add_f64 v[2:3], v[204:205], v[2:3]
	s_waitcnt vmcnt(6) lgkmcnt(1)
	v_mul_f64 v[204:205], v[196:197], v[98:99]
	v_fmac_f64_e32 v[204:205], v[198:199], v[96:97]
	v_add_f64 v[2:3], v[2:3], v[204:205]
	ds_read_b128 v[204:207], v254 offset:1184
	s_waitcnt vmcnt(5) lgkmcnt(1)
	v_mul_f64 v[216:217], v[200:201], v[106:107]
	v_fmac_f64_e32 v[216:217], v[202:203], v[104:105]
	v_add_f64 v[216:217], v[2:3], v[216:217]
	v_mul_f64 v[2:3], v[234:235], v[210:211]
	v_fma_f64 v[2:3], v[232:233], v[208:209], -v[2:3]
	ds_read_b128 v[208:211], v254 offset:1200
	v_mul_f64 v[214:215], v[244:245], v[214:215]
	s_waitcnt vmcnt(4) lgkmcnt(1)
	v_mul_f64 v[218:219], v[204:205], v[114:115]
	v_fma_f64 v[244:245], v[242:243], v[212:213], -v[214:215]
	ds_read_b128 v[212:215], v254 offset:1216
	v_fmac_f64_e32 v[218:219], v[206:207], v[112:113]
	v_add_f64 v[220:221], v[216:217], v[218:219]
	ds_read_b128 v[216:219], v254 offset:1232
	ds_read_b128 v[228:231], v254 offset:1264
	s_waitcnt vmcnt(3) lgkmcnt(3)
	v_mul_f64 v[222:223], v[208:209], v[126:127]
	v_fmac_f64_e32 v[222:223], v[210:211], v[124:125]
	v_add_f64 v[220:221], v[220:221], v[222:223]
	s_waitcnt vmcnt(2) lgkmcnt(2)
	v_mul_f64 v[222:223], v[212:213], v[130:131]
	v_fmac_f64_e32 v[222:223], v[214:215], v[128:129]
	v_add_f64 v[220:221], v[220:221], v[222:223]
	;; [unrolled: 4-line block ×3, first 2 shown]
	ds_read_b128 v[220:223], v254 offset:1248
	s_waitcnt vmcnt(0) lgkmcnt(0)
	v_mul_f64 v[226:227], v[220:221], v[138:139]
	v_fmac_f64_e32 v[226:227], v[222:223], v[136:137]
	v_add_f64 v[232:233], v[224:225], v[226:227]
	scratch_load_dwordx4 v[224:227], off, off offset:640
	s_waitcnt vmcnt(0)
	v_mul_f64 v[234:235], v[228:229], v[226:227]
	v_fmac_f64_e32 v[234:235], v[230:231], v[224:225]
	v_add_f64 v[242:243], v[232:233], v[234:235]
	v_add_f64 v[232:233], v[240:241], 0
	;; [unrolled: 1-line block ×8, first 2 shown]
	scratch_load_dwordx4 v[232:235], off, off offset:16
	v_add_f64 v[252:253], v[0:1], v[238:239]
	v_accvgpr_read_b32 v239, a83
	v_accvgpr_read_b32 v238, a82
	v_add_f64 v[0:1], v[252:253], v[2:3]
	v_accvgpr_read_b32 v237, a81
	v_accvgpr_read_b32 v236, a80
	v_mul_f64 v[2:3], v[122:123], v[238:239]
	v_add_f64 v[0:1], v[0:1], v[244:245]
	v_fma_f64 v[2:3], v[120:121], v[236:237], -v[2:3]
	v_add_f64 v[0:1], v[0:1], v[2:3]
	v_mul_f64 v[2:3], v[118:119], v[6:7]
	v_fma_f64 v[2:3], v[116:117], v[4:5], -v[2:3]
	v_add_f64 v[0:1], v[0:1], v[2:3]
	v_mul_f64 v[2:3], v[110:111], v[10:11]
	;; [unrolled: 3-line block ×28, first 2 shown]
	v_fma_f64 v[2:3], v[228:229], v[224:225], -v[2:3]
	v_add_f64 v[0:1], v[0:1], v[2:3]
	s_waitcnt vmcnt(0)
	v_add_f64 v[0:1], v[232:233], -v[0:1]
	v_add_f64 v[2:3], v[234:235], -v[242:243]
	scratch_store_dwordx4 off, v[0:3], off offset:16
	s_cbranch_vccz .LBB103_332
; %bb.254:
	global_load_dword v0, v254, s[8:9] offset:152
	s_waitcnt vmcnt(0)
	v_readfirstlane_b32 s0, v0
	s_add_i32 s0, s0, -1
	s_cmp_lg_u32 s0, 38
	s_cbranch_scc0 .LBB103_256
; %bb.255:
	s_lshl_b32 s0, s0, 4
	s_add_i32 s0, s0, 16
	scratch_load_dwordx4 v[0:3], off, s0
	scratch_load_dwordx4 v[4:7], off, s17
	s_waitcnt vmcnt(1)
	scratch_store_dwordx4 off, v[0:3], s17
	s_waitcnt vmcnt(1)
	scratch_store_dwordx4 off, v[4:7], s0
.LBB103_256:
	v_mov_b32_e32 v0, 0
	global_load_dword v1, v0, s[8:9] offset:148
	s_waitcnt vmcnt(0)
	v_readfirstlane_b32 s0, v1
	s_add_i32 s0, s0, -1
	s_cmp_eq_u32 s0, 37
	s_cbranch_scc1 .LBB103_258
; %bb.257:
	s_lshl_b32 s0, s0, 4
	s_add_i32 s0, s0, 16
	scratch_load_dwordx4 v[2:5], off, s0
	scratch_load_dwordx4 v[6:9], off, s18
	s_waitcnt vmcnt(1)
	scratch_store_dwordx4 off, v[2:5], s18
	s_waitcnt vmcnt(1)
	scratch_store_dwordx4 off, v[6:9], s0
.LBB103_258:
	global_load_dword v0, v0, s[8:9] offset:144
	s_waitcnt vmcnt(0)
	v_readfirstlane_b32 s0, v0
	s_add_i32 s0, s0, -1
	s_cmp_eq_u32 s0, 36
	s_cbranch_scc1 .LBB103_260
; %bb.259:
	s_lshl_b32 s0, s0, 4
	s_add_i32 s0, s0, 16
	scratch_load_dwordx4 v[0:3], off, s0
	scratch_load_dwordx4 v[4:7], off, s19
	s_waitcnt vmcnt(1)
	scratch_store_dwordx4 off, v[0:3], s19
	s_waitcnt vmcnt(1)
	scratch_store_dwordx4 off, v[4:7], s0
.LBB103_260:
	v_mov_b32_e32 v0, 0
	global_load_dword v1, v0, s[8:9] offset:140
	s_waitcnt vmcnt(0)
	v_readfirstlane_b32 s0, v1
	s_add_i32 s0, s0, -1
	s_cmp_eq_u32 s0, 35
	s_cbranch_scc1 .LBB103_262
; %bb.261:
	s_lshl_b32 s0, s0, 4
	s_add_i32 s0, s0, 16
	scratch_load_dwordx4 v[2:5], off, s0
	scratch_load_dwordx4 v[6:9], off, s20
	s_waitcnt vmcnt(1)
	scratch_store_dwordx4 off, v[2:5], s20
	s_waitcnt vmcnt(1)
	scratch_store_dwordx4 off, v[6:9], s0
.LBB103_262:
	global_load_dword v0, v0, s[8:9] offset:136
	s_waitcnt vmcnt(0)
	v_readfirstlane_b32 s0, v0
	s_add_i32 s0, s0, -1
	s_cmp_eq_u32 s0, 34
	s_cbranch_scc1 .LBB103_264
; %bb.263:
	s_lshl_b32 s0, s0, 4
	s_add_i32 s0, s0, 16
	scratch_load_dwordx4 v[0:3], off, s0
	scratch_load_dwordx4 v[4:7], off, s21
	s_waitcnt vmcnt(1)
	scratch_store_dwordx4 off, v[0:3], s21
	s_waitcnt vmcnt(1)
	scratch_store_dwordx4 off, v[4:7], s0
.LBB103_264:
	v_mov_b32_e32 v0, 0
	global_load_dword v1, v0, s[8:9] offset:132
	s_waitcnt vmcnt(0)
	v_readfirstlane_b32 s0, v1
	s_add_i32 s0, s0, -1
	s_cmp_eq_u32 s0, 33
	s_cbranch_scc1 .LBB103_266
; %bb.265:
	s_lshl_b32 s0, s0, 4
	s_add_i32 s0, s0, 16
	scratch_load_dwordx4 v[2:5], off, s0
	scratch_load_dwordx4 v[6:9], off, s22
	s_waitcnt vmcnt(1)
	scratch_store_dwordx4 off, v[2:5], s22
	s_waitcnt vmcnt(1)
	scratch_store_dwordx4 off, v[6:9], s0
.LBB103_266:
	global_load_dword v0, v0, s[8:9] offset:128
	s_waitcnt vmcnt(0)
	v_readfirstlane_b32 s0, v0
	s_add_i32 s0, s0, -1
	s_cmp_eq_u32 s0, 32
	s_cbranch_scc1 .LBB103_268
; %bb.267:
	s_lshl_b32 s0, s0, 4
	s_add_i32 s0, s0, 16
	scratch_load_dwordx4 v[0:3], off, s0
	scratch_load_dwordx4 v[4:7], off, s23
	s_waitcnt vmcnt(1)
	scratch_store_dwordx4 off, v[0:3], s23
	s_waitcnt vmcnt(1)
	scratch_store_dwordx4 off, v[4:7], s0
.LBB103_268:
	v_mov_b32_e32 v0, 0
	global_load_dword v1, v0, s[8:9] offset:124
	s_waitcnt vmcnt(0)
	v_readfirstlane_b32 s0, v1
	s_add_i32 s0, s0, -1
	s_cmp_eq_u32 s0, 31
	s_cbranch_scc1 .LBB103_270
; %bb.269:
	s_lshl_b32 s0, s0, 4
	s_add_i32 s0, s0, 16
	scratch_load_dwordx4 v[2:5], off, s0
	scratch_load_dwordx4 v[6:9], off, s24
	s_waitcnt vmcnt(1)
	scratch_store_dwordx4 off, v[2:5], s24
	s_waitcnt vmcnt(1)
	scratch_store_dwordx4 off, v[6:9], s0
.LBB103_270:
	global_load_dword v0, v0, s[8:9] offset:120
	s_waitcnt vmcnt(0)
	v_readfirstlane_b32 s0, v0
	s_add_i32 s0, s0, -1
	s_cmp_eq_u32 s0, 30
	s_cbranch_scc1 .LBB103_272
; %bb.271:
	s_lshl_b32 s0, s0, 4
	s_add_i32 s0, s0, 16
	scratch_load_dwordx4 v[0:3], off, s0
	scratch_load_dwordx4 v[4:7], off, s25
	s_waitcnt vmcnt(1)
	scratch_store_dwordx4 off, v[0:3], s25
	s_waitcnt vmcnt(1)
	scratch_store_dwordx4 off, v[4:7], s0
.LBB103_272:
	v_mov_b32_e32 v0, 0
	global_load_dword v1, v0, s[8:9] offset:116
	s_waitcnt vmcnt(0)
	v_readfirstlane_b32 s0, v1
	s_add_i32 s0, s0, -1
	s_cmp_eq_u32 s0, 29
	s_cbranch_scc1 .LBB103_274
; %bb.273:
	s_lshl_b32 s0, s0, 4
	s_add_i32 s0, s0, 16
	scratch_load_dwordx4 v[2:5], off, s0
	scratch_load_dwordx4 v[6:9], off, s26
	s_waitcnt vmcnt(1)
	scratch_store_dwordx4 off, v[2:5], s26
	s_waitcnt vmcnt(1)
	scratch_store_dwordx4 off, v[6:9], s0
.LBB103_274:
	global_load_dword v0, v0, s[8:9] offset:112
	s_waitcnt vmcnt(0)
	v_readfirstlane_b32 s0, v0
	s_add_i32 s0, s0, -1
	s_cmp_eq_u32 s0, 28
	s_cbranch_scc1 .LBB103_276
; %bb.275:
	s_lshl_b32 s0, s0, 4
	s_add_i32 s0, s0, 16
	scratch_load_dwordx4 v[0:3], off, s0
	scratch_load_dwordx4 v[4:7], off, s27
	s_waitcnt vmcnt(1)
	scratch_store_dwordx4 off, v[0:3], s27
	s_waitcnt vmcnt(1)
	scratch_store_dwordx4 off, v[4:7], s0
.LBB103_276:
	v_mov_b32_e32 v0, 0
	global_load_dword v1, v0, s[8:9] offset:108
	s_waitcnt vmcnt(0)
	v_readfirstlane_b32 s0, v1
	s_add_i32 s0, s0, -1
	s_cmp_eq_u32 s0, 27
	s_cbranch_scc1 .LBB103_278
; %bb.277:
	s_lshl_b32 s0, s0, 4
	s_add_i32 s0, s0, 16
	scratch_load_dwordx4 v[2:5], off, s0
	scratch_load_dwordx4 v[6:9], off, s28
	s_waitcnt vmcnt(1)
	scratch_store_dwordx4 off, v[2:5], s28
	s_waitcnt vmcnt(1)
	scratch_store_dwordx4 off, v[6:9], s0
.LBB103_278:
	global_load_dword v0, v0, s[8:9] offset:104
	s_waitcnt vmcnt(0)
	v_readfirstlane_b32 s0, v0
	s_add_i32 s0, s0, -1
	s_cmp_eq_u32 s0, 26
	s_cbranch_scc1 .LBB103_280
; %bb.279:
	s_lshl_b32 s0, s0, 4
	s_add_i32 s0, s0, 16
	scratch_load_dwordx4 v[0:3], off, s0
	scratch_load_dwordx4 v[4:7], off, s29
	s_waitcnt vmcnt(1)
	scratch_store_dwordx4 off, v[0:3], s29
	s_waitcnt vmcnt(1)
	scratch_store_dwordx4 off, v[4:7], s0
.LBB103_280:
	v_mov_b32_e32 v0, 0
	global_load_dword v1, v0, s[8:9] offset:100
	s_waitcnt vmcnt(0)
	v_readfirstlane_b32 s0, v1
	s_add_i32 s0, s0, -1
	s_cmp_eq_u32 s0, 25
	s_cbranch_scc1 .LBB103_282
; %bb.281:
	s_lshl_b32 s0, s0, 4
	s_add_i32 s0, s0, 16
	scratch_load_dwordx4 v[2:5], off, s0
	scratch_load_dwordx4 v[6:9], off, s30
	s_waitcnt vmcnt(1)
	scratch_store_dwordx4 off, v[2:5], s30
	s_waitcnt vmcnt(1)
	scratch_store_dwordx4 off, v[6:9], s0
.LBB103_282:
	global_load_dword v0, v0, s[8:9] offset:96
	s_waitcnt vmcnt(0)
	v_readfirstlane_b32 s0, v0
	s_add_i32 s0, s0, -1
	s_cmp_eq_u32 s0, 24
	s_cbranch_scc1 .LBB103_284
; %bb.283:
	s_lshl_b32 s0, s0, 4
	s_add_i32 s0, s0, 16
	scratch_load_dwordx4 v[0:3], off, s0
	scratch_load_dwordx4 v[4:7], off, s31
	s_waitcnt vmcnt(1)
	scratch_store_dwordx4 off, v[0:3], s31
	s_waitcnt vmcnt(1)
	scratch_store_dwordx4 off, v[4:7], s0
.LBB103_284:
	v_mov_b32_e32 v0, 0
	global_load_dword v1, v0, s[8:9] offset:92
	s_waitcnt vmcnt(0)
	v_readfirstlane_b32 s0, v1
	s_add_i32 s0, s0, -1
	s_cmp_eq_u32 s0, 23
	s_cbranch_scc1 .LBB103_286
; %bb.285:
	s_lshl_b32 s0, s0, 4
	s_add_i32 s0, s0, 16
	scratch_load_dwordx4 v[2:5], off, s0
	scratch_load_dwordx4 v[6:9], off, s33
	s_waitcnt vmcnt(1)
	scratch_store_dwordx4 off, v[2:5], s33
	s_waitcnt vmcnt(1)
	scratch_store_dwordx4 off, v[6:9], s0
.LBB103_286:
	global_load_dword v0, v0, s[8:9] offset:88
	s_waitcnt vmcnt(0)
	v_readfirstlane_b32 s0, v0
	s_add_i32 s0, s0, -1
	s_cmp_eq_u32 s0, 22
	s_cbranch_scc1 .LBB103_288
; %bb.287:
	s_lshl_b32 s0, s0, 4
	s_add_i32 s0, s0, 16
	scratch_load_dwordx4 v[0:3], off, s0
	scratch_load_dwordx4 v[4:7], off, s34
	s_waitcnt vmcnt(1)
	scratch_store_dwordx4 off, v[0:3], s34
	s_waitcnt vmcnt(1)
	scratch_store_dwordx4 off, v[4:7], s0
.LBB103_288:
	v_mov_b32_e32 v0, 0
	global_load_dword v1, v0, s[8:9] offset:84
	s_waitcnt vmcnt(0)
	v_readfirstlane_b32 s0, v1
	s_add_i32 s0, s0, -1
	s_cmp_eq_u32 s0, 21
	s_cbranch_scc1 .LBB103_290
; %bb.289:
	s_lshl_b32 s0, s0, 4
	s_add_i32 s0, s0, 16
	scratch_load_dwordx4 v[2:5], off, s0
	scratch_load_dwordx4 v[6:9], off, s35
	s_waitcnt vmcnt(1)
	scratch_store_dwordx4 off, v[2:5], s35
	s_waitcnt vmcnt(1)
	scratch_store_dwordx4 off, v[6:9], s0
.LBB103_290:
	global_load_dword v0, v0, s[8:9] offset:80
	s_waitcnt vmcnt(0)
	v_readfirstlane_b32 s0, v0
	s_add_i32 s0, s0, -1
	s_cmp_eq_u32 s0, 20
	s_cbranch_scc1 .LBB103_292
; %bb.291:
	s_lshl_b32 s0, s0, 4
	s_add_i32 s0, s0, 16
	scratch_load_dwordx4 v[0:3], off, s0
	scratch_load_dwordx4 v[4:7], off, s36
	s_waitcnt vmcnt(1)
	scratch_store_dwordx4 off, v[0:3], s36
	s_waitcnt vmcnt(1)
	scratch_store_dwordx4 off, v[4:7], s0
.LBB103_292:
	v_mov_b32_e32 v0, 0
	global_load_dword v1, v0, s[8:9] offset:76
	s_waitcnt vmcnt(0)
	v_readfirstlane_b32 s0, v1
	s_add_i32 s0, s0, -1
	s_cmp_eq_u32 s0, 19
	s_cbranch_scc1 .LBB103_294
; %bb.293:
	s_lshl_b32 s0, s0, 4
	s_add_i32 s0, s0, 16
	scratch_load_dwordx4 v[2:5], off, s0
	scratch_load_dwordx4 v[6:9], off, s37
	s_waitcnt vmcnt(1)
	scratch_store_dwordx4 off, v[2:5], s37
	s_waitcnt vmcnt(1)
	scratch_store_dwordx4 off, v[6:9], s0
.LBB103_294:
	global_load_dword v0, v0, s[8:9] offset:72
	s_waitcnt vmcnt(0)
	v_readfirstlane_b32 s0, v0
	s_add_i32 s0, s0, -1
	s_cmp_eq_u32 s0, 18
	s_cbranch_scc1 .LBB103_296
; %bb.295:
	s_lshl_b32 s0, s0, 4
	s_add_i32 s0, s0, 16
	scratch_load_dwordx4 v[0:3], off, s0
	scratch_load_dwordx4 v[4:7], off, s38
	s_waitcnt vmcnt(1)
	scratch_store_dwordx4 off, v[0:3], s38
	s_waitcnt vmcnt(1)
	scratch_store_dwordx4 off, v[4:7], s0
.LBB103_296:
	v_mov_b32_e32 v0, 0
	global_load_dword v1, v0, s[8:9] offset:68
	s_waitcnt vmcnt(0)
	v_readfirstlane_b32 s0, v1
	s_add_i32 s0, s0, -1
	s_cmp_eq_u32 s0, 17
	s_cbranch_scc1 .LBB103_298
; %bb.297:
	s_lshl_b32 s0, s0, 4
	s_add_i32 s0, s0, 16
	scratch_load_dwordx4 v[2:5], off, s0
	scratch_load_dwordx4 v[6:9], off, s39
	s_waitcnt vmcnt(1)
	scratch_store_dwordx4 off, v[2:5], s39
	s_waitcnt vmcnt(1)
	scratch_store_dwordx4 off, v[6:9], s0
.LBB103_298:
	global_load_dword v0, v0, s[8:9] offset:64
	s_waitcnt vmcnt(0)
	v_readfirstlane_b32 s0, v0
	s_add_i32 s0, s0, -1
	s_cmp_eq_u32 s0, 16
	s_cbranch_scc1 .LBB103_300
; %bb.299:
	s_lshl_b32 s0, s0, 4
	s_add_i32 s0, s0, 16
	scratch_load_dwordx4 v[0:3], off, s0
	scratch_load_dwordx4 v[4:7], off, s40
	s_waitcnt vmcnt(1)
	scratch_store_dwordx4 off, v[0:3], s40
	s_waitcnt vmcnt(1)
	scratch_store_dwordx4 off, v[4:7], s0
.LBB103_300:
	v_mov_b32_e32 v0, 0
	global_load_dword v1, v0, s[8:9] offset:60
	s_waitcnt vmcnt(0)
	v_readfirstlane_b32 s0, v1
	s_add_i32 s0, s0, -1
	s_cmp_eq_u32 s0, 15
	s_cbranch_scc1 .LBB103_302
; %bb.301:
	s_lshl_b32 s0, s0, 4
	s_add_i32 s0, s0, 16
	scratch_load_dwordx4 v[2:5], off, s0
	scratch_load_dwordx4 v[6:9], off, s41
	s_waitcnt vmcnt(1)
	scratch_store_dwordx4 off, v[2:5], s41
	s_waitcnt vmcnt(1)
	scratch_store_dwordx4 off, v[6:9], s0
.LBB103_302:
	global_load_dword v0, v0, s[8:9] offset:56
	s_waitcnt vmcnt(0)
	v_readfirstlane_b32 s0, v0
	s_add_i32 s0, s0, -1
	s_cmp_eq_u32 s0, 14
	s_cbranch_scc1 .LBB103_304
; %bb.303:
	s_lshl_b32 s0, s0, 4
	s_add_i32 s0, s0, 16
	scratch_load_dwordx4 v[0:3], off, s0
	scratch_load_dwordx4 v[4:7], off, s42
	s_waitcnt vmcnt(1)
	scratch_store_dwordx4 off, v[0:3], s42
	s_waitcnt vmcnt(1)
	scratch_store_dwordx4 off, v[4:7], s0
.LBB103_304:
	v_mov_b32_e32 v0, 0
	global_load_dword v1, v0, s[8:9] offset:52
	s_waitcnt vmcnt(0)
	v_readfirstlane_b32 s0, v1
	s_add_i32 s0, s0, -1
	s_cmp_eq_u32 s0, 13
	s_cbranch_scc1 .LBB103_306
; %bb.305:
	s_lshl_b32 s0, s0, 4
	s_add_i32 s0, s0, 16
	scratch_load_dwordx4 v[2:5], off, s0
	scratch_load_dwordx4 v[6:9], off, s43
	s_waitcnt vmcnt(1)
	scratch_store_dwordx4 off, v[2:5], s43
	s_waitcnt vmcnt(1)
	scratch_store_dwordx4 off, v[6:9], s0
.LBB103_306:
	global_load_dword v0, v0, s[8:9] offset:48
	s_waitcnt vmcnt(0)
	v_readfirstlane_b32 s0, v0
	s_add_i32 s0, s0, -1
	s_cmp_eq_u32 s0, 12
	s_cbranch_scc1 .LBB103_308
; %bb.307:
	s_lshl_b32 s0, s0, 4
	s_add_i32 s0, s0, 16
	scratch_load_dwordx4 v[0:3], off, s0
	scratch_load_dwordx4 v[4:7], off, s44
	s_waitcnt vmcnt(1)
	scratch_store_dwordx4 off, v[0:3], s44
	s_waitcnt vmcnt(1)
	scratch_store_dwordx4 off, v[4:7], s0
.LBB103_308:
	v_mov_b32_e32 v0, 0
	global_load_dword v1, v0, s[8:9] offset:44
	s_waitcnt vmcnt(0)
	v_readfirstlane_b32 s0, v1
	s_add_i32 s0, s0, -1
	s_cmp_eq_u32 s0, 11
	s_cbranch_scc1 .LBB103_310
; %bb.309:
	s_lshl_b32 s0, s0, 4
	s_add_i32 s0, s0, 16
	scratch_load_dwordx4 v[2:5], off, s0
	scratch_load_dwordx4 v[6:9], off, s45
	s_waitcnt vmcnt(1)
	scratch_store_dwordx4 off, v[2:5], s45
	s_waitcnt vmcnt(1)
	scratch_store_dwordx4 off, v[6:9], s0
.LBB103_310:
	global_load_dword v0, v0, s[8:9] offset:40
	s_waitcnt vmcnt(0)
	v_readfirstlane_b32 s0, v0
	s_add_i32 s0, s0, -1
	s_cmp_eq_u32 s0, 10
	s_cbranch_scc1 .LBB103_312
; %bb.311:
	s_lshl_b32 s0, s0, 4
	s_add_i32 s0, s0, 16
	scratch_load_dwordx4 v[0:3], off, s0
	scratch_load_dwordx4 v[4:7], off, s46
	s_waitcnt vmcnt(1)
	scratch_store_dwordx4 off, v[0:3], s46
	s_waitcnt vmcnt(1)
	scratch_store_dwordx4 off, v[4:7], s0
.LBB103_312:
	v_mov_b32_e32 v0, 0
	global_load_dword v1, v0, s[8:9] offset:36
	s_waitcnt vmcnt(0)
	v_readfirstlane_b32 s0, v1
	s_add_i32 s0, s0, -1
	s_cmp_eq_u32 s0, 9
	s_cbranch_scc1 .LBB103_314
; %bb.313:
	s_lshl_b32 s0, s0, 4
	s_add_i32 s0, s0, 16
	scratch_load_dwordx4 v[2:5], off, s0
	scratch_load_dwordx4 v[6:9], off, s47
	s_waitcnt vmcnt(1)
	scratch_store_dwordx4 off, v[2:5], s47
	s_waitcnt vmcnt(1)
	scratch_store_dwordx4 off, v[6:9], s0
.LBB103_314:
	global_load_dword v0, v0, s[8:9] offset:32
	s_waitcnt vmcnt(0)
	v_readfirstlane_b32 s0, v0
	s_add_i32 s0, s0, -1
	s_cmp_eq_u32 s0, 8
	s_cbranch_scc1 .LBB103_316
; %bb.315:
	s_lshl_b32 s0, s0, 4
	s_add_i32 s0, s0, 16
	scratch_load_dwordx4 v[0:3], off, s0
	scratch_load_dwordx4 v[4:7], off, s48
	s_waitcnt vmcnt(1)
	scratch_store_dwordx4 off, v[0:3], s48
	s_waitcnt vmcnt(1)
	scratch_store_dwordx4 off, v[4:7], s0
.LBB103_316:
	v_mov_b32_e32 v0, 0
	global_load_dword v1, v0, s[8:9] offset:28
	s_waitcnt vmcnt(0)
	v_readfirstlane_b32 s0, v1
	s_add_i32 s0, s0, -1
	s_cmp_eq_u32 s0, 7
	s_cbranch_scc1 .LBB103_318
; %bb.317:
	s_lshl_b32 s0, s0, 4
	s_add_i32 s0, s0, 16
	scratch_load_dwordx4 v[2:5], off, s0
	scratch_load_dwordx4 v[6:9], off, s49
	s_waitcnt vmcnt(1)
	scratch_store_dwordx4 off, v[2:5], s49
	s_waitcnt vmcnt(1)
	scratch_store_dwordx4 off, v[6:9], s0
.LBB103_318:
	global_load_dword v0, v0, s[8:9] offset:24
	s_waitcnt vmcnt(0)
	v_readfirstlane_b32 s0, v0
	s_add_i32 s0, s0, -1
	s_cmp_eq_u32 s0, 6
	s_cbranch_scc1 .LBB103_320
; %bb.319:
	s_lshl_b32 s0, s0, 4
	s_add_i32 s0, s0, 16
	scratch_load_dwordx4 v[0:3], off, s0
	scratch_load_dwordx4 v[4:7], off, s50
	s_waitcnt vmcnt(1)
	scratch_store_dwordx4 off, v[0:3], s50
	s_waitcnt vmcnt(1)
	scratch_store_dwordx4 off, v[4:7], s0
.LBB103_320:
	v_mov_b32_e32 v0, 0
	global_load_dword v1, v0, s[8:9] offset:20
	s_waitcnt vmcnt(0)
	v_readfirstlane_b32 s0, v1
	s_add_i32 s0, s0, -1
	s_cmp_eq_u32 s0, 5
	s_cbranch_scc1 .LBB103_322
; %bb.321:
	s_lshl_b32 s0, s0, 4
	s_add_i32 s0, s0, 16
	scratch_load_dwordx4 v[2:5], off, s0
	scratch_load_dwordx4 v[6:9], off, s51
	s_waitcnt vmcnt(1)
	scratch_store_dwordx4 off, v[2:5], s51
	s_waitcnt vmcnt(1)
	scratch_store_dwordx4 off, v[6:9], s0
.LBB103_322:
	global_load_dword v0, v0, s[8:9] offset:16
	s_waitcnt vmcnt(0)
	v_readfirstlane_b32 s0, v0
	s_add_i32 s0, s0, -1
	s_cmp_eq_u32 s0, 4
	s_cbranch_scc1 .LBB103_324
; %bb.323:
	s_lshl_b32 s0, s0, 4
	s_add_i32 s0, s0, 16
	scratch_load_dwordx4 v[0:3], off, s0
	scratch_load_dwordx4 v[4:7], off, s52
	s_waitcnt vmcnt(1)
	scratch_store_dwordx4 off, v[0:3], s52
	s_waitcnt vmcnt(1)
	scratch_store_dwordx4 off, v[4:7], s0
.LBB103_324:
	v_mov_b32_e32 v0, 0
	global_load_dword v1, v0, s[8:9] offset:12
	s_waitcnt vmcnt(0)
	v_readfirstlane_b32 s0, v1
	s_add_i32 s0, s0, -1
	s_cmp_eq_u32 s0, 3
	s_cbranch_scc1 .LBB103_326
; %bb.325:
	s_lshl_b32 s0, s0, 4
	s_add_i32 s0, s0, 16
	scratch_load_dwordx4 v[2:5], off, s0
	scratch_load_dwordx4 v[6:9], off, s53
	s_waitcnt vmcnt(1)
	scratch_store_dwordx4 off, v[2:5], s53
	s_waitcnt vmcnt(1)
	scratch_store_dwordx4 off, v[6:9], s0
.LBB103_326:
	global_load_dword v0, v0, s[8:9] offset:8
	s_waitcnt vmcnt(0)
	v_readfirstlane_b32 s0, v0
	s_add_i32 s0, s0, -1
	s_cmp_eq_u32 s0, 2
	s_cbranch_scc1 .LBB103_328
; %bb.327:
	s_lshl_b32 s0, s0, 4
	s_add_i32 s0, s0, 16
	scratch_load_dwordx4 v[0:3], off, s0
	scratch_load_dwordx4 v[4:7], off, s54
	s_waitcnt vmcnt(1)
	scratch_store_dwordx4 off, v[0:3], s54
	s_waitcnt vmcnt(1)
	scratch_store_dwordx4 off, v[4:7], s0
.LBB103_328:
	v_mov_b32_e32 v0, 0
	global_load_dword v1, v0, s[8:9] offset:4
	s_waitcnt vmcnt(0)
	v_readfirstlane_b32 s0, v1
	s_add_i32 s0, s0, -1
	s_cmp_eq_u32 s0, 1
	s_cbranch_scc1 .LBB103_330
; %bb.329:
	s_lshl_b32 s0, s0, 4
	s_add_i32 s0, s0, 16
	scratch_load_dwordx4 v[2:5], off, s0
	scratch_load_dwordx4 v[6:9], off, s55
	s_waitcnt vmcnt(1)
	scratch_store_dwordx4 off, v[2:5], s55
	s_waitcnt vmcnt(1)
	scratch_store_dwordx4 off, v[6:9], s0
.LBB103_330:
	global_load_dword v0, v0, s[8:9]
	s_waitcnt vmcnt(0)
	v_readfirstlane_b32 s0, v0
	s_add_i32 s0, s0, -1
	s_cmp_eq_u32 s0, 0
	s_cbranch_scc1 .LBB103_332
; %bb.331:
	s_lshl_b32 s0, s0, 4
	s_add_i32 s0, s0, 16
	scratch_load_dwordx4 v[0:3], off, s0
	scratch_load_dwordx4 v[4:7], off, off offset:16
	s_waitcnt vmcnt(1)
	scratch_store_dwordx4 off, v[0:3], off offset:16
	s_waitcnt vmcnt(1)
	scratch_store_dwordx4 off, v[4:7], s0
.LBB103_332:
	scratch_load_dwordx4 v[0:3], off, off offset:16
	s_nop 0
	v_accvgpr_read_b32 v5, a1
	v_accvgpr_read_b32 v4, a0
	s_waitcnt vmcnt(0)
	flat_store_dwordx4 v[4:5], v[0:3]
	scratch_load_dwordx4 v[0:3], off, s55
	v_accvgpr_read_b32 v5, a3
	v_accvgpr_read_b32 v4, a2
	s_waitcnt vmcnt(0)
	flat_store_dwordx4 v[4:5], v[0:3]
	scratch_load_dwordx4 v[0:3], off, s54
	;; [unrolled: 5-line block ×39, first 2 shown]
	v_accvgpr_read_b32 v4, a78
	v_accvgpr_read_b32 v5, a79
	s_waitcnt vmcnt(0)
	flat_store_dwordx4 v[4:5], v[0:3]
	s_endpgm
	.section	.rodata,"a",@progbits
	.p2align	6, 0x0
	.amdhsa_kernel _ZN9rocsolver6v33100L18getri_kernel_smallILi40E19rocblas_complex_numIdEPKPS3_EEvT1_iilPiilS8_bb
		.amdhsa_group_segment_fixed_size 1288
		.amdhsa_private_segment_fixed_size 672
		.amdhsa_kernarg_size 60
		.amdhsa_user_sgpr_count 2
		.amdhsa_user_sgpr_dispatch_ptr 0
		.amdhsa_user_sgpr_queue_ptr 0
		.amdhsa_user_sgpr_kernarg_segment_ptr 1
		.amdhsa_user_sgpr_dispatch_id 0
		.amdhsa_user_sgpr_kernarg_preload_length 0
		.amdhsa_user_sgpr_kernarg_preload_offset 0
		.amdhsa_user_sgpr_private_segment_size 0
		.amdhsa_uses_dynamic_stack 0
		.amdhsa_enable_private_segment 1
		.amdhsa_system_sgpr_workgroup_id_x 1
		.amdhsa_system_sgpr_workgroup_id_y 0
		.amdhsa_system_sgpr_workgroup_id_z 0
		.amdhsa_system_sgpr_workgroup_info 0
		.amdhsa_system_vgpr_workitem_id 0
		.amdhsa_next_free_vgpr 340
		.amdhsa_next_free_sgpr 70
		.amdhsa_accum_offset 256
		.amdhsa_reserve_vcc 1
		.amdhsa_float_round_mode_32 0
		.amdhsa_float_round_mode_16_64 0
		.amdhsa_float_denorm_mode_32 3
		.amdhsa_float_denorm_mode_16_64 3
		.amdhsa_dx10_clamp 1
		.amdhsa_ieee_mode 1
		.amdhsa_fp16_overflow 0
		.amdhsa_tg_split 0
		.amdhsa_exception_fp_ieee_invalid_op 0
		.amdhsa_exception_fp_denorm_src 0
		.amdhsa_exception_fp_ieee_div_zero 0
		.amdhsa_exception_fp_ieee_overflow 0
		.amdhsa_exception_fp_ieee_underflow 0
		.amdhsa_exception_fp_ieee_inexact 0
		.amdhsa_exception_int_div_zero 0
	.end_amdhsa_kernel
	.section	.text._ZN9rocsolver6v33100L18getri_kernel_smallILi40E19rocblas_complex_numIdEPKPS3_EEvT1_iilPiilS8_bb,"axG",@progbits,_ZN9rocsolver6v33100L18getri_kernel_smallILi40E19rocblas_complex_numIdEPKPS3_EEvT1_iilPiilS8_bb,comdat
.Lfunc_end103:
	.size	_ZN9rocsolver6v33100L18getri_kernel_smallILi40E19rocblas_complex_numIdEPKPS3_EEvT1_iilPiilS8_bb, .Lfunc_end103-_ZN9rocsolver6v33100L18getri_kernel_smallILi40E19rocblas_complex_numIdEPKPS3_EEvT1_iilPiilS8_bb
                                        ; -- End function
	.set _ZN9rocsolver6v33100L18getri_kernel_smallILi40E19rocblas_complex_numIdEPKPS3_EEvT1_iilPiilS8_bb.num_vgpr, 256
	.set _ZN9rocsolver6v33100L18getri_kernel_smallILi40E19rocblas_complex_numIdEPKPS3_EEvT1_iilPiilS8_bb.num_agpr, 84
	.set _ZN9rocsolver6v33100L18getri_kernel_smallILi40E19rocblas_complex_numIdEPKPS3_EEvT1_iilPiilS8_bb.numbered_sgpr, 70
	.set _ZN9rocsolver6v33100L18getri_kernel_smallILi40E19rocblas_complex_numIdEPKPS3_EEvT1_iilPiilS8_bb.num_named_barrier, 0
	.set _ZN9rocsolver6v33100L18getri_kernel_smallILi40E19rocblas_complex_numIdEPKPS3_EEvT1_iilPiilS8_bb.private_seg_size, 672
	.set _ZN9rocsolver6v33100L18getri_kernel_smallILi40E19rocblas_complex_numIdEPKPS3_EEvT1_iilPiilS8_bb.uses_vcc, 1
	.set _ZN9rocsolver6v33100L18getri_kernel_smallILi40E19rocblas_complex_numIdEPKPS3_EEvT1_iilPiilS8_bb.uses_flat_scratch, 0
	.set _ZN9rocsolver6v33100L18getri_kernel_smallILi40E19rocblas_complex_numIdEPKPS3_EEvT1_iilPiilS8_bb.has_dyn_sized_stack, 0
	.set _ZN9rocsolver6v33100L18getri_kernel_smallILi40E19rocblas_complex_numIdEPKPS3_EEvT1_iilPiilS8_bb.has_recursion, 0
	.set _ZN9rocsolver6v33100L18getri_kernel_smallILi40E19rocblas_complex_numIdEPKPS3_EEvT1_iilPiilS8_bb.has_indirect_call, 0
	.section	.AMDGPU.csdata,"",@progbits
; Kernel info:
; codeLenInByte = 70104
; TotalNumSgprs: 76
; NumVgprs: 256
; NumAgprs: 84
; TotalNumVgprs: 340
; ScratchSize: 672
; MemoryBound: 0
; FloatMode: 240
; IeeeMode: 1
; LDSByteSize: 1288 bytes/workgroup (compile time only)
; SGPRBlocks: 9
; VGPRBlocks: 42
; NumSGPRsForWavesPerEU: 76
; NumVGPRsForWavesPerEU: 340
; AccumOffset: 256
; Occupancy: 1
; WaveLimiterHint : 1
; COMPUTE_PGM_RSRC2:SCRATCH_EN: 1
; COMPUTE_PGM_RSRC2:USER_SGPR: 2
; COMPUTE_PGM_RSRC2:TRAP_HANDLER: 0
; COMPUTE_PGM_RSRC2:TGID_X_EN: 1
; COMPUTE_PGM_RSRC2:TGID_Y_EN: 0
; COMPUTE_PGM_RSRC2:TGID_Z_EN: 0
; COMPUTE_PGM_RSRC2:TIDIG_COMP_CNT: 0
; COMPUTE_PGM_RSRC3_GFX90A:ACCUM_OFFSET: 63
; COMPUTE_PGM_RSRC3_GFX90A:TG_SPLIT: 0
	.section	.text._ZN9rocsolver6v33100L18getri_kernel_smallILi41E19rocblas_complex_numIdEPKPS3_EEvT1_iilPiilS8_bb,"axG",@progbits,_ZN9rocsolver6v33100L18getri_kernel_smallILi41E19rocblas_complex_numIdEPKPS3_EEvT1_iilPiilS8_bb,comdat
	.globl	_ZN9rocsolver6v33100L18getri_kernel_smallILi41E19rocblas_complex_numIdEPKPS3_EEvT1_iilPiilS8_bb ; -- Begin function _ZN9rocsolver6v33100L18getri_kernel_smallILi41E19rocblas_complex_numIdEPKPS3_EEvT1_iilPiilS8_bb
	.p2align	8
	.type	_ZN9rocsolver6v33100L18getri_kernel_smallILi41E19rocblas_complex_numIdEPKPS3_EEvT1_iilPiilS8_bb,@function
_ZN9rocsolver6v33100L18getri_kernel_smallILi41E19rocblas_complex_numIdEPKPS3_EEvT1_iilPiilS8_bb: ; @_ZN9rocsolver6v33100L18getri_kernel_smallILi41E19rocblas_complex_numIdEPKPS3_EEvT1_iilPiilS8_bb
; %bb.0:
	v_mov_b32_e32 v240, v0
	v_cmp_gt_u32_e32 vcc, 41, v240
	s_and_saveexec_b64 s[4:5], vcc
	s_cbranch_execz .LBB104_178
; %bb.1:
	s_load_dword s14, s[0:1], 0x38
	s_load_dwordx2 s[8:9], s[0:1], 0x0
	s_load_dwordx4 s[4:7], s[0:1], 0x28
	s_waitcnt lgkmcnt(0)
	s_bitcmp1_b32 s14, 8
	s_cselect_b64 s[10:11], -1, 0
	s_ashr_i32 s3, s2, 31
	s_lshl_b64 s[12:13], s[2:3], 3
	s_add_u32 s8, s8, s12
	s_addc_u32 s9, s9, s13
	s_load_dwordx2 s[12:13], s[8:9], 0x0
	s_bfe_u32 s8, s14, 0x10008
	s_cmp_eq_u32 s8, 0
                                        ; implicit-def: $sgpr8_sgpr9
	s_cbranch_scc1 .LBB104_3
; %bb.2:
	s_load_dword s8, s[0:1], 0x20
	s_load_dwordx2 s[14:15], s[0:1], 0x18
	s_mul_i32 s9, s4, s3
	s_mul_hi_u32 s16, s4, s2
	s_add_i32 s16, s16, s9
	s_mul_i32 s5, s5, s2
	s_add_i32 s5, s16, s5
	s_mul_i32 s4, s4, s2
	s_waitcnt lgkmcnt(0)
	s_ashr_i32 s9, s8, 31
	s_lshl_b64 s[4:5], s[4:5], 2
	s_add_u32 s14, s14, s4
	s_addc_u32 s15, s15, s5
	s_lshl_b64 s[4:5], s[8:9], 2
	s_add_u32 s8, s14, s4
	s_addc_u32 s9, s15, s5
.LBB104_3:
	s_load_dwordx2 s[4:5], s[0:1], 0x8
	s_load_dword s14, s[0:1], 0x38
	v_lshlrev_b32_e32 v14, 4, v240
	v_mov_b32_e32 v15, 0
	s_movk_i32 s15, 0xb0
	s_waitcnt lgkmcnt(0)
	s_ashr_i32 s1, s4, 31
	s_mov_b32 s0, s4
	s_lshl_b64 s[0:1], s[0:1], 4
	s_add_u32 s0, s12, s0
	s_addc_u32 s1, s13, s1
	v_lshl_add_u64 v[0:1], s[0:1], 0, v[14:15]
	flat_load_dwordx4 v[2:5], v[0:1]
	s_mov_b32 s12, s5
	s_ashr_i32 s13, s5, 31
	v_accvgpr_write_b32 a0, v0
	v_accvgpr_write_b32 a1, v1
	v_lshl_add_u64 v[0:1], s[12:13], 4, v[0:1]
	s_add_i32 s4, s5, s5
	v_add_u32_e32 v6, s4, v240
	v_accvgpr_write_b32 a3, v1
	v_ashrrev_i32_e32 v7, 31, v6
	v_accvgpr_write_b32 a2, v0
	s_movk_i32 s4, 0x70
	s_movk_i32 s12, 0x90
	;; [unrolled: 1-line block ×32, first 2 shown]
	s_add_i32 s50, s4, 16
	s_add_i32 s48, s12, 16
	;; [unrolled: 1-line block ×33, first 2 shown]
	s_mov_b32 s56, 32
	s_mov_b32 s55, 48
	;; [unrolled: 1-line block ×3, first 2 shown]
	s_movk_i32 s53, 0x50
	s_waitcnt vmcnt(0) lgkmcnt(0)
	scratch_store_dwordx4 off, v[2:5], off offset:16
	flat_load_dwordx4 v[2:5], v[0:1]
	v_lshl_add_u64 v[0:1], v[6:7], 4, s[0:1]
	v_add_u32_e32 v6, s5, v6
	v_accvgpr_write_b32 a5, v1
	v_ashrrev_i32_e32 v7, 31, v6
	v_accvgpr_write_b32 a4, v0
	s_waitcnt vmcnt(0) lgkmcnt(0)
	scratch_store_dwordx4 off, v[2:5], off offset:32
	flat_load_dwordx4 v[2:5], v[0:1]
	v_lshl_add_u64 v[0:1], v[6:7], 4, s[0:1]
	v_add_u32_e32 v6, s5, v6
	v_accvgpr_write_b32 a7, v1
	v_ashrrev_i32_e32 v7, 31, v6
	v_accvgpr_write_b32 a6, v0
	;; [unrolled: 8-line block ×38, first 2 shown]
	s_movk_i32 s5, 0x80
	s_add_i32 s49, s5, 16
	s_mov_b64 s[4:5], -1
	s_waitcnt vmcnt(0) lgkmcnt(0)
	scratch_store_dwordx4 off, v[2:5], off offset:624
	flat_load_dwordx4 v[2:5], v[0:1]
	v_lshl_add_u64 v[0:1], v[6:7], 4, s[0:1]
	s_movk_i32 s0, 0x50
	s_movk_i32 s1, 0x60
	v_accvgpr_write_b32 a81, v1
	s_add_i32 s52, s0, 16
	s_add_i32 s51, s1, 16
	v_accvgpr_write_b32 a80, v0
	s_bitcmp0_b32 s14, 0
	s_waitcnt vmcnt(0) lgkmcnt(0)
	scratch_store_dwordx4 off, v[2:5], off offset:640
	flat_load_dwordx4 v[2:5], v[0:1]
	s_waitcnt vmcnt(0) lgkmcnt(0)
	scratch_store_dwordx4 off, v[2:5], off offset:656
	s_cbranch_scc1 .LBB104_176
; %bb.4:
	v_cmp_eq_u32_e64 s[0:1], 0, v240
	s_and_saveexec_b64 s[4:5], s[0:1]
; %bb.5:
	v_mov_b32_e32 v0, 0
	ds_write_b32 v0, v0 offset:1312
; %bb.6:
	s_or_b64 exec, exec, s[4:5]
	s_waitcnt lgkmcnt(0)
	; wave barrier
	scratch_load_dwordx4 v[2:5], v14, off offset:16
	s_waitcnt vmcnt(0)
	v_cmp_eq_f64_e32 vcc, 0, v[2:3]
	v_cmp_eq_f64_e64 s[4:5], 0, v[4:5]
	s_and_b64 s[4:5], vcc, s[4:5]
	s_and_saveexec_b64 s[12:13], s[4:5]
	s_cbranch_execz .LBB104_10
; %bb.7:
	v_mov_b32_e32 v1, 0
	ds_read_b32 v0, v1 offset:1312
	v_add_u32_e32 v2, 1, v240
	s_waitcnt lgkmcnt(0)
	v_readfirstlane_b32 s4, v0
	s_cmp_eq_u32 s4, 0
	s_cselect_b64 s[14:15], -1, 0
	v_cmp_gt_i32_e32 vcc, s4, v2
	s_or_b64 s[14:15], s[14:15], vcc
	s_and_b64 exec, exec, s[14:15]
	s_cbranch_execz .LBB104_10
; %bb.8:
	s_mov_b64 s[14:15], 0
	v_mov_b32_e32 v3, s4
.LBB104_9:                              ; =>This Inner Loop Header: Depth=1
	ds_cmpst_rtn_b32 v3, v1, v3, v2 offset:1312
	s_waitcnt lgkmcnt(0)
	v_cmp_ne_u32_e32 vcc, 0, v3
	v_cmp_le_i32_e64 s[4:5], v3, v2
	s_and_b64 s[4:5], vcc, s[4:5]
	s_and_b64 s[4:5], exec, s[4:5]
	s_or_b64 s[14:15], s[4:5], s[14:15]
	s_andn2_b64 exec, exec, s[14:15]
	s_cbranch_execnz .LBB104_9
.LBB104_10:
	s_or_b64 exec, exec, s[12:13]
	v_mov_b32_e32 v2, 0
	; wave barrier
	ds_read_b32 v1, v2 offset:1312
	s_and_saveexec_b64 s[4:5], s[0:1]
	s_cbranch_execz .LBB104_12
; %bb.11:
	s_lshl_b64 s[12:13], s[2:3], 2
	s_add_u32 s12, s6, s12
	s_addc_u32 s13, s7, s13
	s_waitcnt lgkmcnt(0)
	global_store_dword v2, v1, s[12:13]
.LBB104_12:
	s_or_b64 exec, exec, s[4:5]
	s_waitcnt lgkmcnt(0)
	v_cmp_ne_u32_e32 vcc, 0, v1
	s_mov_b64 s[4:5], 0
	s_cbranch_vccnz .LBB104_176
; %bb.13:
	v_add_u32_e32 v15, 16, v14
	scratch_load_dwordx4 v[2:5], v15, off
                                        ; implicit-def: $vgpr6_vgpr7
                                        ; implicit-def: $vgpr10_vgpr11
	s_waitcnt vmcnt(0)
	v_cmp_ngt_f64_e64 s[4:5], |v[2:3]|, |v[4:5]|
	s_and_saveexec_b64 s[12:13], s[4:5]
	s_xor_b64 s[4:5], exec, s[12:13]
	s_cbranch_execz .LBB104_15
; %bb.14:
	v_div_scale_f64 v[6:7], s[12:13], v[4:5], v[4:5], v[2:3]
	v_rcp_f64_e32 v[8:9], v[6:7]
	v_div_scale_f64 v[10:11], vcc, v[2:3], v[4:5], v[2:3]
	v_fma_f64 v[12:13], -v[6:7], v[8:9], 1.0
	v_fmac_f64_e32 v[8:9], v[8:9], v[12:13]
	v_fma_f64 v[12:13], -v[6:7], v[8:9], 1.0
	v_fmac_f64_e32 v[8:9], v[8:9], v[12:13]
	v_mul_f64 v[12:13], v[10:11], v[8:9]
	v_fma_f64 v[6:7], -v[6:7], v[12:13], v[10:11]
	v_div_fmas_f64 v[6:7], v[6:7], v[8:9], v[12:13]
	v_div_fixup_f64 v[6:7], v[6:7], v[4:5], v[2:3]
	v_fmac_f64_e32 v[4:5], v[2:3], v[6:7]
	v_div_scale_f64 v[2:3], s[12:13], v[4:5], v[4:5], 1.0
	v_rcp_f64_e32 v[8:9], v[2:3]
	s_nop 0
	v_fma_f64 v[10:11], -v[2:3], v[8:9], 1.0
	v_fmac_f64_e32 v[8:9], v[8:9], v[10:11]
	v_fma_f64 v[10:11], -v[2:3], v[8:9], 1.0
	v_fmac_f64_e32 v[8:9], v[8:9], v[10:11]
	v_div_scale_f64 v[10:11], vcc, 1.0, v[4:5], 1.0
	v_mul_f64 v[12:13], v[10:11], v[8:9]
	v_fma_f64 v[2:3], -v[2:3], v[12:13], v[10:11]
	s_nop 1
	v_div_fmas_f64 v[2:3], v[2:3], v[8:9], v[12:13]
	v_div_fixup_f64 v[8:9], v[2:3], v[4:5], 1.0
	v_mul_f64 v[6:7], v[6:7], v[8:9]
	v_xor_b32_e32 v9, 0x80000000, v9
	v_xor_b32_e32 v11, 0x80000000, v7
	v_mov_b32_e32 v10, v6
                                        ; implicit-def: $vgpr2_vgpr3
.LBB104_15:
	s_andn2_saveexec_b64 s[4:5], s[4:5]
	s_cbranch_execz .LBB104_17
; %bb.16:
	v_div_scale_f64 v[6:7], s[12:13], v[2:3], v[2:3], v[4:5]
	v_rcp_f64_e32 v[8:9], v[6:7]
	v_div_scale_f64 v[10:11], vcc, v[4:5], v[2:3], v[4:5]
	v_fma_f64 v[12:13], -v[6:7], v[8:9], 1.0
	v_fmac_f64_e32 v[8:9], v[8:9], v[12:13]
	v_fma_f64 v[12:13], -v[6:7], v[8:9], 1.0
	v_fmac_f64_e32 v[8:9], v[8:9], v[12:13]
	v_mul_f64 v[12:13], v[10:11], v[8:9]
	v_fma_f64 v[6:7], -v[6:7], v[12:13], v[10:11]
	v_div_fmas_f64 v[6:7], v[6:7], v[8:9], v[12:13]
	v_div_fixup_f64 v[8:9], v[6:7], v[2:3], v[4:5]
	v_fmac_f64_e32 v[2:3], v[4:5], v[8:9]
	v_div_scale_f64 v[4:5], s[12:13], v[2:3], v[2:3], 1.0
	v_rcp_f64_e32 v[6:7], v[4:5]
	s_nop 0
	v_fma_f64 v[10:11], -v[4:5], v[6:7], 1.0
	v_fmac_f64_e32 v[6:7], v[6:7], v[10:11]
	v_fma_f64 v[10:11], -v[4:5], v[6:7], 1.0
	v_fmac_f64_e32 v[6:7], v[6:7], v[10:11]
	v_div_scale_f64 v[10:11], vcc, 1.0, v[2:3], 1.0
	v_mul_f64 v[12:13], v[10:11], v[6:7]
	v_fma_f64 v[4:5], -v[4:5], v[12:13], v[10:11]
	s_nop 1
	v_div_fmas_f64 v[4:5], v[4:5], v[6:7], v[12:13]
	v_div_fixup_f64 v[6:7], v[4:5], v[2:3], 1.0
	v_xor_b32_e32 v11, 0x80000000, v7
	v_mov_b32_e32 v10, v6
	v_mul_f64 v[8:9], v[8:9], -v[6:7]
.LBB104_17:
	s_or_b64 exec, exec, s[4:5]
	scratch_store_dwordx4 v15, v[6:9], off
	scratch_load_dwordx4 v[2:5], off, s56
	v_xor_b32_e32 v13, 0x80000000, v9
	v_mov_b32_e32 v12, v8
	v_add_u32_e32 v1, 0x290, v14
	ds_write_b128 v14, v[10:13]
	s_waitcnt vmcnt(0)
	ds_write_b128 v14, v[2:5] offset:656
	s_waitcnt lgkmcnt(0)
	; wave barrier
	s_and_saveexec_b64 s[4:5], s[0:1]
	s_cbranch_execz .LBB104_19
; %bb.18:
	scratch_load_dwordx4 v[2:5], v15, off
	ds_read_b128 v[6:9], v1
	v_mov_b32_e32 v0, 0
	ds_read_b128 v[10:13], v0 offset:16
	s_waitcnt vmcnt(0) lgkmcnt(1)
	v_mul_f64 v[16:17], v[8:9], v[4:5]
	v_mul_f64 v[4:5], v[6:7], v[4:5]
	v_fma_f64 v[6:7], v[6:7], v[2:3], -v[16:17]
	v_fmac_f64_e32 v[4:5], v[8:9], v[2:3]
	v_add_f64 v[2:3], v[6:7], 0
	v_add_f64 v[6:7], v[4:5], 0
	s_waitcnt lgkmcnt(0)
	v_mul_f64 v[8:9], v[6:7], v[12:13]
	v_mul_f64 v[4:5], v[2:3], v[12:13]
	v_fma_f64 v[2:3], v[2:3], v[10:11], -v[8:9]
	v_fmac_f64_e32 v[4:5], v[6:7], v[10:11]
	scratch_store_dwordx4 off, v[2:5], off offset:32
.LBB104_19:
	s_or_b64 exec, exec, s[4:5]
	; wave barrier
	scratch_load_dwordx4 v[2:5], off, s55
	v_cmp_gt_u32_e32 vcc, 2, v240
	s_waitcnt vmcnt(0)
	ds_write_b128 v1, v[2:5]
	s_waitcnt lgkmcnt(0)
	; wave barrier
	s_and_saveexec_b64 s[4:5], vcc
	s_cbranch_execz .LBB104_23
; %bb.20:
	scratch_load_dwordx4 v[2:5], v15, off
	ds_read_b128 v[6:9], v1
	s_waitcnt vmcnt(0) lgkmcnt(0)
	v_mul_f64 v[10:11], v[8:9], v[4:5]
	v_mul_f64 v[12:13], v[6:7], v[4:5]
	v_fma_f64 v[4:5], v[6:7], v[2:3], -v[10:11]
	v_fmac_f64_e32 v[12:13], v[8:9], v[2:3]
	v_add_f64 v[4:5], v[4:5], 0
	v_add_f64 v[2:3], v[12:13], 0
	s_and_saveexec_b64 s[12:13], s[0:1]
	s_cbranch_execz .LBB104_22
; %bb.21:
	scratch_load_dwordx4 v[6:9], off, off offset:32
	v_mov_b32_e32 v0, 0
	ds_read_b128 v[10:13], v0 offset:672
	s_waitcnt vmcnt(0) lgkmcnt(0)
	v_mul_f64 v[16:17], v[10:11], v[8:9]
	v_mul_f64 v[8:9], v[12:13], v[8:9]
	v_fmac_f64_e32 v[16:17], v[12:13], v[6:7]
	v_fma_f64 v[6:7], v[10:11], v[6:7], -v[8:9]
	v_add_f64 v[2:3], v[2:3], v[16:17]
	v_add_f64 v[4:5], v[4:5], v[6:7]
.LBB104_22:
	s_or_b64 exec, exec, s[12:13]
	v_mov_b32_e32 v0, 0
	ds_read_b128 v[6:9], v0 offset:32
	s_waitcnt lgkmcnt(0)
	v_mul_f64 v[12:13], v[2:3], v[8:9]
	v_mul_f64 v[10:11], v[4:5], v[8:9]
	v_fma_f64 v[8:9], v[4:5], v[6:7], -v[12:13]
	v_fmac_f64_e32 v[10:11], v[2:3], v[6:7]
	scratch_store_dwordx4 off, v[8:11], off offset:48
.LBB104_23:
	s_or_b64 exec, exec, s[4:5]
	; wave barrier
	scratch_load_dwordx4 v[2:5], off, s54
	v_cmp_gt_u32_e32 vcc, 3, v240
	v_add_u32_e32 v6, -1, v240
	s_waitcnt vmcnt(0)
	ds_write_b128 v1, v[2:5]
	s_waitcnt lgkmcnt(0)
	; wave barrier
	s_and_saveexec_b64 s[0:1], vcc
	s_cbranch_execz .LBB104_27
; %bb.24:
	v_add_u32_e32 v7, -1, v240
	v_add_u32_e32 v8, 0x290, v14
	v_add_u32_e32 v9, 16, v14
	v_mov_b64_e32 v[2:3], 0
	s_mov_b64 s[4:5], 0
	v_mov_b64_e32 v[4:5], 0
.LBB104_25:                             ; =>This Inner Loop Header: Depth=1
	scratch_load_dwordx4 v[10:13], v9, off
	ds_read_b128 v[16:19], v8
	v_add_u32_e32 v7, 1, v7
	v_cmp_lt_u32_e32 vcc, 1, v7
	v_add_u32_e32 v8, 16, v8
	v_add_u32_e32 v9, 16, v9
	s_or_b64 s[4:5], vcc, s[4:5]
	s_waitcnt vmcnt(0) lgkmcnt(0)
	v_mul_f64 v[20:21], v[18:19], v[12:13]
	v_mul_f64 v[12:13], v[16:17], v[12:13]
	v_fma_f64 v[16:17], v[16:17], v[10:11], -v[20:21]
	v_fmac_f64_e32 v[12:13], v[18:19], v[10:11]
	v_add_f64 v[4:5], v[4:5], v[16:17]
	v_add_f64 v[2:3], v[2:3], v[12:13]
	s_andn2_b64 exec, exec, s[4:5]
	s_cbranch_execnz .LBB104_25
; %bb.26:
	s_or_b64 exec, exec, s[4:5]
	v_mov_b32_e32 v0, 0
	ds_read_b128 v[8:11], v0 offset:48
	s_waitcnt lgkmcnt(0)
	v_mul_f64 v[16:17], v[2:3], v[10:11]
	v_mul_f64 v[12:13], v[4:5], v[10:11]
	v_fma_f64 v[10:11], v[4:5], v[8:9], -v[16:17]
	v_fmac_f64_e32 v[12:13], v[2:3], v[8:9]
	scratch_store_dwordx4 off, v[10:13], off offset:64
.LBB104_27:
	s_or_b64 exec, exec, s[0:1]
	; wave barrier
	scratch_load_dwordx4 v[2:5], off, s53
	v_cmp_gt_u32_e32 vcc, 4, v240
	s_waitcnt vmcnt(0)
	ds_write_b128 v1, v[2:5]
	s_waitcnt lgkmcnt(0)
	; wave barrier
	s_and_saveexec_b64 s[0:1], vcc
	s_cbranch_execz .LBB104_31
; %bb.28:
	v_add_u32_e32 v7, -1, v240
	v_add_u32_e32 v8, 0x290, v14
	v_add_u32_e32 v9, 16, v14
	v_mov_b64_e32 v[2:3], 0
	s_mov_b64 s[4:5], 0
	v_mov_b64_e32 v[4:5], 0
.LBB104_29:                             ; =>This Inner Loop Header: Depth=1
	scratch_load_dwordx4 v[10:13], v9, off
	ds_read_b128 v[16:19], v8
	v_add_u32_e32 v7, 1, v7
	v_cmp_lt_u32_e32 vcc, 2, v7
	v_add_u32_e32 v8, 16, v8
	v_add_u32_e32 v9, 16, v9
	s_or_b64 s[4:5], vcc, s[4:5]
	s_waitcnt vmcnt(0) lgkmcnt(0)
	v_mul_f64 v[20:21], v[18:19], v[12:13]
	v_mul_f64 v[12:13], v[16:17], v[12:13]
	v_fma_f64 v[16:17], v[16:17], v[10:11], -v[20:21]
	v_fmac_f64_e32 v[12:13], v[18:19], v[10:11]
	v_add_f64 v[4:5], v[4:5], v[16:17]
	v_add_f64 v[2:3], v[2:3], v[12:13]
	s_andn2_b64 exec, exec, s[4:5]
	s_cbranch_execnz .LBB104_29
; %bb.30:
	s_or_b64 exec, exec, s[4:5]
	v_mov_b32_e32 v0, 0
	ds_read_b128 v[8:11], v0 offset:64
	s_waitcnt lgkmcnt(0)
	v_mul_f64 v[16:17], v[2:3], v[10:11]
	v_mul_f64 v[12:13], v[4:5], v[10:11]
	v_fma_f64 v[10:11], v[4:5], v[8:9], -v[16:17]
	v_fmac_f64_e32 v[12:13], v[2:3], v[8:9]
	scratch_store_dwordx4 off, v[10:13], off offset:80
.LBB104_31:
	s_or_b64 exec, exec, s[0:1]
	; wave barrier
	scratch_load_dwordx4 v[2:5], off, s52
	v_cmp_gt_u32_e32 vcc, 5, v240
	;; [unrolled: 45-line block ×19, first 2 shown]
	s_waitcnt vmcnt(0)
	ds_write_b128 v1, v[2:5]
	s_waitcnt lgkmcnt(0)
	; wave barrier
	s_and_saveexec_b64 s[0:1], vcc
	s_cbranch_execz .LBB104_103
; %bb.100:
	v_add_u32_e32 v7, -1, v240
	v_add_u32_e32 v8, 0x290, v14
	v_add_u32_e32 v9, 16, v14
	v_mov_b64_e32 v[2:3], 0
	s_mov_b64 s[4:5], 0
	v_mov_b64_e32 v[4:5], 0
.LBB104_101:                            ; =>This Inner Loop Header: Depth=1
	scratch_load_dwordx4 v[10:13], v9, off
	ds_read_b128 v[16:19], v8
	v_add_u32_e32 v7, 1, v7
	v_cmp_lt_u32_e32 vcc, 20, v7
	v_add_u32_e32 v8, 16, v8
	v_add_u32_e32 v9, 16, v9
	s_or_b64 s[4:5], vcc, s[4:5]
	s_waitcnt vmcnt(0) lgkmcnt(0)
	v_mul_f64 v[20:21], v[18:19], v[12:13]
	v_mul_f64 v[12:13], v[16:17], v[12:13]
	v_fma_f64 v[16:17], v[16:17], v[10:11], -v[20:21]
	v_fmac_f64_e32 v[12:13], v[18:19], v[10:11]
	v_add_f64 v[4:5], v[4:5], v[16:17]
	v_add_f64 v[2:3], v[2:3], v[12:13]
	s_andn2_b64 exec, exec, s[4:5]
	s_cbranch_execnz .LBB104_101
; %bb.102:
	s_or_b64 exec, exec, s[4:5]
	v_mov_b32_e32 v0, 0
	ds_read_b128 v[8:11], v0 offset:352
	s_waitcnt lgkmcnt(0)
	v_mul_f64 v[16:17], v[2:3], v[10:11]
	v_mul_f64 v[12:13], v[4:5], v[10:11]
	v_fma_f64 v[10:11], v[4:5], v[8:9], -v[16:17]
	v_fmac_f64_e32 v[12:13], v[2:3], v[8:9]
	scratch_store_dwordx4 off, v[10:13], off offset:368
.LBB104_103:
	s_or_b64 exec, exec, s[0:1]
	; wave barrier
	scratch_load_dwordx4 v[2:5], off, s34
	v_cmp_gt_u32_e32 vcc, 23, v240
	s_waitcnt vmcnt(0)
	ds_write_b128 v1, v[2:5]
	s_waitcnt lgkmcnt(0)
	; wave barrier
	s_and_saveexec_b64 s[0:1], vcc
	s_cbranch_execz .LBB104_107
; %bb.104:
	v_add_u32_e32 v7, -1, v240
	v_add_u32_e32 v8, 0x290, v14
	v_add_u32_e32 v9, 16, v14
	v_mov_b64_e32 v[2:3], 0
	s_mov_b64 s[4:5], 0
	v_mov_b64_e32 v[4:5], 0
.LBB104_105:                            ; =>This Inner Loop Header: Depth=1
	scratch_load_dwordx4 v[10:13], v9, off
	ds_read_b128 v[16:19], v8
	v_add_u32_e32 v7, 1, v7
	v_cmp_lt_u32_e32 vcc, 21, v7
	v_add_u32_e32 v8, 16, v8
	v_add_u32_e32 v9, 16, v9
	s_or_b64 s[4:5], vcc, s[4:5]
	s_waitcnt vmcnt(0) lgkmcnt(0)
	v_mul_f64 v[20:21], v[18:19], v[12:13]
	v_mul_f64 v[12:13], v[16:17], v[12:13]
	v_fma_f64 v[16:17], v[16:17], v[10:11], -v[20:21]
	v_fmac_f64_e32 v[12:13], v[18:19], v[10:11]
	v_add_f64 v[4:5], v[4:5], v[16:17]
	v_add_f64 v[2:3], v[2:3], v[12:13]
	s_andn2_b64 exec, exec, s[4:5]
	s_cbranch_execnz .LBB104_105
; %bb.106:
	s_or_b64 exec, exec, s[4:5]
	v_mov_b32_e32 v0, 0
	ds_read_b128 v[8:11], v0 offset:368
	s_waitcnt lgkmcnt(0)
	v_mul_f64 v[16:17], v[2:3], v[10:11]
	v_mul_f64 v[12:13], v[4:5], v[10:11]
	v_fma_f64 v[10:11], v[4:5], v[8:9], -v[16:17]
	v_fmac_f64_e32 v[12:13], v[2:3], v[8:9]
	scratch_store_dwordx4 off, v[10:13], off offset:384
.LBB104_107:
	s_or_b64 exec, exec, s[0:1]
	; wave barrier
	scratch_load_dwordx4 v[2:5], off, s33
	v_cmp_gt_u32_e32 vcc, 24, v240
	;; [unrolled: 45-line block ×17, first 2 shown]
	s_waitcnt vmcnt(0)
	ds_write_b128 v1, v[2:5]
	s_waitcnt lgkmcnt(0)
	; wave barrier
	s_and_saveexec_b64 s[0:1], vcc
	s_cbranch_execz .LBB104_171
; %bb.168:
	v_add_u32_e32 v7, -1, v240
	v_add_u32_e32 v8, 0x290, v14
	v_add_u32_e32 v9, 16, v14
	v_mov_b64_e32 v[2:3], 0
	s_mov_b64 s[4:5], 0
	v_mov_b64_e32 v[4:5], 0
.LBB104_169:                            ; =>This Inner Loop Header: Depth=1
	scratch_load_dwordx4 v[10:13], v9, off
	ds_read_b128 v[16:19], v8
	v_add_u32_e32 v7, 1, v7
	v_cmp_lt_u32_e32 vcc, 37, v7
	v_add_u32_e32 v8, 16, v8
	v_add_u32_e32 v9, 16, v9
	s_or_b64 s[4:5], vcc, s[4:5]
	s_waitcnt vmcnt(0) lgkmcnt(0)
	v_mul_f64 v[20:21], v[18:19], v[12:13]
	v_mul_f64 v[12:13], v[16:17], v[12:13]
	v_fma_f64 v[16:17], v[16:17], v[10:11], -v[20:21]
	v_fmac_f64_e32 v[12:13], v[18:19], v[10:11]
	v_add_f64 v[4:5], v[4:5], v[16:17]
	v_add_f64 v[2:3], v[2:3], v[12:13]
	s_andn2_b64 exec, exec, s[4:5]
	s_cbranch_execnz .LBB104_169
; %bb.170:
	s_or_b64 exec, exec, s[4:5]
	v_mov_b32_e32 v0, 0
	ds_read_b128 v[8:11], v0 offset:624
	s_waitcnt lgkmcnt(0)
	v_mul_f64 v[16:17], v[2:3], v[10:11]
	v_mul_f64 v[12:13], v[4:5], v[10:11]
	v_fma_f64 v[10:11], v[4:5], v[8:9], -v[16:17]
	v_fmac_f64_e32 v[12:13], v[2:3], v[8:9]
	scratch_store_dwordx4 off, v[10:13], off offset:640
.LBB104_171:
	s_or_b64 exec, exec, s[0:1]
	; wave barrier
	scratch_load_dwordx4 v[2:5], off, s16
	v_cmp_ne_u32_e32 vcc, 40, v240
	s_waitcnt vmcnt(0)
	ds_write_b128 v1, v[2:5]
	s_waitcnt lgkmcnt(0)
	; wave barrier
	s_and_saveexec_b64 s[0:1], vcc
	s_cbranch_execz .LBB104_175
; %bb.172:
	v_add_u32_e32 v1, 0x290, v14
	v_add_u32_e32 v7, 16, v14
	v_mov_b64_e32 v[2:3], 0
	s_mov_b64 s[4:5], 0
	v_mov_b64_e32 v[4:5], 0
.LBB104_173:                            ; =>This Inner Loop Header: Depth=1
	scratch_load_dwordx4 v[8:11], v7, off
	ds_read_b128 v[12:15], v1
	v_add_u32_e32 v6, 1, v6
	v_cmp_lt_u32_e32 vcc, 38, v6
	v_add_u32_e32 v1, 16, v1
	v_add_u32_e32 v7, 16, v7
	s_or_b64 s[4:5], vcc, s[4:5]
	s_waitcnt vmcnt(0) lgkmcnt(0)
	v_mul_f64 v[16:17], v[14:15], v[10:11]
	v_mul_f64 v[10:11], v[12:13], v[10:11]
	v_fma_f64 v[12:13], v[12:13], v[8:9], -v[16:17]
	v_fmac_f64_e32 v[10:11], v[14:15], v[8:9]
	v_add_f64 v[4:5], v[4:5], v[12:13]
	v_add_f64 v[2:3], v[2:3], v[10:11]
	s_andn2_b64 exec, exec, s[4:5]
	s_cbranch_execnz .LBB104_173
; %bb.174:
	s_or_b64 exec, exec, s[4:5]
	v_mov_b32_e32 v0, 0
	ds_read_b128 v[6:9], v0 offset:640
	s_waitcnt lgkmcnt(0)
	v_mul_f64 v[12:13], v[2:3], v[8:9]
	v_mul_f64 v[10:11], v[4:5], v[8:9]
	v_fma_f64 v[8:9], v[4:5], v[6:7], -v[12:13]
	v_fmac_f64_e32 v[10:11], v[2:3], v[6:7]
	scratch_store_dwordx4 off, v[8:11], off offset:656
.LBB104_175:
	s_or_b64 exec, exec, s[0:1]
	s_mov_b64 s[4:5], -1
	; wave barrier
.LBB104_176:
	s_and_b64 vcc, exec, s[4:5]
	s_cbranch_vccz .LBB104_178
; %bb.177:
	s_lshl_b64 s[0:1], s[2:3], 2
	s_add_u32 s0, s6, s0
	s_addc_u32 s1, s7, s1
	v_mov_b32_e32 v0, 0
	global_load_dword v0, v0, s[0:1]
	s_waitcnt vmcnt(0)
	v_cmp_ne_u32_e32 vcc, 0, v0
	s_cbranch_vccz .LBB104_179
.LBB104_178:
	s_endpgm
.LBB104_179:
	v_mov_b32_e32 v0, 0x290
	v_lshl_add_u32 v0, v240, 4, v0
	v_accvgpr_write_b32 a83, v0
	v_cmp_eq_u32_e32 vcc, 40, v240
	s_and_saveexec_b64 s[0:1], vcc
	s_cbranch_execz .LBB104_181
; %bb.180:
	scratch_load_dwordx4 v[2:5], off, s17
	v_mov_b32_e32 v6, 0
	v_mov_b32_e32 v7, v6
	;; [unrolled: 1-line block ×4, first 2 shown]
	v_accvgpr_read_b32 v0, a83
	scratch_store_dwordx4 off, v[6:9], off offset:640
	s_waitcnt vmcnt(1)
	ds_write_b128 v0, v[2:5]
.LBB104_181:
	s_or_b64 exec, exec, s[0:1]
	s_waitcnt lgkmcnt(0)
	; wave barrier
	scratch_load_dwordx4 v[4:7], off, off offset:656
	scratch_load_dwordx4 v[8:11], off, off offset:640
	v_mov_b32_e32 v2, 0
	ds_read_b128 v[12:15], v2 offset:1296
	v_cmp_lt_u32_e32 vcc, 38, v240
	s_waitcnt vmcnt(1) lgkmcnt(0)
	v_mul_f64 v[16:17], v[12:13], v[6:7]
	v_mul_f64 v[6:7], v[14:15], v[6:7]
	v_fmac_f64_e32 v[16:17], v[14:15], v[4:5]
	v_fma_f64 v[4:5], v[12:13], v[4:5], -v[6:7]
	v_add_f64 v[6:7], v[16:17], 0
	v_add_f64 v[4:5], v[4:5], 0
	s_waitcnt vmcnt(0)
	v_add_f64 v[4:5], v[8:9], -v[4:5]
	v_add_f64 v[6:7], v[10:11], -v[6:7]
	scratch_store_dwordx4 off, v[4:7], off offset:640
	s_and_saveexec_b64 s[0:1], vcc
	s_cbranch_execz .LBB104_183
; %bb.182:
	scratch_load_dwordx4 v[6:9], off, s18
	v_mov_b32_e32 v3, v2
	v_mov_b32_e32 v4, v2
	;; [unrolled: 1-line block ×3, first 2 shown]
	v_accvgpr_read_b32 v0, a83
	scratch_store_dwordx4 off, v[2:5], off offset:624
	s_waitcnt vmcnt(1)
	ds_write_b128 v0, v[6:9]
.LBB104_183:
	s_or_b64 exec, exec, s[0:1]
	s_waitcnt lgkmcnt(0)
	; wave barrier
	scratch_load_dwordx4 v[4:7], off, off offset:640
	scratch_load_dwordx4 v[8:11], off, off offset:656
	;; [unrolled: 1-line block ×3, first 2 shown]
	ds_read_b128 v[16:19], v2 offset:1280
	ds_read_b128 v[20:23], v2 offset:1296
	v_cmp_lt_u32_e32 vcc, 37, v240
	s_waitcnt vmcnt(2) lgkmcnt(1)
	v_mul_f64 v[2:3], v[16:17], v[6:7]
	v_mul_f64 v[6:7], v[18:19], v[6:7]
	s_waitcnt vmcnt(1) lgkmcnt(0)
	v_mul_f64 v[24:25], v[20:21], v[10:11]
	v_mul_f64 v[10:11], v[22:23], v[10:11]
	v_fmac_f64_e32 v[2:3], v[18:19], v[4:5]
	v_fma_f64 v[4:5], v[16:17], v[4:5], -v[6:7]
	v_fmac_f64_e32 v[24:25], v[22:23], v[8:9]
	v_fma_f64 v[6:7], v[20:21], v[8:9], -v[10:11]
	v_add_f64 v[2:3], v[2:3], 0
	v_add_f64 v[4:5], v[4:5], 0
	;; [unrolled: 1-line block ×4, first 2 shown]
	s_waitcnt vmcnt(0)
	v_add_f64 v[2:3], v[12:13], -v[2:3]
	v_add_f64 v[4:5], v[14:15], -v[8:9]
	scratch_store_dwordx4 off, v[2:5], off offset:624
	s_and_saveexec_b64 s[0:1], vcc
	s_cbranch_execz .LBB104_185
; %bb.184:
	scratch_load_dwordx4 v[2:5], off, s19
	v_mov_b32_e32 v6, 0
	v_mov_b32_e32 v7, v6
	;; [unrolled: 1-line block ×4, first 2 shown]
	v_accvgpr_read_b32 v0, a83
	scratch_store_dwordx4 off, v[6:9], off offset:608
	s_waitcnt vmcnt(1)
	ds_write_b128 v0, v[2:5]
.LBB104_185:
	s_or_b64 exec, exec, s[0:1]
	s_waitcnt lgkmcnt(0)
	; wave barrier
	scratch_load_dwordx4 v[4:7], off, off offset:624
	scratch_load_dwordx4 v[8:11], off, off offset:640
	;; [unrolled: 1-line block ×4, first 2 shown]
	v_mov_b32_e32 v2, 0
	ds_read_b128 v[20:23], v2 offset:1264
	ds_read_b128 v[24:27], v2 offset:1280
	;; [unrolled: 1-line block ×3, first 2 shown]
	v_cmp_lt_u32_e32 vcc, 36, v240
	s_waitcnt vmcnt(3) lgkmcnt(2)
	v_mul_f64 v[32:33], v[20:21], v[6:7]
	v_mul_f64 v[6:7], v[22:23], v[6:7]
	s_waitcnt vmcnt(2) lgkmcnt(1)
	v_mul_f64 v[34:35], v[24:25], v[10:11]
	v_mul_f64 v[10:11], v[26:27], v[10:11]
	v_fmac_f64_e32 v[32:33], v[22:23], v[4:5]
	v_fma_f64 v[4:5], v[20:21], v[4:5], -v[6:7]
	s_waitcnt vmcnt(1) lgkmcnt(0)
	v_mul_f64 v[36:37], v[28:29], v[14:15]
	v_mul_f64 v[14:15], v[30:31], v[14:15]
	v_fmac_f64_e32 v[34:35], v[26:27], v[8:9]
	v_fma_f64 v[6:7], v[24:25], v[8:9], -v[10:11]
	v_add_f64 v[10:11], v[32:33], 0
	v_add_f64 v[4:5], v[4:5], 0
	v_fmac_f64_e32 v[36:37], v[30:31], v[12:13]
	v_fma_f64 v[8:9], v[28:29], v[12:13], -v[14:15]
	v_add_f64 v[10:11], v[10:11], v[34:35]
	v_add_f64 v[4:5], v[4:5], v[6:7]
	v_add_f64 v[6:7], v[10:11], v[36:37]
	v_add_f64 v[4:5], v[4:5], v[8:9]
	s_waitcnt vmcnt(0)
	v_add_f64 v[4:5], v[16:17], -v[4:5]
	v_add_f64 v[6:7], v[18:19], -v[6:7]
	scratch_store_dwordx4 off, v[4:7], off offset:608
	s_and_saveexec_b64 s[0:1], vcc
	s_cbranch_execz .LBB104_187
; %bb.186:
	scratch_load_dwordx4 v[6:9], off, s20
	v_mov_b32_e32 v3, v2
	v_mov_b32_e32 v4, v2
	;; [unrolled: 1-line block ×3, first 2 shown]
	v_accvgpr_read_b32 v0, a83
	scratch_store_dwordx4 off, v[2:5], off offset:592
	s_waitcnt vmcnt(1)
	ds_write_b128 v0, v[6:9]
.LBB104_187:
	s_or_b64 exec, exec, s[0:1]
	s_waitcnt lgkmcnt(0)
	; wave barrier
	ds_read_b128 v[4:7], v2 offset:1248
	ds_read_b128 v[8:11], v2 offset:1264
	;; [unrolled: 1-line block ×4, first 2 shown]
	scratch_load_dwordx4 v[20:23], off, off offset:608
	scratch_load_dwordx4 v[24:27], off, off offset:624
	v_cmp_lt_u32_e32 vcc, 35, v240
	s_waitcnt vmcnt(1) lgkmcnt(3)
	v_mul_f64 v[2:3], v[4:5], v[22:23]
	v_fmac_f64_e32 v[2:3], v[6:7], v[20:21]
	s_waitcnt vmcnt(0) lgkmcnt(2)
	v_mul_f64 v[28:29], v[8:9], v[26:27]
	v_add_f64 v[2:3], v[2:3], 0
	v_fmac_f64_e32 v[28:29], v[10:11], v[24:25]
	v_add_f64 v[2:3], v[2:3], v[28:29]
	scratch_load_dwordx4 v[28:31], off, off offset:640
	s_waitcnt vmcnt(0) lgkmcnt(1)
	v_mul_f64 v[32:33], v[12:13], v[30:31]
	v_fmac_f64_e32 v[32:33], v[14:15], v[28:29]
	v_add_f64 v[2:3], v[2:3], v[32:33]
	scratch_load_dwordx4 v[32:35], off, off offset:656
	s_waitcnt vmcnt(0) lgkmcnt(0)
	v_mul_f64 v[36:37], v[16:17], v[34:35]
	v_fmac_f64_e32 v[36:37], v[18:19], v[32:33]
	v_add_f64 v[36:37], v[2:3], v[36:37]
	v_mul_f64 v[2:3], v[6:7], v[22:23]
	v_fma_f64 v[2:3], v[4:5], v[20:21], -v[2:3]
	v_mul_f64 v[4:5], v[10:11], v[26:27]
	v_add_f64 v[2:3], v[2:3], 0
	v_fma_f64 v[4:5], v[8:9], v[24:25], -v[4:5]
	v_add_f64 v[2:3], v[2:3], v[4:5]
	v_mul_f64 v[4:5], v[14:15], v[30:31]
	v_fma_f64 v[4:5], v[12:13], v[28:29], -v[4:5]
	v_add_f64 v[2:3], v[2:3], v[4:5]
	v_mul_f64 v[4:5], v[18:19], v[34:35]
	v_fma_f64 v[4:5], v[16:17], v[32:33], -v[4:5]
	v_add_f64 v[6:7], v[2:3], v[4:5]
	scratch_load_dwordx4 v[2:5], off, off offset:592
	s_waitcnt vmcnt(0)
	v_add_f64 v[2:3], v[2:3], -v[6:7]
	v_add_f64 v[4:5], v[4:5], -v[36:37]
	scratch_store_dwordx4 off, v[2:5], off offset:592
	s_and_saveexec_b64 s[0:1], vcc
	s_cbranch_execz .LBB104_189
; %bb.188:
	scratch_load_dwordx4 v[2:5], off, s21
	v_mov_b32_e32 v6, 0
	v_mov_b32_e32 v7, v6
	;; [unrolled: 1-line block ×4, first 2 shown]
	v_accvgpr_read_b32 v0, a83
	scratch_store_dwordx4 off, v[6:9], off offset:576
	s_waitcnt vmcnt(1)
	ds_write_b128 v0, v[2:5]
.LBB104_189:
	s_or_b64 exec, exec, s[0:1]
	s_waitcnt lgkmcnt(0)
	; wave barrier
	scratch_load_dwordx4 v[4:7], off, off offset:592
	scratch_load_dwordx4 v[8:11], off, off offset:608
	;; [unrolled: 1-line block ×6, first 2 shown]
	v_mov_b32_e32 v2, 0
	ds_read_b128 v[28:31], v2 offset:1232
	ds_read_b128 v[32:35], v2 offset:1248
	;; [unrolled: 1-line block ×5, first 2 shown]
	v_cmp_lt_u32_e32 vcc, 34, v240
	s_waitcnt vmcnt(5) lgkmcnt(4)
	v_mul_f64 v[48:49], v[28:29], v[6:7]
	v_mul_f64 v[6:7], v[30:31], v[6:7]
	s_waitcnt vmcnt(4) lgkmcnt(3)
	v_mul_f64 v[50:51], v[32:33], v[10:11]
	s_waitcnt vmcnt(3) lgkmcnt(2)
	v_mul_f64 v[52:53], v[36:37], v[14:15]
	v_mul_f64 v[10:11], v[34:35], v[10:11]
	;; [unrolled: 1-line block ×3, first 2 shown]
	v_fmac_f64_e32 v[48:49], v[30:31], v[4:5]
	v_fma_f64 v[4:5], v[28:29], v[4:5], -v[6:7]
	v_fmac_f64_e32 v[50:51], v[34:35], v[8:9]
	v_fma_f64 v[6:7], v[32:33], v[8:9], -v[10:11]
	v_fma_f64 v[8:9], v[36:37], v[12:13], -v[14:15]
	v_add_f64 v[14:15], v[48:49], 0
	v_add_f64 v[4:5], v[4:5], 0
	s_waitcnt vmcnt(2) lgkmcnt(1)
	v_mul_f64 v[54:55], v[40:41], v[18:19]
	v_mul_f64 v[18:19], v[42:43], v[18:19]
	v_fmac_f64_e32 v[52:53], v[38:39], v[12:13]
	v_add_f64 v[14:15], v[14:15], v[50:51]
	v_add_f64 v[4:5], v[4:5], v[6:7]
	s_waitcnt vmcnt(1) lgkmcnt(0)
	v_mul_f64 v[56:57], v[44:45], v[22:23]
	v_mul_f64 v[22:23], v[46:47], v[22:23]
	v_fmac_f64_e32 v[54:55], v[42:43], v[16:17]
	v_fma_f64 v[10:11], v[40:41], v[16:17], -v[18:19]
	v_add_f64 v[6:7], v[14:15], v[52:53]
	v_add_f64 v[4:5], v[4:5], v[8:9]
	v_fmac_f64_e32 v[56:57], v[46:47], v[20:21]
	v_fma_f64 v[12:13], v[44:45], v[20:21], -v[22:23]
	v_add_f64 v[6:7], v[6:7], v[54:55]
	v_add_f64 v[4:5], v[4:5], v[10:11]
	;; [unrolled: 1-line block ×4, first 2 shown]
	s_waitcnt vmcnt(0)
	v_add_f64 v[4:5], v[24:25], -v[4:5]
	v_add_f64 v[6:7], v[26:27], -v[6:7]
	scratch_store_dwordx4 off, v[4:7], off offset:576
	s_and_saveexec_b64 s[0:1], vcc
	s_cbranch_execz .LBB104_191
; %bb.190:
	scratch_load_dwordx4 v[6:9], off, s22
	v_mov_b32_e32 v3, v2
	v_mov_b32_e32 v4, v2
	;; [unrolled: 1-line block ×3, first 2 shown]
	v_accvgpr_read_b32 v0, a83
	scratch_store_dwordx4 off, v[2:5], off offset:560
	s_waitcnt vmcnt(1)
	ds_write_b128 v0, v[6:9]
.LBB104_191:
	s_or_b64 exec, exec, s[0:1]
	s_waitcnt lgkmcnt(0)
	; wave barrier
	scratch_load_dwordx4 v[4:7], off, off offset:576
	scratch_load_dwordx4 v[8:11], off, off offset:592
	;; [unrolled: 1-line block ×7, first 2 shown]
	ds_read_b128 v[32:35], v2 offset:1216
	ds_read_b128 v[36:39], v2 offset:1232
	;; [unrolled: 1-line block ×6, first 2 shown]
	v_cmp_lt_u32_e32 vcc, 33, v240
	s_waitcnt vmcnt(6) lgkmcnt(5)
	v_mul_f64 v[2:3], v[32:33], v[6:7]
	v_mul_f64 v[6:7], v[34:35], v[6:7]
	s_waitcnt vmcnt(5) lgkmcnt(4)
	v_mul_f64 v[56:57], v[36:37], v[10:11]
	v_mul_f64 v[10:11], v[38:39], v[10:11]
	v_fmac_f64_e32 v[2:3], v[34:35], v[4:5]
	v_fma_f64 v[4:5], v[32:33], v[4:5], -v[6:7]
	s_waitcnt vmcnt(4) lgkmcnt(3)
	v_mul_f64 v[58:59], v[40:41], v[14:15]
	v_mul_f64 v[14:15], v[42:43], v[14:15]
	v_fmac_f64_e32 v[56:57], v[38:39], v[8:9]
	v_fma_f64 v[6:7], v[36:37], v[8:9], -v[10:11]
	v_add_f64 v[2:3], v[2:3], 0
	v_add_f64 v[4:5], v[4:5], 0
	s_waitcnt vmcnt(3) lgkmcnt(2)
	v_mul_f64 v[60:61], v[44:45], v[18:19]
	v_mul_f64 v[18:19], v[46:47], v[18:19]
	v_fmac_f64_e32 v[58:59], v[42:43], v[12:13]
	v_fma_f64 v[8:9], v[40:41], v[12:13], -v[14:15]
	v_add_f64 v[2:3], v[2:3], v[56:57]
	v_add_f64 v[4:5], v[4:5], v[6:7]
	s_waitcnt vmcnt(2) lgkmcnt(1)
	v_mul_f64 v[62:63], v[48:49], v[22:23]
	v_mul_f64 v[22:23], v[50:51], v[22:23]
	v_fmac_f64_e32 v[60:61], v[46:47], v[16:17]
	v_fma_f64 v[10:11], v[44:45], v[16:17], -v[18:19]
	v_add_f64 v[2:3], v[2:3], v[58:59]
	v_add_f64 v[4:5], v[4:5], v[8:9]
	s_waitcnt vmcnt(1) lgkmcnt(0)
	v_mul_f64 v[64:65], v[52:53], v[26:27]
	v_mul_f64 v[26:27], v[54:55], v[26:27]
	v_fmac_f64_e32 v[62:63], v[50:51], v[20:21]
	v_fma_f64 v[12:13], v[48:49], v[20:21], -v[22:23]
	v_add_f64 v[2:3], v[2:3], v[60:61]
	v_add_f64 v[4:5], v[4:5], v[10:11]
	v_fmac_f64_e32 v[64:65], v[54:55], v[24:25]
	v_fma_f64 v[14:15], v[52:53], v[24:25], -v[26:27]
	v_add_f64 v[2:3], v[2:3], v[62:63]
	v_add_f64 v[4:5], v[4:5], v[12:13]
	;; [unrolled: 1-line block ×4, first 2 shown]
	s_waitcnt vmcnt(0)
	v_add_f64 v[2:3], v[28:29], -v[2:3]
	v_add_f64 v[4:5], v[30:31], -v[6:7]
	scratch_store_dwordx4 off, v[2:5], off offset:560
	s_and_saveexec_b64 s[0:1], vcc
	s_cbranch_execz .LBB104_193
; %bb.192:
	scratch_load_dwordx4 v[2:5], off, s23
	v_mov_b32_e32 v6, 0
	v_mov_b32_e32 v7, v6
	;; [unrolled: 1-line block ×4, first 2 shown]
	v_accvgpr_read_b32 v0, a83
	scratch_store_dwordx4 off, v[6:9], off offset:544
	s_waitcnt vmcnt(1)
	ds_write_b128 v0, v[2:5]
.LBB104_193:
	s_or_b64 exec, exec, s[0:1]
	s_waitcnt lgkmcnt(0)
	; wave barrier
	scratch_load_dwordx4 v[4:7], off, off offset:560
	scratch_load_dwordx4 v[8:11], off, off offset:576
	;; [unrolled: 1-line block ×8, first 2 shown]
	v_mov_b32_e32 v2, 0
	ds_read_b128 v[36:39], v2 offset:1200
	ds_read_b128 v[40:43], v2 offset:1216
	;; [unrolled: 1-line block ×7, first 2 shown]
	v_cmp_lt_u32_e32 vcc, 32, v240
	s_waitcnt vmcnt(7) lgkmcnt(6)
	v_mul_f64 v[64:65], v[36:37], v[6:7]
	v_mul_f64 v[6:7], v[38:39], v[6:7]
	s_waitcnt vmcnt(6) lgkmcnt(5)
	v_mul_f64 v[66:67], v[40:41], v[10:11]
	s_waitcnt vmcnt(4) lgkmcnt(3)
	v_mul_f64 v[70:71], v[48:49], v[18:19]
	v_mul_f64 v[10:11], v[42:43], v[10:11]
	;; [unrolled: 1-line block ×3, first 2 shown]
	v_fmac_f64_e32 v[64:65], v[38:39], v[4:5]
	v_fma_f64 v[4:5], v[36:37], v[4:5], -v[6:7]
	v_mul_f64 v[68:69], v[44:45], v[14:15]
	v_mul_f64 v[14:15], v[46:47], v[14:15]
	v_fmac_f64_e32 v[66:67], v[42:43], v[8:9]
	v_fma_f64 v[6:7], v[40:41], v[8:9], -v[10:11]
	v_fma_f64 v[10:11], v[48:49], v[16:17], -v[18:19]
	v_add_f64 v[18:19], v[64:65], 0
	v_add_f64 v[4:5], v[4:5], 0
	v_fmac_f64_e32 v[68:69], v[46:47], v[12:13]
	v_fma_f64 v[8:9], v[44:45], v[12:13], -v[14:15]
	v_add_f64 v[18:19], v[18:19], v[66:67]
	v_add_f64 v[4:5], v[4:5], v[6:7]
	s_waitcnt vmcnt(3) lgkmcnt(2)
	v_mul_f64 v[72:73], v[52:53], v[22:23]
	v_mul_f64 v[22:23], v[54:55], v[22:23]
	v_fmac_f64_e32 v[70:71], v[50:51], v[16:17]
	v_add_f64 v[6:7], v[18:19], v[68:69]
	v_add_f64 v[4:5], v[4:5], v[8:9]
	s_waitcnt vmcnt(2) lgkmcnt(1)
	v_mul_f64 v[74:75], v[56:57], v[26:27]
	v_mul_f64 v[26:27], v[58:59], v[26:27]
	v_fmac_f64_e32 v[72:73], v[54:55], v[20:21]
	v_fma_f64 v[12:13], v[52:53], v[20:21], -v[22:23]
	v_add_f64 v[6:7], v[6:7], v[70:71]
	v_add_f64 v[4:5], v[4:5], v[10:11]
	s_waitcnt vmcnt(1) lgkmcnt(0)
	v_mul_f64 v[76:77], v[60:61], v[30:31]
	v_mul_f64 v[30:31], v[62:63], v[30:31]
	v_fmac_f64_e32 v[74:75], v[58:59], v[24:25]
	v_fma_f64 v[14:15], v[56:57], v[24:25], -v[26:27]
	v_add_f64 v[6:7], v[6:7], v[72:73]
	v_add_f64 v[4:5], v[4:5], v[12:13]
	v_fmac_f64_e32 v[76:77], v[62:63], v[28:29]
	v_fma_f64 v[16:17], v[60:61], v[28:29], -v[30:31]
	v_add_f64 v[6:7], v[6:7], v[74:75]
	v_add_f64 v[4:5], v[4:5], v[14:15]
	;; [unrolled: 1-line block ×4, first 2 shown]
	s_waitcnt vmcnt(0)
	v_add_f64 v[4:5], v[32:33], -v[4:5]
	v_add_f64 v[6:7], v[34:35], -v[6:7]
	scratch_store_dwordx4 off, v[4:7], off offset:544
	s_and_saveexec_b64 s[0:1], vcc
	s_cbranch_execz .LBB104_195
; %bb.194:
	scratch_load_dwordx4 v[6:9], off, s24
	v_mov_b32_e32 v3, v2
	v_mov_b32_e32 v4, v2
	v_mov_b32_e32 v5, v2
	v_accvgpr_read_b32 v0, a83
	scratch_store_dwordx4 off, v[2:5], off offset:528
	s_waitcnt vmcnt(1)
	ds_write_b128 v0, v[6:9]
.LBB104_195:
	s_or_b64 exec, exec, s[0:1]
	s_waitcnt lgkmcnt(0)
	; wave barrier
	ds_read_b128 v[4:7], v2 offset:1184
	ds_read_b128 v[8:11], v2 offset:1200
	;; [unrolled: 1-line block ×4, first 2 shown]
	scratch_load_dwordx4 v[20:23], off, off offset:544
	scratch_load_dwordx4 v[40:43], off, off offset:608
	v_cmp_lt_u32_e32 vcc, 31, v240
	scratch_load_dwordx4 v[48:51], off, off offset:624
	scratch_load_dwordx4 v[56:59], off, off offset:640
	;; [unrolled: 1-line block ×3, first 2 shown]
	s_waitcnt vmcnt(4) lgkmcnt(3)
	v_mul_f64 v[24:25], v[4:5], v[22:23]
	v_fmac_f64_e32 v[24:25], v[6:7], v[20:21]
	v_add_f64 v[28:29], v[24:25], 0
	scratch_load_dwordx4 v[24:27], off, off offset:560
	s_waitcnt vmcnt(0) lgkmcnt(2)
	v_mul_f64 v[30:31], v[8:9], v[26:27]
	v_fmac_f64_e32 v[30:31], v[10:11], v[24:25]
	v_add_f64 v[32:33], v[28:29], v[30:31]
	scratch_load_dwordx4 v[28:31], off, off offset:576
	;; [unrolled: 5-line block ×3, first 2 shown]
	s_waitcnt vmcnt(0) lgkmcnt(0)
	v_mul_f64 v[38:39], v[16:17], v[34:35]
	v_fmac_f64_e32 v[38:39], v[18:19], v[32:33]
	v_add_f64 v[44:45], v[36:37], v[38:39]
	ds_read_b128 v[36:39], v2 offset:1248
	s_waitcnt lgkmcnt(0)
	v_mul_f64 v[46:47], v[36:37], v[42:43]
	v_fmac_f64_e32 v[46:47], v[38:39], v[40:41]
	v_add_f64 v[52:53], v[44:45], v[46:47]
	ds_read_b128 v[44:47], v2 offset:1264
	s_waitcnt lgkmcnt(0)
	;; [unrolled: 5-line block ×4, first 2 shown]
	v_mul_f64 v[2:3], v[60:61], v[66:67]
	v_fmac_f64_e32 v[2:3], v[62:63], v[64:65]
	v_add_f64 v[68:69], v[68:69], v[2:3]
	v_mul_f64 v[2:3], v[6:7], v[22:23]
	v_fma_f64 v[2:3], v[4:5], v[20:21], -v[2:3]
	v_mul_f64 v[4:5], v[10:11], v[26:27]
	v_add_f64 v[2:3], v[2:3], 0
	v_fma_f64 v[4:5], v[8:9], v[24:25], -v[4:5]
	v_add_f64 v[2:3], v[2:3], v[4:5]
	v_mul_f64 v[4:5], v[14:15], v[30:31]
	v_fma_f64 v[4:5], v[12:13], v[28:29], -v[4:5]
	v_add_f64 v[2:3], v[2:3], v[4:5]
	v_mul_f64 v[4:5], v[18:19], v[34:35]
	;; [unrolled: 3-line block ×6, first 2 shown]
	v_fma_f64 v[4:5], v[60:61], v[64:65], -v[4:5]
	v_add_f64 v[6:7], v[2:3], v[4:5]
	scratch_load_dwordx4 v[2:5], off, off offset:528
	s_waitcnt vmcnt(0)
	v_add_f64 v[2:3], v[2:3], -v[6:7]
	v_add_f64 v[4:5], v[4:5], -v[68:69]
	scratch_store_dwordx4 off, v[2:5], off offset:528
	s_and_saveexec_b64 s[0:1], vcc
	s_cbranch_execz .LBB104_197
; %bb.196:
	scratch_load_dwordx4 v[2:5], off, s25
	v_mov_b32_e32 v6, 0
	v_mov_b32_e32 v7, v6
	;; [unrolled: 1-line block ×4, first 2 shown]
	v_accvgpr_read_b32 v0, a83
	scratch_store_dwordx4 off, v[6:9], off offset:512
	s_waitcnt vmcnt(1)
	ds_write_b128 v0, v[2:5]
.LBB104_197:
	s_or_b64 exec, exec, s[0:1]
	v_mov_b32_e32 v2, 0
	s_waitcnt lgkmcnt(0)
	; wave barrier
	ds_read_b128 v[4:7], v2 offset:1168
	ds_read_b128 v[8:11], v2 offset:1184
	;; [unrolled: 1-line block ×4, first 2 shown]
	scratch_load_dwordx4 v[20:23], off, off offset:528
	scratch_load_dwordx4 v[40:43], off, off offset:592
	;; [unrolled: 1-line block ×3, first 2 shown]
	v_cmp_lt_u32_e32 vcc, 30, v240
	scratch_load_dwordx4 v[48:51], off, off offset:608
	scratch_load_dwordx4 v[56:59], off, off offset:624
	;; [unrolled: 1-line block ×3, first 2 shown]
	s_waitcnt vmcnt(5) lgkmcnt(3)
	v_mul_f64 v[24:25], v[4:5], v[22:23]
	v_fmac_f64_e32 v[24:25], v[6:7], v[20:21]
	v_add_f64 v[28:29], v[24:25], 0
	scratch_load_dwordx4 v[24:27], off, off offset:544
	v_mul_f64 v[6:7], v[6:7], v[22:23]
	v_fma_f64 v[4:5], v[4:5], v[20:21], -v[6:7]
	v_add_f64 v[4:5], v[4:5], 0
	s_waitcnt vmcnt(0) lgkmcnt(2)
	v_mul_f64 v[30:31], v[8:9], v[26:27]
	v_fmac_f64_e32 v[30:31], v[10:11], v[24:25]
	v_add_f64 v[32:33], v[28:29], v[30:31]
	scratch_load_dwordx4 v[28:31], off, off offset:560
	v_mul_f64 v[6:7], v[10:11], v[26:27]
	v_fma_f64 v[6:7], v[8:9], v[24:25], -v[6:7]
	v_add_f64 v[4:5], v[4:5], v[6:7]
	;; [unrolled: 8-line block ×3, first 2 shown]
	s_waitcnt vmcnt(0) lgkmcnt(0)
	v_mul_f64 v[38:39], v[16:17], v[34:35]
	v_fmac_f64_e32 v[38:39], v[18:19], v[32:33]
	v_add_f64 v[44:45], v[36:37], v[38:39]
	ds_read_b128 v[36:39], v2 offset:1232
	v_mul_f64 v[6:7], v[18:19], v[34:35]
	v_fma_f64 v[6:7], v[16:17], v[32:33], -v[6:7]
	v_add_f64 v[4:5], v[4:5], v[6:7]
	s_waitcnt lgkmcnt(0)
	v_mul_f64 v[46:47], v[36:37], v[42:43]
	v_fmac_f64_e32 v[46:47], v[38:39], v[40:41]
	v_add_f64 v[52:53], v[44:45], v[46:47]
	ds_read_b128 v[44:47], v2 offset:1248
	v_mul_f64 v[6:7], v[38:39], v[42:43]
	v_fma_f64 v[6:7], v[36:37], v[40:41], -v[6:7]
	v_add_f64 v[4:5], v[4:5], v[6:7]
	s_waitcnt lgkmcnt(0)
	;; [unrolled: 8-line block ×5, first 2 shown]
	v_mul_f64 v[6:7], v[70:71], v[74:75]
	v_fma_f64 v[6:7], v[68:69], v[72:73], -v[6:7]
	v_add_f64 v[8:9], v[4:5], v[6:7]
	scratch_load_dwordx4 v[4:7], off, off offset:512
	v_mul_f64 v[78:79], v[68:69], v[74:75]
	v_fmac_f64_e32 v[78:79], v[70:71], v[72:73]
	v_add_f64 v[76:77], v[76:77], v[78:79]
	s_waitcnt vmcnt(0)
	v_add_f64 v[4:5], v[4:5], -v[8:9]
	v_add_f64 v[6:7], v[6:7], -v[76:77]
	scratch_store_dwordx4 off, v[4:7], off offset:512
	s_and_saveexec_b64 s[0:1], vcc
	s_cbranch_execz .LBB104_199
; %bb.198:
	scratch_load_dwordx4 v[6:9], off, s26
	v_mov_b32_e32 v3, v2
	v_mov_b32_e32 v4, v2
	;; [unrolled: 1-line block ×3, first 2 shown]
	v_accvgpr_read_b32 v0, a83
	scratch_store_dwordx4 off, v[2:5], off offset:496
	s_waitcnt vmcnt(1)
	ds_write_b128 v0, v[6:9]
.LBB104_199:
	s_or_b64 exec, exec, s[0:1]
	s_waitcnt lgkmcnt(0)
	; wave barrier
	scratch_load_dwordx4 v[4:7], off, off offset:512
	scratch_load_dwordx4 v[8:11], off, off offset:528
	;; [unrolled: 1-line block ×11, first 2 shown]
	ds_read_b128 v[48:51], v2 offset:1152
	ds_read_b128 v[52:55], v2 offset:1168
	;; [unrolled: 1-line block ×10, first 2 shown]
	v_cmp_lt_u32_e32 vcc, 29, v240
	s_waitcnt vmcnt(10) lgkmcnt(9)
	v_mul_f64 v[2:3], v[48:49], v[6:7]
	v_mul_f64 v[6:7], v[50:51], v[6:7]
	s_waitcnt vmcnt(9) lgkmcnt(8)
	v_mul_f64 v[88:89], v[52:53], v[10:11]
	v_mul_f64 v[10:11], v[54:55], v[10:11]
	v_fmac_f64_e32 v[2:3], v[50:51], v[4:5]
	v_fma_f64 v[4:5], v[48:49], v[4:5], -v[6:7]
	s_waitcnt vmcnt(8) lgkmcnt(7)
	v_mul_f64 v[90:91], v[56:57], v[14:15]
	v_mul_f64 v[14:15], v[58:59], v[14:15]
	v_fmac_f64_e32 v[88:89], v[54:55], v[8:9]
	v_fma_f64 v[6:7], v[52:53], v[8:9], -v[10:11]
	v_add_f64 v[2:3], v[2:3], 0
	v_add_f64 v[4:5], v[4:5], 0
	s_waitcnt vmcnt(7) lgkmcnt(6)
	v_mul_f64 v[92:93], v[60:61], v[18:19]
	v_mul_f64 v[18:19], v[62:63], v[18:19]
	v_fmac_f64_e32 v[90:91], v[58:59], v[12:13]
	v_fma_f64 v[8:9], v[56:57], v[12:13], -v[14:15]
	v_add_f64 v[2:3], v[2:3], v[88:89]
	v_add_f64 v[4:5], v[4:5], v[6:7]
	;; [unrolled: 7-line block ×8, first 2 shown]
	v_fmac_f64_e32 v[104:105], v[86:87], v[40:41]
	v_fma_f64 v[22:23], v[84:85], v[40:41], -v[42:43]
	v_add_f64 v[2:3], v[2:3], v[102:103]
	v_add_f64 v[4:5], v[4:5], v[20:21]
	v_add_f64 v[6:7], v[2:3], v[104:105]
	v_add_f64 v[2:3], v[4:5], v[22:23]
	s_waitcnt vmcnt(0)
	v_add_f64 v[2:3], v[44:45], -v[2:3]
	v_add_f64 v[4:5], v[46:47], -v[6:7]
	scratch_store_dwordx4 off, v[2:5], off offset:496
	s_and_saveexec_b64 s[0:1], vcc
	s_cbranch_execz .LBB104_201
; %bb.200:
	scratch_load_dwordx4 v[2:5], off, s27
	v_mov_b32_e32 v6, 0
	v_mov_b32_e32 v7, v6
	;; [unrolled: 1-line block ×4, first 2 shown]
	v_accvgpr_read_b32 v0, a83
	scratch_store_dwordx4 off, v[6:9], off offset:480
	s_waitcnt vmcnt(1)
	ds_write_b128 v0, v[2:5]
.LBB104_201:
	s_or_b64 exec, exec, s[0:1]
	s_waitcnt lgkmcnt(0)
	; wave barrier
	scratch_load_dwordx4 v[4:7], off, off offset:496
	scratch_load_dwordx4 v[8:11], off, off offset:512
	;; [unrolled: 1-line block ×12, first 2 shown]
	v_mov_b32_e32 v2, 0
	ds_read_b128 v[52:55], v2 offset:1136
	ds_read_b128 v[56:59], v2 offset:1152
	;; [unrolled: 1-line block ×11, first 2 shown]
	v_cmp_lt_u32_e32 vcc, 28, v240
	s_waitcnt vmcnt(11) lgkmcnt(10)
	v_mul_f64 v[96:97], v[52:53], v[6:7]
	v_mul_f64 v[6:7], v[54:55], v[6:7]
	s_waitcnt vmcnt(10) lgkmcnt(9)
	v_mul_f64 v[98:99], v[56:57], v[10:11]
	s_waitcnt vmcnt(9) lgkmcnt(8)
	v_mul_f64 v[100:101], v[60:61], v[14:15]
	v_mul_f64 v[10:11], v[58:59], v[10:11]
	s_waitcnt vmcnt(6) lgkmcnt(5)
	v_mul_f64 v[106:107], v[72:73], v[26:27]
	v_mul_f64 v[14:15], v[62:63], v[14:15]
	;; [unrolled: 1-line block ×3, first 2 shown]
	v_fmac_f64_e32 v[96:97], v[54:55], v[4:5]
	v_fma_f64 v[4:5], v[52:53], v[4:5], -v[6:7]
	v_fmac_f64_e32 v[98:99], v[58:59], v[8:9]
	v_fma_f64 v[6:7], v[56:57], v[8:9], -v[10:11]
	v_fma_f64 v[8:9], v[60:61], v[12:13], -v[14:15]
	;; [unrolled: 1-line block ×3, first 2 shown]
	v_add_f64 v[26:27], v[96:97], 0
	v_add_f64 v[4:5], v[4:5], 0
	v_mul_f64 v[102:103], v[64:65], v[18:19]
	v_mul_f64 v[18:19], v[66:67], v[18:19]
	v_fmac_f64_e32 v[100:101], v[62:63], v[12:13]
	v_add_f64 v[26:27], v[26:27], v[98:99]
	v_add_f64 v[4:5], v[4:5], v[6:7]
	v_mul_f64 v[104:105], v[68:69], v[22:23]
	v_mul_f64 v[22:23], v[70:71], v[22:23]
	v_fmac_f64_e32 v[102:103], v[66:67], v[16:17]
	v_fma_f64 v[10:11], v[64:65], v[16:17], -v[18:19]
	v_add_f64 v[6:7], v[26:27], v[100:101]
	v_add_f64 v[4:5], v[4:5], v[8:9]
	v_fmac_f64_e32 v[104:105], v[70:71], v[20:21]
	v_fma_f64 v[12:13], v[68:69], v[20:21], -v[22:23]
	v_add_f64 v[6:7], v[6:7], v[102:103]
	v_add_f64 v[4:5], v[4:5], v[10:11]
	s_waitcnt vmcnt(5) lgkmcnt(4)
	v_mul_f64 v[108:109], v[76:77], v[30:31]
	v_mul_f64 v[30:31], v[78:79], v[30:31]
	v_fmac_f64_e32 v[106:107], v[74:75], v[24:25]
	v_add_f64 v[6:7], v[6:7], v[104:105]
	v_add_f64 v[4:5], v[4:5], v[12:13]
	s_waitcnt vmcnt(4) lgkmcnt(3)
	v_mul_f64 v[110:111], v[80:81], v[34:35]
	v_mul_f64 v[34:35], v[82:83], v[34:35]
	v_fmac_f64_e32 v[108:109], v[78:79], v[28:29]
	v_fma_f64 v[16:17], v[76:77], v[28:29], -v[30:31]
	v_add_f64 v[6:7], v[6:7], v[106:107]
	v_add_f64 v[4:5], v[4:5], v[14:15]
	s_waitcnt vmcnt(3) lgkmcnt(2)
	v_mul_f64 v[112:113], v[84:85], v[38:39]
	v_mul_f64 v[38:39], v[86:87], v[38:39]
	v_fmac_f64_e32 v[110:111], v[82:83], v[32:33]
	v_fma_f64 v[18:19], v[80:81], v[32:33], -v[34:35]
	;; [unrolled: 7-line block ×4, first 2 shown]
	v_add_f64 v[6:7], v[6:7], v[112:113]
	v_add_f64 v[4:5], v[4:5], v[20:21]
	v_fmac_f64_e32 v[116:117], v[94:95], v[44:45]
	v_fma_f64 v[24:25], v[92:93], v[44:45], -v[46:47]
	v_add_f64 v[6:7], v[6:7], v[114:115]
	v_add_f64 v[4:5], v[4:5], v[22:23]
	;; [unrolled: 1-line block ×4, first 2 shown]
	s_waitcnt vmcnt(0)
	v_add_f64 v[4:5], v[48:49], -v[4:5]
	v_add_f64 v[6:7], v[50:51], -v[6:7]
	scratch_store_dwordx4 off, v[4:7], off offset:480
	s_and_saveexec_b64 s[0:1], vcc
	s_cbranch_execz .LBB104_203
; %bb.202:
	scratch_load_dwordx4 v[6:9], off, s28
	v_mov_b32_e32 v3, v2
	v_mov_b32_e32 v4, v2
	;; [unrolled: 1-line block ×3, first 2 shown]
	v_accvgpr_read_b32 v0, a83
	scratch_store_dwordx4 off, v[2:5], off offset:464
	s_waitcnt vmcnt(1)
	ds_write_b128 v0, v[6:9]
.LBB104_203:
	s_or_b64 exec, exec, s[0:1]
	s_waitcnt lgkmcnt(0)
	; wave barrier
	scratch_load_dwordx4 v[4:7], off, off offset:480
	scratch_load_dwordx4 v[8:11], off, off offset:496
	;; [unrolled: 1-line block ×12, first 2 shown]
	ds_read_b128 v[52:55], v2 offset:1120
	ds_read_b128 v[56:59], v2 offset:1136
	;; [unrolled: 1-line block ×4, first 2 shown]
	scratch_load_dwordx4 v[68:71], off, off offset:464
	ds_read_b128 v[72:75], v2 offset:1184
	ds_read_b128 v[76:79], v2 offset:1200
	;; [unrolled: 1-line block ×8, first 2 shown]
	v_cmp_lt_u32_e32 vcc, 27, v240
	s_waitcnt vmcnt(12) lgkmcnt(11)
	v_mul_f64 v[2:3], v[52:53], v[6:7]
	s_waitcnt vmcnt(11) lgkmcnt(10)
	v_mul_f64 v[104:105], v[56:57], v[10:11]
	v_fmac_f64_e32 v[2:3], v[54:55], v[4:5]
	s_waitcnt vmcnt(10) lgkmcnt(9)
	v_mul_f64 v[106:107], v[60:61], v[14:15]
	v_mul_f64 v[6:7], v[54:55], v[6:7]
	v_fmac_f64_e32 v[104:105], v[58:59], v[8:9]
	v_add_f64 v[2:3], v[2:3], 0
	s_waitcnt vmcnt(9) lgkmcnt(8)
	v_mul_f64 v[108:109], v[64:65], v[18:19]
	v_mul_f64 v[10:11], v[58:59], v[10:11]
	v_fmac_f64_e32 v[106:107], v[62:63], v[12:13]
	v_fma_f64 v[4:5], v[52:53], v[4:5], -v[6:7]
	v_add_f64 v[2:3], v[2:3], v[104:105]
	s_waitcnt vmcnt(8) lgkmcnt(7)
	v_mul_f64 v[110:111], v[72:73], v[22:23]
	v_mul_f64 v[14:15], v[62:63], v[14:15]
	v_fmac_f64_e32 v[108:109], v[66:67], v[16:17]
	v_fma_f64 v[6:7], v[56:57], v[8:9], -v[10:11]
	v_add_f64 v[4:5], v[4:5], 0
	v_add_f64 v[2:3], v[2:3], v[106:107]
	s_waitcnt vmcnt(7) lgkmcnt(6)
	v_mul_f64 v[112:113], v[76:77], v[26:27]
	v_mul_f64 v[18:19], v[66:67], v[18:19]
	v_fmac_f64_e32 v[110:111], v[74:75], v[20:21]
	v_fma_f64 v[8:9], v[60:61], v[12:13], -v[14:15]
	v_add_f64 v[4:5], v[4:5], v[6:7]
	;; [unrolled: 7-line block ×8, first 2 shown]
	v_add_f64 v[2:3], v[2:3], v[120:121]
	v_mul_f64 v[46:47], v[98:99], v[46:47]
	v_fmac_f64_e32 v[124:125], v[102:103], v[48:49]
	v_fma_f64 v[22:23], v[92:93], v[40:41], -v[42:43]
	v_add_f64 v[4:5], v[4:5], v[20:21]
	v_add_f64 v[2:3], v[2:3], v[122:123]
	;; [unrolled: 1-line block ×4, first 2 shown]
	v_fma_f64 v[2:3], v[96:97], v[44:45], -v[46:47]
	v_add_f64 v[2:3], v[4:5], v[2:3]
	v_mul_f64 v[4:5], v[102:103], v[50:51]
	v_fma_f64 v[4:5], v[100:101], v[48:49], -v[4:5]
	v_add_f64 v[2:3], v[2:3], v[4:5]
	s_waitcnt vmcnt(0)
	v_add_f64 v[2:3], v[68:69], -v[2:3]
	v_add_f64 v[4:5], v[70:71], -v[6:7]
	scratch_store_dwordx4 off, v[2:5], off offset:464
	s_and_saveexec_b64 s[0:1], vcc
	s_cbranch_execz .LBB104_205
; %bb.204:
	scratch_load_dwordx4 v[2:5], off, s29
	v_mov_b32_e32 v6, 0
	v_mov_b32_e32 v7, v6
	;; [unrolled: 1-line block ×4, first 2 shown]
	v_accvgpr_read_b32 v0, a83
	scratch_store_dwordx4 off, v[6:9], off offset:448
	s_waitcnt vmcnt(1)
	ds_write_b128 v0, v[2:5]
.LBB104_205:
	s_or_b64 exec, exec, s[0:1]
	s_waitcnt lgkmcnt(0)
	; wave barrier
	scratch_load_dwordx4 v[4:7], off, off offset:464
	scratch_load_dwordx4 v[8:11], off, off offset:480
	;; [unrolled: 1-line block ×14, first 2 shown]
	v_mov_b32_e32 v2, 0
	ds_read_b128 v[60:63], v2 offset:1104
	ds_read_b128 v[64:67], v2 offset:1120
	;; [unrolled: 1-line block ×13, first 2 shown]
	v_cmp_lt_u32_e32 vcc, 26, v240
	s_waitcnt vmcnt(13) lgkmcnt(12)
	v_mul_f64 v[112:113], v[60:61], v[6:7]
	v_mul_f64 v[6:7], v[62:63], v[6:7]
	s_waitcnt vmcnt(12) lgkmcnt(11)
	v_mul_f64 v[114:115], v[64:65], v[10:11]
	v_mul_f64 v[10:11], v[66:67], v[10:11]
	v_fmac_f64_e32 v[112:113], v[62:63], v[4:5]
	v_fma_f64 v[4:5], v[60:61], v[4:5], -v[6:7]
	s_waitcnt vmcnt(11) lgkmcnt(10)
	v_mul_f64 v[116:117], v[68:69], v[14:15]
	v_mul_f64 v[14:15], v[70:71], v[14:15]
	v_fma_f64 v[6:7], v[64:65], v[8:9], -v[10:11]
	v_add_f64 v[4:5], v[4:5], 0
	s_waitcnt vmcnt(10) lgkmcnt(9)
	v_mul_f64 v[118:119], v[72:73], v[18:19]
	v_mul_f64 v[18:19], v[74:75], v[18:19]
	v_fmac_f64_e32 v[114:115], v[66:67], v[8:9]
	v_fma_f64 v[8:9], v[68:69], v[12:13], -v[14:15]
	v_add_f64 v[4:5], v[4:5], v[6:7]
	s_waitcnt vmcnt(9) lgkmcnt(8)
	v_mul_f64 v[120:121], v[76:77], v[22:23]
	v_mul_f64 v[22:23], v[78:79], v[22:23]
	v_fma_f64 v[10:11], v[72:73], v[16:17], -v[18:19]
	v_add_f64 v[4:5], v[4:5], v[8:9]
	s_waitcnt vmcnt(8) lgkmcnt(7)
	v_mul_f64 v[122:123], v[80:81], v[26:27]
	v_mul_f64 v[26:27], v[82:83], v[26:27]
	v_fmac_f64_e32 v[116:117], v[70:71], v[12:13]
	v_fma_f64 v[12:13], v[76:77], v[20:21], -v[22:23]
	v_add_f64 v[22:23], v[112:113], 0
	v_add_f64 v[4:5], v[4:5], v[10:11]
	s_waitcnt vmcnt(7) lgkmcnt(6)
	v_mul_f64 v[124:125], v[84:85], v[30:31]
	v_mul_f64 v[30:31], v[86:87], v[30:31]
	v_fma_f64 v[14:15], v[80:81], v[24:25], -v[26:27]
	v_add_f64 v[22:23], v[22:23], v[114:115]
	v_add_f64 v[4:5], v[4:5], v[12:13]
	s_waitcnt vmcnt(6) lgkmcnt(5)
	v_mul_f64 v[126:127], v[88:89], v[34:35]
	v_mul_f64 v[34:35], v[90:91], v[34:35]
	v_fmac_f64_e32 v[118:119], v[74:75], v[16:17]
	v_fma_f64 v[16:17], v[84:85], v[28:29], -v[30:31]
	v_add_f64 v[6:7], v[22:23], v[116:117]
	v_add_f64 v[4:5], v[4:5], v[14:15]
	s_waitcnt vmcnt(5) lgkmcnt(4)
	v_mul_f64 v[128:129], v[92:93], v[38:39]
	v_mul_f64 v[38:39], v[94:95], v[38:39]
	v_fmac_f64_e32 v[120:121], v[78:79], v[20:21]
	v_fma_f64 v[18:19], v[88:89], v[32:33], -v[34:35]
	v_add_f64 v[6:7], v[6:7], v[118:119]
	v_add_f64 v[4:5], v[4:5], v[16:17]
	v_fmac_f64_e32 v[122:123], v[82:83], v[24:25]
	v_fma_f64 v[20:21], v[92:93], v[36:37], -v[38:39]
	v_add_f64 v[6:7], v[6:7], v[120:121]
	v_add_f64 v[4:5], v[4:5], v[18:19]
	s_waitcnt vmcnt(4) lgkmcnt(3)
	v_mul_f64 v[8:9], v[98:99], v[42:43]
	v_fmac_f64_e32 v[124:125], v[86:87], v[28:29]
	v_add_f64 v[6:7], v[6:7], v[122:123]
	v_add_f64 v[4:5], v[4:5], v[20:21]
	v_fma_f64 v[8:9], v[96:97], v[40:41], -v[8:9]
	v_fmac_f64_e32 v[126:127], v[90:91], v[32:33]
	v_add_f64 v[6:7], v[6:7], v[124:125]
	v_add_f64 v[4:5], v[4:5], v[8:9]
	s_waitcnt vmcnt(3) lgkmcnt(2)
	v_mul_f64 v[8:9], v[102:103], v[46:47]
	v_mul_f64 v[130:131], v[96:97], v[42:43]
	v_fmac_f64_e32 v[128:129], v[94:95], v[36:37]
	v_add_f64 v[6:7], v[6:7], v[126:127]
	v_fma_f64 v[8:9], v[100:101], v[44:45], -v[8:9]
	v_mul_f64 v[132:133], v[100:101], v[46:47]
	v_fmac_f64_e32 v[130:131], v[98:99], v[40:41]
	v_add_f64 v[6:7], v[6:7], v[128:129]
	v_add_f64 v[4:5], v[4:5], v[8:9]
	s_waitcnt vmcnt(2) lgkmcnt(1)
	v_mul_f64 v[8:9], v[106:107], v[50:51]
	v_mul_f64 v[134:135], v[104:105], v[50:51]
	v_fmac_f64_e32 v[132:133], v[102:103], v[44:45]
	v_add_f64 v[6:7], v[6:7], v[130:131]
	v_fma_f64 v[8:9], v[104:105], v[48:49], -v[8:9]
	s_waitcnt vmcnt(1) lgkmcnt(0)
	v_mul_f64 v[136:137], v[108:109], v[54:55]
	v_fmac_f64_e32 v[134:135], v[106:107], v[48:49]
	v_add_f64 v[6:7], v[6:7], v[132:133]
	v_add_f64 v[4:5], v[4:5], v[8:9]
	v_mul_f64 v[8:9], v[110:111], v[54:55]
	v_fmac_f64_e32 v[136:137], v[110:111], v[52:53]
	v_add_f64 v[6:7], v[6:7], v[134:135]
	v_fma_f64 v[8:9], v[108:109], v[52:53], -v[8:9]
	v_add_f64 v[6:7], v[6:7], v[136:137]
	v_add_f64 v[4:5], v[4:5], v[8:9]
	s_waitcnt vmcnt(0)
	v_add_f64 v[4:5], v[56:57], -v[4:5]
	v_add_f64 v[6:7], v[58:59], -v[6:7]
	scratch_store_dwordx4 off, v[4:7], off offset:448
	s_and_saveexec_b64 s[0:1], vcc
	s_cbranch_execz .LBB104_207
; %bb.206:
	scratch_load_dwordx4 v[6:9], off, s30
	v_mov_b32_e32 v3, v2
	v_mov_b32_e32 v4, v2
	;; [unrolled: 1-line block ×3, first 2 shown]
	v_accvgpr_read_b32 v0, a83
	scratch_store_dwordx4 off, v[2:5], off offset:432
	s_waitcnt vmcnt(1)
	ds_write_b128 v0, v[6:9]
.LBB104_207:
	s_or_b64 exec, exec, s[0:1]
	s_waitcnt lgkmcnt(0)
	; wave barrier
	scratch_load_dwordx4 v[4:7], off, off offset:448
	scratch_load_dwordx4 v[8:11], off, off offset:464
	;; [unrolled: 1-line block ×14, first 2 shown]
	ds_read_b128 v[60:63], v2 offset:1088
	ds_read_b128 v[64:67], v2 offset:1104
	;; [unrolled: 1-line block ×14, first 2 shown]
	scratch_load_dwordx4 v[116:119], off, off offset:432
	v_cmp_lt_u32_e32 vcc, 25, v240
	s_waitcnt vmcnt(14) lgkmcnt(13)
	v_mul_f64 v[2:3], v[60:61], v[6:7]
	s_waitcnt vmcnt(13) lgkmcnt(12)
	v_mul_f64 v[120:121], v[64:65], v[10:11]
	v_fmac_f64_e32 v[2:3], v[62:63], v[4:5]
	s_waitcnt vmcnt(12) lgkmcnt(11)
	v_mul_f64 v[122:123], v[68:69], v[14:15]
	v_fmac_f64_e32 v[120:121], v[66:67], v[8:9]
	v_add_f64 v[2:3], v[2:3], 0
	s_waitcnt vmcnt(11) lgkmcnt(10)
	v_mul_f64 v[124:125], v[72:73], v[18:19]
	v_fmac_f64_e32 v[122:123], v[70:71], v[12:13]
	v_add_f64 v[2:3], v[2:3], v[120:121]
	;; [unrolled: 4-line block ×4, first 2 shown]
	s_waitcnt vmcnt(8) lgkmcnt(7)
	v_mul_f64 v[130:131], v[84:85], v[30:31]
	v_mul_f64 v[6:7], v[62:63], v[6:7]
	v_fmac_f64_e32 v[128:129], v[82:83], v[24:25]
	v_add_f64 v[2:3], v[2:3], v[126:127]
	s_waitcnt vmcnt(7) lgkmcnt(6)
	v_mul_f64 v[132:133], v[88:89], v[34:35]
	v_mul_f64 v[10:11], v[66:67], v[10:11]
	v_fmac_f64_e32 v[130:131], v[86:87], v[28:29]
	v_fma_f64 v[4:5], v[60:61], v[4:5], -v[6:7]
	v_add_f64 v[2:3], v[2:3], v[128:129]
	s_waitcnt vmcnt(6) lgkmcnt(5)
	v_mul_f64 v[134:135], v[92:93], v[38:39]
	v_mul_f64 v[14:15], v[70:71], v[14:15]
	v_fmac_f64_e32 v[132:133], v[90:91], v[32:33]
	v_fma_f64 v[6:7], v[64:65], v[8:9], -v[10:11]
	v_add_f64 v[4:5], v[4:5], 0
	v_add_f64 v[2:3], v[2:3], v[130:131]
	s_waitcnt vmcnt(5) lgkmcnt(4)
	v_mul_f64 v[136:137], v[96:97], v[42:43]
	v_mul_f64 v[18:19], v[74:75], v[18:19]
	v_fmac_f64_e32 v[134:135], v[94:95], v[36:37]
	v_fma_f64 v[8:9], v[68:69], v[12:13], -v[14:15]
	v_add_f64 v[4:5], v[4:5], v[6:7]
	v_add_f64 v[2:3], v[2:3], v[132:133]
	s_waitcnt vmcnt(4) lgkmcnt(3)
	v_mul_f64 v[138:139], v[100:101], v[46:47]
	v_mul_f64 v[22:23], v[78:79], v[22:23]
	v_fmac_f64_e32 v[136:137], v[98:99], v[40:41]
	v_fma_f64 v[10:11], v[72:73], v[16:17], -v[18:19]
	v_add_f64 v[4:5], v[4:5], v[8:9]
	v_add_f64 v[2:3], v[2:3], v[134:135]
	s_waitcnt vmcnt(3) lgkmcnt(2)
	v_mul_f64 v[140:141], v[104:105], v[50:51]
	v_mul_f64 v[26:27], v[82:83], v[26:27]
	v_fmac_f64_e32 v[138:139], v[102:103], v[44:45]
	v_fma_f64 v[12:13], v[76:77], v[20:21], -v[22:23]
	v_add_f64 v[4:5], v[4:5], v[10:11]
	v_add_f64 v[2:3], v[2:3], v[136:137]
	s_waitcnt vmcnt(2) lgkmcnt(1)
	v_mul_f64 v[142:143], v[108:109], v[54:55]
	v_mul_f64 v[30:31], v[86:87], v[30:31]
	v_fmac_f64_e32 v[140:141], v[106:107], v[48:49]
	v_fma_f64 v[14:15], v[80:81], v[24:25], -v[26:27]
	v_add_f64 v[4:5], v[4:5], v[12:13]
	v_add_f64 v[2:3], v[2:3], v[138:139]
	s_waitcnt vmcnt(1) lgkmcnt(0)
	v_mul_f64 v[144:145], v[112:113], v[58:59]
	v_mul_f64 v[34:35], v[90:91], v[34:35]
	v_fmac_f64_e32 v[142:143], v[110:111], v[52:53]
	v_fma_f64 v[16:17], v[84:85], v[28:29], -v[30:31]
	v_add_f64 v[4:5], v[4:5], v[14:15]
	v_add_f64 v[2:3], v[2:3], v[140:141]
	v_fmac_f64_e32 v[144:145], v[114:115], v[56:57]
	v_fma_f64 v[18:19], v[88:89], v[32:33], -v[34:35]
	v_add_f64 v[4:5], v[4:5], v[16:17]
	v_add_f64 v[2:3], v[2:3], v[142:143]
	;; [unrolled: 1-line block ×4, first 2 shown]
	v_mul_f64 v[4:5], v[94:95], v[38:39]
	v_fma_f64 v[4:5], v[92:93], v[36:37], -v[4:5]
	v_add_f64 v[2:3], v[2:3], v[4:5]
	v_mul_f64 v[4:5], v[98:99], v[42:43]
	v_fma_f64 v[4:5], v[96:97], v[40:41], -v[4:5]
	v_add_f64 v[2:3], v[2:3], v[4:5]
	;; [unrolled: 3-line block ×6, first 2 shown]
	s_waitcnt vmcnt(0)
	v_add_f64 v[2:3], v[116:117], -v[2:3]
	v_add_f64 v[4:5], v[118:119], -v[6:7]
	scratch_store_dwordx4 off, v[2:5], off offset:432
	s_and_saveexec_b64 s[0:1], vcc
	s_cbranch_execz .LBB104_209
; %bb.208:
	scratch_load_dwordx4 v[2:5], off, s31
	v_mov_b32_e32 v6, 0
	v_mov_b32_e32 v7, v6
	;; [unrolled: 1-line block ×4, first 2 shown]
	v_accvgpr_read_b32 v0, a83
	scratch_store_dwordx4 off, v[6:9], off offset:416
	s_waitcnt vmcnt(1)
	ds_write_b128 v0, v[2:5]
.LBB104_209:
	s_or_b64 exec, exec, s[0:1]
	s_waitcnt lgkmcnt(0)
	; wave barrier
	scratch_load_dwordx4 v[4:7], off, off offset:432
	scratch_load_dwordx4 v[8:11], off, off offset:448
	;; [unrolled: 1-line block ×16, first 2 shown]
	v_mov_b32_e32 v2, 0
	ds_read_b128 v[68:71], v2 offset:1072
	ds_read_b128 v[72:75], v2 offset:1088
	ds_read_b128 v[76:79], v2 offset:1104
	ds_read_b128 v[80:83], v2 offset:1120
	ds_read_b128 v[84:87], v2 offset:1136
	ds_read_b128 v[88:91], v2 offset:1152
	ds_read_b128 v[92:95], v2 offset:1168
	ds_read_b128 v[96:99], v2 offset:1184
	ds_read_b128 v[100:103], v2 offset:1200
	ds_read_b128 v[104:107], v2 offset:1216
	ds_read_b128 v[108:111], v2 offset:1232
	ds_read_b128 v[112:115], v2 offset:1248
	ds_read_b128 v[116:119], v2 offset:1264
	ds_read_b128 v[120:123], v2 offset:1280
	ds_read_b128 v[124:127], v2 offset:1296
	v_cmp_lt_u32_e32 vcc, 24, v240
	s_waitcnt vmcnt(15) lgkmcnt(14)
	v_mul_f64 v[128:129], v[68:69], v[6:7]
	v_mul_f64 v[6:7], v[70:71], v[6:7]
	s_waitcnt vmcnt(14) lgkmcnt(13)
	v_mul_f64 v[130:131], v[72:73], v[10:11]
	v_mul_f64 v[10:11], v[74:75], v[10:11]
	v_fmac_f64_e32 v[128:129], v[70:71], v[4:5]
	v_fma_f64 v[4:5], v[68:69], v[4:5], -v[6:7]
	s_waitcnt vmcnt(13) lgkmcnt(12)
	v_mul_f64 v[132:133], v[76:77], v[14:15]
	v_mul_f64 v[14:15], v[78:79], v[14:15]
	v_fma_f64 v[6:7], v[72:73], v[8:9], -v[10:11]
	v_add_f64 v[4:5], v[4:5], 0
	s_waitcnt vmcnt(12) lgkmcnt(11)
	v_mul_f64 v[134:135], v[80:81], v[18:19]
	v_mul_f64 v[18:19], v[82:83], v[18:19]
	v_fmac_f64_e32 v[130:131], v[74:75], v[8:9]
	v_fma_f64 v[8:9], v[76:77], v[12:13], -v[14:15]
	v_add_f64 v[4:5], v[4:5], v[6:7]
	s_waitcnt vmcnt(11) lgkmcnt(10)
	v_mul_f64 v[136:137], v[84:85], v[22:23]
	v_mul_f64 v[22:23], v[86:87], v[22:23]
	v_fma_f64 v[10:11], v[80:81], v[16:17], -v[18:19]
	v_add_f64 v[4:5], v[4:5], v[8:9]
	s_waitcnt vmcnt(10) lgkmcnt(9)
	v_mul_f64 v[138:139], v[88:89], v[26:27]
	v_mul_f64 v[26:27], v[90:91], v[26:27]
	v_fmac_f64_e32 v[132:133], v[78:79], v[12:13]
	v_fma_f64 v[12:13], v[84:85], v[20:21], -v[22:23]
	v_add_f64 v[4:5], v[4:5], v[10:11]
	v_fma_f64 v[14:15], v[88:89], v[24:25], -v[26:27]
	v_add_f64 v[4:5], v[4:5], v[12:13]
	s_waitcnt vmcnt(9) lgkmcnt(8)
	v_mul_f64 v[8:9], v[94:95], v[30:31]
	v_add_f64 v[4:5], v[4:5], v[14:15]
	v_fma_f64 v[8:9], v[92:93], v[28:29], -v[8:9]
	v_add_f64 v[4:5], v[4:5], v[8:9]
	s_waitcnt vmcnt(8) lgkmcnt(7)
	v_mul_f64 v[8:9], v[98:99], v[34:35]
	v_fma_f64 v[8:9], v[96:97], v[32:33], -v[8:9]
	v_fmac_f64_e32 v[134:135], v[82:83], v[16:17]
	v_add_f64 v[16:17], v[128:129], 0
	v_add_f64 v[4:5], v[4:5], v[8:9]
	s_waitcnt vmcnt(7) lgkmcnt(6)
	v_mul_f64 v[8:9], v[102:103], v[38:39]
	v_add_f64 v[16:17], v[16:17], v[130:131]
	v_fma_f64 v[8:9], v[100:101], v[36:37], -v[8:9]
	v_add_f64 v[6:7], v[16:17], v[132:133]
	v_add_f64 v[4:5], v[4:5], v[8:9]
	s_waitcnt vmcnt(6) lgkmcnt(5)
	v_mul_f64 v[8:9], v[106:107], v[42:43]
	v_fmac_f64_e32 v[136:137], v[86:87], v[20:21]
	v_add_f64 v[6:7], v[6:7], v[134:135]
	v_fma_f64 v[8:9], v[104:105], v[40:41], -v[8:9]
	v_mul_f64 v[140:141], v[92:93], v[30:31]
	v_fmac_f64_e32 v[138:139], v[90:91], v[24:25]
	v_add_f64 v[6:7], v[6:7], v[136:137]
	v_add_f64 v[4:5], v[4:5], v[8:9]
	s_waitcnt vmcnt(5) lgkmcnt(4)
	v_mul_f64 v[8:9], v[110:111], v[46:47]
	v_mul_f64 v[142:143], v[96:97], v[34:35]
	v_fmac_f64_e32 v[140:141], v[94:95], v[28:29]
	v_add_f64 v[6:7], v[6:7], v[138:139]
	v_fma_f64 v[8:9], v[108:109], v[44:45], -v[8:9]
	v_mul_f64 v[144:145], v[100:101], v[38:39]
	v_fmac_f64_e32 v[142:143], v[98:99], v[32:33]
	v_add_f64 v[6:7], v[6:7], v[140:141]
	v_add_f64 v[4:5], v[4:5], v[8:9]
	s_waitcnt vmcnt(4) lgkmcnt(3)
	v_mul_f64 v[8:9], v[114:115], v[50:51]
	v_mul_f64 v[146:147], v[104:105], v[42:43]
	v_fmac_f64_e32 v[144:145], v[102:103], v[36:37]
	v_add_f64 v[6:7], v[6:7], v[142:143]
	v_fma_f64 v[8:9], v[112:113], v[48:49], -v[8:9]
	v_mul_f64 v[148:149], v[108:109], v[46:47]
	v_fmac_f64_e32 v[146:147], v[106:107], v[40:41]
	v_add_f64 v[6:7], v[6:7], v[144:145]
	v_add_f64 v[4:5], v[4:5], v[8:9]
	s_waitcnt vmcnt(3) lgkmcnt(2)
	v_mul_f64 v[8:9], v[118:119], v[54:55]
	v_mul_f64 v[150:151], v[112:113], v[50:51]
	v_fmac_f64_e32 v[148:149], v[110:111], v[44:45]
	v_add_f64 v[6:7], v[6:7], v[146:147]
	v_fma_f64 v[8:9], v[116:117], v[52:53], -v[8:9]
	v_mul_f64 v[152:153], v[116:117], v[54:55]
	v_fmac_f64_e32 v[150:151], v[114:115], v[48:49]
	v_add_f64 v[6:7], v[6:7], v[148:149]
	v_add_f64 v[4:5], v[4:5], v[8:9]
	s_waitcnt vmcnt(2) lgkmcnt(1)
	v_mul_f64 v[8:9], v[122:123], v[58:59]
	v_mul_f64 v[154:155], v[120:121], v[58:59]
	v_fmac_f64_e32 v[152:153], v[118:119], v[52:53]
	v_add_f64 v[6:7], v[6:7], v[150:151]
	v_fma_f64 v[8:9], v[120:121], v[56:57], -v[8:9]
	s_waitcnt vmcnt(1) lgkmcnt(0)
	v_mul_f64 v[156:157], v[124:125], v[62:63]
	v_fmac_f64_e32 v[154:155], v[122:123], v[56:57]
	v_add_f64 v[6:7], v[6:7], v[152:153]
	v_add_f64 v[4:5], v[4:5], v[8:9]
	v_mul_f64 v[8:9], v[126:127], v[62:63]
	v_fmac_f64_e32 v[156:157], v[126:127], v[60:61]
	v_add_f64 v[6:7], v[6:7], v[154:155]
	v_fma_f64 v[8:9], v[124:125], v[60:61], -v[8:9]
	v_add_f64 v[6:7], v[6:7], v[156:157]
	v_add_f64 v[4:5], v[4:5], v[8:9]
	s_waitcnt vmcnt(0)
	v_add_f64 v[4:5], v[64:65], -v[4:5]
	v_add_f64 v[6:7], v[66:67], -v[6:7]
	scratch_store_dwordx4 off, v[4:7], off offset:416
	s_and_saveexec_b64 s[0:1], vcc
	s_cbranch_execz .LBB104_211
; %bb.210:
	scratch_load_dwordx4 v[6:9], off, s33
	v_mov_b32_e32 v3, v2
	v_mov_b32_e32 v4, v2
	;; [unrolled: 1-line block ×3, first 2 shown]
	v_accvgpr_read_b32 v0, a83
	scratch_store_dwordx4 off, v[2:5], off offset:400
	s_waitcnt vmcnt(1)
	ds_write_b128 v0, v[6:9]
.LBB104_211:
	s_or_b64 exec, exec, s[0:1]
	s_waitcnt lgkmcnt(0)
	; wave barrier
	scratch_load_dwordx4 v[4:7], off, off offset:416
	scratch_load_dwordx4 v[8:11], off, off offset:432
	;; [unrolled: 1-line block ×16, first 2 shown]
	ds_read_b128 v[68:71], v2 offset:1056
	ds_read_b128 v[72:75], v2 offset:1072
	;; [unrolled: 1-line block ×16, first 2 shown]
	scratch_load_dwordx4 v[132:135], off, off offset:400
	v_cmp_lt_u32_e32 vcc, 23, v240
	s_waitcnt vmcnt(16) lgkmcnt(14)
	v_mul_f64 v[2:3], v[68:69], v[6:7]
	s_waitcnt vmcnt(15)
	v_mul_f64 v[136:137], v[72:73], v[10:11]
	v_fmac_f64_e32 v[2:3], v[70:71], v[4:5]
	s_waitcnt vmcnt(14) lgkmcnt(13)
	v_mul_f64 v[138:139], v[76:77], v[14:15]
	v_fmac_f64_e32 v[136:137], v[74:75], v[8:9]
	v_add_f64 v[2:3], v[2:3], 0
	s_waitcnt vmcnt(13) lgkmcnt(12)
	v_mul_f64 v[140:141], v[80:81], v[18:19]
	v_fmac_f64_e32 v[138:139], v[78:79], v[12:13]
	v_add_f64 v[2:3], v[2:3], v[136:137]
	;; [unrolled: 4-line block ×10, first 2 shown]
	s_waitcnt vmcnt(4) lgkmcnt(3)
	v_mul_f64 v[158:159], v[116:117], v[54:55]
	v_mul_f64 v[6:7], v[70:71], v[6:7]
	v_fmac_f64_e32 v[156:157], v[114:115], v[48:49]
	v_add_f64 v[2:3], v[2:3], v[154:155]
	s_waitcnt vmcnt(3) lgkmcnt(2)
	v_mul_f64 v[160:161], v[120:121], v[58:59]
	v_mul_f64 v[10:11], v[74:75], v[10:11]
	v_fmac_f64_e32 v[158:159], v[118:119], v[52:53]
	v_fma_f64 v[4:5], v[68:69], v[4:5], -v[6:7]
	v_add_f64 v[2:3], v[2:3], v[156:157]
	s_waitcnt vmcnt(2) lgkmcnt(1)
	v_mul_f64 v[162:163], v[124:125], v[62:63]
	v_mul_f64 v[14:15], v[78:79], v[14:15]
	v_fmac_f64_e32 v[160:161], v[122:123], v[56:57]
	v_fma_f64 v[6:7], v[72:73], v[8:9], -v[10:11]
	v_add_f64 v[4:5], v[4:5], 0
	v_add_f64 v[2:3], v[2:3], v[158:159]
	s_waitcnt vmcnt(1) lgkmcnt(0)
	v_mul_f64 v[164:165], v[128:129], v[66:67]
	v_mul_f64 v[18:19], v[82:83], v[18:19]
	v_fmac_f64_e32 v[162:163], v[126:127], v[60:61]
	v_fma_f64 v[8:9], v[76:77], v[12:13], -v[14:15]
	v_add_f64 v[4:5], v[4:5], v[6:7]
	v_add_f64 v[2:3], v[2:3], v[160:161]
	v_mul_f64 v[26:27], v[86:87], v[26:27]
	v_fmac_f64_e32 v[164:165], v[130:131], v[64:65]
	v_fma_f64 v[10:11], v[80:81], v[16:17], -v[18:19]
	v_add_f64 v[4:5], v[4:5], v[8:9]
	v_add_f64 v[2:3], v[2:3], v[162:163]
	v_fma_f64 v[12:13], v[84:85], v[24:25], -v[26:27]
	v_add_f64 v[4:5], v[4:5], v[10:11]
	v_add_f64 v[6:7], v[2:3], v[164:165]
	v_mul_f64 v[2:3], v[90:91], v[22:23]
	v_add_f64 v[4:5], v[4:5], v[12:13]
	v_fma_f64 v[2:3], v[88:89], v[20:21], -v[2:3]
	v_add_f64 v[2:3], v[4:5], v[2:3]
	v_mul_f64 v[4:5], v[94:95], v[30:31]
	v_fma_f64 v[4:5], v[92:93], v[28:29], -v[4:5]
	v_add_f64 v[2:3], v[2:3], v[4:5]
	v_mul_f64 v[4:5], v[98:99], v[34:35]
	;; [unrolled: 3-line block ×10, first 2 shown]
	v_fma_f64 v[4:5], v[128:129], v[64:65], -v[4:5]
	v_add_f64 v[2:3], v[2:3], v[4:5]
	s_waitcnt vmcnt(0)
	v_add_f64 v[2:3], v[132:133], -v[2:3]
	v_add_f64 v[4:5], v[134:135], -v[6:7]
	scratch_store_dwordx4 off, v[2:5], off offset:400
	s_and_saveexec_b64 s[0:1], vcc
	s_cbranch_execz .LBB104_213
; %bb.212:
	scratch_load_dwordx4 v[2:5], off, s34
	v_mov_b32_e32 v6, 0
	v_mov_b32_e32 v7, v6
	;; [unrolled: 1-line block ×4, first 2 shown]
	v_accvgpr_read_b32 v0, a83
	scratch_store_dwordx4 off, v[6:9], off offset:384
	s_waitcnt vmcnt(1)
	ds_write_b128 v0, v[2:5]
.LBB104_213:
	s_or_b64 exec, exec, s[0:1]
	v_mov_b32_e32 v2, 0
	s_waitcnt lgkmcnt(0)
	; wave barrier
	ds_read_b128 v[16:19], v2 offset:1040
	ds_read_b128 v[12:15], v2 offset:1056
	;; [unrolled: 1-line block ×4, first 2 shown]
	scratch_load_dwordx4 v[20:23], off, off offset:400
	scratch_load_dwordx4 v[40:43], off, off offset:464
	;; [unrolled: 1-line block ×11, first 2 shown]
	v_cmp_lt_u32_e32 vcc, 22, v240
	scratch_load_dwordx4 v[48:51], off, off offset:480
	scratch_load_dwordx4 v[56:59], off, off offset:496
	;; [unrolled: 1-line block ×3, first 2 shown]
	s_waitcnt vmcnt(13) lgkmcnt(3)
	v_mul_f64 v[24:25], v[16:17], v[22:23]
	v_fmac_f64_e32 v[24:25], v[18:19], v[20:21]
	v_add_f64 v[28:29], v[24:25], 0
	scratch_load_dwordx4 v[24:27], off, off offset:416
	v_mul_f64 v[18:19], v[18:19], v[22:23]
	v_fma_f64 v[16:17], v[16:17], v[20:21], -v[18:19]
	v_add_f64 v[16:17], v[16:17], 0
	s_waitcnt vmcnt(0) lgkmcnt(2)
	v_mul_f64 v[30:31], v[12:13], v[26:27]
	v_fmac_f64_e32 v[30:31], v[14:15], v[24:25]
	v_add_f64 v[32:33], v[28:29], v[30:31]
	scratch_load_dwordx4 v[28:31], off, off offset:432
	v_mul_f64 v[14:15], v[14:15], v[26:27]
	v_fma_f64 v[12:13], v[12:13], v[24:25], -v[14:15]
	v_add_f64 v[12:13], v[16:17], v[12:13]
	;; [unrolled: 8-line block ×3, first 2 shown]
	s_waitcnt vmcnt(0) lgkmcnt(0)
	v_mul_f64 v[38:39], v[4:5], v[34:35]
	v_fmac_f64_e32 v[38:39], v[6:7], v[32:33]
	v_add_f64 v[44:45], v[36:37], v[38:39]
	ds_read_b128 v[36:39], v2 offset:1104
	v_mul_f64 v[6:7], v[6:7], v[34:35]
	v_fma_f64 v[4:5], v[4:5], v[32:33], -v[6:7]
	v_add_f64 v[4:5], v[8:9], v[4:5]
	s_waitcnt lgkmcnt(0)
	v_mul_f64 v[46:47], v[36:37], v[42:43]
	v_fmac_f64_e32 v[46:47], v[38:39], v[40:41]
	v_add_f64 v[52:53], v[44:45], v[46:47]
	ds_read_b128 v[44:47], v2 offset:1120
	v_mul_f64 v[6:7], v[38:39], v[42:43]
	v_fma_f64 v[6:7], v[36:37], v[40:41], -v[6:7]
	v_add_f64 v[4:5], v[4:5], v[6:7]
	s_waitcnt lgkmcnt(0)
	;; [unrolled: 8-line block ×13, first 2 shown]
	v_mul_f64 v[6:7], v[136:137], v[140:141]
	v_fma_f64 v[6:7], v[134:135], v[138:139], -v[6:7]
	v_add_f64 v[8:9], v[4:5], v[6:7]
	scratch_load_dwordx4 v[4:7], off, off offset:384
	v_mul_f64 v[142:143], v[134:135], v[140:141]
	v_fmac_f64_e32 v[142:143], v[136:137], v[138:139]
	v_add_f64 v[72:73], v[72:73], v[142:143]
	s_waitcnt vmcnt(0)
	v_add_f64 v[4:5], v[4:5], -v[8:9]
	v_add_f64 v[6:7], v[6:7], -v[72:73]
	scratch_store_dwordx4 off, v[4:7], off offset:384
	s_and_saveexec_b64 s[0:1], vcc
	s_cbranch_execz .LBB104_215
; %bb.214:
	scratch_load_dwordx4 v[6:9], off, s35
	v_mov_b32_e32 v3, v2
	v_mov_b32_e32 v4, v2
	;; [unrolled: 1-line block ×3, first 2 shown]
	v_accvgpr_read_b32 v0, a83
	scratch_store_dwordx4 off, v[2:5], off offset:368
	s_waitcnt vmcnt(1)
	ds_write_b128 v0, v[6:9]
.LBB104_215:
	s_or_b64 exec, exec, s[0:1]
	s_waitcnt lgkmcnt(0)
	; wave barrier
	ds_read_b128 v[16:19], v2 offset:1024
	ds_read_b128 v[12:15], v2 offset:1040
	;; [unrolled: 1-line block ×4, first 2 shown]
	scratch_load_dwordx4 v[20:23], off, off offset:384
	scratch_load_dwordx4 v[40:43], off, off offset:448
	;; [unrolled: 1-line block ×12, first 2 shown]
	v_cmp_lt_u32_e32 vcc, 21, v240
	scratch_load_dwordx4 v[48:51], off, off offset:464
	scratch_load_dwordx4 v[56:59], off, off offset:480
	;; [unrolled: 1-line block ×3, first 2 shown]
	s_waitcnt vmcnt(14) lgkmcnt(3)
	v_mul_f64 v[24:25], v[16:17], v[22:23]
	v_fmac_f64_e32 v[24:25], v[18:19], v[20:21]
	v_add_f64 v[28:29], v[24:25], 0
	scratch_load_dwordx4 v[24:27], off, off offset:400
	s_waitcnt vmcnt(0) lgkmcnt(2)
	v_mul_f64 v[30:31], v[12:13], v[26:27]
	v_fmac_f64_e32 v[30:31], v[14:15], v[24:25]
	v_add_f64 v[32:33], v[28:29], v[30:31]
	scratch_load_dwordx4 v[28:31], off, off offset:416
	v_mul_f64 v[14:15], v[14:15], v[26:27]
	v_fma_f64 v[12:13], v[12:13], v[24:25], -v[14:15]
	s_waitcnt vmcnt(0) lgkmcnt(1)
	v_mul_f64 v[34:35], v[8:9], v[30:31]
	v_fmac_f64_e32 v[34:35], v[10:11], v[28:29]
	v_add_f64 v[36:37], v[32:33], v[34:35]
	scratch_load_dwordx4 v[32:35], off, off offset:432
	v_mul_f64 v[10:11], v[10:11], v[30:31]
	v_fma_f64 v[8:9], v[8:9], v[28:29], -v[10:11]
	s_waitcnt vmcnt(0) lgkmcnt(0)
	v_mul_f64 v[38:39], v[4:5], v[34:35]
	v_fmac_f64_e32 v[38:39], v[6:7], v[32:33]
	v_add_f64 v[44:45], v[36:37], v[38:39]
	ds_read_b128 v[36:39], v2 offset:1088
	v_mul_f64 v[6:7], v[6:7], v[34:35]
	v_fma_f64 v[4:5], v[4:5], v[32:33], -v[6:7]
	s_waitcnt lgkmcnt(0)
	v_mul_f64 v[46:47], v[36:37], v[42:43]
	v_fmac_f64_e32 v[46:47], v[38:39], v[40:41]
	v_add_f64 v[52:53], v[44:45], v[46:47]
	ds_read_b128 v[44:47], v2 offset:1104
	s_waitcnt lgkmcnt(0)
	v_mul_f64 v[54:55], v[44:45], v[50:51]
	v_fmac_f64_e32 v[54:55], v[46:47], v[48:49]
	v_add_f64 v[60:61], v[52:53], v[54:55]
	ds_read_b128 v[52:55], v2 offset:1120
	s_waitcnt lgkmcnt(0)
	v_mul_f64 v[62:63], v[52:53], v[58:59]
	v_fmac_f64_e32 v[62:63], v[54:55], v[56:57]
	v_add_f64 v[68:69], v[60:61], v[62:63]
	ds_read_b128 v[60:63], v2 offset:1136
	s_waitcnt lgkmcnt(0)
	v_mul_f64 v[70:71], v[60:61], v[66:67]
	v_fmac_f64_e32 v[70:71], v[62:63], v[64:65]
	v_add_f64 v[76:77], v[68:69], v[70:71]
	ds_read_b128 v[68:71], v2 offset:1152
	s_waitcnt lgkmcnt(0)
	v_mul_f64 v[78:79], v[68:69], v[74:75]
	v_fmac_f64_e32 v[78:79], v[70:71], v[72:73]
	v_add_f64 v[80:81], v[76:77], v[78:79]
	ds_read_b128 v[76:79], v2 offset:1168
	s_waitcnt lgkmcnt(0)
	v_mul_f64 v[86:87], v[76:77], v[84:85]
	v_fmac_f64_e32 v[86:87], v[78:79], v[82:83]
	v_add_f64 v[80:81], v[80:81], v[86:87]
	ds_read_b128 v[86:89], v2 offset:1184
	s_waitcnt lgkmcnt(0)
	v_mul_f64 v[94:95], v[86:87], v[92:93]
	v_fmac_f64_e32 v[94:95], v[88:89], v[90:91]
	v_add_f64 v[80:81], v[80:81], v[94:95]
	ds_read_b128 v[94:97], v2 offset:1200
	s_waitcnt lgkmcnt(0)
	v_mul_f64 v[102:103], v[94:95], v[100:101]
	v_fmac_f64_e32 v[102:103], v[96:97], v[98:99]
	v_add_f64 v[80:81], v[80:81], v[102:103]
	ds_read_b128 v[102:105], v2 offset:1216
	s_waitcnt lgkmcnt(0)
	v_mul_f64 v[110:111], v[102:103], v[108:109]
	v_fmac_f64_e32 v[110:111], v[104:105], v[106:107]
	v_add_f64 v[80:81], v[80:81], v[110:111]
	ds_read_b128 v[110:113], v2 offset:1232
	s_waitcnt lgkmcnt(0)
	v_mul_f64 v[118:119], v[110:111], v[116:117]
	v_fmac_f64_e32 v[118:119], v[112:113], v[114:115]
	v_add_f64 v[80:81], v[80:81], v[118:119]
	ds_read_b128 v[118:121], v2 offset:1248
	s_waitcnt lgkmcnt(0)
	v_mul_f64 v[126:127], v[118:119], v[124:125]
	v_fmac_f64_e32 v[126:127], v[120:121], v[122:123]
	v_add_f64 v[80:81], v[80:81], v[126:127]
	ds_read_b128 v[126:129], v2 offset:1264
	s_waitcnt lgkmcnt(0)
	v_mul_f64 v[134:135], v[126:127], v[132:133]
	v_fmac_f64_e32 v[134:135], v[128:129], v[130:131]
	v_add_f64 v[80:81], v[80:81], v[134:135]
	ds_read_b128 v[134:137], v2 offset:1280
	s_waitcnt lgkmcnt(0)
	v_mul_f64 v[142:143], v[134:135], v[140:141]
	v_fmac_f64_e32 v[142:143], v[136:137], v[138:139]
	v_add_f64 v[80:81], v[80:81], v[142:143]
	ds_read_b128 v[142:145], v2 offset:1296
	s_waitcnt lgkmcnt(0)
	v_mul_f64 v[2:3], v[142:143], v[148:149]
	v_fmac_f64_e32 v[2:3], v[144:145], v[146:147]
	v_add_f64 v[80:81], v[80:81], v[2:3]
	v_mul_f64 v[2:3], v[18:19], v[22:23]
	v_fma_f64 v[2:3], v[16:17], v[20:21], -v[2:3]
	v_add_f64 v[2:3], v[2:3], 0
	v_add_f64 v[2:3], v[2:3], v[12:13]
	;; [unrolled: 1-line block ×4, first 2 shown]
	v_mul_f64 v[4:5], v[38:39], v[42:43]
	v_fma_f64 v[4:5], v[36:37], v[40:41], -v[4:5]
	v_add_f64 v[2:3], v[2:3], v[4:5]
	v_mul_f64 v[4:5], v[46:47], v[50:51]
	v_fma_f64 v[4:5], v[44:45], v[48:49], -v[4:5]
	v_add_f64 v[2:3], v[2:3], v[4:5]
	;; [unrolled: 3-line block ×14, first 2 shown]
	scratch_load_dwordx4 v[2:5], off, off offset:368
	s_waitcnt vmcnt(0)
	v_add_f64 v[2:3], v[2:3], -v[6:7]
	v_add_f64 v[4:5], v[4:5], -v[80:81]
	scratch_store_dwordx4 off, v[2:5], off offset:368
	s_and_saveexec_b64 s[0:1], vcc
	s_cbranch_execz .LBB104_217
; %bb.216:
	scratch_load_dwordx4 v[2:5], off, s36
	v_mov_b32_e32 v6, 0
	v_mov_b32_e32 v7, v6
	;; [unrolled: 1-line block ×4, first 2 shown]
	v_accvgpr_read_b32 v0, a83
	scratch_store_dwordx4 off, v[6:9], off offset:352
	s_waitcnt vmcnt(1)
	ds_write_b128 v0, v[2:5]
.LBB104_217:
	s_or_b64 exec, exec, s[0:1]
	v_mov_b32_e32 v2, 0
	s_waitcnt lgkmcnt(0)
	; wave barrier
	ds_read_b128 v[16:19], v2 offset:1008
	ds_read_b128 v[12:15], v2 offset:1024
	ds_read_b128 v[8:11], v2 offset:1040
	ds_read_b128 v[4:7], v2 offset:1056
	scratch_load_dwordx4 v[20:23], off, off offset:368
	scratch_load_dwordx4 v[40:43], off, off offset:432
	scratch_load_dwordx4 v[72:75], off, off offset:496
	scratch_load_dwordx4 v[80:83], off, off offset:512
	scratch_load_dwordx4 v[90:93], off, off offset:528
	scratch_load_dwordx4 v[98:101], off, off offset:544
	scratch_load_dwordx4 v[106:109], off, off offset:560
	scratch_load_dwordx4 v[114:117], off, off offset:576
	scratch_load_dwordx4 v[122:125], off, off offset:592
	scratch_load_dwordx4 v[130:133], off, off offset:608
	scratch_load_dwordx4 v[138:141], off, off offset:624
	scratch_load_dwordx4 v[146:149], off, off offset:640
	scratch_load_dwordx4 v[154:157], off, off offset:656
	v_cmp_lt_u32_e32 vcc, 20, v240
	scratch_load_dwordx4 v[48:51], off, off offset:448
	scratch_load_dwordx4 v[56:59], off, off offset:464
	;; [unrolled: 1-line block ×3, first 2 shown]
	s_waitcnt vmcnt(15) lgkmcnt(3)
	v_mul_f64 v[24:25], v[16:17], v[22:23]
	v_fmac_f64_e32 v[24:25], v[18:19], v[20:21]
	v_add_f64 v[28:29], v[24:25], 0
	scratch_load_dwordx4 v[24:27], off, off offset:384
	v_mul_f64 v[18:19], v[18:19], v[22:23]
	v_fma_f64 v[16:17], v[16:17], v[20:21], -v[18:19]
	v_add_f64 v[16:17], v[16:17], 0
	s_waitcnt vmcnt(0) lgkmcnt(2)
	v_mul_f64 v[30:31], v[12:13], v[26:27]
	v_fmac_f64_e32 v[30:31], v[14:15], v[24:25]
	v_add_f64 v[32:33], v[28:29], v[30:31]
	scratch_load_dwordx4 v[28:31], off, off offset:400
	v_mul_f64 v[14:15], v[14:15], v[26:27]
	v_fma_f64 v[12:13], v[12:13], v[24:25], -v[14:15]
	v_add_f64 v[12:13], v[16:17], v[12:13]
	;; [unrolled: 8-line block ×3, first 2 shown]
	s_waitcnt vmcnt(0) lgkmcnt(0)
	v_mul_f64 v[38:39], v[4:5], v[34:35]
	v_fmac_f64_e32 v[38:39], v[6:7], v[32:33]
	v_add_f64 v[44:45], v[36:37], v[38:39]
	ds_read_b128 v[36:39], v2 offset:1072
	v_mul_f64 v[6:7], v[6:7], v[34:35]
	v_fma_f64 v[4:5], v[4:5], v[32:33], -v[6:7]
	v_add_f64 v[4:5], v[8:9], v[4:5]
	s_waitcnt lgkmcnt(0)
	v_mul_f64 v[46:47], v[36:37], v[42:43]
	v_fmac_f64_e32 v[46:47], v[38:39], v[40:41]
	v_add_f64 v[52:53], v[44:45], v[46:47]
	ds_read_b128 v[44:47], v2 offset:1088
	v_mul_f64 v[6:7], v[38:39], v[42:43]
	v_fma_f64 v[6:7], v[36:37], v[40:41], -v[6:7]
	v_add_f64 v[4:5], v[4:5], v[6:7]
	s_waitcnt lgkmcnt(0)
	;; [unrolled: 8-line block ×15, first 2 shown]
	v_mul_f64 v[6:7], v[152:153], v[156:157]
	v_fma_f64 v[6:7], v[150:151], v[154:155], -v[6:7]
	v_add_f64 v[8:9], v[4:5], v[6:7]
	scratch_load_dwordx4 v[4:7], off, off offset:352
	v_mul_f64 v[158:159], v[150:151], v[156:157]
	v_fmac_f64_e32 v[158:159], v[152:153], v[154:155]
	v_add_f64 v[88:89], v[88:89], v[158:159]
	s_waitcnt vmcnt(0)
	v_add_f64 v[4:5], v[4:5], -v[8:9]
	v_add_f64 v[6:7], v[6:7], -v[88:89]
	scratch_store_dwordx4 off, v[4:7], off offset:352
	s_and_saveexec_b64 s[0:1], vcc
	s_cbranch_execz .LBB104_219
; %bb.218:
	scratch_load_dwordx4 v[6:9], off, s37
	v_mov_b32_e32 v3, v2
	v_mov_b32_e32 v4, v2
	;; [unrolled: 1-line block ×3, first 2 shown]
	v_accvgpr_read_b32 v0, a83
	scratch_store_dwordx4 off, v[2:5], off offset:336
	s_waitcnt vmcnt(1)
	ds_write_b128 v0, v[6:9]
.LBB104_219:
	s_or_b64 exec, exec, s[0:1]
	s_waitcnt lgkmcnt(0)
	; wave barrier
	ds_read_b128 v[16:19], v2 offset:992
	ds_read_b128 v[12:15], v2 offset:1008
	;; [unrolled: 1-line block ×4, first 2 shown]
	scratch_load_dwordx4 v[20:23], off, off offset:352
	scratch_load_dwordx4 v[40:43], off, off offset:416
	scratch_load_dwordx4 v[72:75], off, off offset:480
	scratch_load_dwordx4 v[80:83], off, off offset:496
	scratch_load_dwordx4 v[88:91], off, off offset:512
	scratch_load_dwordx4 v[98:101], off, off offset:528
	scratch_load_dwordx4 v[106:109], off, off offset:544
	scratch_load_dwordx4 v[114:117], off, off offset:560
	scratch_load_dwordx4 v[122:125], off, off offset:576
	scratch_load_dwordx4 v[130:133], off, off offset:592
	scratch_load_dwordx4 v[138:141], off, off offset:608
	scratch_load_dwordx4 v[146:149], off, off offset:624
	scratch_load_dwordx4 v[154:157], off, off offset:640
	scratch_load_dwordx4 v[162:165], off, off offset:656
	v_cmp_lt_u32_e32 vcc, 19, v240
	scratch_load_dwordx4 v[48:51], off, off offset:432
	scratch_load_dwordx4 v[56:59], off, off offset:448
	;; [unrolled: 1-line block ×3, first 2 shown]
	s_waitcnt vmcnt(16) lgkmcnt(3)
	v_mul_f64 v[24:25], v[16:17], v[22:23]
	v_fmac_f64_e32 v[24:25], v[18:19], v[20:21]
	v_add_f64 v[28:29], v[24:25], 0
	scratch_load_dwordx4 v[24:27], off, off offset:368
	s_waitcnt vmcnt(0) lgkmcnt(2)
	v_mul_f64 v[30:31], v[12:13], v[26:27]
	v_fmac_f64_e32 v[30:31], v[14:15], v[24:25]
	v_add_f64 v[32:33], v[28:29], v[30:31]
	scratch_load_dwordx4 v[28:31], off, off offset:384
	v_mul_f64 v[14:15], v[14:15], v[26:27]
	v_fma_f64 v[12:13], v[12:13], v[24:25], -v[14:15]
	s_waitcnt vmcnt(0) lgkmcnt(1)
	v_mul_f64 v[34:35], v[8:9], v[30:31]
	v_fmac_f64_e32 v[34:35], v[10:11], v[28:29]
	v_add_f64 v[36:37], v[32:33], v[34:35]
	scratch_load_dwordx4 v[32:35], off, off offset:400
	v_mul_f64 v[10:11], v[10:11], v[30:31]
	v_fma_f64 v[8:9], v[8:9], v[28:29], -v[10:11]
	s_waitcnt vmcnt(0) lgkmcnt(0)
	v_mul_f64 v[38:39], v[4:5], v[34:35]
	v_fmac_f64_e32 v[38:39], v[6:7], v[32:33]
	v_add_f64 v[44:45], v[36:37], v[38:39]
	ds_read_b128 v[36:39], v2 offset:1056
	v_mul_f64 v[6:7], v[6:7], v[34:35]
	v_fma_f64 v[4:5], v[4:5], v[32:33], -v[6:7]
	s_waitcnt lgkmcnt(0)
	v_mul_f64 v[46:47], v[36:37], v[42:43]
	v_fmac_f64_e32 v[46:47], v[38:39], v[40:41]
	v_add_f64 v[52:53], v[44:45], v[46:47]
	ds_read_b128 v[44:47], v2 offset:1072
	s_waitcnt lgkmcnt(0)
	v_mul_f64 v[54:55], v[44:45], v[50:51]
	v_fmac_f64_e32 v[54:55], v[46:47], v[48:49]
	v_add_f64 v[60:61], v[52:53], v[54:55]
	ds_read_b128 v[52:55], v2 offset:1088
	;; [unrolled: 5-line block ×15, first 2 shown]
	s_waitcnt lgkmcnt(0)
	v_mul_f64 v[2:3], v[158:159], v[164:165]
	v_fmac_f64_e32 v[2:3], v[160:161], v[162:163]
	v_add_f64 v[96:97], v[96:97], v[2:3]
	v_mul_f64 v[2:3], v[18:19], v[22:23]
	v_fma_f64 v[2:3], v[16:17], v[20:21], -v[2:3]
	v_add_f64 v[2:3], v[2:3], 0
	v_add_f64 v[2:3], v[2:3], v[12:13]
	v_add_f64 v[2:3], v[2:3], v[8:9]
	v_add_f64 v[2:3], v[2:3], v[4:5]
	v_mul_f64 v[4:5], v[38:39], v[42:43]
	v_fma_f64 v[4:5], v[36:37], v[40:41], -v[4:5]
	v_add_f64 v[2:3], v[2:3], v[4:5]
	v_mul_f64 v[4:5], v[46:47], v[50:51]
	v_fma_f64 v[4:5], v[44:45], v[48:49], -v[4:5]
	v_add_f64 v[2:3], v[2:3], v[4:5]
	;; [unrolled: 3-line block ×16, first 2 shown]
	scratch_load_dwordx4 v[2:5], off, off offset:336
	s_waitcnt vmcnt(0)
	v_add_f64 v[2:3], v[2:3], -v[6:7]
	v_add_f64 v[4:5], v[4:5], -v[96:97]
	scratch_store_dwordx4 off, v[2:5], off offset:336
	s_and_saveexec_b64 s[0:1], vcc
	s_cbranch_execz .LBB104_221
; %bb.220:
	scratch_load_dwordx4 v[2:5], off, s38
	v_mov_b32_e32 v6, 0
	v_mov_b32_e32 v7, v6
	;; [unrolled: 1-line block ×4, first 2 shown]
	v_accvgpr_read_b32 v0, a83
	scratch_store_dwordx4 off, v[6:9], off offset:320
	s_waitcnt vmcnt(1)
	ds_write_b128 v0, v[2:5]
.LBB104_221:
	s_or_b64 exec, exec, s[0:1]
	v_mov_b32_e32 v2, 0
	s_waitcnt lgkmcnt(0)
	; wave barrier
	ds_read_b128 v[16:19], v2 offset:976
	ds_read_b128 v[12:15], v2 offset:992
	;; [unrolled: 1-line block ×4, first 2 shown]
	scratch_load_dwordx4 v[20:23], off, off offset:336
	scratch_load_dwordx4 v[40:43], off, off offset:400
	;; [unrolled: 1-line block ×15, first 2 shown]
	v_cmp_lt_u32_e32 vcc, 18, v240
	scratch_load_dwordx4 v[48:51], off, off offset:416
	scratch_load_dwordx4 v[56:59], off, off offset:432
	;; [unrolled: 1-line block ×3, first 2 shown]
	s_waitcnt vmcnt(17) lgkmcnt(3)
	v_mul_f64 v[24:25], v[16:17], v[22:23]
	v_fmac_f64_e32 v[24:25], v[18:19], v[20:21]
	v_add_f64 v[28:29], v[24:25], 0
	scratch_load_dwordx4 v[24:27], off, off offset:352
	v_mul_f64 v[18:19], v[18:19], v[22:23]
	v_fma_f64 v[16:17], v[16:17], v[20:21], -v[18:19]
	v_add_f64 v[16:17], v[16:17], 0
	s_waitcnt vmcnt(0) lgkmcnt(2)
	v_mul_f64 v[30:31], v[12:13], v[26:27]
	v_fmac_f64_e32 v[30:31], v[14:15], v[24:25]
	v_add_f64 v[32:33], v[28:29], v[30:31]
	scratch_load_dwordx4 v[28:31], off, off offset:368
	v_mul_f64 v[14:15], v[14:15], v[26:27]
	v_fma_f64 v[12:13], v[12:13], v[24:25], -v[14:15]
	v_add_f64 v[12:13], v[16:17], v[12:13]
	;; [unrolled: 8-line block ×3, first 2 shown]
	s_waitcnt vmcnt(0) lgkmcnt(0)
	v_mul_f64 v[38:39], v[4:5], v[34:35]
	v_fmac_f64_e32 v[38:39], v[6:7], v[32:33]
	v_add_f64 v[44:45], v[36:37], v[38:39]
	ds_read_b128 v[36:39], v2 offset:1040
	v_mul_f64 v[6:7], v[6:7], v[34:35]
	v_fma_f64 v[4:5], v[4:5], v[32:33], -v[6:7]
	v_add_f64 v[4:5], v[8:9], v[4:5]
	s_waitcnt lgkmcnt(0)
	v_mul_f64 v[46:47], v[36:37], v[42:43]
	v_fmac_f64_e32 v[46:47], v[38:39], v[40:41]
	v_add_f64 v[52:53], v[44:45], v[46:47]
	ds_read_b128 v[44:47], v2 offset:1056
	v_mul_f64 v[6:7], v[38:39], v[42:43]
	v_fma_f64 v[6:7], v[36:37], v[40:41], -v[6:7]
	v_add_f64 v[4:5], v[4:5], v[6:7]
	s_waitcnt lgkmcnt(0)
	;; [unrolled: 8-line block ×17, first 2 shown]
	v_mul_f64 v[6:7], v[168:169], v[172:173]
	v_fma_f64 v[6:7], v[166:167], v[170:171], -v[6:7]
	v_add_f64 v[8:9], v[4:5], v[6:7]
	scratch_load_dwordx4 v[4:7], off, off offset:320
	v_mul_f64 v[174:175], v[166:167], v[172:173]
	v_fmac_f64_e32 v[174:175], v[168:169], v[170:171]
	v_add_f64 v[104:105], v[104:105], v[174:175]
	s_waitcnt vmcnt(0)
	v_add_f64 v[4:5], v[4:5], -v[8:9]
	v_add_f64 v[6:7], v[6:7], -v[104:105]
	scratch_store_dwordx4 off, v[4:7], off offset:320
	s_and_saveexec_b64 s[0:1], vcc
	s_cbranch_execz .LBB104_223
; %bb.222:
	scratch_load_dwordx4 v[6:9], off, s39
	v_mov_b32_e32 v3, v2
	v_mov_b32_e32 v4, v2
	;; [unrolled: 1-line block ×3, first 2 shown]
	v_accvgpr_read_b32 v0, a83
	scratch_store_dwordx4 off, v[2:5], off offset:304
	s_waitcnt vmcnt(1)
	ds_write_b128 v0, v[6:9]
.LBB104_223:
	s_or_b64 exec, exec, s[0:1]
	s_waitcnt lgkmcnt(0)
	; wave barrier
	ds_read_b128 v[16:19], v2 offset:960
	ds_read_b128 v[12:15], v2 offset:976
	;; [unrolled: 1-line block ×4, first 2 shown]
	scratch_load_dwordx4 v[20:23], off, off offset:320
	scratch_load_dwordx4 v[40:43], off, off offset:384
	;; [unrolled: 1-line block ×16, first 2 shown]
	v_cmp_lt_u32_e32 vcc, 17, v240
	scratch_load_dwordx4 v[48:51], off, off offset:400
	scratch_load_dwordx4 v[56:59], off, off offset:416
	;; [unrolled: 1-line block ×3, first 2 shown]
	s_waitcnt vmcnt(18) lgkmcnt(3)
	v_mul_f64 v[24:25], v[16:17], v[22:23]
	v_fmac_f64_e32 v[24:25], v[18:19], v[20:21]
	v_add_f64 v[28:29], v[24:25], 0
	scratch_load_dwordx4 v[24:27], off, off offset:336
	s_waitcnt vmcnt(0) lgkmcnt(2)
	v_mul_f64 v[30:31], v[12:13], v[26:27]
	v_fmac_f64_e32 v[30:31], v[14:15], v[24:25]
	v_add_f64 v[32:33], v[28:29], v[30:31]
	scratch_load_dwordx4 v[28:31], off, off offset:352
	v_mul_f64 v[14:15], v[14:15], v[26:27]
	v_fma_f64 v[12:13], v[12:13], v[24:25], -v[14:15]
	s_waitcnt vmcnt(0) lgkmcnt(1)
	v_mul_f64 v[34:35], v[8:9], v[30:31]
	v_fmac_f64_e32 v[34:35], v[10:11], v[28:29]
	v_add_f64 v[36:37], v[32:33], v[34:35]
	scratch_load_dwordx4 v[32:35], off, off offset:368
	v_mul_f64 v[10:11], v[10:11], v[30:31]
	v_fma_f64 v[8:9], v[8:9], v[28:29], -v[10:11]
	s_waitcnt vmcnt(0) lgkmcnt(0)
	v_mul_f64 v[38:39], v[4:5], v[34:35]
	v_fmac_f64_e32 v[38:39], v[6:7], v[32:33]
	v_add_f64 v[44:45], v[36:37], v[38:39]
	ds_read_b128 v[36:39], v2 offset:1024
	v_mul_f64 v[6:7], v[6:7], v[34:35]
	v_fma_f64 v[4:5], v[4:5], v[32:33], -v[6:7]
	s_waitcnt lgkmcnt(0)
	v_mul_f64 v[46:47], v[36:37], v[42:43]
	v_fmac_f64_e32 v[46:47], v[38:39], v[40:41]
	v_add_f64 v[52:53], v[44:45], v[46:47]
	ds_read_b128 v[44:47], v2 offset:1040
	s_waitcnt lgkmcnt(0)
	v_mul_f64 v[54:55], v[44:45], v[50:51]
	v_fmac_f64_e32 v[54:55], v[46:47], v[48:49]
	v_add_f64 v[60:61], v[52:53], v[54:55]
	ds_read_b128 v[52:55], v2 offset:1056
	s_waitcnt lgkmcnt(0)
	v_mul_f64 v[62:63], v[52:53], v[58:59]
	v_fmac_f64_e32 v[62:63], v[54:55], v[56:57]
	v_add_f64 v[68:69], v[60:61], v[62:63]
	ds_read_b128 v[60:63], v2 offset:1072
	s_waitcnt lgkmcnt(0)
	v_mul_f64 v[70:71], v[60:61], v[66:67]
	v_fmac_f64_e32 v[70:71], v[62:63], v[64:65]
	v_add_f64 v[76:77], v[68:69], v[70:71]
	ds_read_b128 v[68:71], v2 offset:1088
	s_waitcnt lgkmcnt(0)
	v_mul_f64 v[78:79], v[68:69], v[74:75]
	v_fmac_f64_e32 v[78:79], v[70:71], v[72:73]
	v_add_f64 v[84:85], v[76:77], v[78:79]
	ds_read_b128 v[76:79], v2 offset:1104
	s_waitcnt lgkmcnt(0)
	v_mul_f64 v[86:87], v[76:77], v[82:83]
	v_fmac_f64_e32 v[86:87], v[78:79], v[80:81]
	v_add_f64 v[92:93], v[84:85], v[86:87]
	ds_read_b128 v[84:87], v2 offset:1120
	s_waitcnt lgkmcnt(0)
	v_mul_f64 v[94:95], v[84:85], v[90:91]
	v_fmac_f64_e32 v[94:95], v[86:87], v[88:89]
	v_add_f64 v[100:101], v[92:93], v[94:95]
	ds_read_b128 v[92:95], v2 offset:1136
	s_waitcnt lgkmcnt(0)
	v_mul_f64 v[102:103], v[92:93], v[98:99]
	v_fmac_f64_e32 v[102:103], v[94:95], v[96:97]
	v_add_f64 v[108:109], v[100:101], v[102:103]
	ds_read_b128 v[100:103], v2 offset:1152
	s_waitcnt lgkmcnt(0)
	v_mul_f64 v[110:111], v[100:101], v[106:107]
	v_fmac_f64_e32 v[110:111], v[102:103], v[104:105]
	v_add_f64 v[116:117], v[108:109], v[110:111]
	ds_read_b128 v[108:111], v2 offset:1168
	s_waitcnt lgkmcnt(0)
	v_mul_f64 v[118:119], v[108:109], v[114:115]
	v_fmac_f64_e32 v[118:119], v[110:111], v[112:113]
	v_add_f64 v[120:121], v[116:117], v[118:119]
	ds_read_b128 v[116:119], v2 offset:1184
	s_waitcnt lgkmcnt(0)
	v_mul_f64 v[126:127], v[116:117], v[124:125]
	v_fmac_f64_e32 v[126:127], v[118:119], v[122:123]
	v_add_f64 v[120:121], v[120:121], v[126:127]
	ds_read_b128 v[126:129], v2 offset:1200
	s_waitcnt lgkmcnt(0)
	v_mul_f64 v[134:135], v[126:127], v[132:133]
	v_fmac_f64_e32 v[134:135], v[128:129], v[130:131]
	v_add_f64 v[120:121], v[120:121], v[134:135]
	ds_read_b128 v[134:137], v2 offset:1216
	s_waitcnt lgkmcnt(0)
	v_mul_f64 v[142:143], v[134:135], v[140:141]
	v_fmac_f64_e32 v[142:143], v[136:137], v[138:139]
	v_add_f64 v[120:121], v[120:121], v[142:143]
	ds_read_b128 v[142:145], v2 offset:1232
	s_waitcnt lgkmcnt(0)
	v_mul_f64 v[150:151], v[142:143], v[148:149]
	v_fmac_f64_e32 v[150:151], v[144:145], v[146:147]
	v_add_f64 v[120:121], v[120:121], v[150:151]
	ds_read_b128 v[150:153], v2 offset:1248
	s_waitcnt lgkmcnt(0)
	v_mul_f64 v[158:159], v[150:151], v[156:157]
	v_fmac_f64_e32 v[158:159], v[152:153], v[154:155]
	v_add_f64 v[120:121], v[120:121], v[158:159]
	ds_read_b128 v[158:161], v2 offset:1264
	s_waitcnt lgkmcnt(0)
	v_mul_f64 v[166:167], v[158:159], v[164:165]
	v_fmac_f64_e32 v[166:167], v[160:161], v[162:163]
	v_add_f64 v[120:121], v[120:121], v[166:167]
	ds_read_b128 v[166:169], v2 offset:1280
	s_waitcnt lgkmcnt(0)
	v_mul_f64 v[174:175], v[166:167], v[172:173]
	v_fmac_f64_e32 v[174:175], v[168:169], v[170:171]
	v_add_f64 v[120:121], v[120:121], v[174:175]
	ds_read_b128 v[174:177], v2 offset:1296
	s_waitcnt lgkmcnt(0)
	v_mul_f64 v[2:3], v[174:175], v[180:181]
	v_fmac_f64_e32 v[2:3], v[176:177], v[178:179]
	v_add_f64 v[120:121], v[120:121], v[2:3]
	v_mul_f64 v[2:3], v[18:19], v[22:23]
	v_fma_f64 v[2:3], v[16:17], v[20:21], -v[2:3]
	v_add_f64 v[2:3], v[2:3], 0
	v_add_f64 v[2:3], v[2:3], v[12:13]
	;; [unrolled: 1-line block ×4, first 2 shown]
	v_mul_f64 v[4:5], v[38:39], v[42:43]
	v_fma_f64 v[4:5], v[36:37], v[40:41], -v[4:5]
	v_add_f64 v[2:3], v[2:3], v[4:5]
	v_mul_f64 v[4:5], v[46:47], v[50:51]
	v_fma_f64 v[4:5], v[44:45], v[48:49], -v[4:5]
	v_add_f64 v[2:3], v[2:3], v[4:5]
	;; [unrolled: 3-line block ×18, first 2 shown]
	scratch_load_dwordx4 v[2:5], off, off offset:304
	s_waitcnt vmcnt(0)
	v_add_f64 v[2:3], v[2:3], -v[6:7]
	v_add_f64 v[4:5], v[4:5], -v[120:121]
	scratch_store_dwordx4 off, v[2:5], off offset:304
	s_and_saveexec_b64 s[0:1], vcc
	s_cbranch_execz .LBB104_225
; %bb.224:
	scratch_load_dwordx4 v[2:5], off, s40
	v_mov_b32_e32 v6, 0
	v_mov_b32_e32 v7, v6
	;; [unrolled: 1-line block ×4, first 2 shown]
	v_accvgpr_read_b32 v0, a83
	scratch_store_dwordx4 off, v[6:9], off offset:288
	s_waitcnt vmcnt(1)
	ds_write_b128 v0, v[2:5]
.LBB104_225:
	s_or_b64 exec, exec, s[0:1]
	v_mov_b32_e32 v2, 0
	s_waitcnt lgkmcnt(0)
	; wave barrier
	ds_read_b128 v[16:19], v2 offset:944
	ds_read_b128 v[12:15], v2 offset:960
	;; [unrolled: 1-line block ×4, first 2 shown]
	scratch_load_dwordx4 v[20:23], off, off offset:304
	scratch_load_dwordx4 v[40:43], off, off offset:368
	;; [unrolled: 1-line block ×17, first 2 shown]
	v_cmp_lt_u32_e32 vcc, 16, v240
	scratch_load_dwordx4 v[48:51], off, off offset:384
	scratch_load_dwordx4 v[56:59], off, off offset:400
	;; [unrolled: 1-line block ×3, first 2 shown]
	s_waitcnt vmcnt(19) lgkmcnt(3)
	v_mul_f64 v[24:25], v[16:17], v[22:23]
	v_fmac_f64_e32 v[24:25], v[18:19], v[20:21]
	v_add_f64 v[28:29], v[24:25], 0
	scratch_load_dwordx4 v[24:27], off, off offset:320
	v_mul_f64 v[18:19], v[18:19], v[22:23]
	v_fma_f64 v[16:17], v[16:17], v[20:21], -v[18:19]
	v_add_f64 v[16:17], v[16:17], 0
	s_waitcnt vmcnt(0) lgkmcnt(2)
	v_mul_f64 v[30:31], v[12:13], v[26:27]
	v_fmac_f64_e32 v[30:31], v[14:15], v[24:25]
	v_add_f64 v[32:33], v[28:29], v[30:31]
	scratch_load_dwordx4 v[28:31], off, off offset:336
	v_mul_f64 v[14:15], v[14:15], v[26:27]
	v_fma_f64 v[12:13], v[12:13], v[24:25], -v[14:15]
	v_add_f64 v[12:13], v[16:17], v[12:13]
	;; [unrolled: 8-line block ×3, first 2 shown]
	s_waitcnt vmcnt(0) lgkmcnt(0)
	v_mul_f64 v[38:39], v[4:5], v[34:35]
	v_fmac_f64_e32 v[38:39], v[6:7], v[32:33]
	v_add_f64 v[44:45], v[36:37], v[38:39]
	ds_read_b128 v[36:39], v2 offset:1008
	v_mul_f64 v[6:7], v[6:7], v[34:35]
	v_fma_f64 v[4:5], v[4:5], v[32:33], -v[6:7]
	v_add_f64 v[4:5], v[8:9], v[4:5]
	s_waitcnt lgkmcnt(0)
	v_mul_f64 v[46:47], v[36:37], v[42:43]
	v_fmac_f64_e32 v[46:47], v[38:39], v[40:41]
	v_add_f64 v[52:53], v[44:45], v[46:47]
	ds_read_b128 v[44:47], v2 offset:1024
	v_mul_f64 v[6:7], v[38:39], v[42:43]
	v_fma_f64 v[6:7], v[36:37], v[40:41], -v[6:7]
	v_add_f64 v[4:5], v[4:5], v[6:7]
	s_waitcnt lgkmcnt(0)
	;; [unrolled: 8-line block ×19, first 2 shown]
	v_mul_f64 v[6:7], v[184:185], v[188:189]
	v_fma_f64 v[6:7], v[182:183], v[186:187], -v[6:7]
	v_add_f64 v[8:9], v[4:5], v[6:7]
	scratch_load_dwordx4 v[4:7], off, off offset:288
	v_mul_f64 v[190:191], v[182:183], v[188:189]
	v_fmac_f64_e32 v[190:191], v[184:185], v[186:187]
	v_add_f64 v[128:129], v[128:129], v[190:191]
	s_waitcnt vmcnt(0)
	v_add_f64 v[4:5], v[4:5], -v[8:9]
	v_add_f64 v[6:7], v[6:7], -v[128:129]
	scratch_store_dwordx4 off, v[4:7], off offset:288
	s_and_saveexec_b64 s[0:1], vcc
	s_cbranch_execz .LBB104_227
; %bb.226:
	scratch_load_dwordx4 v[6:9], off, s41
	v_mov_b32_e32 v3, v2
	v_mov_b32_e32 v4, v2
	;; [unrolled: 1-line block ×3, first 2 shown]
	v_accvgpr_read_b32 v0, a83
	scratch_store_dwordx4 off, v[2:5], off offset:272
	s_waitcnt vmcnt(1)
	ds_write_b128 v0, v[6:9]
.LBB104_227:
	s_or_b64 exec, exec, s[0:1]
	s_waitcnt lgkmcnt(0)
	; wave barrier
	ds_read_b128 v[16:19], v2 offset:928
	ds_read_b128 v[12:15], v2 offset:944
	;; [unrolled: 1-line block ×4, first 2 shown]
	scratch_load_dwordx4 v[20:23], off, off offset:288
	scratch_load_dwordx4 v[40:43], off, off offset:352
	;; [unrolled: 1-line block ×18, first 2 shown]
	v_cmp_lt_u32_e32 vcc, 15, v240
	scratch_load_dwordx4 v[48:51], off, off offset:368
	scratch_load_dwordx4 v[56:59], off, off offset:384
	;; [unrolled: 1-line block ×3, first 2 shown]
	s_waitcnt vmcnt(20) lgkmcnt(3)
	v_mul_f64 v[24:25], v[16:17], v[22:23]
	v_fmac_f64_e32 v[24:25], v[18:19], v[20:21]
	v_add_f64 v[28:29], v[24:25], 0
	scratch_load_dwordx4 v[24:27], off, off offset:304
	s_waitcnt vmcnt(0) lgkmcnt(2)
	v_mul_f64 v[30:31], v[12:13], v[26:27]
	v_fmac_f64_e32 v[30:31], v[14:15], v[24:25]
	v_add_f64 v[32:33], v[28:29], v[30:31]
	scratch_load_dwordx4 v[28:31], off, off offset:320
	v_mul_f64 v[14:15], v[14:15], v[26:27]
	v_fma_f64 v[12:13], v[12:13], v[24:25], -v[14:15]
	s_waitcnt vmcnt(0) lgkmcnt(1)
	v_mul_f64 v[34:35], v[8:9], v[30:31]
	v_fmac_f64_e32 v[34:35], v[10:11], v[28:29]
	v_add_f64 v[36:37], v[32:33], v[34:35]
	scratch_load_dwordx4 v[32:35], off, off offset:336
	v_mul_f64 v[10:11], v[10:11], v[30:31]
	v_fma_f64 v[8:9], v[8:9], v[28:29], -v[10:11]
	s_waitcnt vmcnt(0) lgkmcnt(0)
	v_mul_f64 v[38:39], v[4:5], v[34:35]
	v_fmac_f64_e32 v[38:39], v[6:7], v[32:33]
	v_add_f64 v[44:45], v[36:37], v[38:39]
	ds_read_b128 v[36:39], v2 offset:992
	v_mul_f64 v[6:7], v[6:7], v[34:35]
	v_fma_f64 v[4:5], v[4:5], v[32:33], -v[6:7]
	s_waitcnt lgkmcnt(0)
	v_mul_f64 v[46:47], v[36:37], v[42:43]
	v_fmac_f64_e32 v[46:47], v[38:39], v[40:41]
	v_add_f64 v[52:53], v[44:45], v[46:47]
	ds_read_b128 v[44:47], v2 offset:1008
	s_waitcnt lgkmcnt(0)
	v_mul_f64 v[54:55], v[44:45], v[50:51]
	v_fmac_f64_e32 v[54:55], v[46:47], v[48:49]
	v_add_f64 v[60:61], v[52:53], v[54:55]
	ds_read_b128 v[52:55], v2 offset:1024
	;; [unrolled: 5-line block ×19, first 2 shown]
	s_waitcnt lgkmcnt(0)
	v_mul_f64 v[2:3], v[190:191], v[196:197]
	v_fmac_f64_e32 v[2:3], v[192:193], v[194:195]
	v_add_f64 v[148:149], v[148:149], v[2:3]
	v_mul_f64 v[2:3], v[18:19], v[22:23]
	v_fma_f64 v[2:3], v[16:17], v[20:21], -v[2:3]
	v_add_f64 v[2:3], v[2:3], 0
	v_add_f64 v[2:3], v[2:3], v[12:13]
	v_add_f64 v[2:3], v[2:3], v[8:9]
	v_add_f64 v[2:3], v[2:3], v[4:5]
	v_mul_f64 v[4:5], v[38:39], v[42:43]
	v_fma_f64 v[4:5], v[36:37], v[40:41], -v[4:5]
	v_add_f64 v[2:3], v[2:3], v[4:5]
	v_mul_f64 v[4:5], v[46:47], v[50:51]
	v_fma_f64 v[4:5], v[44:45], v[48:49], -v[4:5]
	v_add_f64 v[2:3], v[2:3], v[4:5]
	;; [unrolled: 3-line block ×20, first 2 shown]
	scratch_load_dwordx4 v[2:5], off, off offset:272
	s_waitcnt vmcnt(0)
	v_add_f64 v[2:3], v[2:3], -v[6:7]
	v_add_f64 v[4:5], v[4:5], -v[148:149]
	scratch_store_dwordx4 off, v[2:5], off offset:272
	s_and_saveexec_b64 s[0:1], vcc
	s_cbranch_execz .LBB104_229
; %bb.228:
	scratch_load_dwordx4 v[2:5], off, s42
	v_mov_b32_e32 v6, 0
	v_mov_b32_e32 v7, v6
	;; [unrolled: 1-line block ×4, first 2 shown]
	v_accvgpr_read_b32 v0, a83
	scratch_store_dwordx4 off, v[6:9], off offset:256
	s_waitcnt vmcnt(1)
	ds_write_b128 v0, v[2:5]
.LBB104_229:
	s_or_b64 exec, exec, s[0:1]
	v_mov_b32_e32 v2, 0
	s_waitcnt lgkmcnt(0)
	; wave barrier
	ds_read_b128 v[16:19], v2 offset:912
	ds_read_b128 v[12:15], v2 offset:928
	;; [unrolled: 1-line block ×4, first 2 shown]
	scratch_load_dwordx4 v[20:23], off, off offset:272
	scratch_load_dwordx4 v[40:43], off, off offset:336
	;; [unrolled: 1-line block ×19, first 2 shown]
	v_cmp_lt_u32_e32 vcc, 14, v240
	scratch_load_dwordx4 v[48:51], off, off offset:352
	scratch_load_dwordx4 v[56:59], off, off offset:368
	;; [unrolled: 1-line block ×3, first 2 shown]
	s_waitcnt vmcnt(21) lgkmcnt(3)
	v_mul_f64 v[24:25], v[16:17], v[22:23]
	v_fmac_f64_e32 v[24:25], v[18:19], v[20:21]
	v_add_f64 v[28:29], v[24:25], 0
	scratch_load_dwordx4 v[24:27], off, off offset:288
	v_mul_f64 v[18:19], v[18:19], v[22:23]
	v_fma_f64 v[16:17], v[16:17], v[20:21], -v[18:19]
	v_add_f64 v[16:17], v[16:17], 0
	s_waitcnt vmcnt(0) lgkmcnt(2)
	v_mul_f64 v[30:31], v[12:13], v[26:27]
	v_fmac_f64_e32 v[30:31], v[14:15], v[24:25]
	v_add_f64 v[32:33], v[28:29], v[30:31]
	scratch_load_dwordx4 v[28:31], off, off offset:304
	v_mul_f64 v[14:15], v[14:15], v[26:27]
	v_fma_f64 v[12:13], v[12:13], v[24:25], -v[14:15]
	v_add_f64 v[12:13], v[16:17], v[12:13]
	;; [unrolled: 8-line block ×3, first 2 shown]
	s_waitcnt vmcnt(0) lgkmcnt(0)
	v_mul_f64 v[38:39], v[4:5], v[34:35]
	v_fmac_f64_e32 v[38:39], v[6:7], v[32:33]
	v_add_f64 v[44:45], v[36:37], v[38:39]
	ds_read_b128 v[36:39], v2 offset:976
	v_mul_f64 v[6:7], v[6:7], v[34:35]
	v_fma_f64 v[4:5], v[4:5], v[32:33], -v[6:7]
	v_add_f64 v[4:5], v[8:9], v[4:5]
	s_waitcnt lgkmcnt(0)
	v_mul_f64 v[46:47], v[36:37], v[42:43]
	v_fmac_f64_e32 v[46:47], v[38:39], v[40:41]
	v_add_f64 v[52:53], v[44:45], v[46:47]
	ds_read_b128 v[44:47], v2 offset:992
	v_mul_f64 v[6:7], v[38:39], v[42:43]
	v_fma_f64 v[6:7], v[36:37], v[40:41], -v[6:7]
	v_add_f64 v[4:5], v[4:5], v[6:7]
	s_waitcnt lgkmcnt(0)
	;; [unrolled: 8-line block ×21, first 2 shown]
	v_mul_f64 v[6:7], v[200:201], v[204:205]
	v_fma_f64 v[6:7], v[198:199], v[202:203], -v[6:7]
	v_add_f64 v[8:9], v[4:5], v[6:7]
	scratch_load_dwordx4 v[4:7], off, off offset:256
	v_mul_f64 v[206:207], v[198:199], v[204:205]
	v_fmac_f64_e32 v[206:207], v[200:201], v[202:203]
	v_add_f64 v[144:145], v[144:145], v[206:207]
	s_waitcnt vmcnt(0)
	v_add_f64 v[4:5], v[4:5], -v[8:9]
	v_add_f64 v[6:7], v[6:7], -v[144:145]
	scratch_store_dwordx4 off, v[4:7], off offset:256
	s_and_saveexec_b64 s[0:1], vcc
	s_cbranch_execz .LBB104_231
; %bb.230:
	scratch_load_dwordx4 v[6:9], off, s43
	v_mov_b32_e32 v3, v2
	v_mov_b32_e32 v4, v2
	;; [unrolled: 1-line block ×3, first 2 shown]
	v_accvgpr_read_b32 v0, a83
	scratch_store_dwordx4 off, v[2:5], off offset:240
	s_waitcnt vmcnt(1)
	ds_write_b128 v0, v[6:9]
.LBB104_231:
	s_or_b64 exec, exec, s[0:1]
	s_waitcnt lgkmcnt(0)
	; wave barrier
	ds_read_b128 v[16:19], v2 offset:896
	ds_read_b128 v[12:15], v2 offset:912
	;; [unrolled: 1-line block ×4, first 2 shown]
	scratch_load_dwordx4 v[20:23], off, off offset:256
	scratch_load_dwordx4 v[40:43], off, off offset:320
	;; [unrolled: 1-line block ×20, first 2 shown]
	v_cmp_lt_u32_e32 vcc, 13, v240
	scratch_load_dwordx4 v[48:51], off, off offset:336
	scratch_load_dwordx4 v[56:59], off, off offset:352
	;; [unrolled: 1-line block ×3, first 2 shown]
	s_waitcnt vmcnt(22) lgkmcnt(3)
	v_mul_f64 v[24:25], v[16:17], v[22:23]
	v_fmac_f64_e32 v[24:25], v[18:19], v[20:21]
	v_add_f64 v[28:29], v[24:25], 0
	scratch_load_dwordx4 v[24:27], off, off offset:272
	s_waitcnt vmcnt(0) lgkmcnt(2)
	v_mul_f64 v[30:31], v[12:13], v[26:27]
	v_fmac_f64_e32 v[30:31], v[14:15], v[24:25]
	v_add_f64 v[32:33], v[28:29], v[30:31]
	scratch_load_dwordx4 v[28:31], off, off offset:288
	v_mul_f64 v[14:15], v[14:15], v[26:27]
	v_fma_f64 v[12:13], v[12:13], v[24:25], -v[14:15]
	s_waitcnt vmcnt(0) lgkmcnt(1)
	v_mul_f64 v[34:35], v[8:9], v[30:31]
	v_fmac_f64_e32 v[34:35], v[10:11], v[28:29]
	v_add_f64 v[36:37], v[32:33], v[34:35]
	scratch_load_dwordx4 v[32:35], off, off offset:304
	v_mul_f64 v[10:11], v[10:11], v[30:31]
	v_fma_f64 v[8:9], v[8:9], v[28:29], -v[10:11]
	s_waitcnt vmcnt(0) lgkmcnt(0)
	v_mul_f64 v[38:39], v[4:5], v[34:35]
	v_fmac_f64_e32 v[38:39], v[6:7], v[32:33]
	v_add_f64 v[44:45], v[36:37], v[38:39]
	ds_read_b128 v[36:39], v2 offset:960
	v_mul_f64 v[6:7], v[6:7], v[34:35]
	v_fma_f64 v[4:5], v[4:5], v[32:33], -v[6:7]
	s_waitcnt lgkmcnt(0)
	v_mul_f64 v[46:47], v[36:37], v[42:43]
	v_fmac_f64_e32 v[46:47], v[38:39], v[40:41]
	v_add_f64 v[52:53], v[44:45], v[46:47]
	ds_read_b128 v[44:47], v2 offset:976
	s_waitcnt lgkmcnt(0)
	v_mul_f64 v[54:55], v[44:45], v[50:51]
	v_fmac_f64_e32 v[54:55], v[46:47], v[48:49]
	v_add_f64 v[60:61], v[52:53], v[54:55]
	ds_read_b128 v[52:55], v2 offset:992
	s_waitcnt lgkmcnt(0)
	v_mul_f64 v[62:63], v[52:53], v[58:59]
	v_fmac_f64_e32 v[62:63], v[54:55], v[56:57]
	v_add_f64 v[68:69], v[60:61], v[62:63]
	ds_read_b128 v[60:63], v2 offset:1008
	s_waitcnt lgkmcnt(0)
	v_mul_f64 v[70:71], v[60:61], v[66:67]
	v_fmac_f64_e32 v[70:71], v[62:63], v[64:65]
	v_add_f64 v[76:77], v[68:69], v[70:71]
	ds_read_b128 v[68:71], v2 offset:1024
	s_waitcnt lgkmcnt(0)
	v_mul_f64 v[78:79], v[68:69], v[74:75]
	v_fmac_f64_e32 v[78:79], v[70:71], v[72:73]
	v_add_f64 v[84:85], v[76:77], v[78:79]
	ds_read_b128 v[76:79], v2 offset:1040
	s_waitcnt lgkmcnt(0)
	v_mul_f64 v[86:87], v[76:77], v[82:83]
	v_fmac_f64_e32 v[86:87], v[78:79], v[80:81]
	v_add_f64 v[92:93], v[84:85], v[86:87]
	ds_read_b128 v[84:87], v2 offset:1056
	s_waitcnt lgkmcnt(0)
	v_mul_f64 v[94:95], v[84:85], v[90:91]
	v_fmac_f64_e32 v[94:95], v[86:87], v[88:89]
	v_add_f64 v[100:101], v[92:93], v[94:95]
	ds_read_b128 v[92:95], v2 offset:1072
	s_waitcnt lgkmcnt(0)
	v_mul_f64 v[102:103], v[92:93], v[98:99]
	v_fmac_f64_e32 v[102:103], v[94:95], v[96:97]
	v_add_f64 v[108:109], v[100:101], v[102:103]
	ds_read_b128 v[100:103], v2 offset:1088
	s_waitcnt lgkmcnt(0)
	v_mul_f64 v[110:111], v[100:101], v[106:107]
	v_fmac_f64_e32 v[110:111], v[102:103], v[104:105]
	v_add_f64 v[116:117], v[108:109], v[110:111]
	ds_read_b128 v[108:111], v2 offset:1104
	s_waitcnt lgkmcnt(0)
	v_mul_f64 v[118:119], v[108:109], v[114:115]
	v_fmac_f64_e32 v[118:119], v[110:111], v[112:113]
	v_add_f64 v[124:125], v[116:117], v[118:119]
	ds_read_b128 v[116:119], v2 offset:1120
	s_waitcnt lgkmcnt(0)
	v_mul_f64 v[126:127], v[116:117], v[122:123]
	v_fmac_f64_e32 v[126:127], v[118:119], v[120:121]
	v_add_f64 v[132:133], v[124:125], v[126:127]
	ds_read_b128 v[124:127], v2 offset:1136
	s_waitcnt lgkmcnt(0)
	v_mul_f64 v[134:135], v[124:125], v[130:131]
	v_fmac_f64_e32 v[134:135], v[126:127], v[128:129]
	v_add_f64 v[140:141], v[132:133], v[134:135]
	ds_read_b128 v[132:135], v2 offset:1152
	s_waitcnt lgkmcnt(0)
	v_mul_f64 v[142:143], v[132:133], v[138:139]
	v_fmac_f64_e32 v[142:143], v[134:135], v[136:137]
	v_add_f64 v[148:149], v[140:141], v[142:143]
	ds_read_b128 v[140:143], v2 offset:1168
	s_waitcnt lgkmcnt(0)
	v_mul_f64 v[150:151], v[140:141], v[146:147]
	v_fmac_f64_e32 v[150:151], v[142:143], v[144:145]
	v_add_f64 v[156:157], v[148:149], v[150:151]
	ds_read_b128 v[148:151], v2 offset:1184
	s_waitcnt lgkmcnt(0)
	v_mul_f64 v[158:159], v[148:149], v[154:155]
	v_fmac_f64_e32 v[158:159], v[150:151], v[152:153]
	v_add_f64 v[164:165], v[156:157], v[158:159]
	ds_read_b128 v[156:159], v2 offset:1200
	s_waitcnt lgkmcnt(0)
	v_mul_f64 v[166:167], v[156:157], v[162:163]
	v_fmac_f64_e32 v[166:167], v[158:159], v[160:161]
	v_add_f64 v[168:169], v[164:165], v[166:167]
	ds_read_b128 v[164:167], v2 offset:1216
	s_waitcnt lgkmcnt(0)
	v_mul_f64 v[174:175], v[164:165], v[172:173]
	v_fmac_f64_e32 v[174:175], v[166:167], v[170:171]
	v_add_f64 v[168:169], v[168:169], v[174:175]
	ds_read_b128 v[174:177], v2 offset:1232
	s_waitcnt lgkmcnt(0)
	v_mul_f64 v[182:183], v[174:175], v[180:181]
	v_fmac_f64_e32 v[182:183], v[176:177], v[178:179]
	v_add_f64 v[168:169], v[168:169], v[182:183]
	ds_read_b128 v[182:185], v2 offset:1248
	s_waitcnt lgkmcnt(0)
	v_mul_f64 v[190:191], v[182:183], v[188:189]
	v_fmac_f64_e32 v[190:191], v[184:185], v[186:187]
	v_add_f64 v[168:169], v[168:169], v[190:191]
	ds_read_b128 v[190:193], v2 offset:1264
	s_waitcnt lgkmcnt(0)
	v_mul_f64 v[198:199], v[190:191], v[196:197]
	v_fmac_f64_e32 v[198:199], v[192:193], v[194:195]
	v_add_f64 v[168:169], v[168:169], v[198:199]
	ds_read_b128 v[198:201], v2 offset:1280
	s_waitcnt lgkmcnt(0)
	v_mul_f64 v[206:207], v[198:199], v[204:205]
	v_fmac_f64_e32 v[206:207], v[200:201], v[202:203]
	v_add_f64 v[168:169], v[168:169], v[206:207]
	ds_read_b128 v[206:209], v2 offset:1296
	s_waitcnt lgkmcnt(0)
	v_mul_f64 v[2:3], v[206:207], v[212:213]
	v_fmac_f64_e32 v[2:3], v[208:209], v[210:211]
	v_add_f64 v[168:169], v[168:169], v[2:3]
	v_mul_f64 v[2:3], v[18:19], v[22:23]
	v_fma_f64 v[2:3], v[16:17], v[20:21], -v[2:3]
	v_add_f64 v[2:3], v[2:3], 0
	v_add_f64 v[2:3], v[2:3], v[12:13]
	;; [unrolled: 1-line block ×4, first 2 shown]
	v_mul_f64 v[4:5], v[38:39], v[42:43]
	v_fma_f64 v[4:5], v[36:37], v[40:41], -v[4:5]
	v_add_f64 v[2:3], v[2:3], v[4:5]
	v_mul_f64 v[4:5], v[46:47], v[50:51]
	v_fma_f64 v[4:5], v[44:45], v[48:49], -v[4:5]
	v_add_f64 v[2:3], v[2:3], v[4:5]
	;; [unrolled: 3-line block ×22, first 2 shown]
	scratch_load_dwordx4 v[2:5], off, off offset:240
	s_waitcnt vmcnt(0)
	v_add_f64 v[2:3], v[2:3], -v[6:7]
	v_add_f64 v[4:5], v[4:5], -v[168:169]
	scratch_store_dwordx4 off, v[2:5], off offset:240
	s_and_saveexec_b64 s[0:1], vcc
	s_cbranch_execz .LBB104_233
; %bb.232:
	scratch_load_dwordx4 v[2:5], off, s44
	v_mov_b32_e32 v6, 0
	v_mov_b32_e32 v7, v6
	v_mov_b32_e32 v8, v6
	v_mov_b32_e32 v9, v6
	v_accvgpr_read_b32 v0, a83
	scratch_store_dwordx4 off, v[6:9], off offset:224
	s_waitcnt vmcnt(1)
	ds_write_b128 v0, v[2:5]
.LBB104_233:
	s_or_b64 exec, exec, s[0:1]
	v_mov_b32_e32 v2, 0
	s_waitcnt lgkmcnt(0)
	; wave barrier
	ds_read_b128 v[16:19], v2 offset:880
	ds_read_b128 v[12:15], v2 offset:896
	;; [unrolled: 1-line block ×4, first 2 shown]
	scratch_load_dwordx4 v[20:23], off, off offset:240
	scratch_load_dwordx4 v[40:43], off, off offset:304
	scratch_load_dwordx4 v[72:75], off, off offset:368
	scratch_load_dwordx4 v[80:83], off, off offset:384
	scratch_load_dwordx4 v[88:91], off, off offset:400
	scratch_load_dwordx4 v[96:99], off, off offset:416
	scratch_load_dwordx4 v[104:107], off, off offset:432
	scratch_load_dwordx4 v[112:115], off, off offset:448
	scratch_load_dwordx4 v[120:123], off, off offset:464
	scratch_load_dwordx4 v[128:131], off, off offset:480
	scratch_load_dwordx4 v[136:139], off, off offset:496
	scratch_load_dwordx4 v[144:147], off, off offset:512
	scratch_load_dwordx4 v[152:155], off, off offset:528
	scratch_load_dwordx4 v[162:165], off, off offset:544
	scratch_load_dwordx4 v[170:173], off, off offset:560
	scratch_load_dwordx4 v[178:181], off, off offset:576
	scratch_load_dwordx4 v[186:189], off, off offset:592
	scratch_load_dwordx4 v[194:197], off, off offset:608
	scratch_load_dwordx4 v[202:205], off, off offset:624
	scratch_load_dwordx4 v[210:213], off, off offset:640
	scratch_load_dwordx4 v[218:221], off, off offset:656
	v_cmp_lt_u32_e32 vcc, 12, v240
	scratch_load_dwordx4 v[48:51], off, off offset:320
	scratch_load_dwordx4 v[56:59], off, off offset:336
	;; [unrolled: 1-line block ×3, first 2 shown]
	s_waitcnt vmcnt(23) lgkmcnt(3)
	v_mul_f64 v[24:25], v[16:17], v[22:23]
	v_fmac_f64_e32 v[24:25], v[18:19], v[20:21]
	v_add_f64 v[28:29], v[24:25], 0
	scratch_load_dwordx4 v[24:27], off, off offset:256
	v_mul_f64 v[18:19], v[18:19], v[22:23]
	v_fma_f64 v[16:17], v[16:17], v[20:21], -v[18:19]
	v_add_f64 v[16:17], v[16:17], 0
	s_waitcnt vmcnt(0) lgkmcnt(2)
	v_mul_f64 v[30:31], v[12:13], v[26:27]
	v_fmac_f64_e32 v[30:31], v[14:15], v[24:25]
	v_add_f64 v[32:33], v[28:29], v[30:31]
	scratch_load_dwordx4 v[28:31], off, off offset:272
	v_mul_f64 v[14:15], v[14:15], v[26:27]
	v_fma_f64 v[12:13], v[12:13], v[24:25], -v[14:15]
	v_add_f64 v[12:13], v[16:17], v[12:13]
	;; [unrolled: 8-line block ×3, first 2 shown]
	s_waitcnt vmcnt(0) lgkmcnt(0)
	v_mul_f64 v[38:39], v[4:5], v[34:35]
	v_fmac_f64_e32 v[38:39], v[6:7], v[32:33]
	v_add_f64 v[44:45], v[36:37], v[38:39]
	ds_read_b128 v[36:39], v2 offset:944
	v_mul_f64 v[6:7], v[6:7], v[34:35]
	v_fma_f64 v[4:5], v[4:5], v[32:33], -v[6:7]
	v_add_f64 v[4:5], v[8:9], v[4:5]
	s_waitcnt lgkmcnt(0)
	v_mul_f64 v[46:47], v[36:37], v[42:43]
	v_fmac_f64_e32 v[46:47], v[38:39], v[40:41]
	v_add_f64 v[52:53], v[44:45], v[46:47]
	ds_read_b128 v[44:47], v2 offset:960
	v_mul_f64 v[6:7], v[38:39], v[42:43]
	v_fma_f64 v[6:7], v[36:37], v[40:41], -v[6:7]
	v_add_f64 v[4:5], v[4:5], v[6:7]
	s_waitcnt lgkmcnt(0)
	;; [unrolled: 8-line block ×23, first 2 shown]
	v_mul_f64 v[6:7], v[216:217], v[220:221]
	v_fma_f64 v[6:7], v[214:215], v[218:219], -v[6:7]
	v_add_f64 v[8:9], v[4:5], v[6:7]
	scratch_load_dwordx4 v[4:7], off, off offset:224
	v_mul_f64 v[222:223], v[214:215], v[220:221]
	v_fmac_f64_e32 v[222:223], v[216:217], v[218:219]
	v_add_f64 v[160:161], v[160:161], v[222:223]
	s_waitcnt vmcnt(0)
	v_add_f64 v[4:5], v[4:5], -v[8:9]
	v_add_f64 v[6:7], v[6:7], -v[160:161]
	scratch_store_dwordx4 off, v[4:7], off offset:224
	s_and_saveexec_b64 s[0:1], vcc
	s_cbranch_execz .LBB104_235
; %bb.234:
	scratch_load_dwordx4 v[6:9], off, s45
	v_mov_b32_e32 v3, v2
	v_mov_b32_e32 v4, v2
	;; [unrolled: 1-line block ×3, first 2 shown]
	v_accvgpr_read_b32 v0, a83
	scratch_store_dwordx4 off, v[2:5], off offset:208
	s_waitcnt vmcnt(1)
	ds_write_b128 v0, v[6:9]
.LBB104_235:
	s_or_b64 exec, exec, s[0:1]
	s_waitcnt lgkmcnt(0)
	; wave barrier
	ds_read_b128 v[16:19], v2 offset:864
	ds_read_b128 v[12:15], v2 offset:880
	;; [unrolled: 1-line block ×4, first 2 shown]
	scratch_load_dwordx4 v[20:23], off, off offset:224
	scratch_load_dwordx4 v[40:43], off, off offset:288
	;; [unrolled: 1-line block ×22, first 2 shown]
	v_cmp_lt_u32_e32 vcc, 11, v240
	scratch_load_dwordx4 v[48:51], off, off offset:304
	scratch_load_dwordx4 v[56:59], off, off offset:320
	;; [unrolled: 1-line block ×3, first 2 shown]
	s_waitcnt vmcnt(24) lgkmcnt(3)
	v_mul_f64 v[24:25], v[16:17], v[22:23]
	v_fmac_f64_e32 v[24:25], v[18:19], v[20:21]
	v_add_f64 v[28:29], v[24:25], 0
	scratch_load_dwordx4 v[24:27], off, off offset:240
	s_waitcnt vmcnt(0) lgkmcnt(2)
	v_mul_f64 v[30:31], v[12:13], v[26:27]
	v_fmac_f64_e32 v[30:31], v[14:15], v[24:25]
	v_add_f64 v[32:33], v[28:29], v[30:31]
	scratch_load_dwordx4 v[28:31], off, off offset:256
	v_mul_f64 v[14:15], v[14:15], v[26:27]
	v_fma_f64 v[12:13], v[12:13], v[24:25], -v[14:15]
	s_waitcnt vmcnt(0) lgkmcnt(1)
	v_mul_f64 v[34:35], v[8:9], v[30:31]
	v_fmac_f64_e32 v[34:35], v[10:11], v[28:29]
	v_add_f64 v[36:37], v[32:33], v[34:35]
	scratch_load_dwordx4 v[32:35], off, off offset:272
	v_mul_f64 v[10:11], v[10:11], v[30:31]
	v_fma_f64 v[8:9], v[8:9], v[28:29], -v[10:11]
	s_waitcnt vmcnt(0) lgkmcnt(0)
	v_mul_f64 v[38:39], v[4:5], v[34:35]
	v_fmac_f64_e32 v[38:39], v[6:7], v[32:33]
	v_add_f64 v[44:45], v[36:37], v[38:39]
	ds_read_b128 v[36:39], v2 offset:928
	v_mul_f64 v[6:7], v[6:7], v[34:35]
	v_fma_f64 v[4:5], v[4:5], v[32:33], -v[6:7]
	s_waitcnt lgkmcnt(0)
	v_mul_f64 v[46:47], v[36:37], v[42:43]
	v_fmac_f64_e32 v[46:47], v[38:39], v[40:41]
	v_add_f64 v[52:53], v[44:45], v[46:47]
	ds_read_b128 v[44:47], v2 offset:944
	s_waitcnt lgkmcnt(0)
	v_mul_f64 v[54:55], v[44:45], v[50:51]
	v_fmac_f64_e32 v[54:55], v[46:47], v[48:49]
	v_add_f64 v[60:61], v[52:53], v[54:55]
	ds_read_b128 v[52:55], v2 offset:960
	;; [unrolled: 5-line block ×23, first 2 shown]
	s_waitcnt lgkmcnt(0)
	v_mul_f64 v[2:3], v[222:223], v[228:229]
	v_fmac_f64_e32 v[2:3], v[224:225], v[226:227]
	v_add_f64 v[176:177], v[176:177], v[2:3]
	v_mul_f64 v[2:3], v[18:19], v[22:23]
	v_fma_f64 v[2:3], v[16:17], v[20:21], -v[2:3]
	v_add_f64 v[2:3], v[2:3], 0
	v_add_f64 v[2:3], v[2:3], v[12:13]
	;; [unrolled: 1-line block ×4, first 2 shown]
	v_mul_f64 v[4:5], v[38:39], v[42:43]
	v_fma_f64 v[4:5], v[36:37], v[40:41], -v[4:5]
	v_add_f64 v[2:3], v[2:3], v[4:5]
	v_mul_f64 v[4:5], v[46:47], v[50:51]
	v_fma_f64 v[4:5], v[44:45], v[48:49], -v[4:5]
	v_add_f64 v[2:3], v[2:3], v[4:5]
	;; [unrolled: 3-line block ×24, first 2 shown]
	scratch_load_dwordx4 v[2:5], off, off offset:208
	s_waitcnt vmcnt(0)
	v_add_f64 v[2:3], v[2:3], -v[6:7]
	v_add_f64 v[4:5], v[4:5], -v[176:177]
	scratch_store_dwordx4 off, v[2:5], off offset:208
	s_and_saveexec_b64 s[0:1], vcc
	s_cbranch_execz .LBB104_237
; %bb.236:
	scratch_load_dwordx4 v[2:5], off, s46
	v_mov_b32_e32 v6, 0
	v_mov_b32_e32 v7, v6
	;; [unrolled: 1-line block ×4, first 2 shown]
	v_accvgpr_read_b32 v0, a83
	scratch_store_dwordx4 off, v[6:9], off offset:192
	s_waitcnt vmcnt(1)
	ds_write_b128 v0, v[2:5]
.LBB104_237:
	s_or_b64 exec, exec, s[0:1]
	v_mov_b32_e32 v2, 0
	s_waitcnt lgkmcnt(0)
	; wave barrier
	ds_read_b128 v[16:19], v2 offset:848
	ds_read_b128 v[12:15], v2 offset:864
	;; [unrolled: 1-line block ×4, first 2 shown]
	scratch_load_dwordx4 v[20:23], off, off offset:208
	scratch_load_dwordx4 v[40:43], off, off offset:272
	;; [unrolled: 1-line block ×23, first 2 shown]
	v_cmp_lt_u32_e32 vcc, 10, v240
	scratch_load_dwordx4 v[48:51], off, off offset:288
	scratch_load_dwordx4 v[56:59], off, off offset:304
	;; [unrolled: 1-line block ×3, first 2 shown]
	s_waitcnt vmcnt(25) lgkmcnt(3)
	v_mul_f64 v[24:25], v[16:17], v[22:23]
	v_fmac_f64_e32 v[24:25], v[18:19], v[20:21]
	v_add_f64 v[28:29], v[24:25], 0
	scratch_load_dwordx4 v[24:27], off, off offset:224
	v_mul_f64 v[18:19], v[18:19], v[22:23]
	v_fma_f64 v[16:17], v[16:17], v[20:21], -v[18:19]
	v_add_f64 v[16:17], v[16:17], 0
	s_waitcnt vmcnt(0) lgkmcnt(2)
	v_mul_f64 v[30:31], v[12:13], v[26:27]
	v_fmac_f64_e32 v[30:31], v[14:15], v[24:25]
	v_add_f64 v[32:33], v[28:29], v[30:31]
	scratch_load_dwordx4 v[28:31], off, off offset:240
	v_mul_f64 v[14:15], v[14:15], v[26:27]
	v_fma_f64 v[12:13], v[12:13], v[24:25], -v[14:15]
	v_add_f64 v[12:13], v[16:17], v[12:13]
	;; [unrolled: 8-line block ×3, first 2 shown]
	s_waitcnt vmcnt(0) lgkmcnt(0)
	v_mul_f64 v[38:39], v[4:5], v[34:35]
	v_fmac_f64_e32 v[38:39], v[6:7], v[32:33]
	v_add_f64 v[44:45], v[36:37], v[38:39]
	ds_read_b128 v[36:39], v2 offset:912
	v_mul_f64 v[6:7], v[6:7], v[34:35]
	v_fma_f64 v[4:5], v[4:5], v[32:33], -v[6:7]
	v_add_f64 v[4:5], v[8:9], v[4:5]
	s_waitcnt lgkmcnt(0)
	v_mul_f64 v[46:47], v[36:37], v[42:43]
	v_fmac_f64_e32 v[46:47], v[38:39], v[40:41]
	v_add_f64 v[52:53], v[44:45], v[46:47]
	ds_read_b128 v[44:47], v2 offset:928
	v_mul_f64 v[6:7], v[38:39], v[42:43]
	v_fma_f64 v[6:7], v[36:37], v[40:41], -v[6:7]
	v_add_f64 v[4:5], v[4:5], v[6:7]
	s_waitcnt lgkmcnt(0)
	;; [unrolled: 8-line block ×25, first 2 shown]
	v_mul_f64 v[6:7], v[232:233], v[236:237]
	v_fma_f64 v[6:7], v[230:231], v[234:235], -v[6:7]
	v_add_f64 v[8:9], v[4:5], v[6:7]
	scratch_load_dwordx4 v[4:7], off, off offset:192
	v_mul_f64 v[238:239], v[230:231], v[236:237]
	v_fmac_f64_e32 v[238:239], v[232:233], v[234:235]
	v_add_f64 v[176:177], v[176:177], v[238:239]
	s_waitcnt vmcnt(0)
	v_add_f64 v[4:5], v[4:5], -v[8:9]
	v_add_f64 v[6:7], v[6:7], -v[176:177]
	scratch_store_dwordx4 off, v[4:7], off offset:192
	s_and_saveexec_b64 s[0:1], vcc
	s_cbranch_execz .LBB104_239
; %bb.238:
	scratch_load_dwordx4 v[6:9], off, s47
	v_mov_b32_e32 v3, v2
	v_mov_b32_e32 v4, v2
	;; [unrolled: 1-line block ×3, first 2 shown]
	v_accvgpr_read_b32 v0, a83
	scratch_store_dwordx4 off, v[2:5], off offset:176
	s_waitcnt vmcnt(1)
	ds_write_b128 v0, v[6:9]
.LBB104_239:
	s_or_b64 exec, exec, s[0:1]
	s_waitcnt lgkmcnt(0)
	; wave barrier
	ds_read_b128 v[16:19], v2 offset:832
	ds_read_b128 v[12:15], v2 offset:848
	;; [unrolled: 1-line block ×4, first 2 shown]
	scratch_load_dwordx4 v[20:23], off, off offset:192
	scratch_load_dwordx4 v[40:43], off, off offset:256
	;; [unrolled: 1-line block ×24, first 2 shown]
	v_cmp_lt_u32_e32 vcc, 9, v240
	scratch_load_dwordx4 v[48:51], off, off offset:272
	scratch_load_dwordx4 v[56:59], off, off offset:288
	;; [unrolled: 1-line block ×3, first 2 shown]
	ds_read_b128 v[252:255], v2 offset:1296
	s_waitcnt vmcnt(26) lgkmcnt(4)
	v_mul_f64 v[24:25], v[16:17], v[22:23]
	v_fmac_f64_e32 v[24:25], v[18:19], v[20:21]
	v_add_f64 v[28:29], v[24:25], 0
	scratch_load_dwordx4 v[24:27], off, off offset:208
	s_waitcnt vmcnt(0) lgkmcnt(3)
	v_mul_f64 v[30:31], v[12:13], v[26:27]
	v_fmac_f64_e32 v[30:31], v[14:15], v[24:25]
	v_add_f64 v[32:33], v[28:29], v[30:31]
	scratch_load_dwordx4 v[28:31], off, off offset:224
	v_mul_f64 v[14:15], v[14:15], v[26:27]
	v_fma_f64 v[12:13], v[12:13], v[24:25], -v[14:15]
	s_waitcnt vmcnt(0) lgkmcnt(2)
	v_mul_f64 v[34:35], v[8:9], v[30:31]
	v_fmac_f64_e32 v[34:35], v[10:11], v[28:29]
	v_add_f64 v[36:37], v[32:33], v[34:35]
	scratch_load_dwordx4 v[32:35], off, off offset:240
	v_mul_f64 v[10:11], v[10:11], v[30:31]
	v_fma_f64 v[8:9], v[8:9], v[28:29], -v[10:11]
	s_waitcnt vmcnt(0) lgkmcnt(1)
	v_mul_f64 v[38:39], v[4:5], v[34:35]
	v_fmac_f64_e32 v[38:39], v[6:7], v[32:33]
	v_add_f64 v[44:45], v[36:37], v[38:39]
	ds_read_b128 v[36:39], v2 offset:896
	v_mul_f64 v[6:7], v[6:7], v[34:35]
	v_fma_f64 v[4:5], v[4:5], v[32:33], -v[6:7]
	s_waitcnt lgkmcnt(0)
	v_mul_f64 v[46:47], v[36:37], v[42:43]
	v_fmac_f64_e32 v[46:47], v[38:39], v[40:41]
	v_add_f64 v[52:53], v[44:45], v[46:47]
	ds_read_b128 v[44:47], v2 offset:912
	s_waitcnt lgkmcnt(0)
	v_mul_f64 v[54:55], v[44:45], v[50:51]
	v_fmac_f64_e32 v[54:55], v[46:47], v[48:49]
	v_add_f64 v[60:61], v[52:53], v[54:55]
	ds_read_b128 v[52:55], v2 offset:928
	s_waitcnt lgkmcnt(0)
	v_mul_f64 v[62:63], v[52:53], v[58:59]
	v_fmac_f64_e32 v[62:63], v[54:55], v[56:57]
	v_add_f64 v[68:69], v[60:61], v[62:63]
	ds_read_b128 v[60:63], v2 offset:944
	s_waitcnt lgkmcnt(0)
	v_mul_f64 v[70:71], v[60:61], v[66:67]
	v_fmac_f64_e32 v[70:71], v[62:63], v[64:65]
	v_add_f64 v[76:77], v[68:69], v[70:71]
	ds_read_b128 v[68:71], v2 offset:960
	s_waitcnt lgkmcnt(0)
	v_mul_f64 v[78:79], v[68:69], v[74:75]
	v_fmac_f64_e32 v[78:79], v[70:71], v[72:73]
	v_add_f64 v[84:85], v[76:77], v[78:79]
	ds_read_b128 v[76:79], v2 offset:976
	s_waitcnt lgkmcnt(0)
	v_mul_f64 v[86:87], v[76:77], v[82:83]
	v_fmac_f64_e32 v[86:87], v[78:79], v[80:81]
	v_add_f64 v[92:93], v[84:85], v[86:87]
	ds_read_b128 v[84:87], v2 offset:992
	s_waitcnt lgkmcnt(0)
	v_mul_f64 v[94:95], v[84:85], v[90:91]
	v_fmac_f64_e32 v[94:95], v[86:87], v[88:89]
	v_add_f64 v[100:101], v[92:93], v[94:95]
	ds_read_b128 v[92:95], v2 offset:1008
	s_waitcnt lgkmcnt(0)
	v_mul_f64 v[102:103], v[92:93], v[98:99]
	v_fmac_f64_e32 v[102:103], v[94:95], v[96:97]
	v_add_f64 v[108:109], v[100:101], v[102:103]
	ds_read_b128 v[100:103], v2 offset:1024
	s_waitcnt lgkmcnt(0)
	v_mul_f64 v[110:111], v[100:101], v[106:107]
	v_fmac_f64_e32 v[110:111], v[102:103], v[104:105]
	v_add_f64 v[116:117], v[108:109], v[110:111]
	ds_read_b128 v[108:111], v2 offset:1040
	s_waitcnt lgkmcnt(0)
	v_mul_f64 v[118:119], v[108:109], v[114:115]
	v_fmac_f64_e32 v[118:119], v[110:111], v[112:113]
	v_add_f64 v[124:125], v[116:117], v[118:119]
	ds_read_b128 v[116:119], v2 offset:1056
	s_waitcnt lgkmcnt(0)
	v_mul_f64 v[126:127], v[116:117], v[122:123]
	v_fmac_f64_e32 v[126:127], v[118:119], v[120:121]
	v_add_f64 v[132:133], v[124:125], v[126:127]
	ds_read_b128 v[124:127], v2 offset:1072
	s_waitcnt lgkmcnt(0)
	v_mul_f64 v[134:135], v[124:125], v[130:131]
	v_fmac_f64_e32 v[134:135], v[126:127], v[128:129]
	v_add_f64 v[140:141], v[132:133], v[134:135]
	ds_read_b128 v[132:135], v2 offset:1088
	s_waitcnt lgkmcnt(0)
	v_mul_f64 v[142:143], v[132:133], v[138:139]
	v_fmac_f64_e32 v[142:143], v[134:135], v[136:137]
	v_add_f64 v[148:149], v[140:141], v[142:143]
	ds_read_b128 v[140:143], v2 offset:1104
	s_waitcnt lgkmcnt(0)
	v_mul_f64 v[150:151], v[140:141], v[146:147]
	v_fmac_f64_e32 v[150:151], v[142:143], v[144:145]
	v_add_f64 v[156:157], v[148:149], v[150:151]
	ds_read_b128 v[148:151], v2 offset:1120
	s_waitcnt lgkmcnt(0)
	v_mul_f64 v[158:159], v[148:149], v[154:155]
	v_fmac_f64_e32 v[158:159], v[150:151], v[152:153]
	v_add_f64 v[164:165], v[156:157], v[158:159]
	ds_read_b128 v[156:159], v2 offset:1136
	s_waitcnt lgkmcnt(0)
	v_mul_f64 v[166:167], v[156:157], v[162:163]
	v_fmac_f64_e32 v[166:167], v[158:159], v[160:161]
	v_add_f64 v[172:173], v[164:165], v[166:167]
	ds_read_b128 v[164:167], v2 offset:1152
	s_waitcnt lgkmcnt(0)
	v_mul_f64 v[174:175], v[164:165], v[170:171]
	v_fmac_f64_e32 v[174:175], v[166:167], v[168:169]
	v_add_f64 v[180:181], v[172:173], v[174:175]
	ds_read_b128 v[172:175], v2 offset:1168
	s_waitcnt lgkmcnt(0)
	v_mul_f64 v[182:183], v[172:173], v[178:179]
	v_fmac_f64_e32 v[182:183], v[174:175], v[176:177]
	v_add_f64 v[184:185], v[180:181], v[182:183]
	ds_read_b128 v[180:183], v2 offset:1184
	s_waitcnt lgkmcnt(0)
	v_mul_f64 v[190:191], v[180:181], v[188:189]
	v_fmac_f64_e32 v[190:191], v[182:183], v[186:187]
	v_add_f64 v[184:185], v[184:185], v[190:191]
	ds_read_b128 v[190:193], v2 offset:1200
	s_waitcnt lgkmcnt(0)
	v_mul_f64 v[198:199], v[190:191], v[196:197]
	v_fmac_f64_e32 v[198:199], v[192:193], v[194:195]
	v_add_f64 v[184:185], v[184:185], v[198:199]
	ds_read_b128 v[198:201], v2 offset:1216
	s_waitcnt lgkmcnt(0)
	v_mul_f64 v[206:207], v[198:199], v[204:205]
	v_fmac_f64_e32 v[206:207], v[200:201], v[202:203]
	v_add_f64 v[184:185], v[184:185], v[206:207]
	ds_read_b128 v[206:209], v2 offset:1232
	s_waitcnt lgkmcnt(0)
	v_mul_f64 v[214:215], v[206:207], v[212:213]
	v_fmac_f64_e32 v[214:215], v[208:209], v[210:211]
	v_add_f64 v[184:185], v[184:185], v[214:215]
	ds_read_b128 v[214:217], v2 offset:1248
	s_waitcnt lgkmcnt(0)
	v_mul_f64 v[222:223], v[214:215], v[220:221]
	v_fmac_f64_e32 v[222:223], v[216:217], v[218:219]
	v_add_f64 v[184:185], v[184:185], v[222:223]
	ds_read_b128 v[222:225], v2 offset:1264
	s_waitcnt lgkmcnt(0)
	v_mul_f64 v[230:231], v[222:223], v[228:229]
	v_fmac_f64_e32 v[230:231], v[224:225], v[226:227]
	v_add_f64 v[184:185], v[184:185], v[230:231]
	ds_read_b128 v[230:233], v2 offset:1280
	v_mul_f64 v[2:3], v[252:253], v[244:245]
	v_fmac_f64_e32 v[2:3], v[254:255], v[242:243]
	s_waitcnt lgkmcnt(0)
	v_mul_f64 v[238:239], v[230:231], v[236:237]
	v_fmac_f64_e32 v[238:239], v[232:233], v[234:235]
	v_add_f64 v[184:185], v[184:185], v[238:239]
	v_add_f64 v[184:185], v[184:185], v[2:3]
	v_mul_f64 v[2:3], v[18:19], v[22:23]
	v_fma_f64 v[2:3], v[16:17], v[20:21], -v[2:3]
	v_add_f64 v[2:3], v[2:3], 0
	v_add_f64 v[2:3], v[2:3], v[12:13]
	;; [unrolled: 1-line block ×4, first 2 shown]
	v_mul_f64 v[4:5], v[38:39], v[42:43]
	v_fma_f64 v[4:5], v[36:37], v[40:41], -v[4:5]
	v_add_f64 v[2:3], v[2:3], v[4:5]
	v_mul_f64 v[4:5], v[46:47], v[50:51]
	v_fma_f64 v[4:5], v[44:45], v[48:49], -v[4:5]
	v_add_f64 v[2:3], v[2:3], v[4:5]
	;; [unrolled: 3-line block ×26, first 2 shown]
	scratch_load_dwordx4 v[2:5], off, off offset:176
	s_waitcnt vmcnt(0)
	v_add_f64 v[2:3], v[2:3], -v[6:7]
	v_add_f64 v[4:5], v[4:5], -v[184:185]
	scratch_store_dwordx4 off, v[2:5], off offset:176
	s_and_saveexec_b64 s[0:1], vcc
	s_cbranch_execz .LBB104_241
; %bb.240:
	scratch_load_dwordx4 v[2:5], off, s48
	v_mov_b32_e32 v6, 0
	v_mov_b32_e32 v7, v6
	;; [unrolled: 1-line block ×4, first 2 shown]
	v_accvgpr_read_b32 v0, a83
	scratch_store_dwordx4 off, v[6:9], off offset:160
	s_waitcnt vmcnt(1)
	ds_write_b128 v0, v[2:5]
.LBB104_241:
	s_or_b64 exec, exec, s[0:1]
	s_waitcnt lgkmcnt(0)
	; wave barrier
	scratch_load_dwordx4 v[16:19], off, off offset:176
	scratch_load_dwordx4 v[12:15], off, off offset:192
	scratch_load_dwordx4 v[8:11], off, off offset:208
	scratch_load_dwordx4 v[4:7], off, off offset:224
	scratch_load_dwordx4 v[20:23], off, off offset:240
	scratch_load_dwordx4 v[24:27], off, off offset:256
	scratch_load_dwordx4 v[28:31], off, off offset:272
	scratch_load_dwordx4 v[32:35], off, off offset:288
	scratch_load_dwordx4 v[36:39], off, off offset:304
	scratch_load_dwordx4 v[40:43], off, off offset:320
	scratch_load_dwordx4 v[44:47], off, off offset:336
	scratch_load_dwordx4 v[48:51], off, off offset:352
	scratch_load_dwordx4 v[52:55], off, off offset:368
	scratch_load_dwordx4 v[56:59], off, off offset:384
	scratch_load_dwordx4 v[60:63], off, off offset:400
	scratch_load_dwordx4 v[64:67], off, off offset:416
	scratch_load_dwordx4 v[68:71], off, off offset:432
	scratch_load_dwordx4 v[72:75], off, off offset:448
	scratch_load_dwordx4 v[76:79], off, off offset:464
	scratch_load_dwordx4 v[80:83], off, off offset:480
	scratch_load_dwordx4 v[84:87], off, off offset:496
	scratch_load_dwordx4 v[88:91], off, off offset:512
	scratch_load_dwordx4 v[92:95], off, off offset:528
	scratch_load_dwordx4 v[96:99], off, off offset:544
	scratch_load_dwordx4 v[100:103], off, off offset:560
	scratch_load_dwordx4 v[104:107], off, off offset:576
	scratch_load_dwordx4 v[108:111], off, off offset:592
	scratch_load_dwordx4 v[112:115], off, off offset:608
	scratch_load_dwordx4 v[116:119], off, off offset:624
	scratch_load_dwordx4 v[120:123], off, off offset:640
	scratch_load_dwordx4 v[124:127], off, off offset:656
	scratch_load_dwordx4 v[128:131], off, off offset:160
	v_mov_b32_e32 v2, 0
	ds_read_b128 v[132:135], v2 offset:816
	ds_read_b128 v[136:139], v2 offset:832
	;; [unrolled: 1-line block ×17, first 2 shown]
	v_cmp_lt_u32_e32 vcc, 8, v240
	s_waitcnt vmcnt(31) lgkmcnt(14)
	v_mul_f64 v[200:201], v[132:133], v[18:19]
	s_waitcnt vmcnt(30)
	v_mul_f64 v[202:203], v[136:137], v[14:15]
	v_fmac_f64_e32 v[200:201], v[134:135], v[16:17]
	s_waitcnt vmcnt(29)
	v_mul_f64 v[204:205], v[140:141], v[10:11]
	v_fmac_f64_e32 v[202:203], v[138:139], v[12:13]
	v_add_f64 v[200:201], v[200:201], 0
	s_waitcnt vmcnt(28) lgkmcnt(13)
	v_mul_f64 v[206:207], v[144:145], v[6:7]
	v_fmac_f64_e32 v[204:205], v[142:143], v[8:9]
	v_add_f64 v[200:201], v[200:201], v[202:203]
	s_waitcnt vmcnt(27) lgkmcnt(12)
	;; [unrolled: 4-line block ×12, first 2 shown]
	v_mul_f64 v[228:229], v[188:189], v[62:63]
	v_fmac_f64_e32 v[226:227], v[186:187], v[56:57]
	v_add_f64 v[200:201], v[200:201], v[224:225]
	v_fmac_f64_e32 v[228:229], v[190:191], v[60:61]
	v_add_f64 v[200:201], v[200:201], v[226:227]
	s_waitcnt vmcnt(16) lgkmcnt(1)
	v_mul_f64 v[202:203], v[192:193], v[66:67]
	v_add_f64 v[200:201], v[200:201], v[228:229]
	v_fmac_f64_e32 v[202:203], v[194:195], v[64:65]
	s_waitcnt vmcnt(15) lgkmcnt(0)
	v_mul_f64 v[206:207], v[196:197], v[70:71]
	v_add_f64 v[204:205], v[200:201], v[202:203]
	ds_read_b128 v[200:203], v2 offset:1088
	v_fmac_f64_e32 v[206:207], v[198:199], v[68:69]
	v_add_f64 v[208:209], v[204:205], v[206:207]
	ds_read_b128 v[204:207], v2 offset:1104
	v_mul_f64 v[18:19], v[134:135], v[18:19]
	s_waitcnt vmcnt(14) lgkmcnt(1)
	v_mul_f64 v[210:211], v[200:201], v[74:75]
	v_fmac_f64_e32 v[210:211], v[202:203], v[72:73]
	v_add_f64 v[212:213], v[208:209], v[210:211]
	s_waitcnt vmcnt(13) lgkmcnt(0)
	v_mul_f64 v[214:215], v[204:205], v[78:79]
	ds_read_b128 v[208:211], v2 offset:1120
	v_fmac_f64_e32 v[214:215], v[206:207], v[76:77]
	v_add_f64 v[216:217], v[212:213], v[214:215]
	ds_read_b128 v[212:215], v2 offset:1136
	v_fma_f64 v[244:245], v[132:133], v[16:17], -v[18:19]
	s_waitcnt vmcnt(12) lgkmcnt(1)
	v_mul_f64 v[218:219], v[208:209], v[82:83]
	v_fmac_f64_e32 v[218:219], v[210:211], v[80:81]
	v_add_f64 v[220:221], v[216:217], v[218:219]
	s_waitcnt vmcnt(11) lgkmcnt(0)
	v_mul_f64 v[222:223], v[212:213], v[86:87]
	ds_read_b128 v[216:219], v2 offset:1152
	v_fmac_f64_e32 v[222:223], v[214:215], v[84:85]
	v_add_f64 v[224:225], v[220:221], v[222:223]
	ds_read_b128 v[220:223], v2 offset:1168
	ds_read_b128 v[16:19], v2 offset:1248
	s_waitcnt vmcnt(10) lgkmcnt(2)
	v_mul_f64 v[226:227], v[216:217], v[90:91]
	v_fmac_f64_e32 v[226:227], v[218:219], v[88:89]
	v_add_f64 v[228:229], v[224:225], v[226:227]
	s_waitcnt vmcnt(9) lgkmcnt(1)
	v_mul_f64 v[230:231], v[220:221], v[94:95]
	ds_read_b128 v[224:227], v2 offset:1184
	v_fmac_f64_e32 v[230:231], v[222:223], v[92:93]
	v_add_f64 v[232:233], v[228:229], v[230:231]
	ds_read_b128 v[228:231], v2 offset:1200
	v_mul_f64 v[14:15], v[138:139], v[14:15]
	s_waitcnt vmcnt(8) lgkmcnt(1)
	v_mul_f64 v[234:235], v[224:225], v[98:99]
	v_fmac_f64_e32 v[234:235], v[226:227], v[96:97]
	v_add_f64 v[236:237], v[232:233], v[234:235]
	s_waitcnt vmcnt(7) lgkmcnt(0)
	v_mul_f64 v[238:239], v[228:229], v[102:103]
	ds_read_b128 v[232:235], v2 offset:1216
	v_fmac_f64_e32 v[238:239], v[230:231], v[100:101]
	v_add_f64 v[242:243], v[236:237], v[238:239]
	ds_read_b128 v[236:239], v2 offset:1232
	v_fma_f64 v[136:137], v[136:137], v[12:13], -v[14:15]
	s_waitcnt vmcnt(6) lgkmcnt(1)
	v_mul_f64 v[132:133], v[232:233], v[106:107]
	v_fmac_f64_e32 v[132:133], v[234:235], v[104:105]
	v_add_f64 v[132:133], v[242:243], v[132:133]
	s_waitcnt vmcnt(5) lgkmcnt(0)
	v_mul_f64 v[134:135], v[236:237], v[110:111]
	v_fmac_f64_e32 v[134:135], v[238:239], v[108:109]
	v_add_f64 v[132:133], v[132:133], v[134:135]
	ds_read_b128 v[12:15], v2 offset:1264
	s_waitcnt vmcnt(4)
	v_mul_f64 v[134:135], v[16:17], v[114:115]
	v_fmac_f64_e32 v[134:135], v[18:19], v[112:113]
	v_add_f64 v[138:139], v[132:133], v[134:135]
	ds_read_b128 v[132:135], v2 offset:1280
	v_mul_f64 v[10:11], v[142:143], v[10:11]
	v_fma_f64 v[140:141], v[140:141], v[8:9], -v[10:11]
	ds_read_b128 v[8:11], v2 offset:1296
	s_waitcnt vmcnt(3) lgkmcnt(2)
	v_mul_f64 v[142:143], v[12:13], v[118:119]
	v_fmac_f64_e32 v[142:143], v[14:15], v[116:117]
	v_add_f64 v[138:139], v[138:139], v[142:143]
	s_waitcnt vmcnt(2) lgkmcnt(1)
	v_mul_f64 v[142:143], v[132:133], v[122:123]
	v_fmac_f64_e32 v[142:143], v[134:135], v[120:121]
	v_add_f64 v[138:139], v[138:139], v[142:143]
	;; [unrolled: 4-line block ×3, first 2 shown]
	v_add_f64 v[142:143], v[244:245], 0
	v_add_f64 v[136:137], v[142:143], v[136:137]
	v_mul_f64 v[6:7], v[146:147], v[6:7]
	v_add_f64 v[136:137], v[136:137], v[140:141]
	v_fma_f64 v[4:5], v[144:145], v[4:5], -v[6:7]
	v_mul_f64 v[6:7], v[150:151], v[22:23]
	v_add_f64 v[4:5], v[136:137], v[4:5]
	v_fma_f64 v[6:7], v[148:149], v[20:21], -v[6:7]
	v_add_f64 v[4:5], v[4:5], v[6:7]
	v_mul_f64 v[6:7], v[154:155], v[26:27]
	v_fma_f64 v[6:7], v[152:153], v[24:25], -v[6:7]
	v_add_f64 v[4:5], v[4:5], v[6:7]
	v_mul_f64 v[6:7], v[158:159], v[30:31]
	;; [unrolled: 3-line block ×26, first 2 shown]
	v_fma_f64 v[6:7], v[8:9], v[124:125], -v[6:7]
	v_add_f64 v[4:5], v[4:5], v[6:7]
	s_waitcnt vmcnt(0)
	v_add_f64 v[4:5], v[128:129], -v[4:5]
	v_add_f64 v[6:7], v[130:131], -v[138:139]
	scratch_store_dwordx4 off, v[4:7], off offset:160
	s_and_saveexec_b64 s[0:1], vcc
	s_cbranch_execz .LBB104_243
; %bb.242:
	scratch_load_dwordx4 v[6:9], off, s49
	v_mov_b32_e32 v3, v2
	v_mov_b32_e32 v4, v2
	;; [unrolled: 1-line block ×3, first 2 shown]
	v_accvgpr_read_b32 v0, a83
	scratch_store_dwordx4 off, v[2:5], off offset:144
	s_waitcnt vmcnt(1)
	ds_write_b128 v0, v[6:9]
.LBB104_243:
	s_or_b64 exec, exec, s[0:1]
	s_waitcnt lgkmcnt(0)
	; wave barrier
	scratch_load_dwordx4 v[140:143], off, off offset:160
	scratch_load_dwordx4 v[148:151], off, off offset:176
	;; [unrolled: 1-line block ×16, first 2 shown]
	ds_read_b128 v[188:191], v2 offset:800
	ds_read_b128 v[184:187], v2 offset:816
	scratch_load_dwordx4 v[56:59], off, off offset:416
	ds_read_b128 v[192:195], v2 offset:832
	ds_read_b128 v[68:71], v2 offset:848
	scratch_load_dwordx4 v[60:63], off, off offset:432
	ds_read_b128 v[88:91], v2 offset:864
	ds_read_b128 v[84:87], v2 offset:880
	;; [unrolled: 1-line block ×4, first 2 shown]
	scratch_load_dwordx4 v[64:67], off, off offset:448
	ds_read_b128 v[100:103], v2 offset:928
	ds_read_b128 v[96:99], v2 offset:944
	scratch_load_dwordx4 v[72:75], off, off offset:464
	ds_read_b128 v[116:119], v2 offset:960
	ds_read_b128 v[112:115], v2 offset:976
	;; [unrolled: 1-line block ×4, first 2 shown]
	scratch_load_dwordx4 v[92:95], off, off offset:480
	ds_read_b128 v[132:135], v2 offset:1024
	ds_read_b128 v[128:131], v2 offset:1040
	;; [unrolled: 1-line block ×3, first 2 shown]
	scratch_load_dwordx4 v[120:123], off, off offset:496
	scratch_load_dwordx4 v[136:139], off, off offset:512
	;; [unrolled: 1-line block ×11, first 2 shown]
	v_cmp_lt_u32_e32 vcc, 7, v240
	s_waitcnt vmcnt(31) lgkmcnt(14)
	v_mul_f64 v[200:201], v[188:189], v[142:143]
	s_waitcnt vmcnt(30)
	v_mul_f64 v[202:203], v[184:185], v[150:151]
	v_fmac_f64_e32 v[200:201], v[190:191], v[140:141]
	s_waitcnt vmcnt(29)
	v_mul_f64 v[204:205], v[192:193], v[154:155]
	v_fmac_f64_e32 v[202:203], v[186:187], v[148:149]
	v_add_f64 v[200:201], v[200:201], 0
	s_waitcnt vmcnt(28) lgkmcnt(13)
	v_mul_f64 v[206:207], v[68:69], v[6:7]
	v_fmac_f64_e32 v[204:205], v[194:195], v[152:153]
	v_add_f64 v[200:201], v[200:201], v[202:203]
	s_waitcnt vmcnt(27) lgkmcnt(12)
	;; [unrolled: 4-line block ×13, first 2 shown]
	v_mul_f64 v[230:231], v[128:129], v[54:55]
	v_fmac_f64_e32 v[228:229], v[134:135], v[48:49]
	v_add_f64 v[200:201], v[200:201], v[226:227]
	v_add_f64 v[200:201], v[200:201], v[228:229]
	v_fmac_f64_e32 v[230:231], v[130:131], v[52:53]
	v_add_f64 v[204:205], v[200:201], v[230:231]
	ds_read_b128 v[200:203], v2 offset:1072
	s_waitcnt vmcnt(15) lgkmcnt(1)
	v_mul_f64 v[206:207], v[124:125], v[58:59]
	v_fmac_f64_e32 v[206:207], v[126:127], v[56:57]
	v_add_f64 v[208:209], v[204:205], v[206:207]
	ds_read_b128 v[204:207], v2 offset:1088
	s_waitcnt vmcnt(14) lgkmcnt(1)
	v_mul_f64 v[210:211], v[200:201], v[62:63]
	;; [unrolled: 5-line block ×10, first 2 shown]
	v_fmac_f64_e32 v[244:245], v[234:235], v[160:161]
	v_mul_f64 v[142:143], v[190:191], v[142:143]
	v_add_f64 v[244:245], v[242:243], v[244:245]
	v_fma_f64 v[242:243], v[188:189], v[140:141], -v[142:143]
	ds_read_b128 v[140:143], v2 offset:1232
	v_mul_f64 v[150:151], v[186:187], v[150:151]
	s_waitcnt vmcnt(5) lgkmcnt(1)
	v_mul_f64 v[188:189], v[236:237], v[166:167]
	v_fma_f64 v[252:253], v[184:185], v[148:149], -v[150:151]
	ds_read_b128 v[148:151], v2 offset:1248
	v_fmac_f64_e32 v[188:189], v[238:239], v[164:165]
	s_waitcnt vmcnt(4) lgkmcnt(1)
	v_mul_f64 v[184:185], v[140:141], v[170:171]
	v_add_f64 v[188:189], v[244:245], v[188:189]
	v_fmac_f64_e32 v[184:185], v[142:143], v[168:169]
	v_add_f64 v[188:189], v[188:189], v[184:185]
	ds_read_b128 v[184:187], v2 offset:1264
	v_mul_f64 v[154:155], v[194:195], v[154:155]
	s_waitcnt vmcnt(3) lgkmcnt(1)
	v_mul_f64 v[190:191], v[148:149], v[174:175]
	v_fma_f64 v[254:255], v[192:193], v[152:153], -v[154:155]
	ds_read_b128 v[152:155], v2 offset:1280
	v_fmac_f64_e32 v[190:191], v[150:151], v[172:173]
	v_add_f64 v[244:245], v[188:189], v[190:191]
	ds_read_b128 v[188:191], v2 offset:1296
	s_waitcnt vmcnt(2) lgkmcnt(2)
	v_mul_f64 v[192:193], v[184:185], v[178:179]
	v_fmac_f64_e32 v[192:193], v[186:187], v[176:177]
	v_add_f64 v[2:3], v[244:245], v[192:193]
	s_waitcnt vmcnt(1) lgkmcnt(1)
	v_mul_f64 v[192:193], v[152:153], v[182:183]
	v_fmac_f64_e32 v[192:193], v[154:155], v[180:181]
	v_add_f64 v[2:3], v[2:3], v[192:193]
	;; [unrolled: 4-line block ×3, first 2 shown]
	scratch_load_dwordx4 v[192:195], off, off offset:144
	v_add_f64 v[242:243], v[242:243], 0
	v_add_f64 v[242:243], v[242:243], v[252:253]
	v_mul_f64 v[6:7], v[70:71], v[6:7]
	v_add_f64 v[242:243], v[242:243], v[254:255]
	v_fma_f64 v[4:5], v[68:69], v[4:5], -v[6:7]
	v_mul_f64 v[6:7], v[90:91], v[10:11]
	v_add_f64 v[4:5], v[242:243], v[4:5]
	v_fma_f64 v[6:7], v[88:89], v[8:9], -v[6:7]
	v_add_f64 v[4:5], v[4:5], v[6:7]
	v_mul_f64 v[6:7], v[86:87], v[14:15]
	v_fma_f64 v[6:7], v[84:85], v[12:13], -v[6:7]
	v_add_f64 v[4:5], v[4:5], v[6:7]
	v_mul_f64 v[6:7], v[82:83], v[18:19]
	;; [unrolled: 3-line block ×27, first 2 shown]
	v_fma_f64 v[6:7], v[188:189], v[196:197], -v[6:7]
	v_add_f64 v[4:5], v[4:5], v[6:7]
	s_waitcnt vmcnt(0)
	v_add_f64 v[4:5], v[192:193], -v[4:5]
	v_add_f64 v[6:7], v[194:195], -v[2:3]
	scratch_store_dwordx4 off, v[4:7], off offset:144
	s_and_saveexec_b64 s[0:1], vcc
	s_cbranch_execz .LBB104_245
; %bb.244:
	scratch_load_dwordx4 v[2:5], off, s50
	v_mov_b32_e32 v6, 0
	v_mov_b32_e32 v7, v6
	;; [unrolled: 1-line block ×4, first 2 shown]
	v_accvgpr_read_b32 v0, a83
	scratch_store_dwordx4 off, v[6:9], off offset:128
	s_waitcnt vmcnt(1)
	ds_write_b128 v0, v[2:5]
.LBB104_245:
	s_or_b64 exec, exec, s[0:1]
	s_waitcnt lgkmcnt(0)
	; wave barrier
	scratch_load_dwordx4 v[108:111], off, off offset:144
	scratch_load_dwordx4 v[116:119], off, off offset:160
	scratch_load_dwordx4 v[120:123], off, off offset:176
	scratch_load_dwordx4 v[124:127], off, off offset:192
	scratch_load_dwordx4 v[128:131], off, off offset:208
	scratch_load_dwordx4 v[4:7], off, off offset:224
	scratch_load_dwordx4 v[8:11], off, off offset:240
	scratch_load_dwordx4 v[12:15], off, off offset:256
	scratch_load_dwordx4 v[16:19], off, off offset:272
	scratch_load_dwordx4 v[20:23], off, off offset:288
	scratch_load_dwordx4 v[24:27], off, off offset:304
	scratch_load_dwordx4 v[28:31], off, off offset:320
	scratch_load_dwordx4 v[32:35], off, off offset:336
	scratch_load_dwordx4 v[36:39], off, off offset:352
	scratch_load_dwordx4 v[40:43], off, off offset:368
	scratch_load_dwordx4 v[44:47], off, off offset:384
	scratch_load_dwordx4 v[48:51], off, off offset:400
	scratch_load_dwordx4 v[52:55], off, off offset:416
	scratch_load_dwordx4 v[56:59], off, off offset:432
	scratch_load_dwordx4 v[60:63], off, off offset:448
	scratch_load_dwordx4 v[64:67], off, off offset:464
	scratch_load_dwordx4 v[68:71], off, off offset:480
	scratch_load_dwordx4 v[72:75], off, off offset:496
	scratch_load_dwordx4 v[76:79], off, off offset:512
	scratch_load_dwordx4 v[80:83], off, off offset:528
	scratch_load_dwordx4 v[84:87], off, off offset:544
	scratch_load_dwordx4 v[88:91], off, off offset:560
	scratch_load_dwordx4 v[92:95], off, off offset:576
	scratch_load_dwordx4 v[96:99], off, off offset:592
	scratch_load_dwordx4 v[100:103], off, off offset:608
	scratch_load_dwordx4 v[104:107], off, off offset:624
	scratch_load_dwordx4 v[112:115], off, off offset:640
	scratch_load_dwordx4 v[132:135], off, off offset:656
	v_mov_b32_e32 v2, 0
	ds_read_b128 v[220:223], v2 offset:784
	ds_read_b128 v[224:227], v2 offset:800
	;; [unrolled: 1-line block ×16, first 2 shown]
	v_cmp_lt_u32_e32 vcc, 6, v240
	s_waitcnt vmcnt(32) lgkmcnt(14)
	v_mul_f64 v[180:181], v[220:221], v[110:111]
	s_waitcnt vmcnt(31)
	v_mul_f64 v[182:183], v[224:225], v[118:119]
	v_fmac_f64_e32 v[180:181], v[222:223], v[108:109]
	s_waitcnt vmcnt(30) lgkmcnt(13)
	v_mul_f64 v[184:185], v[234:235], v[122:123]
	v_fmac_f64_e32 v[182:183], v[226:227], v[116:117]
	v_add_f64 v[180:181], v[180:181], 0
	s_waitcnt vmcnt(29) lgkmcnt(12)
	v_mul_f64 v[186:187], v[242:243], v[126:127]
	v_fmac_f64_e32 v[184:185], v[236:237], v[120:121]
	v_add_f64 v[180:181], v[180:181], v[182:183]
	;; [unrolled: 4-line block ×13, first 2 shown]
	v_fmac_f64_e32 v[208:209], v[142:143], v[40:41]
	v_add_f64 v[180:181], v[180:181], v[206:207]
	v_add_f64 v[184:185], v[180:181], v[208:209]
	ds_read_b128 v[180:183], v2 offset:1040
	s_waitcnt vmcnt(17) lgkmcnt(1)
	v_mul_f64 v[186:187], v[136:137], v[46:47]
	v_fmac_f64_e32 v[186:187], v[138:139], v[44:45]
	v_add_f64 v[188:189], v[184:185], v[186:187]
	ds_read_b128 v[184:187], v2 offset:1056
	s_waitcnt vmcnt(16) lgkmcnt(1)
	v_mul_f64 v[190:191], v[180:181], v[50:51]
	v_fmac_f64_e32 v[190:191], v[182:183], v[48:49]
	;; [unrolled: 5-line block ×10, first 2 shown]
	v_mul_f64 v[110:111], v[222:223], v[110:111]
	v_add_f64 v[228:229], v[228:229], v[230:231]
	v_fma_f64 v[230:231], v[220:221], v[108:109], -v[110:111]
	ds_read_b128 v[108:111], v2 offset:1200
	s_waitcnt vmcnt(7) lgkmcnt(1)
	v_mul_f64 v[220:221], v[216:217], v[86:87]
	v_mul_f64 v[118:119], v[226:227], v[118:119]
	v_fmac_f64_e32 v[220:221], v[218:219], v[84:85]
	v_fma_f64 v[232:233], v[224:225], v[116:117], -v[118:119]
	ds_read_b128 v[116:119], v2 offset:1216
	s_waitcnt vmcnt(6) lgkmcnt(1)
	v_mul_f64 v[222:223], v[108:109], v[90:91]
	v_add_f64 v[220:221], v[228:229], v[220:221]
	v_fmac_f64_e32 v[222:223], v[110:111], v[88:89]
	v_add_f64 v[224:225], v[220:221], v[222:223]
	ds_read_b128 v[220:223], v2 offset:1232
	v_mul_f64 v[122:123], v[236:237], v[122:123]
	v_fma_f64 v[234:235], v[234:235], v[120:121], -v[122:123]
	ds_read_b128 v[120:123], v2 offset:1248
	s_waitcnt vmcnt(5) lgkmcnt(2)
	v_mul_f64 v[226:227], v[116:117], v[94:95]
	v_fmac_f64_e32 v[226:227], v[118:119], v[92:93]
	v_mul_f64 v[126:127], v[244:245], v[126:127]
	v_add_f64 v[224:225], v[224:225], v[226:227]
	s_waitcnt vmcnt(4) lgkmcnt(1)
	v_mul_f64 v[226:227], v[220:221], v[98:99]
	v_fma_f64 v[236:237], v[242:243], v[124:125], -v[126:127]
	ds_read_b128 v[124:127], v2 offset:1264
	v_fmac_f64_e32 v[226:227], v[222:223], v[96:97]
	v_add_f64 v[228:229], v[224:225], v[226:227]
	s_waitcnt vmcnt(3) lgkmcnt(1)
	v_mul_f64 v[238:239], v[120:121], v[102:103]
	ds_read_b128 v[224:227], v2 offset:1280
	v_fmac_f64_e32 v[238:239], v[122:123], v[100:101]
	v_mul_f64 v[130:131], v[254:255], v[130:131]
	v_add_f64 v[228:229], v[228:229], v[238:239]
	v_fma_f64 v[238:239], v[252:253], v[128:129], -v[130:131]
	ds_read_b128 v[128:131], v2 offset:1296
	s_waitcnt vmcnt(2) lgkmcnt(2)
	v_mul_f64 v[242:243], v[124:125], v[106:107]
	v_fmac_f64_e32 v[242:243], v[126:127], v[104:105]
	v_add_f64 v[228:229], v[228:229], v[242:243]
	s_waitcnt vmcnt(1) lgkmcnt(1)
	v_mul_f64 v[242:243], v[224:225], v[114:115]
	v_fmac_f64_e32 v[242:243], v[226:227], v[112:113]
	v_add_f64 v[228:229], v[228:229], v[242:243]
	;; [unrolled: 4-line block ×3, first 2 shown]
	scratch_load_dwordx4 v[242:245], off, off offset:128
	v_add_f64 v[230:231], v[230:231], 0
	v_add_f64 v[230:231], v[230:231], v[232:233]
	;; [unrolled: 1-line block ×4, first 2 shown]
	v_mul_f64 v[6:7], v[178:179], v[6:7]
	v_add_f64 v[230:231], v[230:231], v[238:239]
	v_fma_f64 v[4:5], v[176:177], v[4:5], -v[6:7]
	v_mul_f64 v[6:7], v[174:175], v[10:11]
	v_add_f64 v[4:5], v[230:231], v[4:5]
	v_fma_f64 v[6:7], v[172:173], v[8:9], -v[6:7]
	v_add_f64 v[4:5], v[4:5], v[6:7]
	v_mul_f64 v[6:7], v[170:171], v[14:15]
	v_fma_f64 v[6:7], v[168:169], v[12:13], -v[6:7]
	v_add_f64 v[4:5], v[4:5], v[6:7]
	v_mul_f64 v[6:7], v[166:167], v[18:19]
	v_fma_f64 v[6:7], v[164:165], v[16:17], -v[6:7]
	v_add_f64 v[4:5], v[4:5], v[6:7]
	v_mul_f64 v[6:7], v[162:163], v[22:23]
	v_fma_f64 v[6:7], v[160:161], v[20:21], -v[6:7]
	v_add_f64 v[4:5], v[4:5], v[6:7]
	v_mul_f64 v[6:7], v[158:159], v[26:27]
	v_fma_f64 v[6:7], v[156:157], v[24:25], -v[6:7]
	v_add_f64 v[4:5], v[4:5], v[6:7]
	v_mul_f64 v[6:7], v[154:155], v[30:31]
	v_fma_f64 v[6:7], v[152:153], v[28:29], -v[6:7]
	v_add_f64 v[4:5], v[4:5], v[6:7]
	v_mul_f64 v[6:7], v[150:151], v[34:35]
	v_fma_f64 v[6:7], v[148:149], v[32:33], -v[6:7]
	v_add_f64 v[4:5], v[4:5], v[6:7]
	v_mul_f64 v[6:7], v[146:147], v[38:39]
	v_fma_f64 v[6:7], v[144:145], v[36:37], -v[6:7]
	v_add_f64 v[4:5], v[4:5], v[6:7]
	v_mul_f64 v[6:7], v[142:143], v[42:43]
	v_fma_f64 v[6:7], v[140:141], v[40:41], -v[6:7]
	v_add_f64 v[4:5], v[4:5], v[6:7]
	v_mul_f64 v[6:7], v[138:139], v[46:47]
	v_fma_f64 v[6:7], v[136:137], v[44:45], -v[6:7]
	v_add_f64 v[4:5], v[4:5], v[6:7]
	v_mul_f64 v[6:7], v[182:183], v[50:51]
	v_fma_f64 v[6:7], v[180:181], v[48:49], -v[6:7]
	v_add_f64 v[4:5], v[4:5], v[6:7]
	v_mul_f64 v[6:7], v[186:187], v[54:55]
	v_fma_f64 v[6:7], v[184:185], v[52:53], -v[6:7]
	v_add_f64 v[4:5], v[4:5], v[6:7]
	v_mul_f64 v[6:7], v[190:191], v[58:59]
	v_fma_f64 v[6:7], v[188:189], v[56:57], -v[6:7]
	v_add_f64 v[4:5], v[4:5], v[6:7]
	v_mul_f64 v[6:7], v[194:195], v[62:63]
	v_fma_f64 v[6:7], v[192:193], v[60:61], -v[6:7]
	v_add_f64 v[4:5], v[4:5], v[6:7]
	v_mul_f64 v[6:7], v[198:199], v[66:67]
	v_fma_f64 v[6:7], v[196:197], v[64:65], -v[6:7]
	v_add_f64 v[4:5], v[4:5], v[6:7]
	v_mul_f64 v[6:7], v[202:203], v[70:71]
	v_fma_f64 v[6:7], v[200:201], v[68:69], -v[6:7]
	v_add_f64 v[4:5], v[4:5], v[6:7]
	v_mul_f64 v[6:7], v[206:207], v[74:75]
	v_fma_f64 v[6:7], v[204:205], v[72:73], -v[6:7]
	v_add_f64 v[4:5], v[4:5], v[6:7]
	v_mul_f64 v[6:7], v[210:211], v[78:79]
	v_fma_f64 v[6:7], v[208:209], v[76:77], -v[6:7]
	v_add_f64 v[4:5], v[4:5], v[6:7]
	v_mul_f64 v[6:7], v[214:215], v[82:83]
	v_fma_f64 v[6:7], v[212:213], v[80:81], -v[6:7]
	v_add_f64 v[4:5], v[4:5], v[6:7]
	v_mul_f64 v[6:7], v[218:219], v[86:87]
	v_fma_f64 v[6:7], v[216:217], v[84:85], -v[6:7]
	v_add_f64 v[4:5], v[4:5], v[6:7]
	v_mul_f64 v[6:7], v[110:111], v[90:91]
	v_fma_f64 v[6:7], v[108:109], v[88:89], -v[6:7]
	v_add_f64 v[4:5], v[4:5], v[6:7]
	v_mul_f64 v[6:7], v[118:119], v[94:95]
	v_fma_f64 v[6:7], v[116:117], v[92:93], -v[6:7]
	v_add_f64 v[4:5], v[4:5], v[6:7]
	v_mul_f64 v[6:7], v[222:223], v[98:99]
	v_fma_f64 v[6:7], v[220:221], v[96:97], -v[6:7]
	v_add_f64 v[4:5], v[4:5], v[6:7]
	v_mul_f64 v[6:7], v[122:123], v[102:103]
	v_fma_f64 v[6:7], v[120:121], v[100:101], -v[6:7]
	v_add_f64 v[4:5], v[4:5], v[6:7]
	v_mul_f64 v[6:7], v[126:127], v[106:107]
	v_fma_f64 v[6:7], v[124:125], v[104:105], -v[6:7]
	v_add_f64 v[4:5], v[4:5], v[6:7]
	v_mul_f64 v[6:7], v[226:227], v[114:115]
	v_fma_f64 v[6:7], v[224:225], v[112:113], -v[6:7]
	v_add_f64 v[4:5], v[4:5], v[6:7]
	v_mul_f64 v[6:7], v[130:131], v[134:135]
	v_fma_f64 v[6:7], v[128:129], v[132:133], -v[6:7]
	v_add_f64 v[4:5], v[4:5], v[6:7]
	s_waitcnt vmcnt(0)
	v_add_f64 v[4:5], v[242:243], -v[4:5]
	v_add_f64 v[6:7], v[244:245], -v[228:229]
	scratch_store_dwordx4 off, v[4:7], off offset:128
	s_and_saveexec_b64 s[0:1], vcc
	s_cbranch_execz .LBB104_247
; %bb.246:
	scratch_load_dwordx4 v[6:9], off, s51
	v_mov_b32_e32 v3, v2
	v_mov_b32_e32 v4, v2
	;; [unrolled: 1-line block ×3, first 2 shown]
	v_accvgpr_read_b32 v0, a83
	scratch_store_dwordx4 off, v[2:5], off offset:112
	s_waitcnt vmcnt(1)
	ds_write_b128 v0, v[6:9]
.LBB104_247:
	s_or_b64 exec, exec, s[0:1]
	s_waitcnt lgkmcnt(0)
	; wave barrier
	scratch_load_dwordx4 v[144:147], off, off offset:128
	scratch_load_dwordx4 v[152:155], off, off offset:144
	;; [unrolled: 1-line block ×16, first 2 shown]
	ds_read_b128 v[196:199], v2 offset:768
	ds_read_b128 v[188:191], v2 offset:784
	ds_read_b128 v[180:183], v2 offset:800
	scratch_load_dwordx4 v[48:51], off, off offset:384
	ds_read_b128 v[192:195], v2 offset:816
	ds_read_b128 v[184:187], v2 offset:832
	ds_read_b128 v[64:67], v2 offset:848
	scratch_load_dwordx4 v[52:55], off, off offset:400
	;; [unrolled: 4-line block ×5, first 2 shown]
	ds_read_b128 v[116:119], v2 offset:1008
	ds_read_b128 v[112:115], v2 offset:1024
	scratch_load_dwordx4 v[108:111], off, off offset:464
	scratch_load_dwordx4 v[120:123], off, off offset:480
	;; [unrolled: 1-line block ×12, first 2 shown]
	v_cmp_lt_u32_e32 vcc, 5, v240
	s_waitcnt vmcnt(32) lgkmcnt(14)
	v_mul_f64 v[204:205], v[196:197], v[146:147]
	s_waitcnt vmcnt(31)
	v_mul_f64 v[206:207], v[188:189], v[154:155]
	v_fmac_f64_e32 v[204:205], v[198:199], v[144:145]
	s_waitcnt vmcnt(30)
	v_mul_f64 v[208:209], v[180:181], v[158:159]
	v_fmac_f64_e32 v[206:207], v[190:191], v[152:153]
	v_add_f64 v[204:205], v[204:205], 0
	s_waitcnt vmcnt(29) lgkmcnt(13)
	v_mul_f64 v[210:211], v[192:193], v[162:163]
	v_fmac_f64_e32 v[208:209], v[182:183], v[156:157]
	v_add_f64 v[204:205], v[204:205], v[206:207]
	s_waitcnt vmcnt(28) lgkmcnt(12)
	;; [unrolled: 4-line block ×12, first 2 shown]
	v_mul_f64 v[232:233], v[96:97], v[42:43]
	v_fmac_f64_e32 v[230:231], v[102:103], v[36:37]
	v_add_f64 v[204:205], v[204:205], v[228:229]
	v_fmac_f64_e32 v[232:233], v[98:99], v[40:41]
	v_add_f64 v[204:205], v[204:205], v[230:231]
	s_waitcnt vmcnt(17) lgkmcnt(1)
	v_mul_f64 v[206:207], v[116:117], v[46:47]
	v_add_f64 v[204:205], v[204:205], v[232:233]
	v_fmac_f64_e32 v[206:207], v[118:119], v[44:45]
	s_waitcnt vmcnt(16) lgkmcnt(0)
	v_mul_f64 v[210:211], v[112:113], v[50:51]
	v_add_f64 v[208:209], v[204:205], v[206:207]
	ds_read_b128 v[204:207], v2 offset:1040
	v_fmac_f64_e32 v[210:211], v[114:115], v[48:49]
	v_add_f64 v[212:213], v[208:209], v[210:211]
	ds_read_b128 v[208:211], v2 offset:1056
	v_mul_f64 v[146:147], v[198:199], v[146:147]
	s_waitcnt vmcnt(15) lgkmcnt(1)
	v_mul_f64 v[214:215], v[204:205], v[54:55]
	v_fmac_f64_e32 v[214:215], v[206:207], v[52:53]
	v_add_f64 v[216:217], v[212:213], v[214:215]
	s_waitcnt vmcnt(14) lgkmcnt(0)
	v_mul_f64 v[218:219], v[208:209], v[58:59]
	ds_read_b128 v[212:215], v2 offset:1072
	v_fmac_f64_e32 v[218:219], v[210:211], v[56:57]
	v_add_f64 v[220:221], v[216:217], v[218:219]
	ds_read_b128 v[216:219], v2 offset:1088
	v_mul_f64 v[154:155], v[190:191], v[154:155]
	s_waitcnt vmcnt(13) lgkmcnt(1)
	v_mul_f64 v[222:223], v[212:213], v[62:63]
	v_fmac_f64_e32 v[222:223], v[214:215], v[60:61]
	v_add_f64 v[224:225], v[220:221], v[222:223]
	s_waitcnt vmcnt(12) lgkmcnt(0)
	v_mul_f64 v[226:227], v[216:217], v[94:95]
	ds_read_b128 v[220:223], v2 offset:1104
	v_fmac_f64_e32 v[226:227], v[218:219], v[92:93]
	v_add_f64 v[228:229], v[224:225], v[226:227]
	ds_read_b128 v[224:227], v2 offset:1120
	v_fma_f64 v[252:253], v[188:189], v[152:153], -v[154:155]
	s_waitcnt vmcnt(11) lgkmcnt(1)
	v_mul_f64 v[230:231], v[220:221], v[110:111]
	v_fmac_f64_e32 v[230:231], v[222:223], v[108:109]
	v_add_f64 v[232:233], v[228:229], v[230:231]
	s_waitcnt vmcnt(10) lgkmcnt(0)
	v_mul_f64 v[234:235], v[224:225], v[122:123]
	ds_read_b128 v[228:231], v2 offset:1136
	v_fmac_f64_e32 v[234:235], v[226:227], v[120:121]
	v_add_f64 v[236:237], v[232:233], v[234:235]
	ds_read_b128 v[232:235], v2 offset:1152
	ds_read_b128 v[152:155], v2 offset:1200
	s_waitcnt vmcnt(9) lgkmcnt(2)
	v_mul_f64 v[238:239], v[228:229], v[126:127]
	v_fmac_f64_e32 v[238:239], v[230:231], v[124:125]
	v_add_f64 v[242:243], v[236:237], v[238:239]
	s_waitcnt vmcnt(8) lgkmcnt(1)
	v_mul_f64 v[244:245], v[232:233], v[130:131]
	ds_read_b128 v[236:239], v2 offset:1168
	v_fmac_f64_e32 v[244:245], v[234:235], v[128:129]
	v_add_f64 v[242:243], v[242:243], v[244:245]
	v_fma_f64 v[244:245], v[196:197], v[144:145], -v[146:147]
	ds_read_b128 v[144:147], v2 offset:1184
	s_waitcnt vmcnt(7) lgkmcnt(1)
	v_mul_f64 v[196:197], v[236:237], v[134:135]
	v_fmac_f64_e32 v[196:197], v[238:239], v[132:133]
	v_add_f64 v[188:189], v[242:243], v[196:197]
	v_mul_f64 v[158:159], v[182:183], v[158:159]
	s_waitcnt vmcnt(6) lgkmcnt(0)
	v_mul_f64 v[190:191], v[144:145], v[138:139]
	v_fmac_f64_e32 v[190:191], v[146:147], v[136:137]
	v_add_f64 v[196:197], v[188:189], v[190:191]
	ds_read_b128 v[188:191], v2 offset:1216
	v_fma_f64 v[242:243], v[180:181], v[156:157], -v[158:159]
	ds_read_b128 v[156:159], v2 offset:1232
	s_waitcnt vmcnt(5)
	v_mul_f64 v[198:199], v[152:153], v[142:143]
	v_fmac_f64_e32 v[198:199], v[154:155], v[140:141]
	s_waitcnt vmcnt(4) lgkmcnt(1)
	v_mul_f64 v[180:181], v[188:189], v[150:151]
	v_add_f64 v[196:197], v[196:197], v[198:199]
	v_fmac_f64_e32 v[180:181], v[190:191], v[148:149]
	v_mul_f64 v[162:163], v[194:195], v[162:163]
	v_add_f64 v[198:199], v[196:197], v[180:181]
	v_fma_f64 v[196:197], v[192:193], v[160:161], -v[162:163]
	ds_read_b128 v[160:163], v2 offset:1248
	s_waitcnt vmcnt(3) lgkmcnt(1)
	v_mul_f64 v[192:193], v[156:157], v[166:167]
	ds_read_b128 v[180:183], v2 offset:1264
	v_fmac_f64_e32 v[192:193], v[158:159], v[164:165]
	v_mul_f64 v[170:171], v[186:187], v[170:171]
	v_add_f64 v[192:193], v[198:199], v[192:193]
	v_fma_f64 v[198:199], v[184:185], v[168:169], -v[170:171]
	ds_read_b128 v[168:171], v2 offset:1280
	s_waitcnt vmcnt(2) lgkmcnt(2)
	v_mul_f64 v[184:185], v[160:161], v[174:175]
	v_fmac_f64_e32 v[184:185], v[162:163], v[172:173]
	s_waitcnt vmcnt(1) lgkmcnt(1)
	v_mul_f64 v[186:187], v[180:181], v[178:179]
	v_add_f64 v[184:185], v[192:193], v[184:185]
	v_fmac_f64_e32 v[186:187], v[182:183], v[176:177]
	v_add_f64 v[184:185], v[184:185], v[186:187]
	s_waitcnt vmcnt(0) lgkmcnt(0)
	v_mul_f64 v[186:187], v[168:169], v[202:203]
	v_fmac_f64_e32 v[186:187], v[170:171], v[200:201]
	v_add_f64 v[254:255], v[184:185], v[186:187]
	scratch_load_dwordx4 v[184:187], off, off offset:656
	ds_read_b128 v[192:195], v2 offset:1296
	v_add_f64 v[244:245], v[244:245], 0
	v_add_f64 v[244:245], v[244:245], v[252:253]
	;; [unrolled: 1-line block ×4, first 2 shown]
	v_mul_f64 v[6:7], v[66:67], v[6:7]
	v_add_f64 v[196:197], v[196:197], v[198:199]
	v_fma_f64 v[4:5], v[64:65], v[4:5], -v[6:7]
	v_mul_f64 v[6:7], v[78:79], v[10:11]
	v_add_f64 v[4:5], v[196:197], v[4:5]
	v_fma_f64 v[6:7], v[76:77], v[8:9], -v[6:7]
	v_add_f64 v[4:5], v[4:5], v[6:7]
	v_mul_f64 v[6:7], v[74:75], v[14:15]
	v_fma_f64 v[6:7], v[72:73], v[12:13], -v[6:7]
	v_add_f64 v[4:5], v[4:5], v[6:7]
	v_mul_f64 v[6:7], v[70:71], v[18:19]
	;; [unrolled: 3-line block ×23, first 2 shown]
	s_waitcnt vmcnt(0) lgkmcnt(0)
	v_mul_f64 v[2:3], v[192:193], v[186:187]
	v_fmac_f64_e32 v[2:3], v[194:195], v[184:185]
	v_add_f64 v[2:3], v[254:255], v[2:3]
	scratch_load_dwordx4 v[252:255], off, off offset:112
	v_fma_f64 v[6:7], v[156:157], v[164:165], -v[6:7]
	v_add_f64 v[4:5], v[4:5], v[6:7]
	v_mul_f64 v[6:7], v[162:163], v[174:175]
	v_fma_f64 v[6:7], v[160:161], v[172:173], -v[6:7]
	v_add_f64 v[4:5], v[4:5], v[6:7]
	v_mul_f64 v[6:7], v[182:183], v[178:179]
	;; [unrolled: 3-line block ×4, first 2 shown]
	v_fma_f64 v[6:7], v[192:193], v[184:185], -v[6:7]
	v_add_f64 v[4:5], v[4:5], v[6:7]
	s_waitcnt vmcnt(0)
	v_add_f64 v[4:5], v[252:253], -v[4:5]
	v_add_f64 v[6:7], v[254:255], -v[2:3]
	scratch_store_dwordx4 off, v[4:7], off offset:112
	s_and_saveexec_b64 s[0:1], vcc
	s_cbranch_execz .LBB104_249
; %bb.248:
	scratch_load_dwordx4 v[2:5], off, s52
	v_mov_b32_e32 v6, 0
	v_mov_b32_e32 v7, v6
	v_mov_b32_e32 v8, v6
	v_mov_b32_e32 v9, v6
	v_accvgpr_read_b32 v0, a83
	scratch_store_dwordx4 off, v[6:9], off offset:96
	s_waitcnt vmcnt(1)
	ds_write_b128 v0, v[2:5]
.LBB104_249:
	s_or_b64 exec, exec, s[0:1]
	s_waitcnt lgkmcnt(0)
	; wave barrier
	scratch_load_dwordx4 v[184:187], off, off offset:112
	scratch_load_dwordx4 v[188:191], off, off offset:128
	;; [unrolled: 1-line block ×32, first 2 shown]
	v_mov_b32_e32 v2, 0
	ds_read_b128 v[192:195], v2 offset:752
	ds_read_b128 v[204:207], v2 offset:768
	;; [unrolled: 1-line block ×16, first 2 shown]
	v_cmp_lt_u32_e32 vcc, 4, v240
	s_waitcnt vmcnt(31) lgkmcnt(14)
	v_mul_f64 v[104:105], v[192:193], v[186:187]
	s_waitcnt vmcnt(30)
	v_mul_f64 v[106:107], v[204:205], v[190:191]
	v_fmac_f64_e32 v[104:105], v[194:195], v[184:185]
	s_waitcnt vmcnt(29) lgkmcnt(13)
	v_mul_f64 v[112:113], v[216:217], v[198:199]
	v_fmac_f64_e32 v[106:107], v[206:207], v[188:189]
	v_add_f64 v[104:105], v[104:105], 0
	s_waitcnt vmcnt(28) lgkmcnt(12)
	v_mul_f64 v[114:115], v[224:225], v[202:203]
	v_fmac_f64_e32 v[112:113], v[218:219], v[196:197]
	v_add_f64 v[104:105], v[104:105], v[106:107]
	;; [unrolled: 4-line block ×10, first 2 shown]
	ds_read_b128 v[152:155], v2 offset:1008
	ds_read_b128 v[156:159], v2 offset:1024
	s_waitcnt vmcnt(19) lgkmcnt(5)
	v_mul_f64 v[164:165], v[124:125], v[26:27]
	v_fmac_f64_e32 v[162:163], v[134:135], v[20:21]
	v_add_f64 v[104:105], v[104:105], v[160:161]
	s_waitcnt vmcnt(18) lgkmcnt(4)
	v_mul_f64 v[166:167], v[120:121], v[30:31]
	v_fmac_f64_e32 v[164:165], v[126:127], v[24:25]
	v_add_f64 v[104:105], v[104:105], v[162:163]
	;; [unrolled: 4-line block ×4, first 2 shown]
	v_add_f64 v[112:113], v[104:105], v[168:169]
	v_fmac_f64_e32 v[170:171], v[110:111], v[36:37]
	scratch_load_dwordx4 v[104:107], off, off offset:624
	s_waitcnt vmcnt(16) lgkmcnt(1)
	v_mul_f64 v[114:115], v[152:153], v[42:43]
	v_add_f64 v[112:113], v[112:113], v[170:171]
	v_fmac_f64_e32 v[114:115], v[154:155], v[40:41]
	v_add_f64 v[128:129], v[112:113], v[114:115]
	scratch_load_dwordx4 v[112:115], off, off offset:640
	s_waitcnt vmcnt(16) lgkmcnt(0)
	v_mul_f64 v[130:131], v[156:157], v[46:47]
	v_fmac_f64_e32 v[130:131], v[158:159], v[44:45]
	v_add_f64 v[168:169], v[128:129], v[130:131]
	scratch_load_dwordx4 v[128:131], off, off offset:656
	ds_read_b128 v[160:163], v2 offset:1040
	ds_read_b128 v[164:167], v2 offset:1056
	v_mul_f64 v[186:187], v[194:195], v[186:187]
	v_fma_f64 v[246:247], v[192:193], v[184:185], -v[186:187]
	ds_read_b128 v[184:187], v2 offset:1136
	s_waitcnt vmcnt(16) lgkmcnt(2)
	v_mul_f64 v[170:171], v[160:161], v[50:51]
	v_fmac_f64_e32 v[170:171], v[162:163], v[48:49]
	s_waitcnt vmcnt(15) lgkmcnt(1)
	v_mul_f64 v[174:175], v[164:165], v[54:55]
	v_add_f64 v[172:173], v[168:169], v[170:171]
	ds_read_b128 v[168:171], v2 offset:1072
	v_fmac_f64_e32 v[174:175], v[166:167], v[52:53]
	v_add_f64 v[176:177], v[172:173], v[174:175]
	ds_read_b128 v[172:175], v2 offset:1088
	v_mul_f64 v[190:191], v[206:207], v[190:191]
	s_waitcnt vmcnt(14) lgkmcnt(1)
	v_mul_f64 v[178:179], v[168:169], v[58:59]
	v_fmac_f64_e32 v[178:179], v[170:171], v[56:57]
	v_add_f64 v[180:181], v[176:177], v[178:179]
	s_waitcnt vmcnt(13) lgkmcnt(0)
	v_mul_f64 v[182:183], v[172:173], v[62:63]
	ds_read_b128 v[176:179], v2 offset:1104
	v_fmac_f64_e32 v[182:183], v[174:175], v[60:61]
	v_add_f64 v[232:233], v[180:181], v[182:183]
	ds_read_b128 v[180:183], v2 offset:1120
	v_fma_f64 v[248:249], v[204:205], v[188:189], -v[190:191]
	s_waitcnt vmcnt(12) lgkmcnt(1)
	v_mul_f64 v[234:235], v[176:177], v[66:67]
	v_fmac_f64_e32 v[234:235], v[178:179], v[64:65]
	v_add_f64 v[232:233], v[232:233], v[234:235]
	s_waitcnt vmcnt(11) lgkmcnt(0)
	v_mul_f64 v[192:193], v[180:181], v[70:71]
	v_fmac_f64_e32 v[192:193], v[182:183], v[68:69]
	ds_read_b128 v[188:191], v2 offset:1152
	s_waitcnt vmcnt(10)
	v_mul_f64 v[194:195], v[184:185], v[74:75]
	v_add_f64 v[192:193], v[232:233], v[192:193]
	v_fmac_f64_e32 v[194:195], v[186:187], v[72:73]
	v_add_f64 v[204:205], v[192:193], v[194:195]
	ds_read_b128 v[192:195], v2 offset:1168
	v_mul_f64 v[198:199], v[218:219], v[198:199]
	v_fma_f64 v[250:251], v[216:217], v[196:197], -v[198:199]
	ds_read_b128 v[196:199], v2 offset:1184
	s_waitcnt vmcnt(9) lgkmcnt(2)
	v_mul_f64 v[206:207], v[188:189], v[78:79]
	v_fmac_f64_e32 v[206:207], v[190:191], v[76:77]
	v_add_f64 v[204:205], v[204:205], v[206:207]
	s_waitcnt vmcnt(8) lgkmcnt(1)
	v_mul_f64 v[206:207], v[192:193], v[82:83]
	v_fmac_f64_e32 v[206:207], v[194:195], v[80:81]
	v_mul_f64 v[202:203], v[226:227], v[202:203]
	v_add_f64 v[204:205], v[204:205], v[206:207]
	v_fma_f64 v[234:235], v[224:225], v[200:201], -v[202:203]
	ds_read_b128 v[200:203], v2 offset:1200
	s_waitcnt vmcnt(7) lgkmcnt(1)
	v_mul_f64 v[206:207], v[196:197], v[86:87]
	v_fmac_f64_e32 v[206:207], v[198:199], v[84:85]
	v_add_f64 v[216:217], v[204:205], v[206:207]
	ds_read_b128 v[204:207], v2 offset:1216
	v_mul_f64 v[210:211], v[230:231], v[210:211]
	v_fma_f64 v[236:237], v[228:229], v[208:209], -v[210:211]
	ds_read_b128 v[208:211], v2 offset:1232
	s_waitcnt vmcnt(6) lgkmcnt(2)
	v_mul_f64 v[218:219], v[200:201], v[90:91]
	v_fmac_f64_e32 v[218:219], v[202:203], v[88:89]
	v_add_f64 v[216:217], v[216:217], v[218:219]
	s_waitcnt vmcnt(5) lgkmcnt(1)
	v_mul_f64 v[218:219], v[204:205], v[94:95]
	v_fmac_f64_e32 v[218:219], v[206:207], v[92:93]
	v_mul_f64 v[214:215], v[244:245], v[214:215]
	v_fma_f64 v[238:239], v[242:243], v[212:213], -v[214:215]
	ds_read_b128 v[212:215], v2 offset:1248
	v_add_f64 v[216:217], v[216:217], v[218:219]
	s_waitcnt vmcnt(4) lgkmcnt(1)
	v_mul_f64 v[218:219], v[208:209], v[102:103]
	v_fmac_f64_e32 v[218:219], v[210:211], v[100:101]
	v_add_f64 v[224:225], v[216:217], v[218:219]
	ds_read_b128 v[216:219], v2 offset:1264
	v_mul_f64 v[222:223], v[254:255], v[222:223]
	v_fma_f64 v[242:243], v[252:253], v[220:221], -v[222:223]
	ds_read_b128 v[220:223], v2 offset:1280
	s_waitcnt vmcnt(3) lgkmcnt(2)
	v_mul_f64 v[226:227], v[212:213], v[98:99]
	v_fmac_f64_e32 v[226:227], v[214:215], v[96:97]
	v_add_f64 v[224:225], v[224:225], v[226:227]
	s_waitcnt vmcnt(2) lgkmcnt(1)
	v_mul_f64 v[226:227], v[216:217], v[106:107]
	v_fmac_f64_e32 v[226:227], v[218:219], v[104:105]
	v_add_f64 v[224:225], v[224:225], v[226:227]
	;; [unrolled: 4-line block ×3, first 2 shown]
	ds_read_b128 v[224:227], v2 offset:1296
	v_mul_f64 v[6:7], v[150:151], v[6:7]
	v_fma_f64 v[4:5], v[148:149], v[4:5], -v[6:7]
	v_mul_f64 v[6:7], v[146:147], v[10:11]
	v_fma_f64 v[6:7], v[144:145], v[8:9], -v[6:7]
	s_waitcnt vmcnt(0) lgkmcnt(0)
	v_mul_f64 v[230:231], v[224:225], v[130:131]
	v_fmac_f64_e32 v[230:231], v[226:227], v[128:129]
	v_add_f64 v[232:233], v[228:229], v[230:231]
	v_add_f64 v[228:229], v[246:247], 0
	;; [unrolled: 1-line block ×4, first 2 shown]
	scratch_load_dwordx4 v[228:231], off, off offset:96
	v_add_f64 v[234:235], v[252:253], v[234:235]
	v_add_f64 v[234:235], v[234:235], v[236:237]
	;; [unrolled: 1-line block ×6, first 2 shown]
	v_mul_f64 v[6:7], v[142:143], v[14:15]
	v_fma_f64 v[6:7], v[140:141], v[12:13], -v[6:7]
	v_add_f64 v[4:5], v[4:5], v[6:7]
	v_mul_f64 v[6:7], v[138:139], v[18:19]
	v_fma_f64 v[6:7], v[136:137], v[16:17], -v[6:7]
	v_add_f64 v[4:5], v[4:5], v[6:7]
	;; [unrolled: 3-line block ×26, first 2 shown]
	s_waitcnt vmcnt(0)
	v_add_f64 v[4:5], v[228:229], -v[4:5]
	v_add_f64 v[6:7], v[230:231], -v[232:233]
	scratch_store_dwordx4 off, v[4:7], off offset:96
	s_and_saveexec_b64 s[0:1], vcc
	s_cbranch_execz .LBB104_251
; %bb.250:
	scratch_load_dwordx4 v[6:9], off, s53
	v_mov_b32_e32 v3, v2
	v_mov_b32_e32 v4, v2
	;; [unrolled: 1-line block ×3, first 2 shown]
	v_accvgpr_read_b32 v0, a83
	scratch_store_dwordx4 off, v[2:5], off offset:80
	s_waitcnt vmcnt(1)
	ds_write_b128 v0, v[6:9]
.LBB104_251:
	s_or_b64 exec, exec, s[0:1]
	s_waitcnt lgkmcnt(0)
	; wave barrier
	scratch_load_dwordx4 v[140:143], off, off offset:96
	scratch_load_dwordx4 v[144:147], off, off offset:112
	;; [unrolled: 1-line block ×16, first 2 shown]
	ds_read_b128 v[208:211], v2 offset:736
	ds_read_b128 v[200:203], v2 offset:752
	ds_read_b128 v[188:191], v2 offset:768
	scratch_load_dwordx4 v[40:43], off, off offset:352
	ds_read_b128 v[204:207], v2 offset:784
	ds_read_b128 v[192:195], v2 offset:800
	;; [unrolled: 1-line block ×3, first 2 shown]
	scratch_load_dwordx4 v[44:47], off, off offset:368
	ds_read_b128 v[196:199], v2 offset:832
	ds_read_b128 v[64:67], v2 offset:848
	;; [unrolled: 1-line block ×4, first 2 shown]
	scratch_load_dwordx4 v[48:51], off, off offset:384
	ds_read_b128 v[72:75], v2 offset:896
	ds_read_b128 v[68:71], v2 offset:912
	scratch_load_dwordx4 v[56:59], off, off offset:400
	ds_read_b128 v[92:95], v2 offset:928
	ds_read_b128 v[88:91], v2 offset:944
	;; [unrolled: 1-line block ×4, first 2 shown]
	scratch_load_dwordx4 v[76:79], off, off offset:416
	scratch_load_dwordx4 v[96:99], off, off offset:432
	;; [unrolled: 1-line block ×12, first 2 shown]
	ds_read_b128 v[168:171], v2 offset:992
	v_accvgpr_write_b32 a82, v240
	v_cmp_lt_u32_e32 vcc, 3, v240
	s_waitcnt vmcnt(31) lgkmcnt(14)
	v_mul_f64 v[172:173], v[208:209], v[142:143]
	s_waitcnt vmcnt(30)
	v_mul_f64 v[174:175], v[200:201], v[146:147]
	v_fmac_f64_e32 v[172:173], v[210:211], v[140:141]
	s_waitcnt vmcnt(29)
	v_mul_f64 v[176:177], v[188:189], v[150:151]
	v_fmac_f64_e32 v[174:175], v[202:203], v[144:145]
	v_add_f64 v[172:173], v[172:173], 0
	s_waitcnt vmcnt(28) lgkmcnt(13)
	v_mul_f64 v[178:179], v[204:205], v[154:155]
	v_fmac_f64_e32 v[176:177], v[190:191], v[148:149]
	v_add_f64 v[172:173], v[172:173], v[174:175]
	s_waitcnt vmcnt(27) lgkmcnt(12)
	;; [unrolled: 4-line block ×10, first 2 shown]
	v_mul_f64 v[224:225], v[92:93], v[26:27]
	v_fmac_f64_e32 v[222:223], v[70:71], v[20:21]
	v_add_f64 v[172:173], v[172:173], v[220:221]
	ds_read_b128 v[212:215], v2 offset:1008
	s_waitcnt vmcnt(18) lgkmcnt(4)
	v_mul_f64 v[226:227], v[88:89], v[30:31]
	v_fmac_f64_e32 v[224:225], v[94:95], v[24:25]
	v_add_f64 v[172:173], v[172:173], v[222:223]
	ds_read_b128 v[216:219], v2 offset:1024
	ds_read_b128 v[220:223], v2 offset:1040
	s_waitcnt vmcnt(17) lgkmcnt(5)
	v_mul_f64 v[228:229], v[84:85], v[34:35]
	v_fmac_f64_e32 v[226:227], v[90:91], v[28:29]
	v_add_f64 v[172:173], v[172:173], v[224:225]
	s_waitcnt vmcnt(16) lgkmcnt(4)
	v_mul_f64 v[230:231], v[80:81], v[38:39]
	v_fmac_f64_e32 v[228:229], v[86:87], v[32:33]
	v_add_f64 v[172:173], v[172:173], v[226:227]
	v_add_f64 v[176:177], v[172:173], v[228:229]
	v_fmac_f64_e32 v[230:231], v[82:83], v[36:37]
	s_waitcnt vmcnt(15) lgkmcnt(3)
	v_mul_f64 v[178:179], v[168:169], v[42:43]
	v_add_f64 v[176:177], v[176:177], v[230:231]
	v_fmac_f64_e32 v[178:179], v[170:171], v[40:41]
	s_waitcnt vmcnt(14) lgkmcnt(2)
	v_mul_f64 v[182:183], v[212:213], v[46:47]
	;; [unrolled: 4-line block ×3, first 2 shown]
	v_add_f64 v[224:225], v[180:181], v[182:183]
	v_fmac_f64_e32 v[226:227], v[218:219], v[48:49]
	v_add_f64 v[228:229], v[224:225], v[226:227]
	ds_read_b128 v[224:227], v2 offset:1056
	s_waitcnt vmcnt(12) lgkmcnt(1)
	v_mul_f64 v[230:231], v[220:221], v[58:59]
	v_fmac_f64_e32 v[230:231], v[222:223], v[56:57]
	v_add_f64 v[232:233], v[228:229], v[230:231]
	ds_read_b128 v[228:231], v2 offset:1072
	s_waitcnt vmcnt(11) lgkmcnt(1)
	v_mul_f64 v[234:235], v[224:225], v[78:79]
	;; [unrolled: 5-line block ×4, first 2 shown]
	v_fmac_f64_e32 v[244:245], v[234:235], v[100:101]
	v_mul_f64 v[142:143], v[210:211], v[142:143]
	v_add_f64 v[242:243], v[242:243], v[244:245]
	v_fma_f64 v[244:245], v[208:209], v[140:141], -v[142:143]
	ds_read_b128 v[140:143], v2 offset:1120
	s_waitcnt vmcnt(8) lgkmcnt(1)
	v_mul_f64 v[208:209], v[236:237], v[106:107]
	v_fmac_f64_e32 v[208:209], v[238:239], v[104:105]
	v_mul_f64 v[146:147], v[202:203], v[146:147]
	v_add_f64 v[208:209], v[242:243], v[208:209]
	v_fma_f64 v[242:243], v[200:201], v[144:145], -v[146:147]
	ds_read_b128 v[144:147], v2 offset:1136
	s_waitcnt vmcnt(7) lgkmcnt(1)
	v_mul_f64 v[200:201], v[140:141], v[110:111]
	scratch_load_dwordx4 v[172:175], off, off offset:608
	scratch_load_dwordx4 v[176:179], off, off offset:624
	v_fmac_f64_e32 v[200:201], v[142:143], v[108:109]
	v_add_f64 v[208:209], v[208:209], v[200:201]
	ds_read_b128 v[200:203], v2 offset:1152
	v_mul_f64 v[150:151], v[190:191], v[150:151]
	v_fma_f64 v[246:247], v[188:189], v[148:149], -v[150:151]
	ds_read_b128 v[148:151], v2 offset:1168
	s_waitcnt vmcnt(8) lgkmcnt(2)
	v_mul_f64 v[210:211], v[144:145], v[114:115]
	v_fmac_f64_e32 v[210:211], v[146:147], v[112:113]
	s_waitcnt vmcnt(7) lgkmcnt(1)
	v_mul_f64 v[188:189], v[200:201], v[118:119]
	v_add_f64 v[208:209], v[208:209], v[210:211]
	v_fmac_f64_e32 v[188:189], v[202:203], v[116:117]
	v_mul_f64 v[154:155], v[206:207], v[154:155]
	s_waitcnt vmcnt(6) lgkmcnt(0)
	v_mul_f64 v[190:191], v[148:149], v[122:123]
	v_add_f64 v[188:189], v[208:209], v[188:189]
	v_fma_f64 v[248:249], v[204:205], v[152:153], -v[154:155]
	ds_read_b128 v[152:155], v2 offset:1184
	v_fmac_f64_e32 v[190:191], v[150:151], v[120:121]
	scratch_load_dwordx4 v[180:183], off, off offset:640
	v_add_f64 v[204:205], v[188:189], v[190:191]
	ds_read_b128 v[188:191], v2 offset:1200
	s_waitcnt vmcnt(6) lgkmcnt(1)
	v_mul_f64 v[206:207], v[152:153], v[126:127]
	v_mul_f64 v[158:159], v[194:195], v[158:159]
	v_fmac_f64_e32 v[206:207], v[154:155], v[124:125]
	v_fma_f64 v[250:251], v[192:193], v[156:157], -v[158:159]
	s_waitcnt vmcnt(5) lgkmcnt(0)
	v_mul_f64 v[192:193], v[188:189], v[130:131]
	v_add_f64 v[204:205], v[204:205], v[206:207]
	v_fmac_f64_e32 v[192:193], v[190:191], v[128:129]
	v_mul_f64 v[162:163], v[186:187], v[162:163]
	v_fma_f64 v[208:209], v[184:185], v[160:161], -v[162:163]
	v_add_f64 v[184:185], v[204:205], v[192:193]
	scratch_load_dwordx4 v[204:207], off, off offset:656
	ds_read_b128 v[156:159], v2 offset:1216
	ds_read_b128 v[160:163], v2 offset:1232
	v_mul_f64 v[166:167], v[198:199], v[166:167]
	v_fma_f64 v[210:211], v[196:197], v[164:165], -v[166:167]
	ds_read_b128 v[164:167], v2 offset:1264
	s_waitcnt vmcnt(5) lgkmcnt(2)
	v_mul_f64 v[186:187], v[156:157], v[138:139]
	v_fmac_f64_e32 v[186:187], v[158:159], v[136:137]
	v_add_f64 v[192:193], v[184:185], v[186:187]
	ds_read_b128 v[184:187], v2 offset:1248
	s_waitcnt vmcnt(4) lgkmcnt(2)
	v_mul_f64 v[194:195], v[160:161], v[134:135]
	v_fmac_f64_e32 v[194:195], v[162:163], v[132:133]
	v_add_f64 v[192:193], v[192:193], v[194:195]
	v_add_f64 v[244:245], v[244:245], 0
	;; [unrolled: 1-line block ×7, first 2 shown]
	v_mul_f64 v[6:7], v[66:67], v[6:7]
	v_add_f64 v[208:209], v[208:209], v[210:211]
	v_fma_f64 v[4:5], v[64:65], v[4:5], -v[6:7]
	v_mul_f64 v[6:7], v[62:63], v[10:11]
	v_add_f64 v[4:5], v[208:209], v[4:5]
	v_fma_f64 v[6:7], v[60:61], v[8:9], -v[6:7]
	v_add_f64 v[4:5], v[4:5], v[6:7]
	v_mul_f64 v[6:7], v[54:55], v[14:15]
	v_fma_f64 v[6:7], v[52:53], v[12:13], -v[6:7]
	v_add_f64 v[4:5], v[4:5], v[6:7]
	v_mul_f64 v[6:7], v[74:75], v[18:19]
	;; [unrolled: 3-line block ×8, first 2 shown]
	s_waitcnt vmcnt(3) lgkmcnt(0)
	v_mul_f64 v[194:195], v[184:185], v[174:175]
	v_fmac_f64_e32 v[194:195], v[186:187], v[172:173]
	v_add_f64 v[192:193], v[192:193], v[194:195]
	s_waitcnt vmcnt(2)
	v_mul_f64 v[194:195], v[164:165], v[178:179]
	v_fmac_f64_e32 v[194:195], v[166:167], v[176:177]
	v_add_f64 v[196:197], v[192:193], v[194:195]
	ds_read_b128 v[192:195], v2 offset:1280
	v_fma_f64 v[6:7], v[168:169], v[40:41], -v[6:7]
	v_add_f64 v[4:5], v[4:5], v[6:7]
	v_mul_f64 v[6:7], v[214:215], v[46:47]
	v_fma_f64 v[6:7], v[212:213], v[44:45], -v[6:7]
	v_add_f64 v[4:5], v[4:5], v[6:7]
	v_mul_f64 v[6:7], v[218:219], v[50:51]
	;; [unrolled: 3-line block ×4, first 2 shown]
	s_waitcnt vmcnt(1) lgkmcnt(0)
	v_mul_f64 v[198:199], v[192:193], v[182:183]
	v_fmac_f64_e32 v[198:199], v[194:195], v[180:181]
	v_add_f64 v[252:253], v[196:197], v[198:199]
	ds_read_b128 v[196:199], v2 offset:1296
	v_fma_f64 v[6:7], v[224:225], v[76:77], -v[6:7]
	v_add_f64 v[4:5], v[4:5], v[6:7]
	v_mul_f64 v[6:7], v[230:231], v[98:99]
	v_fma_f64 v[6:7], v[228:229], v[96:97], -v[6:7]
	v_add_f64 v[4:5], v[4:5], v[6:7]
	v_mul_f64 v[6:7], v[234:235], v[102:103]
	;; [unrolled: 3-line block ×3, first 2 shown]
	s_waitcnt vmcnt(0) lgkmcnt(0)
	v_mul_f64 v[2:3], v[196:197], v[206:207]
	v_fmac_f64_e32 v[2:3], v[198:199], v[204:205]
	v_add_f64 v[2:3], v[252:253], v[2:3]
	scratch_load_dwordx4 v[252:255], off, off offset:80
	v_fma_f64 v[6:7], v[236:237], v[104:105], -v[6:7]
	v_add_f64 v[4:5], v[4:5], v[6:7]
	v_mul_f64 v[6:7], v[142:143], v[110:111]
	v_fma_f64 v[6:7], v[140:141], v[108:109], -v[6:7]
	v_add_f64 v[4:5], v[4:5], v[6:7]
	v_mul_f64 v[6:7], v[146:147], v[114:115]
	;; [unrolled: 3-line block ×12, first 2 shown]
	v_fma_f64 v[6:7], v[196:197], v[204:205], -v[6:7]
	v_add_f64 v[4:5], v[4:5], v[6:7]
	s_waitcnt vmcnt(0)
	v_add_f64 v[4:5], v[252:253], -v[4:5]
	v_add_f64 v[6:7], v[254:255], -v[2:3]
	scratch_store_dwordx4 off, v[4:7], off offset:80
	s_and_saveexec_b64 s[0:1], vcc
	s_cbranch_execz .LBB104_253
; %bb.252:
	scratch_load_dwordx4 v[2:5], off, s54
	v_mov_b32_e32 v6, 0
	v_mov_b32_e32 v7, v6
	;; [unrolled: 1-line block ×4, first 2 shown]
	v_accvgpr_read_b32 v0, a83
	scratch_store_dwordx4 off, v[6:9], off offset:64
	s_waitcnt vmcnt(1)
	ds_write_b128 v0, v[2:5]
.LBB104_253:
	s_or_b64 exec, exec, s[0:1]
	s_waitcnt lgkmcnt(0)
	; wave barrier
	scratch_load_dwordx4 v[168:171], off, off offset:80
	scratch_load_dwordx4 v[172:175], off, off offset:96
	;; [unrolled: 1-line block ×32, first 2 shown]
	v_mov_b32_e32 v2, 0
	ds_read_b128 v[176:179], v2 offset:720
	ds_read_b128 v[188:191], v2 offset:736
	;; [unrolled: 1-line block ×17, first 2 shown]
	v_accvgpr_read_b32 v0, a82
	v_cmp_lt_u32_e32 vcc, 2, v0
	s_waitcnt vmcnt(31) lgkmcnt(14)
	v_mul_f64 v[104:105], v[176:177], v[170:171]
	s_waitcnt vmcnt(30)
	v_mul_f64 v[106:107], v[188:189], v[174:175]
	v_fmac_f64_e32 v[104:105], v[178:179], v[168:169]
	s_waitcnt vmcnt(29)
	v_mul_f64 v[108:109], v[200:201], v[182:183]
	v_fmac_f64_e32 v[106:107], v[190:191], v[172:173]
	v_add_f64 v[104:105], v[104:105], 0
	s_waitcnt vmcnt(28) lgkmcnt(13)
	v_mul_f64 v[110:111], v[212:213], v[186:187]
	v_fmac_f64_e32 v[108:109], v[202:203], v[180:181]
	v_add_f64 v[104:105], v[104:105], v[106:107]
	s_waitcnt vmcnt(27) lgkmcnt(12)
	;; [unrolled: 4-line block ×12, first 2 shown]
	v_mul_f64 v[156:157], v[112:113], v[26:27]
	v_fmac_f64_e32 v[154:155], v[118:119], v[20:21]
	v_add_f64 v[104:105], v[104:105], v[152:153]
	v_fmac_f64_e32 v[156:157], v[114:115], v[24:25]
	v_add_f64 v[104:105], v[104:105], v[154:155]
	s_waitcnt vmcnt(16) lgkmcnt(1)
	v_mul_f64 v[106:107], v[100:101], v[30:31]
	v_add_f64 v[104:105], v[104:105], v[156:157]
	v_fmac_f64_e32 v[106:107], v[102:103], v[28:29]
	v_add_f64 v[108:109], v[104:105], v[106:107]
	ds_read_b128 v[144:147], v2 offset:992
	ds_read_b128 v[148:151], v2 offset:1008
	scratch_load_dwordx4 v[104:107], off, off offset:592
	s_waitcnt vmcnt(16) lgkmcnt(2)
	v_mul_f64 v[110:111], v[96:97], v[34:35]
	v_fmac_f64_e32 v[110:111], v[98:99], v[32:33]
	v_add_f64 v[120:121], v[108:109], v[110:111]
	scratch_load_dwordx4 v[108:111], off, off offset:608
	s_waitcnt vmcnt(16) lgkmcnt(1)
	v_mul_f64 v[122:123], v[144:145], v[38:39]
	v_fmac_f64_e32 v[122:123], v[146:147], v[36:37]
	v_add_f64 v[132:133], v[120:121], v[122:123]
	s_waitcnt vmcnt(15) lgkmcnt(0)
	v_mul_f64 v[134:135], v[148:149], v[42:43]
	scratch_load_dwordx4 v[120:123], off, off offset:624
	v_fmac_f64_e32 v[134:135], v[150:151], v[40:41]
	v_add_f64 v[160:161], v[132:133], v[134:135]
	scratch_load_dwordx4 v[132:135], off, off offset:640
	ds_read_b128 v[152:155], v2 offset:1024
	ds_read_b128 v[156:159], v2 offset:1040
	v_mul_f64 v[170:171], v[178:179], v[170:171]
	v_fma_f64 v[246:247], v[176:177], v[168:169], -v[170:171]
	ds_read_b128 v[168:171], v2 offset:1088
	s_waitcnt vmcnt(16) lgkmcnt(2)
	v_mul_f64 v[162:163], v[152:153], v[46:47]
	v_fmac_f64_e32 v[162:163], v[154:155], v[44:45]
	s_waitcnt vmcnt(15) lgkmcnt(1)
	v_mul_f64 v[166:167], v[156:157], v[50:51]
	v_add_f64 v[164:165], v[160:161], v[162:163]
	ds_read_b128 v[160:163], v2 offset:1056
	v_fmac_f64_e32 v[166:167], v[158:159], v[48:49]
	v_add_f64 v[232:233], v[164:165], v[166:167]
	ds_read_b128 v[164:167], v2 offset:1072
	v_mul_f64 v[174:175], v[190:191], v[174:175]
	s_waitcnt vmcnt(14) lgkmcnt(1)
	v_mul_f64 v[234:235], v[160:161], v[54:55]
	v_fmac_f64_e32 v[234:235], v[162:163], v[52:53]
	v_add_f64 v[232:233], v[232:233], v[234:235]
	s_waitcnt vmcnt(13) lgkmcnt(0)
	v_mul_f64 v[176:177], v[164:165], v[58:59]
	v_fmac_f64_e32 v[176:177], v[166:167], v[56:57]
	v_fma_f64 v[248:249], v[188:189], v[172:173], -v[174:175]
	ds_read_b128 v[172:175], v2 offset:1104
	s_waitcnt vmcnt(12)
	v_mul_f64 v[178:179], v[168:169], v[62:63]
	v_add_f64 v[176:177], v[232:233], v[176:177]
	v_fmac_f64_e32 v[178:179], v[170:171], v[60:61]
	v_add_f64 v[188:189], v[176:177], v[178:179]
	ds_read_b128 v[176:179], v2 offset:1120
	v_mul_f64 v[182:183], v[202:203], v[182:183]
	v_fma_f64 v[250:251], v[200:201], v[180:181], -v[182:183]
	ds_read_b128 v[180:183], v2 offset:1136
	s_waitcnt vmcnt(11) lgkmcnt(2)
	v_mul_f64 v[190:191], v[172:173], v[66:67]
	v_fmac_f64_e32 v[190:191], v[174:175], v[64:65]
	v_add_f64 v[188:189], v[188:189], v[190:191]
	s_waitcnt vmcnt(10) lgkmcnt(1)
	v_mul_f64 v[190:191], v[176:177], v[70:71]
	v_fmac_f64_e32 v[190:191], v[178:179], v[68:69]
	v_mul_f64 v[186:187], v[214:215], v[186:187]
	v_fma_f64 v[240:241], v[212:213], v[184:185], -v[186:187]
	ds_read_b128 v[184:187], v2 offset:1152
	v_add_f64 v[188:189], v[188:189], v[190:191]
	s_waitcnt vmcnt(9) lgkmcnt(1)
	v_mul_f64 v[190:191], v[180:181], v[74:75]
	v_fmac_f64_e32 v[190:191], v[182:183], v[72:73]
	v_add_f64 v[200:201], v[188:189], v[190:191]
	ds_read_b128 v[188:191], v2 offset:1168
	v_mul_f64 v[194:195], v[222:223], v[194:195]
	v_fma_f64 v[232:233], v[220:221], v[192:193], -v[194:195]
	ds_read_b128 v[192:195], v2 offset:1184
	s_waitcnt vmcnt(8) lgkmcnt(2)
	v_mul_f64 v[202:203], v[184:185], v[78:79]
	v_fmac_f64_e32 v[202:203], v[186:187], v[76:77]
	v_add_f64 v[200:201], v[200:201], v[202:203]
	s_waitcnt vmcnt(7) lgkmcnt(1)
	v_mul_f64 v[202:203], v[188:189], v[82:83]
	v_fmac_f64_e32 v[202:203], v[190:191], v[80:81]
	v_mul_f64 v[198:199], v[226:227], v[198:199]
	v_add_f64 v[200:201], v[200:201], v[202:203]
	v_fma_f64 v[234:235], v[224:225], v[196:197], -v[198:199]
	ds_read_b128 v[196:199], v2 offset:1200
	s_waitcnt vmcnt(6) lgkmcnt(1)
	v_mul_f64 v[202:203], v[192:193], v[86:87]
	v_fmac_f64_e32 v[202:203], v[194:195], v[84:85]
	v_add_f64 v[212:213], v[200:201], v[202:203]
	ds_read_b128 v[200:203], v2 offset:1216
	v_mul_f64 v[206:207], v[230:231], v[206:207]
	v_fma_f64 v[236:237], v[228:229], v[204:205], -v[206:207]
	ds_read_b128 v[204:207], v2 offset:1232
	s_waitcnt vmcnt(5) lgkmcnt(2)
	v_mul_f64 v[214:215], v[196:197], v[94:95]
	v_fmac_f64_e32 v[214:215], v[198:199], v[92:93]
	v_add_f64 v[212:213], v[212:213], v[214:215]
	s_waitcnt vmcnt(4) lgkmcnt(1)
	v_mul_f64 v[214:215], v[200:201], v[90:91]
	v_fmac_f64_e32 v[214:215], v[202:203], v[88:89]
	v_mul_f64 v[210:211], v[244:245], v[210:211]
	v_fma_f64 v[238:239], v[242:243], v[208:209], -v[210:211]
	ds_read_b128 v[208:211], v2 offset:1248
	v_add_f64 v[212:213], v[212:213], v[214:215]
	s_waitcnt vmcnt(3) lgkmcnt(1)
	v_mul_f64 v[214:215], v[204:205], v[106:107]
	v_fmac_f64_e32 v[214:215], v[206:207], v[104:105]
	v_add_f64 v[220:221], v[212:213], v[214:215]
	ds_read_b128 v[212:215], v2 offset:1264
	v_mul_f64 v[218:219], v[254:255], v[218:219]
	v_fma_f64 v[252:253], v[252:253], v[216:217], -v[218:219]
	ds_read_b128 v[216:219], v2 offset:1280
	ds_read_b128 v[224:227], v2 offset:1296
	s_waitcnt vmcnt(2) lgkmcnt(3)
	v_mul_f64 v[222:223], v[208:209], v[110:111]
	v_fmac_f64_e32 v[222:223], v[210:211], v[108:109]
	v_add_f64 v[220:221], v[220:221], v[222:223]
	s_waitcnt vmcnt(1) lgkmcnt(2)
	v_mul_f64 v[222:223], v[212:213], v[122:123]
	v_fmac_f64_e32 v[222:223], v[214:215], v[120:121]
	v_add_f64 v[220:221], v[220:221], v[222:223]
	;; [unrolled: 4-line block ×3, first 2 shown]
	scratch_load_dwordx4 v[220:223], off, off offset:656
	v_mul_f64 v[6:7], v[142:143], v[6:7]
	v_fma_f64 v[4:5], v[140:141], v[4:5], -v[6:7]
	v_mul_f64 v[6:7], v[138:139], v[10:11]
	v_fma_f64 v[6:7], v[136:137], v[8:9], -v[6:7]
	s_waitcnt vmcnt(0) lgkmcnt(0)
	v_mul_f64 v[230:231], v[224:225], v[222:223]
	v_fmac_f64_e32 v[230:231], v[226:227], v[220:221]
	v_add_f64 v[242:243], v[228:229], v[230:231]
	v_add_f64 v[228:229], v[246:247], 0
	;; [unrolled: 1-line block ×6, first 2 shown]
	scratch_load_dwordx4 v[228:231], off, off offset:64
	v_add_f64 v[232:233], v[254:255], v[234:235]
	v_add_f64 v[232:233], v[232:233], v[236:237]
	;; [unrolled: 1-line block ×6, first 2 shown]
	v_mul_f64 v[6:7], v[130:131], v[14:15]
	v_fma_f64 v[6:7], v[128:129], v[12:13], -v[6:7]
	v_add_f64 v[4:5], v[4:5], v[6:7]
	v_mul_f64 v[6:7], v[126:127], v[18:19]
	v_fma_f64 v[6:7], v[124:125], v[16:17], -v[6:7]
	v_add_f64 v[4:5], v[4:5], v[6:7]
	;; [unrolled: 3-line block ×26, first 2 shown]
	s_waitcnt vmcnt(0)
	v_add_f64 v[4:5], v[228:229], -v[4:5]
	v_add_f64 v[6:7], v[230:231], -v[242:243]
	scratch_store_dwordx4 off, v[4:7], off offset:64
	s_and_saveexec_b64 s[0:1], vcc
	s_cbranch_execz .LBB104_255
; %bb.254:
	scratch_load_dwordx4 v[6:9], off, s55
	v_mov_b32_e32 v3, v2
	v_mov_b32_e32 v4, v2
	;; [unrolled: 1-line block ×3, first 2 shown]
	v_accvgpr_read_b32 v0, a83
	scratch_store_dwordx4 off, v[2:5], off offset:48
	s_waitcnt vmcnt(1)
	ds_write_b128 v0, v[6:9]
.LBB104_255:
	s_or_b64 exec, exec, s[0:1]
	s_waitcnt lgkmcnt(0)
	; wave barrier
	scratch_load_dwordx4 v[168:171], off, off offset:64
	scratch_load_dwordx4 v[172:175], off, off offset:80
	;; [unrolled: 1-line block ×16, first 2 shown]
	ds_read_b128 v[232:235], v2 offset:704
	ds_read_b128 v[176:179], v2 offset:720
	scratch_load_dwordx4 v[32:35], off, off offset:320
	ds_read_b128 v[236:239], v2 offset:736
	ds_read_b128 v[188:191], v2 offset:752
	;; [unrolled: 1-line block ×5, first 2 shown]
	scratch_load_dwordx4 v[36:39], off, off offset:336
	ds_read_b128 v[224:227], v2 offset:816
	ds_read_b128 v[220:223], v2 offset:832
	;; [unrolled: 1-line block ×3, first 2 shown]
	scratch_load_dwordx4 v[40:43], off, off offset:352
	ds_read_b128 v[64:67], v2 offset:864
	ds_read_b128 v[60:63], v2 offset:880
	;; [unrolled: 1-line block ×4, first 2 shown]
	scratch_load_dwordx4 v[48:51], off, off offset:368
	ds_read_b128 v[80:83], v2 offset:928
	ds_read_b128 v[72:75], v2 offset:944
	;; [unrolled: 1-line block ×3, first 2 shown]
	scratch_load_dwordx4 v[76:79], off, off offset:384
	scratch_load_dwordx4 v[84:87], off, off offset:400
	;; [unrolled: 1-line block ×12, first 2 shown]
	v_accvgpr_read_b32 v0, a82
	v_cmp_lt_u32_e32 vcc, 1, v0
	s_waitcnt vmcnt(31) lgkmcnt(14)
	v_mul_f64 v[128:129], v[232:233], v[170:171]
	s_waitcnt vmcnt(30)
	v_mul_f64 v[130:131], v[176:177], v[174:175]
	v_fmac_f64_e32 v[128:129], v[234:235], v[168:169]
	s_waitcnt vmcnt(29)
	v_mul_f64 v[132:133], v[236:237], v[182:183]
	v_fmac_f64_e32 v[130:131], v[178:179], v[172:173]
	v_add_f64 v[128:129], v[128:129], 0
	s_waitcnt vmcnt(28) lgkmcnt(13)
	v_mul_f64 v[134:135], v[188:189], v[186:187]
	v_fmac_f64_e32 v[132:133], v[238:239], v[180:181]
	v_add_f64 v[128:129], v[128:129], v[130:131]
	s_waitcnt vmcnt(27) lgkmcnt(12)
	;; [unrolled: 4-line block ×13, first 2 shown]
	v_mul_f64 v[158:159], v[72:73], v[30:31]
	v_fmac_f64_e32 v[156:157], v[82:83], v[24:25]
	v_add_f64 v[128:129], v[128:129], v[154:155]
	v_add_f64 v[128:129], v[128:129], v[156:157]
	v_fmac_f64_e32 v[158:159], v[74:75], v[28:29]
	v_add_f64 v[132:133], v[128:129], v[158:159]
	ds_read_b128 v[144:147], v2 offset:976
	ds_read_b128 v[148:151], v2 offset:992
	scratch_load_dwordx4 v[128:131], off, off offset:576
	s_waitcnt vmcnt(16) lgkmcnt(2)
	v_mul_f64 v[134:135], v[68:69], v[34:35]
	v_fmac_f64_e32 v[134:135], v[70:71], v[32:33]
	s_waitcnt vmcnt(15) lgkmcnt(1)
	v_mul_f64 v[138:139], v[144:145], v[38:39]
	v_add_f64 v[136:137], v[132:133], v[134:135]
	scratch_load_dwordx4 v[132:135], off, off offset:592
	v_fmac_f64_e32 v[138:139], v[146:147], v[36:37]
	v_add_f64 v[140:141], v[136:137], v[138:139]
	s_waitcnt vmcnt(15) lgkmcnt(0)
	v_mul_f64 v[142:143], v[148:149], v[42:43]
	scratch_load_dwordx4 v[136:139], off, off offset:608
	v_fmac_f64_e32 v[142:143], v[150:151], v[40:41]
	v_add_f64 v[160:161], v[140:141], v[142:143]
	scratch_load_dwordx4 v[140:143], off, off offset:624
	ds_read_b128 v[152:155], v2 offset:1008
	ds_read_b128 v[156:159], v2 offset:1024
	v_mul_f64 v[170:171], v[234:235], v[170:171]
	v_mul_f64 v[174:175], v[178:179], v[174:175]
	;; [unrolled: 1-line block ×3, first 2 shown]
	s_waitcnt vmcnt(16) lgkmcnt(1)
	v_mul_f64 v[162:163], v[152:153], v[50:51]
	v_fmac_f64_e32 v[162:163], v[154:155], v[48:49]
	v_add_f64 v[164:165], v[160:161], v[162:163]
	ds_read_b128 v[160:163], v2 offset:1040
	s_waitcnt vmcnt(15) lgkmcnt(1)
	v_mul_f64 v[166:167], v[156:157], v[78:79]
	v_fmac_f64_e32 v[166:167], v[158:159], v[76:77]
	v_add_f64 v[240:241], v[164:165], v[166:167]
	ds_read_b128 v[164:167], v2 offset:1056
	s_waitcnt vmcnt(14) lgkmcnt(1)
	v_mul_f64 v[242:243], v[160:161], v[86:87]
	v_fmac_f64_e32 v[242:243], v[162:163], v[84:85]
	v_add_f64 v[240:241], v[240:241], v[242:243]
	v_fma_f64 v[242:243], v[232:233], v[168:169], -v[170:171]
	ds_read_b128 v[168:171], v2 offset:1072
	s_waitcnt vmcnt(13) lgkmcnt(1)
	v_mul_f64 v[232:233], v[164:165], v[90:91]
	v_fmac_f64_e32 v[232:233], v[166:167], v[88:89]
	v_add_f64 v[232:233], v[240:241], v[232:233]
	v_fma_f64 v[240:241], v[176:177], v[172:173], -v[174:175]
	ds_read_b128 v[172:175], v2 offset:1088
	s_waitcnt vmcnt(12) lgkmcnt(1)
	v_mul_f64 v[176:177], v[168:169], v[94:95]
	v_fmac_f64_e32 v[176:177], v[170:171], v[92:93]
	v_add_f64 v[232:233], v[232:233], v[176:177]
	ds_read_b128 v[176:179], v2 offset:1104
	v_fma_f64 v[236:237], v[236:237], v[180:181], -v[182:183]
	ds_read_b128 v[180:183], v2 offset:1120
	s_waitcnt vmcnt(11) lgkmcnt(2)
	v_mul_f64 v[234:235], v[172:173], v[98:99]
	v_fmac_f64_e32 v[234:235], v[174:175], v[96:97]
	v_add_f64 v[232:233], v[232:233], v[234:235]
	s_waitcnt vmcnt(10) lgkmcnt(1)
	v_mul_f64 v[234:235], v[176:177], v[102:103]
	v_fmac_f64_e32 v[234:235], v[178:179], v[100:101]
	v_mul_f64 v[186:187], v[190:191], v[186:187]
	s_waitcnt vmcnt(9) lgkmcnt(0)
	v_mul_f64 v[190:191], v[180:181], v[106:107]
	v_fma_f64 v[238:239], v[188:189], v[184:185], -v[186:187]
	ds_read_b128 v[184:187], v2 offset:1136
	v_add_f64 v[188:189], v[232:233], v[234:235]
	v_fmac_f64_e32 v[190:191], v[182:183], v[104:105]
	v_add_f64 v[232:233], v[188:189], v[190:191]
	ds_read_b128 v[188:191], v2 offset:1152
	v_mul_f64 v[194:195], v[230:231], v[194:195]
	v_fma_f64 v[244:245], v[228:229], v[192:193], -v[194:195]
	ds_read_b128 v[192:195], v2 offset:1168
	s_waitcnt vmcnt(8) lgkmcnt(2)
	v_mul_f64 v[234:235], v[184:185], v[110:111]
	v_fmac_f64_e32 v[234:235], v[186:187], v[108:109]
	s_waitcnt vmcnt(7) lgkmcnt(1)
	v_mul_f64 v[228:229], v[188:189], v[114:115]
	v_mul_f64 v[198:199], v[202:203], v[198:199]
	v_add_f64 v[232:233], v[232:233], v[234:235]
	v_fmac_f64_e32 v[228:229], v[190:191], v[112:113]
	v_fma_f64 v[246:247], v[200:201], v[196:197], -v[198:199]
	ds_read_b128 v[196:199], v2 offset:1184
	s_waitcnt vmcnt(6) lgkmcnt(1)
	v_mul_f64 v[200:201], v[192:193], v[118:119]
	v_add_f64 v[228:229], v[232:233], v[228:229]
	v_fmac_f64_e32 v[200:201], v[194:195], v[116:117]
	v_add_f64 v[228:229], v[228:229], v[200:201]
	ds_read_b128 v[200:203], v2 offset:1200
	v_mul_f64 v[206:207], v[214:215], v[206:207]
	v_add_f64 v[242:243], v[242:243], 0
	v_fma_f64 v[248:249], v[212:213], v[204:205], -v[206:207]
	ds_read_b128 v[204:207], v2 offset:1216
	v_add_f64 v[240:241], v[242:243], v[240:241]
	v_add_f64 v[236:237], v[240:241], v[236:237]
	;; [unrolled: 1-line block ×3, first 2 shown]
	s_waitcnt vmcnt(5) lgkmcnt(2)
	v_mul_f64 v[230:231], v[196:197], v[126:127]
	v_add_f64 v[236:237], v[236:237], v[244:245]
	v_fmac_f64_e32 v[230:231], v[198:199], v[124:125]
	s_waitcnt vmcnt(4) lgkmcnt(1)
	v_mul_f64 v[212:213], v[200:201], v[122:123]
	v_add_f64 v[236:237], v[236:237], v[246:247]
	v_add_f64 v[228:229], v[228:229], v[230:231]
	v_fmac_f64_e32 v[212:213], v[202:203], v[120:121]
	v_mul_f64 v[210:211], v[226:227], v[210:211]
	v_add_f64 v[242:243], v[236:237], v[248:249]
	scratch_load_dwordx4 v[236:239], off, off offset:48
	s_waitcnt vmcnt(4) lgkmcnt(0)
	v_mul_f64 v[214:215], v[204:205], v[130:131]
	v_fma_f64 v[252:253], v[224:225], v[208:209], -v[210:211]
	ds_read_b128 v[208:211], v2 offset:1232
	v_add_f64 v[212:213], v[228:229], v[212:213]
	v_fmac_f64_e32 v[214:215], v[206:207], v[128:129]
	v_add_f64 v[224:225], v[212:213], v[214:215]
	ds_read_b128 v[212:215], v2 offset:1248
	v_mul_f64 v[218:219], v[222:223], v[218:219]
	v_fma_f64 v[254:255], v[220:221], v[216:217], -v[218:219]
	ds_read_b128 v[216:219], v2 offset:1264
	s_waitcnt vmcnt(3) lgkmcnt(2)
	v_mul_f64 v[220:221], v[208:209], v[134:135]
	v_fmac_f64_e32 v[220:221], v[210:211], v[132:133]
	s_waitcnt vmcnt(2) lgkmcnt(1)
	v_mul_f64 v[222:223], v[212:213], v[138:139]
	v_add_f64 v[220:221], v[224:225], v[220:221]
	v_fmac_f64_e32 v[222:223], v[214:215], v[136:137]
	v_add_f64 v[220:221], v[220:221], v[222:223]
	ds_read_b128 v[224:227], v2 offset:1280
	scratch_load_dwordx4 v[232:235], off, off offset:656
	s_waitcnt vmcnt(2) lgkmcnt(1)
	v_mul_f64 v[222:223], v[216:217], v[142:143]
	v_fmac_f64_e32 v[222:223], v[218:219], v[140:141]
	v_add_f64 v[228:229], v[220:221], v[222:223]
	scratch_load_dwordx4 v[220:223], off, off offset:640
	v_add_f64 v[240:241], v[242:243], v[252:253]
	v_mul_f64 v[6:7], v[46:47], v[6:7]
	v_add_f64 v[240:241], v[240:241], v[254:255]
	v_fma_f64 v[4:5], v[44:45], v[4:5], -v[6:7]
	v_mul_f64 v[6:7], v[66:67], v[10:11]
	v_add_f64 v[4:5], v[240:241], v[4:5]
	v_fma_f64 v[6:7], v[64:65], v[8:9], -v[6:7]
	v_add_f64 v[4:5], v[4:5], v[6:7]
	v_mul_f64 v[6:7], v[62:63], v[14:15]
	v_fma_f64 v[6:7], v[60:61], v[12:13], -v[6:7]
	v_add_f64 v[4:5], v[4:5], v[6:7]
	v_mul_f64 v[6:7], v[58:59], v[18:19]
	;; [unrolled: 3-line block ×24, first 2 shown]
	v_fma_f64 v[6:7], v[212:213], v[136:137], -v[6:7]
	s_waitcnt vmcnt(0) lgkmcnt(0)
	v_mul_f64 v[230:231], v[224:225], v[222:223]
	v_fmac_f64_e32 v[230:231], v[226:227], v[220:221]
	v_add_f64 v[250:251], v[228:229], v[230:231]
	ds_read_b128 v[228:231], v2 offset:1296
	v_add_f64 v[4:5], v[4:5], v[6:7]
	v_mul_f64 v[6:7], v[218:219], v[142:143]
	v_fma_f64 v[6:7], v[216:217], v[140:141], -v[6:7]
	v_add_f64 v[4:5], v[4:5], v[6:7]
	v_mul_f64 v[6:7], v[226:227], v[222:223]
	v_fma_f64 v[6:7], v[224:225], v[220:221], -v[6:7]
	s_waitcnt lgkmcnt(0)
	v_mul_f64 v[2:3], v[228:229], v[234:235]
	v_add_f64 v[4:5], v[4:5], v[6:7]
	v_mul_f64 v[6:7], v[230:231], v[234:235]
	v_fmac_f64_e32 v[2:3], v[230:231], v[232:233]
	v_fma_f64 v[6:7], v[228:229], v[232:233], -v[6:7]
	v_add_f64 v[2:3], v[250:251], v[2:3]
	v_add_f64 v[4:5], v[4:5], v[6:7]
	v_add_f64 v[4:5], v[236:237], -v[4:5]
	v_add_f64 v[6:7], v[238:239], -v[2:3]
	scratch_store_dwordx4 off, v[4:7], off offset:48
	s_and_saveexec_b64 s[0:1], vcc
	s_cbranch_execz .LBB104_257
; %bb.256:
	scratch_load_dwordx4 v[2:5], off, s56
	v_mov_b32_e32 v6, 0
	v_mov_b32_e32 v7, v6
	;; [unrolled: 1-line block ×4, first 2 shown]
	v_accvgpr_read_b32 v0, a83
	scratch_store_dwordx4 off, v[6:9], off offset:32
	s_waitcnt vmcnt(1)
	ds_write_b128 v0, v[2:5]
.LBB104_257:
	s_or_b64 exec, exec, s[0:1]
	s_waitcnt lgkmcnt(0)
	; wave barrier
	scratch_load_dwordx4 v[80:83], off, off offset:48
	scratch_load_dwordx4 v[84:87], off, off offset:64
	scratch_load_dwordx4 v[88:91], off, off offset:80
	scratch_load_dwordx4 v[92:95], off, off offset:96
	scratch_load_dwordx4 v[96:99], off, off offset:112
	scratch_load_dwordx4 v[100:103], off, off offset:128
	scratch_load_dwordx4 v[104:107], off, off offset:144
	scratch_load_dwordx4 v[108:111], off, off offset:160
	scratch_load_dwordx4 v[112:115], off, off offset:176
	scratch_load_dwordx4 v[116:119], off, off offset:192
	scratch_load_dwordx4 v[120:123], off, off offset:208
	scratch_load_dwordx4 v[234:237], off, off offset:224
	scratch_load_dwordx4 v[8:11], off, off offset:240
	scratch_load_dwordx4 v[12:15], off, off offset:256
	scratch_load_dwordx4 v[16:19], off, off offset:272
	scratch_load_dwordx4 v[20:23], off, off offset:288
	scratch_load_dwordx4 v[24:27], off, off offset:304
	scratch_load_dwordx4 v[28:31], off, off offset:320
	scratch_load_dwordx4 v[32:35], off, off offset:336
	scratch_load_dwordx4 v[36:39], off, off offset:352
	scratch_load_dwordx4 v[40:43], off, off offset:368
	scratch_load_dwordx4 v[44:47], off, off offset:384
	scratch_load_dwordx4 v[48:51], off, off offset:400
	scratch_load_dwordx4 v[52:55], off, off offset:416
	scratch_load_dwordx4 v[56:59], off, off offset:432
	scratch_load_dwordx4 v[60:63], off, off offset:448
	scratch_load_dwordx4 v[64:67], off, off offset:464
	scratch_load_dwordx4 v[68:71], off, off offset:480
	scratch_load_dwordx4 v[72:75], off, off offset:496
	scratch_load_dwordx4 v[76:79], off, off offset:512
	scratch_load_dwordx4 v[124:127], off, off offset:528
	v_mov_b32_e32 v2, 0
	ds_read_b128 v[196:199], v2 offset:688
	ds_read_b128 v[200:203], v2 offset:704
	;; [unrolled: 1-line block ×20, first 2 shown]
	s_waitcnt vmcnt(30) lgkmcnt(14)
	v_mul_f64 v[140:141], v[196:197], v[82:83]
	s_waitcnt vmcnt(29)
	v_mul_f64 v[142:143], v[200:201], v[86:87]
	v_fmac_f64_e32 v[140:141], v[198:199], v[80:81]
	s_waitcnt vmcnt(28)
	v_mul_f64 v[152:153], v[204:205], v[90:91]
	v_fmac_f64_e32 v[142:143], v[202:203], v[84:85]
	v_add_f64 v[140:141], v[140:141], 0
	s_waitcnt vmcnt(27)
	v_mul_f64 v[154:155], v[208:209], v[94:95]
	v_fmac_f64_e32 v[152:153], v[206:207], v[88:89]
	v_add_f64 v[140:141], v[140:141], v[142:143]
	;; [unrolled: 4-line block ×4, first 2 shown]
	s_waitcnt vmcnt(24) lgkmcnt(13)
	v_mul_f64 v[164:165], v[220:221], v[106:107]
	v_fmac_f64_e32 v[162:163], v[218:219], v[100:101]
	v_add_f64 v[140:141], v[140:141], v[160:161]
	s_waitcnt vmcnt(23) lgkmcnt(12)
	v_mul_f64 v[166:167], v[224:225], v[110:111]
	v_fmac_f64_e32 v[164:165], v[222:223], v[104:105]
	v_add_f64 v[140:141], v[140:141], v[162:163]
	;; [unrolled: 4-line block ×8, first 2 shown]
	v_fmac_f64_e32 v[178:179], v[146:147], v[12:13]
	v_add_f64 v[140:141], v[140:141], v[176:177]
	v_add_f64 v[140:141], v[140:141], v[178:179]
	ds_read_b128 v[176:179], v2 offset:960
	s_waitcnt vmcnt(16) lgkmcnt(6)
	v_mul_f64 v[180:181], v[136:137], v[18:19]
	s_waitcnt vmcnt(15) lgkmcnt(5)
	v_mul_f64 v[182:183], v[132:133], v[22:23]
	v_fmac_f64_e32 v[180:181], v[138:139], v[16:17]
	v_add_f64 v[152:153], v[140:141], v[180:181]
	v_fmac_f64_e32 v[182:183], v[134:135], v[20:21]
	scratch_load_dwordx4 v[140:143], off, off offset:544
	s_waitcnt vmcnt(15) lgkmcnt(4)
	v_mul_f64 v[154:155], v[128:129], v[26:27]
	v_add_f64 v[152:153], v[152:153], v[182:183]
	v_fmac_f64_e32 v[154:155], v[130:131], v[24:25]
	v_add_f64 v[160:161], v[152:153], v[154:155]
	ds_read_b128 v[180:183], v2 offset:976
	s_waitcnt vmcnt(14) lgkmcnt(1)
	v_mul_f64 v[162:163], v[176:177], v[30:31]
	scratch_load_dwordx4 v[152:155], off, off offset:560
	v_fmac_f64_e32 v[162:163], v[178:179], v[28:29]
	v_add_f64 v[164:165], v[160:161], v[162:163]
	scratch_load_dwordx4 v[160:163], off, off offset:576
	s_waitcnt vmcnt(15) lgkmcnt(0)
	v_mul_f64 v[166:167], v[180:181], v[34:35]
	v_fmac_f64_e32 v[166:167], v[182:183], v[32:33]
	v_add_f64 v[168:169], v[164:165], v[166:167]
	s_waitcnt vmcnt(14)
	v_mul_f64 v[170:171], v[184:185], v[38:39]
	scratch_load_dwordx4 v[164:167], off, off offset:592
	v_fmac_f64_e32 v[170:171], v[186:187], v[36:37]
	v_add_f64 v[168:169], v[168:169], v[170:171]
	s_waitcnt vmcnt(14)
	v_mul_f64 v[170:171], v[188:189], v[42:43]
	scratch_load_dwordx4 v[172:175], off, off offset:608
	v_fmac_f64_e32 v[170:171], v[190:191], v[40:41]
	v_add_f64 v[232:233], v[168:169], v[170:171]
	scratch_load_dwordx4 v[168:171], off, off offset:624
	v_mul_f64 v[82:83], v[198:199], v[82:83]
	v_fma_f64 v[240:241], v[196:197], v[80:81], -v[82:83]
	ds_read_b128 v[196:199], v2 offset:1040
	s_waitcnt vmcnt(15)
	v_mul_f64 v[80:81], v[192:193], v[46:47]
	v_fmac_f64_e32 v[80:81], v[194:195], v[44:45]
	v_add_f64 v[232:233], v[232:233], v[80:81]
	v_mul_f64 v[80:81], v[202:203], v[86:87]
	v_fma_f64 v[246:247], v[200:201], v[84:85], -v[80:81]
	scratch_load_dwordx4 v[80:83], off, off offset:640
	ds_read_b128 v[84:87], v2 offset:1056
	v_mul_f64 v[90:91], v[206:207], v[90:91]
	v_fma_f64 v[248:249], v[204:205], v[88:89], -v[90:91]
	ds_read_b128 v[88:91], v2 offset:1072
	s_waitcnt vmcnt(15) lgkmcnt(2)
	v_mul_f64 v[200:201], v[196:197], v[50:51]
	v_fmac_f64_e32 v[200:201], v[198:199], v[48:49]
	s_waitcnt vmcnt(14) lgkmcnt(1)
	v_mul_f64 v[202:203], v[84:85], v[54:55]
	v_add_f64 v[200:201], v[232:233], v[200:201]
	v_fmac_f64_e32 v[202:203], v[86:87], v[52:53]
	v_mul_f64 v[94:95], v[210:211], v[94:95]
	v_fma_f64 v[250:251], v[208:209], v[92:93], -v[94:95]
	ds_read_b128 v[92:95], v2 offset:1088
	v_add_f64 v[200:201], v[200:201], v[202:203]
	s_waitcnt vmcnt(13) lgkmcnt(1)
	v_mul_f64 v[202:203], v[88:89], v[58:59]
	v_fmac_f64_e32 v[202:203], v[90:91], v[56:57]
	v_add_f64 v[204:205], v[200:201], v[202:203]
	ds_read_b128 v[200:203], v2 offset:1104
	v_mul_f64 v[98:99], v[214:215], v[98:99]
	v_fma_f64 v[232:233], v[212:213], v[96:97], -v[98:99]
	ds_read_b128 v[96:99], v2 offset:1120
	s_waitcnt vmcnt(12) lgkmcnt(2)
	v_mul_f64 v[206:207], v[92:93], v[62:63]
	v_fmac_f64_e32 v[206:207], v[94:95], v[60:61]
	v_add_f64 v[204:205], v[204:205], v[206:207]
	s_waitcnt vmcnt(11) lgkmcnt(1)
	v_mul_f64 v[206:207], v[200:201], v[66:67]
	v_fmac_f64_e32 v[206:207], v[202:203], v[64:65]
	v_mul_f64 v[102:103], v[218:219], v[102:103]
	v_add_f64 v[204:205], v[204:205], v[206:207]
	v_fma_f64 v[4:5], v[216:217], v[100:101], -v[102:103]
	ds_read_b128 v[100:103], v2 offset:1136
	s_waitcnt vmcnt(10) lgkmcnt(1)
	v_mul_f64 v[206:207], v[96:97], v[70:71]
	v_fmac_f64_e32 v[206:207], v[98:99], v[68:69]
	v_add_f64 v[208:209], v[204:205], v[206:207]
	ds_read_b128 v[204:207], v2 offset:1152
	v_mul_f64 v[106:107], v[222:223], v[106:107]
	v_fma_f64 v[0:1], v[220:221], v[104:105], -v[106:107]
	ds_read_b128 v[104:107], v2 offset:1168
	s_waitcnt vmcnt(9) lgkmcnt(2)
	v_mul_f64 v[210:211], v[100:101], v[74:75]
	v_fmac_f64_e32 v[210:211], v[102:103], v[72:73]
	v_add_f64 v[208:209], v[208:209], v[210:211]
	s_waitcnt vmcnt(8) lgkmcnt(1)
	v_mul_f64 v[210:211], v[204:205], v[78:79]
	v_fmac_f64_e32 v[210:211], v[206:207], v[76:77]
	v_mul_f64 v[6:7], v[226:227], v[110:111]
	v_fma_f64 v[6:7], v[224:225], v[108:109], -v[6:7]
	ds_read_b128 v[108:111], v2 offset:1184
	v_add_f64 v[208:209], v[208:209], v[210:211]
	s_waitcnt vmcnt(7) lgkmcnt(1)
	v_mul_f64 v[210:211], v[104:105], v[126:127]
	v_fmac_f64_e32 v[210:211], v[106:107], v[124:125]
	v_mul_f64 v[114:115], v[230:231], v[114:115]
	v_add_f64 v[212:213], v[208:209], v[210:211]
	ds_read_b128 v[208:211], v2 offset:1200
	v_fma_f64 v[112:113], v[228:229], v[112:113], -v[114:115]
	v_accvgpr_write_b32 a84, v112
	v_accvgpr_write_b32 a85, v113
	ds_read_b128 v[112:115], v2 offset:1216
	s_waitcnt vmcnt(6) lgkmcnt(2)
	v_mul_f64 v[214:215], v[108:109], v[142:143]
	v_fmac_f64_e32 v[214:215], v[110:111], v[140:141]
	v_add_f64 v[212:213], v[212:213], v[214:215]
	s_waitcnt vmcnt(5) lgkmcnt(1)
	v_mul_f64 v[214:215], v[208:209], v[154:155]
	v_fmac_f64_e32 v[214:215], v[210:211], v[152:153]
	v_mul_f64 v[118:119], v[244:245], v[118:119]
	v_add_f64 v[212:213], v[212:213], v[214:215]
	v_fma_f64 v[238:239], v[242:243], v[116:117], -v[118:119]
	ds_read_b128 v[116:119], v2 offset:1232
	s_waitcnt vmcnt(4) lgkmcnt(1)
	v_mul_f64 v[214:215], v[112:113], v[162:163]
	v_fmac_f64_e32 v[214:215], v[114:115], v[160:161]
	v_add_f64 v[216:217], v[212:213], v[214:215]
	ds_read_b128 v[212:215], v2 offset:1248
	v_mul_f64 v[122:123], v[254:255], v[122:123]
	v_fma_f64 v[242:243], v[252:253], v[120:121], -v[122:123]
	ds_read_b128 v[120:123], v2 offset:1264
	s_waitcnt vmcnt(3) lgkmcnt(2)
	v_mul_f64 v[218:219], v[116:117], v[166:167]
	v_fmac_f64_e32 v[218:219], v[118:119], v[164:165]
	v_add_f64 v[216:217], v[216:217], v[218:219]
	s_waitcnt vmcnt(2) lgkmcnt(1)
	v_mul_f64 v[218:219], v[212:213], v[174:175]
	v_fmac_f64_e32 v[218:219], v[214:215], v[172:173]
	v_add_f64 v[216:217], v[216:217], v[218:219]
	s_waitcnt vmcnt(1) lgkmcnt(0)
	v_mul_f64 v[218:219], v[120:121], v[170:171]
	v_fmac_f64_e32 v[218:219], v[122:123], v[168:169]
	v_add_f64 v[220:221], v[216:217], v[218:219]
	ds_read_b128 v[216:219], v2 offset:1280
	ds_read_b128 v[224:227], v2 offset:1296
	s_waitcnt vmcnt(0) lgkmcnt(1)
	v_mul_f64 v[222:223], v[216:217], v[82:83]
	v_fmac_f64_e32 v[222:223], v[218:219], v[80:81]
	v_add_f64 v[228:229], v[220:221], v[222:223]
	scratch_load_dwordx4 v[220:223], off, off offset:656
	s_waitcnt vmcnt(0) lgkmcnt(0)
	v_mul_f64 v[230:231], v[224:225], v[222:223]
	v_fmac_f64_e32 v[230:231], v[226:227], v[220:221]
	v_add_f64 v[244:245], v[228:229], v[230:231]
	v_add_f64 v[228:229], v[240:241], 0
	;; [unrolled: 1-line block ×7, first 2 shown]
	scratch_load_dwordx4 v[228:231], off, off offset:32
	v_add_f64 v[252:253], v[4:5], v[0:1]
	v_accvgpr_read_b32 v4, a84
	v_add_f64 v[0:1], v[252:253], v[6:7]
	v_accvgpr_read_b32 v5, a85
	v_add_f64 v[0:1], v[0:1], v[4:5]
	v_add_f64 v[0:1], v[0:1], v[238:239]
	v_mul_f64 v[4:5], v[158:159], v[236:237]
	v_add_f64 v[0:1], v[0:1], v[242:243]
	v_fma_f64 v[4:5], v[156:157], v[234:235], -v[4:5]
	v_add_f64 v[0:1], v[0:1], v[4:5]
	v_mul_f64 v[4:5], v[150:151], v[10:11]
	v_fma_f64 v[4:5], v[148:149], v[8:9], -v[4:5]
	v_add_f64 v[0:1], v[0:1], v[4:5]
	v_mul_f64 v[4:5], v[146:147], v[14:15]
	;; [unrolled: 3-line block ×27, first 2 shown]
	v_fma_f64 v[4:5], v[224:225], v[220:221], -v[4:5]
	v_add_f64 v[0:1], v[0:1], v[4:5]
	s_waitcnt vmcnt(0)
	v_add_f64 v[4:5], v[228:229], -v[0:1]
	v_accvgpr_read_b32 v0, a82
	v_add_f64 v[6:7], v[230:231], -v[244:245]
	v_cmp_ne_u32_e32 vcc, 0, v0
	scratch_store_dwordx4 off, v[4:7], off offset:32
	s_and_saveexec_b64 s[0:1], vcc
	s_cbranch_execz .LBB104_259
; %bb.258:
	scratch_load_dwordx4 v[6:9], off, off offset:16
	v_mov_b32_e32 v3, v2
	v_mov_b32_e32 v4, v2
	;; [unrolled: 1-line block ×3, first 2 shown]
	v_accvgpr_read_b32 v0, a83
	scratch_store_dwordx4 off, v[2:5], off offset:16
	s_waitcnt vmcnt(1)
	ds_write_b128 v0, v[6:9]
.LBB104_259:
	s_or_b64 exec, exec, s[0:1]
	s_waitcnt lgkmcnt(0)
	; wave barrier
	scratch_load_dwordx4 v[128:131], off, off offset:32
	scratch_load_dwordx4 v[132:135], off, off offset:48
	;; [unrolled: 1-line block ×16, first 2 shown]
	ds_read_b128 v[156:159], v2 offset:672
	ds_read_b128 v[160:163], v2 offset:688
	scratch_load_dwordx4 v[24:27], off, off offset:288
	ds_read_b128 v[228:231], v2 offset:704
	ds_read_b128 v[172:175], v2 offset:720
	scratch_load_dwordx4 v[28:31], off, off offset:304
	ds_read_b128 v[232:235], v2 offset:736
	ds_read_b128 v[184:187], v2 offset:752
	ds_read_b128 v[224:227], v2 offset:768
	ds_read_b128 v[196:199], v2 offset:784
	ds_read_b128 v[216:219], v2 offset:800
	ds_read_b128 v[208:211], v2 offset:816
	scratch_load_dwordx4 v[32:35], off, off offset:320
	ds_read_b128 v[220:223], v2 offset:832
	ds_read_b128 v[40:43], v2 offset:848
	scratch_load_dwordx4 v[36:39], off, off offset:336
	ds_read_b128 v[64:67], v2 offset:864
	ds_read_b128 v[60:63], v2 offset:880
	;; [unrolled: 1-line block ×5, first 2 shown]
	scratch_load_dwordx4 v[52:55], off, off offset:352
	scratch_load_dwordx4 v[68:71], off, off offset:368
	;; [unrolled: 1-line block ×11, first 2 shown]
	ds_read_b128 v[152:155], v2 offset:1008
	s_and_b64 vcc, exec, s[10:11]
	ds_read_b128 v[148:151], v2 offset:992
	s_waitcnt vmcnt(30) lgkmcnt(14)
	v_mul_f64 v[0:1], v[156:157], v[130:131]
	s_waitcnt vmcnt(29)
	v_mul_f64 v[108:109], v[160:161], v[134:135]
	v_fmac_f64_e32 v[0:1], v[158:159], v[128:129]
	s_waitcnt vmcnt(28)
	v_mul_f64 v[110:111], v[228:229], v[166:167]
	v_fmac_f64_e32 v[108:109], v[162:163], v[132:133]
	v_add_f64 v[0:1], v[0:1], 0
	s_waitcnt vmcnt(27)
	v_mul_f64 v[112:113], v[172:173], v[170:171]
	v_fmac_f64_e32 v[110:111], v[230:231], v[164:165]
	v_add_f64 v[0:1], v[0:1], v[108:109]
	;; [unrolled: 4-line block ×3, first 2 shown]
	s_waitcnt vmcnt(25) lgkmcnt(13)
	v_mul_f64 v[116:117], v[184:185], v[182:183]
	v_fmac_f64_e32 v[114:115], v[234:235], v[176:177]
	v_add_f64 v[0:1], v[0:1], v[112:113]
	s_waitcnt vmcnt(24) lgkmcnt(12)
	v_mul_f64 v[118:119], v[224:225], v[190:191]
	v_fmac_f64_e32 v[116:117], v[186:187], v[180:181]
	v_add_f64 v[0:1], v[0:1], v[114:115]
	;; [unrolled: 4-line block ×10, first 2 shown]
	ds_read_b128 v[136:139], v2 offset:944
	v_fmac_f64_e32 v[142:143], v[58:59], v[16:17]
	v_add_f64 v[0:1], v[0:1], v[140:141]
	s_waitcnt vmcnt(15) lgkmcnt(4)
	v_mul_f64 v[144:145], v[48:49], v[22:23]
	v_add_f64 v[0:1], v[0:1], v[142:143]
	ds_read_b128 v[140:143], v2 offset:960
	v_fmac_f64_e32 v[144:145], v[50:51], v[20:21]
	scratch_load_dwordx4 v[108:111], off, off offset:528
	s_waitcnt vmcnt(15) lgkmcnt(4)
	v_mul_f64 v[112:113], v[44:45], v[26:27]
	v_add_f64 v[0:1], v[0:1], v[144:145]
	v_fmac_f64_e32 v[112:113], v[46:47], v[24:25]
	ds_read_b128 v[144:147], v2 offset:976
	v_add_f64 v[0:1], v[0:1], v[112:113]
	s_waitcnt vmcnt(14) lgkmcnt(2)
	v_mul_f64 v[120:121], v[136:137], v[30:31]
	scratch_load_dwordx4 v[112:115], off, off offset:544
	v_fmac_f64_e32 v[120:121], v[138:139], v[28:29]
	scratch_load_dwordx4 v[116:119], off, off offset:560
	v_add_f64 v[0:1], v[0:1], v[120:121]
	s_waitcnt vmcnt(15) lgkmcnt(1)
	v_mul_f64 v[120:121], v[140:141], v[34:35]
	v_fmac_f64_e32 v[120:121], v[142:143], v[32:33]
	v_add_f64 v[0:1], v[0:1], v[120:121]
	s_waitcnt vmcnt(14) lgkmcnt(0)
	v_mul_f64 v[124:125], v[144:145], v[38:39]
	scratch_load_dwordx4 v[120:123], off, off offset:576
	v_fmac_f64_e32 v[124:125], v[146:147], v[36:37]
	v_add_f64 v[0:1], v[0:1], v[124:125]
	scratch_load_dwordx4 v[124:127], off, off offset:592
	v_mul_f64 v[130:131], v[158:159], v[130:131]
	v_fma_f64 v[240:241], v[156:157], v[128:129], -v[130:131]
	scratch_load_dwordx4 v[128:131], off, off offset:608
	v_mul_f64 v[134:135], v[162:163], v[134:135]
	v_fma_f64 v[242:243], v[160:161], v[132:133], -v[134:135]
	scratch_load_dwordx4 v[132:135], off, off offset:624
	ds_read_b128 v[156:159], v2 offset:1024
	s_waitcnt vmcnt(17)
	v_mul_f64 v[236:237], v[148:149], v[54:55]
	ds_read_b128 v[160:163], v2 offset:1040
	v_mul_f64 v[166:167], v[230:231], v[166:167]
	v_fmac_f64_e32 v[236:237], v[150:151], v[52:53]
	v_fma_f64 v[244:245], v[228:229], v[164:165], -v[166:167]
	ds_read_b128 v[164:167], v2 offset:1056
	v_add_f64 v[0:1], v[0:1], v[236:237]
	s_waitcnt vmcnt(16)
	v_mul_f64 v[236:237], v[152:153], v[70:71]
	v_fmac_f64_e32 v[236:237], v[154:155], v[68:69]
	v_add_f64 v[0:1], v[0:1], v[236:237]
	s_waitcnt vmcnt(15) lgkmcnt(2)
	v_mul_f64 v[236:237], v[156:157], v[74:75]
	v_fmac_f64_e32 v[236:237], v[158:159], v[72:73]
	s_waitcnt vmcnt(14) lgkmcnt(1)
	v_mul_f64 v[228:229], v[160:161], v[78:79]
	v_mul_f64 v[170:171], v[174:175], v[170:171]
	v_add_f64 v[0:1], v[0:1], v[236:237]
	v_fmac_f64_e32 v[228:229], v[162:163], v[76:77]
	v_fma_f64 v[246:247], v[172:173], v[168:169], -v[170:171]
	ds_read_b128 v[168:171], v2 offset:1072
	s_waitcnt vmcnt(13) lgkmcnt(1)
	v_mul_f64 v[172:173], v[164:165], v[82:83]
	v_add_f64 v[0:1], v[0:1], v[228:229]
	v_fmac_f64_e32 v[172:173], v[166:167], v[80:81]
	v_add_f64 v[0:1], v[0:1], v[172:173]
	ds_read_b128 v[172:175], v2 offset:1088
	v_mul_f64 v[178:179], v[234:235], v[178:179]
	v_fma_f64 v[232:233], v[232:233], v[176:177], -v[178:179]
	ds_read_b128 v[176:179], v2 offset:1104
	s_waitcnt vmcnt(12) lgkmcnt(2)
	v_mul_f64 v[228:229], v[168:169], v[86:87]
	v_fmac_f64_e32 v[228:229], v[170:171], v[84:85]
	v_add_f64 v[0:1], v[0:1], v[228:229]
	s_waitcnt vmcnt(11) lgkmcnt(1)
	v_mul_f64 v[228:229], v[172:173], v[90:91]
	v_mul_f64 v[182:183], v[186:187], v[182:183]
	v_fmac_f64_e32 v[228:229], v[174:175], v[88:89]
	v_fma_f64 v[234:235], v[184:185], v[180:181], -v[182:183]
	ds_read_b128 v[180:183], v2 offset:1120
	s_waitcnt vmcnt(10) lgkmcnt(1)
	v_mul_f64 v[184:185], v[176:177], v[94:95]
	v_add_f64 v[0:1], v[0:1], v[228:229]
	v_fmac_f64_e32 v[184:185], v[178:179], v[92:93]
	v_add_f64 v[0:1], v[0:1], v[184:185]
	ds_read_b128 v[184:187], v2 offset:1136
	v_mul_f64 v[190:191], v[226:227], v[190:191]
	v_fma_f64 v[248:249], v[224:225], v[188:189], -v[190:191]
	ds_read_b128 v[188:191], v2 offset:1152
	s_waitcnt vmcnt(9) lgkmcnt(2)
	v_mul_f64 v[228:229], v[180:181], v[98:99]
	v_fmac_f64_e32 v[228:229], v[182:183], v[96:97]
	s_waitcnt vmcnt(8) lgkmcnt(1)
	v_mul_f64 v[224:225], v[184:185], v[102:103]
	v_mul_f64 v[194:195], v[198:199], v[194:195]
	v_add_f64 v[0:1], v[0:1], v[228:229]
	v_fmac_f64_e32 v[224:225], v[186:187], v[100:101]
	v_fma_f64 v[250:251], v[196:197], v[192:193], -v[194:195]
	ds_read_b128 v[192:195], v2 offset:1168
	s_waitcnt vmcnt(7) lgkmcnt(1)
	v_mul_f64 v[196:197], v[188:189], v[106:107]
	v_add_f64 v[0:1], v[0:1], v[224:225]
	v_fmac_f64_e32 v[196:197], v[190:191], v[104:105]
	v_add_f64 v[0:1], v[0:1], v[196:197]
	ds_read_b128 v[196:199], v2 offset:1184
	v_mul_f64 v[202:203], v[218:219], v[202:203]
	v_fma_f64 v[254:255], v[216:217], v[200:201], -v[202:203]
	ds_read_b128 v[200:203], v2 offset:1200
	s_waitcnt vmcnt(6) lgkmcnt(2)
	v_mul_f64 v[216:217], v[192:193], v[110:111]
	v_mul_f64 v[206:207], v[210:211], v[206:207]
	v_fmac_f64_e32 v[216:217], v[194:195], v[108:109]
	v_fma_f64 v[204:205], v[208:209], v[204:205], -v[206:207]
	ds_read_b128 v[208:211], v2 offset:1216
	v_add_f64 v[0:1], v[0:1], v[216:217]
	s_waitcnt vmcnt(5) lgkmcnt(2)
	v_mul_f64 v[216:217], v[196:197], v[114:115]
	v_accvgpr_write_b32 a82, v204
	v_fmac_f64_e32 v[216:217], v[198:199], v[112:113]
	v_accvgpr_write_b32 a83, v205
	ds_read_b128 v[204:207], v2 offset:1232
	v_add_f64 v[0:1], v[0:1], v[216:217]
	s_waitcnt vmcnt(4) lgkmcnt(2)
	v_mul_f64 v[216:217], v[200:201], v[118:119]
	v_mul_f64 v[214:215], v[222:223], v[214:215]
	v_fmac_f64_e32 v[216:217], v[202:203], v[116:117]
	v_fma_f64 v[252:253], v[220:221], v[212:213], -v[214:215]
	ds_read_b128 v[212:215], v2 offset:1248
	v_add_f64 v[0:1], v[0:1], v[216:217]
	s_waitcnt vmcnt(3) lgkmcnt(2)
	v_mul_f64 v[216:217], v[208:209], v[122:123]
	v_fmac_f64_e32 v[216:217], v[210:211], v[120:121]
	v_add_f64 v[0:1], v[0:1], v[216:217]
	s_waitcnt vmcnt(2) lgkmcnt(1)
	v_mul_f64 v[216:217], v[204:205], v[126:127]
	v_fmac_f64_e32 v[216:217], v[206:207], v[124:125]
	;; [unrolled: 4-line block ×3, first 2 shown]
	v_add_f64 v[0:1], v[0:1], v[216:217]
	ds_read_b128 v[216:219], v2 offset:1264
	ds_read_b128 v[224:227], v2 offset:1280
	v_mul_f64 v[6:7], v[42:43], v[6:7]
	v_fma_f64 v[4:5], v[40:41], v[4:5], -v[6:7]
	v_mul_f64 v[6:7], v[66:67], v[10:11]
	s_waitcnt vmcnt(0) lgkmcnt(1)
	v_mul_f64 v[220:221], v[216:217], v[134:135]
	v_fmac_f64_e32 v[220:221], v[218:219], v[132:133]
	v_add_f64 v[0:1], v[0:1], v[220:221]
	scratch_load_dwordx4 v[220:223], off, off offset:640
	v_fma_f64 v[6:7], v[64:65], v[8:9], -v[6:7]
	s_waitcnt vmcnt(0) lgkmcnt(0)
	v_mul_f64 v[228:229], v[224:225], v[222:223]
	v_fmac_f64_e32 v[228:229], v[226:227], v[220:221]
	v_add_f64 v[236:237], v[0:1], v[228:229]
	scratch_load_dwordx4 v[228:231], off, off offset:656
	ds_read_b128 v[0:3], v2 offset:1296
	s_waitcnt vmcnt(0) lgkmcnt(0)
	v_mul_f64 v[238:239], v[0:1], v[230:231]
	v_fmac_f64_e32 v[238:239], v[2:3], v[228:229]
	v_add_f64 v[236:237], v[236:237], v[238:239]
	v_add_f64 v[238:239], v[240:241], 0
	;; [unrolled: 1-line block ×10, first 2 shown]
	scratch_load_dwordx4 v[232:235], off, off offset:16
	v_accvgpr_read_b32 v239, a83
	v_accvgpr_read_b32 v238, a82
	v_add_f64 v[238:239], v[254:255], v[238:239]
	v_add_f64 v[238:239], v[238:239], v[252:253]
	;; [unrolled: 1-line block ×4, first 2 shown]
	v_mul_f64 v[6:7], v[62:63], v[14:15]
	v_fma_f64 v[6:7], v[60:61], v[12:13], -v[6:7]
	v_add_f64 v[4:5], v[4:5], v[6:7]
	v_mul_f64 v[6:7], v[58:59], v[18:19]
	v_fma_f64 v[6:7], v[56:57], v[16:17], -v[6:7]
	v_add_f64 v[4:5], v[4:5], v[6:7]
	;; [unrolled: 3-line block ×25, first 2 shown]
	v_mul_f64 v[6:7], v[226:227], v[222:223]
	v_fma_f64 v[6:7], v[224:225], v[220:221], -v[6:7]
	v_mul_f64 v[2:3], v[2:3], v[230:231]
	v_add_f64 v[4:5], v[4:5], v[6:7]
	v_fma_f64 v[0:1], v[0:1], v[228:229], -v[2:3]
	v_add_f64 v[0:1], v[4:5], v[0:1]
	s_waitcnt vmcnt(0)
	v_add_f64 v[0:1], v[232:233], -v[0:1]
	v_add_f64 v[2:3], v[234:235], -v[236:237]
	scratch_store_dwordx4 off, v[0:3], off offset:16
	s_cbranch_vccz .LBB104_340
; %bb.260:
	s_nop 0
	v_mov_b32_e32 v0, 0
	global_load_dword v1, v0, s[8:9] offset:156
	s_waitcnt vmcnt(0)
	v_readfirstlane_b32 s0, v1
	s_add_i32 s0, s0, -1
	s_cmp_lg_u32 s0, 39
	s_cbranch_scc0 .LBB104_262
; %bb.261:
	s_lshl_b32 s0, s0, 4
	s_add_i32 s0, s0, 16
	scratch_load_dwordx4 v[2:5], off, s0
	scratch_load_dwordx4 v[6:9], off, s17
	s_waitcnt vmcnt(1)
	scratch_store_dwordx4 off, v[2:5], s17
	s_waitcnt vmcnt(1)
	scratch_store_dwordx4 off, v[6:9], s0
.LBB104_262:
	global_load_dword v0, v0, s[8:9] offset:152
	s_waitcnt vmcnt(0)
	v_readfirstlane_b32 s0, v0
	s_add_i32 s0, s0, -1
	s_cmp_eq_u32 s0, 38
	s_cbranch_scc1 .LBB104_264
; %bb.263:
	s_lshl_b32 s0, s0, 4
	s_add_i32 s0, s0, 16
	scratch_load_dwordx4 v[0:3], off, s0
	scratch_load_dwordx4 v[4:7], off, s18
	s_waitcnt vmcnt(1)
	scratch_store_dwordx4 off, v[0:3], s18
	s_waitcnt vmcnt(1)
	scratch_store_dwordx4 off, v[4:7], s0
.LBB104_264:
	v_mov_b32_e32 v0, 0
	global_load_dword v1, v0, s[8:9] offset:148
	s_waitcnt vmcnt(0)
	v_readfirstlane_b32 s0, v1
	s_add_i32 s0, s0, -1
	s_cmp_eq_u32 s0, 37
	s_cbranch_scc1 .LBB104_266
; %bb.265:
	s_lshl_b32 s0, s0, 4
	s_add_i32 s0, s0, 16
	scratch_load_dwordx4 v[2:5], off, s0
	scratch_load_dwordx4 v[6:9], off, s19
	s_waitcnt vmcnt(1)
	scratch_store_dwordx4 off, v[2:5], s19
	s_waitcnt vmcnt(1)
	scratch_store_dwordx4 off, v[6:9], s0
.LBB104_266:
	global_load_dword v0, v0, s[8:9] offset:144
	s_waitcnt vmcnt(0)
	v_readfirstlane_b32 s0, v0
	s_add_i32 s0, s0, -1
	s_cmp_eq_u32 s0, 36
	s_cbranch_scc1 .LBB104_268
; %bb.267:
	s_lshl_b32 s0, s0, 4
	s_add_i32 s0, s0, 16
	scratch_load_dwordx4 v[0:3], off, s0
	scratch_load_dwordx4 v[4:7], off, s20
	s_waitcnt vmcnt(1)
	scratch_store_dwordx4 off, v[0:3], s20
	s_waitcnt vmcnt(1)
	scratch_store_dwordx4 off, v[4:7], s0
.LBB104_268:
	v_mov_b32_e32 v0, 0
	global_load_dword v1, v0, s[8:9] offset:140
	s_waitcnt vmcnt(0)
	v_readfirstlane_b32 s0, v1
	s_add_i32 s0, s0, -1
	s_cmp_eq_u32 s0, 35
	s_cbranch_scc1 .LBB104_270
; %bb.269:
	s_lshl_b32 s0, s0, 4
	s_add_i32 s0, s0, 16
	scratch_load_dwordx4 v[2:5], off, s0
	scratch_load_dwordx4 v[6:9], off, s21
	s_waitcnt vmcnt(1)
	scratch_store_dwordx4 off, v[2:5], s21
	s_waitcnt vmcnt(1)
	scratch_store_dwordx4 off, v[6:9], s0
.LBB104_270:
	;; [unrolled: 33-line block ×19, first 2 shown]
	global_load_dword v0, v0, s[8:9]
	s_waitcnt vmcnt(0)
	v_readfirstlane_b32 s0, v0
	s_add_i32 s0, s0, -1
	s_cmp_eq_u32 s0, 0
	s_cbranch_scc1 .LBB104_340
; %bb.339:
	s_lshl_b32 s0, s0, 4
	s_add_i32 s0, s0, 16
	scratch_load_dwordx4 v[0:3], off, s0
	scratch_load_dwordx4 v[4:7], off, off offset:16
	s_waitcnt vmcnt(1)
	scratch_store_dwordx4 off, v[0:3], off offset:16
	s_waitcnt vmcnt(1)
	scratch_store_dwordx4 off, v[4:7], s0
.LBB104_340:
	scratch_load_dwordx4 v[0:3], off, off offset:16
	s_nop 0
	v_accvgpr_read_b32 v5, a1
	v_accvgpr_read_b32 v4, a0
	s_waitcnt vmcnt(0)
	flat_store_dwordx4 v[4:5], v[0:3]
	scratch_load_dwordx4 v[0:3], off, s56
	v_accvgpr_read_b32 v5, a3
	v_accvgpr_read_b32 v4, a2
	s_waitcnt vmcnt(0)
	flat_store_dwordx4 v[4:5], v[0:3]
	scratch_load_dwordx4 v[0:3], off, s55
	;; [unrolled: 5-line block ×40, first 2 shown]
	v_accvgpr_read_b32 v4, a80
	v_accvgpr_read_b32 v5, a81
	s_waitcnt vmcnt(0)
	flat_store_dwordx4 v[4:5], v[0:3]
	s_endpgm
	.section	.rodata,"a",@progbits
	.p2align	6, 0x0
	.amdhsa_kernel _ZN9rocsolver6v33100L18getri_kernel_smallILi41E19rocblas_complex_numIdEPKPS3_EEvT1_iilPiilS8_bb
		.amdhsa_group_segment_fixed_size 1320
		.amdhsa_private_segment_fixed_size 688
		.amdhsa_kernarg_size 60
		.amdhsa_user_sgpr_count 2
		.amdhsa_user_sgpr_dispatch_ptr 0
		.amdhsa_user_sgpr_queue_ptr 0
		.amdhsa_user_sgpr_kernarg_segment_ptr 1
		.amdhsa_user_sgpr_dispatch_id 0
		.amdhsa_user_sgpr_kernarg_preload_length 0
		.amdhsa_user_sgpr_kernarg_preload_offset 0
		.amdhsa_user_sgpr_private_segment_size 0
		.amdhsa_uses_dynamic_stack 0
		.amdhsa_enable_private_segment 1
		.amdhsa_system_sgpr_workgroup_id_x 1
		.amdhsa_system_sgpr_workgroup_id_y 0
		.amdhsa_system_sgpr_workgroup_id_z 0
		.amdhsa_system_sgpr_workgroup_info 0
		.amdhsa_system_vgpr_workitem_id 0
		.amdhsa_next_free_vgpr 342
		.amdhsa_next_free_sgpr 71
		.amdhsa_accum_offset 256
		.amdhsa_reserve_vcc 1
		.amdhsa_float_round_mode_32 0
		.amdhsa_float_round_mode_16_64 0
		.amdhsa_float_denorm_mode_32 3
		.amdhsa_float_denorm_mode_16_64 3
		.amdhsa_dx10_clamp 1
		.amdhsa_ieee_mode 1
		.amdhsa_fp16_overflow 0
		.amdhsa_tg_split 0
		.amdhsa_exception_fp_ieee_invalid_op 0
		.amdhsa_exception_fp_denorm_src 0
		.amdhsa_exception_fp_ieee_div_zero 0
		.amdhsa_exception_fp_ieee_overflow 0
		.amdhsa_exception_fp_ieee_underflow 0
		.amdhsa_exception_fp_ieee_inexact 0
		.amdhsa_exception_int_div_zero 0
	.end_amdhsa_kernel
	.section	.text._ZN9rocsolver6v33100L18getri_kernel_smallILi41E19rocblas_complex_numIdEPKPS3_EEvT1_iilPiilS8_bb,"axG",@progbits,_ZN9rocsolver6v33100L18getri_kernel_smallILi41E19rocblas_complex_numIdEPKPS3_EEvT1_iilPiilS8_bb,comdat
.Lfunc_end104:
	.size	_ZN9rocsolver6v33100L18getri_kernel_smallILi41E19rocblas_complex_numIdEPKPS3_EEvT1_iilPiilS8_bb, .Lfunc_end104-_ZN9rocsolver6v33100L18getri_kernel_smallILi41E19rocblas_complex_numIdEPKPS3_EEvT1_iilPiilS8_bb
                                        ; -- End function
	.set _ZN9rocsolver6v33100L18getri_kernel_smallILi41E19rocblas_complex_numIdEPKPS3_EEvT1_iilPiilS8_bb.num_vgpr, 256
	.set _ZN9rocsolver6v33100L18getri_kernel_smallILi41E19rocblas_complex_numIdEPKPS3_EEvT1_iilPiilS8_bb.num_agpr, 86
	.set _ZN9rocsolver6v33100L18getri_kernel_smallILi41E19rocblas_complex_numIdEPKPS3_EEvT1_iilPiilS8_bb.numbered_sgpr, 71
	.set _ZN9rocsolver6v33100L18getri_kernel_smallILi41E19rocblas_complex_numIdEPKPS3_EEvT1_iilPiilS8_bb.num_named_barrier, 0
	.set _ZN9rocsolver6v33100L18getri_kernel_smallILi41E19rocblas_complex_numIdEPKPS3_EEvT1_iilPiilS8_bb.private_seg_size, 688
	.set _ZN9rocsolver6v33100L18getri_kernel_smallILi41E19rocblas_complex_numIdEPKPS3_EEvT1_iilPiilS8_bb.uses_vcc, 1
	.set _ZN9rocsolver6v33100L18getri_kernel_smallILi41E19rocblas_complex_numIdEPKPS3_EEvT1_iilPiilS8_bb.uses_flat_scratch, 0
	.set _ZN9rocsolver6v33100L18getri_kernel_smallILi41E19rocblas_complex_numIdEPKPS3_EEvT1_iilPiilS8_bb.has_dyn_sized_stack, 0
	.set _ZN9rocsolver6v33100L18getri_kernel_smallILi41E19rocblas_complex_numIdEPKPS3_EEvT1_iilPiilS8_bb.has_recursion, 0
	.set _ZN9rocsolver6v33100L18getri_kernel_smallILi41E19rocblas_complex_numIdEPKPS3_EEvT1_iilPiilS8_bb.has_indirect_call, 0
	.section	.AMDGPU.csdata,"",@progbits
; Kernel info:
; codeLenInByte = 73516
; TotalNumSgprs: 77
; NumVgprs: 256
; NumAgprs: 86
; TotalNumVgprs: 342
; ScratchSize: 688
; MemoryBound: 0
; FloatMode: 240
; IeeeMode: 1
; LDSByteSize: 1320 bytes/workgroup (compile time only)
; SGPRBlocks: 9
; VGPRBlocks: 42
; NumSGPRsForWavesPerEU: 77
; NumVGPRsForWavesPerEU: 342
; AccumOffset: 256
; Occupancy: 1
; WaveLimiterHint : 1
; COMPUTE_PGM_RSRC2:SCRATCH_EN: 1
; COMPUTE_PGM_RSRC2:USER_SGPR: 2
; COMPUTE_PGM_RSRC2:TRAP_HANDLER: 0
; COMPUTE_PGM_RSRC2:TGID_X_EN: 1
; COMPUTE_PGM_RSRC2:TGID_Y_EN: 0
; COMPUTE_PGM_RSRC2:TGID_Z_EN: 0
; COMPUTE_PGM_RSRC2:TIDIG_COMP_CNT: 0
; COMPUTE_PGM_RSRC3_GFX90A:ACCUM_OFFSET: 63
; COMPUTE_PGM_RSRC3_GFX90A:TG_SPLIT: 0
	.section	.text._ZN9rocsolver6v33100L18getri_kernel_smallILi42E19rocblas_complex_numIdEPKPS3_EEvT1_iilPiilS8_bb,"axG",@progbits,_ZN9rocsolver6v33100L18getri_kernel_smallILi42E19rocblas_complex_numIdEPKPS3_EEvT1_iilPiilS8_bb,comdat
	.globl	_ZN9rocsolver6v33100L18getri_kernel_smallILi42E19rocblas_complex_numIdEPKPS3_EEvT1_iilPiilS8_bb ; -- Begin function _ZN9rocsolver6v33100L18getri_kernel_smallILi42E19rocblas_complex_numIdEPKPS3_EEvT1_iilPiilS8_bb
	.p2align	8
	.type	_ZN9rocsolver6v33100L18getri_kernel_smallILi42E19rocblas_complex_numIdEPKPS3_EEvT1_iilPiilS8_bb,@function
_ZN9rocsolver6v33100L18getri_kernel_smallILi42E19rocblas_complex_numIdEPKPS3_EEvT1_iilPiilS8_bb: ; @_ZN9rocsolver6v33100L18getri_kernel_smallILi42E19rocblas_complex_numIdEPKPS3_EEvT1_iilPiilS8_bb
; %bb.0:
	v_mov_b32_e32 v240, v0
	v_cmp_gt_u32_e32 vcc, 42, v240
	s_and_saveexec_b64 s[4:5], vcc
	s_cbranch_execz .LBB105_182
; %bb.1:
	s_load_dword s14, s[0:1], 0x38
	s_load_dwordx2 s[8:9], s[0:1], 0x0
	s_load_dwordx4 s[4:7], s[0:1], 0x28
	s_waitcnt lgkmcnt(0)
	s_bitcmp1_b32 s14, 8
	s_cselect_b64 s[10:11], -1, 0
	s_ashr_i32 s3, s2, 31
	s_lshl_b64 s[12:13], s[2:3], 3
	s_add_u32 s8, s8, s12
	s_addc_u32 s9, s9, s13
	s_load_dwordx2 s[12:13], s[8:9], 0x0
	s_bfe_u32 s8, s14, 0x10008
	s_cmp_eq_u32 s8, 0
                                        ; implicit-def: $sgpr8_sgpr9
	s_cbranch_scc1 .LBB105_3
; %bb.2:
	s_load_dword s8, s[0:1], 0x20
	s_load_dwordx2 s[14:15], s[0:1], 0x18
	s_mul_i32 s9, s4, s3
	s_mul_hi_u32 s16, s4, s2
	s_add_i32 s16, s16, s9
	s_mul_i32 s5, s5, s2
	s_add_i32 s5, s16, s5
	s_mul_i32 s4, s4, s2
	s_waitcnt lgkmcnt(0)
	s_ashr_i32 s9, s8, 31
	s_lshl_b64 s[4:5], s[4:5], 2
	s_add_u32 s14, s14, s4
	s_addc_u32 s15, s15, s5
	s_lshl_b64 s[4:5], s[8:9], 2
	s_add_u32 s8, s14, s4
	s_addc_u32 s9, s15, s5
.LBB105_3:
	s_load_dwordx2 s[4:5], s[0:1], 0x8
	s_load_dword s14, s[0:1], 0x38
	v_lshlrev_b32_e32 v14, 4, v240
	v_mov_b32_e32 v15, 0
	s_movk_i32 s15, 0xb0
	s_waitcnt lgkmcnt(0)
	s_ashr_i32 s1, s4, 31
	s_mov_b32 s0, s4
	s_lshl_b64 s[0:1], s[0:1], 4
	s_add_u32 s0, s12, s0
	s_addc_u32 s1, s13, s1
	v_lshl_add_u64 v[0:1], s[0:1], 0, v[14:15]
	flat_load_dwordx4 v[2:5], v[0:1]
	s_mov_b32 s12, s5
	s_ashr_i32 s13, s5, 31
	v_accvgpr_write_b32 a0, v0
	v_accvgpr_write_b32 a1, v1
	v_lshl_add_u64 v[0:1], s[12:13], 4, v[0:1]
	s_add_i32 s4, s5, s5
	v_add_u32_e32 v6, s4, v240
	v_accvgpr_write_b32 a3, v1
	v_ashrrev_i32_e32 v7, 31, v6
	v_accvgpr_write_b32 a2, v0
	s_movk_i32 s4, 0x70
	s_movk_i32 s12, 0x90
	;; [unrolled: 1-line block ×33, first 2 shown]
	s_add_i32 s51, s4, 16
	s_add_i32 s49, s12, 16
	;; [unrolled: 1-line block ×34, first 2 shown]
	s_mov_b32 s57, 32
	s_mov_b32 s56, 48
	s_waitcnt vmcnt(0) lgkmcnt(0)
	scratch_store_dwordx4 off, v[2:5], off offset:16
	flat_load_dwordx4 v[2:5], v[0:1]
	v_lshl_add_u64 v[0:1], v[6:7], 4, s[0:1]
	v_add_u32_e32 v6, s5, v6
	v_accvgpr_write_b32 a5, v1
	v_ashrrev_i32_e32 v7, 31, v6
	v_accvgpr_write_b32 a4, v0
	s_mov_b32 s55, 64
	s_movk_i32 s54, 0x50
	s_waitcnt vmcnt(0) lgkmcnt(0)
	scratch_store_dwordx4 off, v[2:5], off offset:32
	flat_load_dwordx4 v[2:5], v[0:1]
	v_lshl_add_u64 v[0:1], v[6:7], 4, s[0:1]
	v_add_u32_e32 v6, s5, v6
	v_accvgpr_write_b32 a7, v1
	v_ashrrev_i32_e32 v7, 31, v6
	v_accvgpr_write_b32 a6, v0
	s_waitcnt vmcnt(0) lgkmcnt(0)
	scratch_store_dwordx4 off, v[2:5], off offset:48
	flat_load_dwordx4 v[2:5], v[0:1]
	v_lshl_add_u64 v[0:1], v[6:7], 4, s[0:1]
	v_add_u32_e32 v6, s5, v6
	v_accvgpr_write_b32 a9, v1
	v_ashrrev_i32_e32 v7, 31, v6
	v_accvgpr_write_b32 a8, v0
	;; [unrolled: 8-line block ×38, first 2 shown]
	s_movk_i32 s5, 0x80
	s_add_i32 s50, s5, 16
	s_mov_b64 s[4:5], -1
	s_waitcnt vmcnt(0) lgkmcnt(0)
	scratch_store_dwordx4 off, v[2:5], off offset:640
	flat_load_dwordx4 v[2:5], v[0:1]
	v_lshl_add_u64 v[0:1], v[6:7], 4, s[0:1]
	s_movk_i32 s0, 0x50
	s_movk_i32 s1, 0x60
	v_accvgpr_write_b32 a83, v1
	s_add_i32 s53, s0, 16
	s_add_i32 s52, s1, 16
	v_accvgpr_write_b32 a82, v0
	s_bitcmp0_b32 s14, 0
	s_waitcnt vmcnt(0) lgkmcnt(0)
	scratch_store_dwordx4 off, v[2:5], off offset:656
	flat_load_dwordx4 v[2:5], v[0:1]
	s_waitcnt vmcnt(0) lgkmcnt(0)
	scratch_store_dwordx4 off, v[2:5], off offset:672
	s_cbranch_scc1 .LBB105_180
; %bb.4:
	v_cmp_eq_u32_e64 s[0:1], 0, v240
	s_and_saveexec_b64 s[4:5], s[0:1]
; %bb.5:
	v_mov_b32_e32 v0, 0
	ds_write_b32 v0, v0 offset:1344
; %bb.6:
	s_or_b64 exec, exec, s[4:5]
	s_waitcnt lgkmcnt(0)
	; wave barrier
	scratch_load_dwordx4 v[2:5], v14, off offset:16
	s_waitcnt vmcnt(0)
	v_cmp_eq_f64_e32 vcc, 0, v[2:3]
	v_cmp_eq_f64_e64 s[4:5], 0, v[4:5]
	s_and_b64 s[4:5], vcc, s[4:5]
	s_and_saveexec_b64 s[12:13], s[4:5]
	s_cbranch_execz .LBB105_10
; %bb.7:
	v_mov_b32_e32 v1, 0
	ds_read_b32 v0, v1 offset:1344
	v_add_u32_e32 v2, 1, v240
	s_waitcnt lgkmcnt(0)
	v_readfirstlane_b32 s4, v0
	s_cmp_eq_u32 s4, 0
	s_cselect_b64 s[14:15], -1, 0
	v_cmp_gt_i32_e32 vcc, s4, v2
	s_or_b64 s[14:15], s[14:15], vcc
	s_and_b64 exec, exec, s[14:15]
	s_cbranch_execz .LBB105_10
; %bb.8:
	s_mov_b64 s[14:15], 0
	v_mov_b32_e32 v3, s4
.LBB105_9:                              ; =>This Inner Loop Header: Depth=1
	ds_cmpst_rtn_b32 v3, v1, v3, v2 offset:1344
	s_waitcnt lgkmcnt(0)
	v_cmp_ne_u32_e32 vcc, 0, v3
	v_cmp_le_i32_e64 s[4:5], v3, v2
	s_and_b64 s[4:5], vcc, s[4:5]
	s_and_b64 s[4:5], exec, s[4:5]
	s_or_b64 s[14:15], s[4:5], s[14:15]
	s_andn2_b64 exec, exec, s[14:15]
	s_cbranch_execnz .LBB105_9
.LBB105_10:
	s_or_b64 exec, exec, s[12:13]
	v_mov_b32_e32 v2, 0
	; wave barrier
	ds_read_b32 v1, v2 offset:1344
	s_and_saveexec_b64 s[4:5], s[0:1]
	s_cbranch_execz .LBB105_12
; %bb.11:
	s_lshl_b64 s[12:13], s[2:3], 2
	s_add_u32 s12, s6, s12
	s_addc_u32 s13, s7, s13
	s_waitcnt lgkmcnt(0)
	global_store_dword v2, v1, s[12:13]
.LBB105_12:
	s_or_b64 exec, exec, s[4:5]
	s_waitcnt lgkmcnt(0)
	v_cmp_ne_u32_e32 vcc, 0, v1
	s_mov_b64 s[4:5], 0
	s_cbranch_vccnz .LBB105_180
; %bb.13:
	v_add_u32_e32 v15, 16, v14
	scratch_load_dwordx4 v[2:5], v15, off
                                        ; implicit-def: $vgpr6_vgpr7
                                        ; implicit-def: $vgpr10_vgpr11
	s_waitcnt vmcnt(0)
	v_cmp_ngt_f64_e64 s[4:5], |v[2:3]|, |v[4:5]|
	s_and_saveexec_b64 s[12:13], s[4:5]
	s_xor_b64 s[4:5], exec, s[12:13]
	s_cbranch_execz .LBB105_15
; %bb.14:
	v_div_scale_f64 v[6:7], s[12:13], v[4:5], v[4:5], v[2:3]
	v_rcp_f64_e32 v[8:9], v[6:7]
	v_div_scale_f64 v[10:11], vcc, v[2:3], v[4:5], v[2:3]
	v_fma_f64 v[12:13], -v[6:7], v[8:9], 1.0
	v_fmac_f64_e32 v[8:9], v[8:9], v[12:13]
	v_fma_f64 v[12:13], -v[6:7], v[8:9], 1.0
	v_fmac_f64_e32 v[8:9], v[8:9], v[12:13]
	v_mul_f64 v[12:13], v[10:11], v[8:9]
	v_fma_f64 v[6:7], -v[6:7], v[12:13], v[10:11]
	v_div_fmas_f64 v[6:7], v[6:7], v[8:9], v[12:13]
	v_div_fixup_f64 v[6:7], v[6:7], v[4:5], v[2:3]
	v_fmac_f64_e32 v[4:5], v[2:3], v[6:7]
	v_div_scale_f64 v[2:3], s[12:13], v[4:5], v[4:5], 1.0
	v_rcp_f64_e32 v[8:9], v[2:3]
	s_nop 0
	v_fma_f64 v[10:11], -v[2:3], v[8:9], 1.0
	v_fmac_f64_e32 v[8:9], v[8:9], v[10:11]
	v_fma_f64 v[10:11], -v[2:3], v[8:9], 1.0
	v_fmac_f64_e32 v[8:9], v[8:9], v[10:11]
	v_div_scale_f64 v[10:11], vcc, 1.0, v[4:5], 1.0
	v_mul_f64 v[12:13], v[10:11], v[8:9]
	v_fma_f64 v[2:3], -v[2:3], v[12:13], v[10:11]
	s_nop 1
	v_div_fmas_f64 v[2:3], v[2:3], v[8:9], v[12:13]
	v_div_fixup_f64 v[8:9], v[2:3], v[4:5], 1.0
	v_mul_f64 v[6:7], v[6:7], v[8:9]
	v_xor_b32_e32 v9, 0x80000000, v9
	v_xor_b32_e32 v11, 0x80000000, v7
	v_mov_b32_e32 v10, v6
                                        ; implicit-def: $vgpr2_vgpr3
.LBB105_15:
	s_andn2_saveexec_b64 s[4:5], s[4:5]
	s_cbranch_execz .LBB105_17
; %bb.16:
	v_div_scale_f64 v[6:7], s[12:13], v[2:3], v[2:3], v[4:5]
	v_rcp_f64_e32 v[8:9], v[6:7]
	v_div_scale_f64 v[10:11], vcc, v[4:5], v[2:3], v[4:5]
	v_fma_f64 v[12:13], -v[6:7], v[8:9], 1.0
	v_fmac_f64_e32 v[8:9], v[8:9], v[12:13]
	v_fma_f64 v[12:13], -v[6:7], v[8:9], 1.0
	v_fmac_f64_e32 v[8:9], v[8:9], v[12:13]
	v_mul_f64 v[12:13], v[10:11], v[8:9]
	v_fma_f64 v[6:7], -v[6:7], v[12:13], v[10:11]
	v_div_fmas_f64 v[6:7], v[6:7], v[8:9], v[12:13]
	v_div_fixup_f64 v[8:9], v[6:7], v[2:3], v[4:5]
	v_fmac_f64_e32 v[2:3], v[4:5], v[8:9]
	v_div_scale_f64 v[4:5], s[12:13], v[2:3], v[2:3], 1.0
	v_rcp_f64_e32 v[6:7], v[4:5]
	s_nop 0
	v_fma_f64 v[10:11], -v[4:5], v[6:7], 1.0
	v_fmac_f64_e32 v[6:7], v[6:7], v[10:11]
	v_fma_f64 v[10:11], -v[4:5], v[6:7], 1.0
	v_fmac_f64_e32 v[6:7], v[6:7], v[10:11]
	v_div_scale_f64 v[10:11], vcc, 1.0, v[2:3], 1.0
	v_mul_f64 v[12:13], v[10:11], v[6:7]
	v_fma_f64 v[4:5], -v[4:5], v[12:13], v[10:11]
	s_nop 1
	v_div_fmas_f64 v[4:5], v[4:5], v[6:7], v[12:13]
	v_div_fixup_f64 v[6:7], v[4:5], v[2:3], 1.0
	v_xor_b32_e32 v11, 0x80000000, v7
	v_mov_b32_e32 v10, v6
	v_mul_f64 v[8:9], v[8:9], -v[6:7]
.LBB105_17:
	s_or_b64 exec, exec, s[4:5]
	scratch_store_dwordx4 v15, v[6:9], off
	scratch_load_dwordx4 v[2:5], off, s57
	v_xor_b32_e32 v13, 0x80000000, v9
	v_mov_b32_e32 v12, v8
	v_add_u32_e32 v1, 0x2a0, v14
	ds_write_b128 v14, v[10:13]
	s_waitcnt vmcnt(0)
	ds_write_b128 v14, v[2:5] offset:672
	s_waitcnt lgkmcnt(0)
	; wave barrier
	s_and_saveexec_b64 s[4:5], s[0:1]
	s_cbranch_execz .LBB105_19
; %bb.18:
	scratch_load_dwordx4 v[2:5], v15, off
	ds_read_b128 v[6:9], v1
	v_mov_b32_e32 v0, 0
	ds_read_b128 v[10:13], v0 offset:16
	s_waitcnt vmcnt(0) lgkmcnt(1)
	v_mul_f64 v[16:17], v[8:9], v[4:5]
	v_mul_f64 v[4:5], v[6:7], v[4:5]
	v_fma_f64 v[6:7], v[6:7], v[2:3], -v[16:17]
	v_fmac_f64_e32 v[4:5], v[8:9], v[2:3]
	v_add_f64 v[2:3], v[6:7], 0
	v_add_f64 v[6:7], v[4:5], 0
	s_waitcnt lgkmcnt(0)
	v_mul_f64 v[8:9], v[6:7], v[12:13]
	v_mul_f64 v[4:5], v[2:3], v[12:13]
	v_fma_f64 v[2:3], v[2:3], v[10:11], -v[8:9]
	v_fmac_f64_e32 v[4:5], v[6:7], v[10:11]
	scratch_store_dwordx4 off, v[2:5], off offset:32
.LBB105_19:
	s_or_b64 exec, exec, s[4:5]
	; wave barrier
	scratch_load_dwordx4 v[2:5], off, s56
	v_cmp_gt_u32_e32 vcc, 2, v240
	s_waitcnt vmcnt(0)
	ds_write_b128 v1, v[2:5]
	s_waitcnt lgkmcnt(0)
	; wave barrier
	s_and_saveexec_b64 s[4:5], vcc
	s_cbranch_execz .LBB105_23
; %bb.20:
	scratch_load_dwordx4 v[2:5], v15, off
	ds_read_b128 v[6:9], v1
	s_waitcnt vmcnt(0) lgkmcnt(0)
	v_mul_f64 v[10:11], v[8:9], v[4:5]
	v_mul_f64 v[12:13], v[6:7], v[4:5]
	v_fma_f64 v[4:5], v[6:7], v[2:3], -v[10:11]
	v_fmac_f64_e32 v[12:13], v[8:9], v[2:3]
	v_add_f64 v[4:5], v[4:5], 0
	v_add_f64 v[2:3], v[12:13], 0
	s_and_saveexec_b64 s[12:13], s[0:1]
	s_cbranch_execz .LBB105_22
; %bb.21:
	scratch_load_dwordx4 v[6:9], off, off offset:32
	v_mov_b32_e32 v0, 0
	ds_read_b128 v[10:13], v0 offset:688
	s_waitcnt vmcnt(0) lgkmcnt(0)
	v_mul_f64 v[16:17], v[10:11], v[8:9]
	v_mul_f64 v[8:9], v[12:13], v[8:9]
	v_fmac_f64_e32 v[16:17], v[12:13], v[6:7]
	v_fma_f64 v[6:7], v[10:11], v[6:7], -v[8:9]
	v_add_f64 v[2:3], v[2:3], v[16:17]
	v_add_f64 v[4:5], v[4:5], v[6:7]
.LBB105_22:
	s_or_b64 exec, exec, s[12:13]
	v_mov_b32_e32 v0, 0
	ds_read_b128 v[6:9], v0 offset:32
	s_waitcnt lgkmcnt(0)
	v_mul_f64 v[12:13], v[2:3], v[8:9]
	v_mul_f64 v[10:11], v[4:5], v[8:9]
	v_fma_f64 v[8:9], v[4:5], v[6:7], -v[12:13]
	v_fmac_f64_e32 v[10:11], v[2:3], v[6:7]
	scratch_store_dwordx4 off, v[8:11], off offset:48
.LBB105_23:
	s_or_b64 exec, exec, s[4:5]
	; wave barrier
	scratch_load_dwordx4 v[2:5], off, s55
	v_cmp_gt_u32_e32 vcc, 3, v240
	v_add_u32_e32 v6, -1, v240
	s_waitcnt vmcnt(0)
	ds_write_b128 v1, v[2:5]
	s_waitcnt lgkmcnt(0)
	; wave barrier
	s_and_saveexec_b64 s[0:1], vcc
	s_cbranch_execz .LBB105_27
; %bb.24:
	v_add_u32_e32 v7, -1, v240
	v_add_u32_e32 v8, 0x2a0, v14
	v_add_u32_e32 v9, 16, v14
	v_mov_b64_e32 v[2:3], 0
	s_mov_b64 s[4:5], 0
	v_mov_b64_e32 v[4:5], 0
.LBB105_25:                             ; =>This Inner Loop Header: Depth=1
	scratch_load_dwordx4 v[10:13], v9, off
	ds_read_b128 v[16:19], v8
	v_add_u32_e32 v7, 1, v7
	v_cmp_lt_u32_e32 vcc, 1, v7
	v_add_u32_e32 v8, 16, v8
	v_add_u32_e32 v9, 16, v9
	s_or_b64 s[4:5], vcc, s[4:5]
	s_waitcnt vmcnt(0) lgkmcnt(0)
	v_mul_f64 v[20:21], v[18:19], v[12:13]
	v_mul_f64 v[12:13], v[16:17], v[12:13]
	v_fma_f64 v[16:17], v[16:17], v[10:11], -v[20:21]
	v_fmac_f64_e32 v[12:13], v[18:19], v[10:11]
	v_add_f64 v[4:5], v[4:5], v[16:17]
	v_add_f64 v[2:3], v[2:3], v[12:13]
	s_andn2_b64 exec, exec, s[4:5]
	s_cbranch_execnz .LBB105_25
; %bb.26:
	s_or_b64 exec, exec, s[4:5]
	v_mov_b32_e32 v0, 0
	ds_read_b128 v[8:11], v0 offset:48
	s_waitcnt lgkmcnt(0)
	v_mul_f64 v[16:17], v[2:3], v[10:11]
	v_mul_f64 v[12:13], v[4:5], v[10:11]
	v_fma_f64 v[10:11], v[4:5], v[8:9], -v[16:17]
	v_fmac_f64_e32 v[12:13], v[2:3], v[8:9]
	scratch_store_dwordx4 off, v[10:13], off offset:64
.LBB105_27:
	s_or_b64 exec, exec, s[0:1]
	; wave barrier
	scratch_load_dwordx4 v[2:5], off, s54
	v_cmp_gt_u32_e32 vcc, 4, v240
	s_waitcnt vmcnt(0)
	ds_write_b128 v1, v[2:5]
	s_waitcnt lgkmcnt(0)
	; wave barrier
	s_and_saveexec_b64 s[0:1], vcc
	s_cbranch_execz .LBB105_31
; %bb.28:
	v_add_u32_e32 v7, -1, v240
	v_add_u32_e32 v8, 0x2a0, v14
	v_add_u32_e32 v9, 16, v14
	v_mov_b64_e32 v[2:3], 0
	s_mov_b64 s[4:5], 0
	v_mov_b64_e32 v[4:5], 0
.LBB105_29:                             ; =>This Inner Loop Header: Depth=1
	scratch_load_dwordx4 v[10:13], v9, off
	ds_read_b128 v[16:19], v8
	v_add_u32_e32 v7, 1, v7
	v_cmp_lt_u32_e32 vcc, 2, v7
	v_add_u32_e32 v8, 16, v8
	v_add_u32_e32 v9, 16, v9
	s_or_b64 s[4:5], vcc, s[4:5]
	s_waitcnt vmcnt(0) lgkmcnt(0)
	v_mul_f64 v[20:21], v[18:19], v[12:13]
	v_mul_f64 v[12:13], v[16:17], v[12:13]
	v_fma_f64 v[16:17], v[16:17], v[10:11], -v[20:21]
	v_fmac_f64_e32 v[12:13], v[18:19], v[10:11]
	v_add_f64 v[4:5], v[4:5], v[16:17]
	v_add_f64 v[2:3], v[2:3], v[12:13]
	s_andn2_b64 exec, exec, s[4:5]
	s_cbranch_execnz .LBB105_29
; %bb.30:
	s_or_b64 exec, exec, s[4:5]
	v_mov_b32_e32 v0, 0
	ds_read_b128 v[8:11], v0 offset:64
	s_waitcnt lgkmcnt(0)
	v_mul_f64 v[16:17], v[2:3], v[10:11]
	v_mul_f64 v[12:13], v[4:5], v[10:11]
	v_fma_f64 v[10:11], v[4:5], v[8:9], -v[16:17]
	v_fmac_f64_e32 v[12:13], v[2:3], v[8:9]
	scratch_store_dwordx4 off, v[10:13], off offset:80
.LBB105_31:
	s_or_b64 exec, exec, s[0:1]
	; wave barrier
	scratch_load_dwordx4 v[2:5], off, s53
	v_cmp_gt_u32_e32 vcc, 5, v240
	;; [unrolled: 45-line block ×19, first 2 shown]
	s_waitcnt vmcnt(0)
	ds_write_b128 v1, v[2:5]
	s_waitcnt lgkmcnt(0)
	; wave barrier
	s_and_saveexec_b64 s[0:1], vcc
	s_cbranch_execz .LBB105_103
; %bb.100:
	v_add_u32_e32 v7, -1, v240
	v_add_u32_e32 v8, 0x2a0, v14
	v_add_u32_e32 v9, 16, v14
	v_mov_b64_e32 v[2:3], 0
	s_mov_b64 s[4:5], 0
	v_mov_b64_e32 v[4:5], 0
.LBB105_101:                            ; =>This Inner Loop Header: Depth=1
	scratch_load_dwordx4 v[10:13], v9, off
	ds_read_b128 v[16:19], v8
	v_add_u32_e32 v7, 1, v7
	v_cmp_lt_u32_e32 vcc, 20, v7
	v_add_u32_e32 v8, 16, v8
	v_add_u32_e32 v9, 16, v9
	s_or_b64 s[4:5], vcc, s[4:5]
	s_waitcnt vmcnt(0) lgkmcnt(0)
	v_mul_f64 v[20:21], v[18:19], v[12:13]
	v_mul_f64 v[12:13], v[16:17], v[12:13]
	v_fma_f64 v[16:17], v[16:17], v[10:11], -v[20:21]
	v_fmac_f64_e32 v[12:13], v[18:19], v[10:11]
	v_add_f64 v[4:5], v[4:5], v[16:17]
	v_add_f64 v[2:3], v[2:3], v[12:13]
	s_andn2_b64 exec, exec, s[4:5]
	s_cbranch_execnz .LBB105_101
; %bb.102:
	s_or_b64 exec, exec, s[4:5]
	v_mov_b32_e32 v0, 0
	ds_read_b128 v[8:11], v0 offset:352
	s_waitcnt lgkmcnt(0)
	v_mul_f64 v[16:17], v[2:3], v[10:11]
	v_mul_f64 v[12:13], v[4:5], v[10:11]
	v_fma_f64 v[10:11], v[4:5], v[8:9], -v[16:17]
	v_fmac_f64_e32 v[12:13], v[2:3], v[8:9]
	scratch_store_dwordx4 off, v[10:13], off offset:368
.LBB105_103:
	s_or_b64 exec, exec, s[0:1]
	; wave barrier
	scratch_load_dwordx4 v[2:5], off, s35
	v_cmp_gt_u32_e32 vcc, 23, v240
	s_waitcnt vmcnt(0)
	ds_write_b128 v1, v[2:5]
	s_waitcnt lgkmcnt(0)
	; wave barrier
	s_and_saveexec_b64 s[0:1], vcc
	s_cbranch_execz .LBB105_107
; %bb.104:
	v_add_u32_e32 v7, -1, v240
	v_add_u32_e32 v8, 0x2a0, v14
	v_add_u32_e32 v9, 16, v14
	v_mov_b64_e32 v[2:3], 0
	s_mov_b64 s[4:5], 0
	v_mov_b64_e32 v[4:5], 0
.LBB105_105:                            ; =>This Inner Loop Header: Depth=1
	scratch_load_dwordx4 v[10:13], v9, off
	ds_read_b128 v[16:19], v8
	v_add_u32_e32 v7, 1, v7
	v_cmp_lt_u32_e32 vcc, 21, v7
	v_add_u32_e32 v8, 16, v8
	v_add_u32_e32 v9, 16, v9
	s_or_b64 s[4:5], vcc, s[4:5]
	s_waitcnt vmcnt(0) lgkmcnt(0)
	v_mul_f64 v[20:21], v[18:19], v[12:13]
	v_mul_f64 v[12:13], v[16:17], v[12:13]
	v_fma_f64 v[16:17], v[16:17], v[10:11], -v[20:21]
	v_fmac_f64_e32 v[12:13], v[18:19], v[10:11]
	v_add_f64 v[4:5], v[4:5], v[16:17]
	v_add_f64 v[2:3], v[2:3], v[12:13]
	s_andn2_b64 exec, exec, s[4:5]
	s_cbranch_execnz .LBB105_105
; %bb.106:
	s_or_b64 exec, exec, s[4:5]
	v_mov_b32_e32 v0, 0
	ds_read_b128 v[8:11], v0 offset:368
	s_waitcnt lgkmcnt(0)
	v_mul_f64 v[16:17], v[2:3], v[10:11]
	v_mul_f64 v[12:13], v[4:5], v[10:11]
	v_fma_f64 v[10:11], v[4:5], v[8:9], -v[16:17]
	v_fmac_f64_e32 v[12:13], v[2:3], v[8:9]
	scratch_store_dwordx4 off, v[10:13], off offset:384
.LBB105_107:
	s_or_b64 exec, exec, s[0:1]
	; wave barrier
	scratch_load_dwordx4 v[2:5], off, s34
	v_cmp_gt_u32_e32 vcc, 24, v240
	s_waitcnt vmcnt(0)
	ds_write_b128 v1, v[2:5]
	s_waitcnt lgkmcnt(0)
	; wave barrier
	s_and_saveexec_b64 s[0:1], vcc
	s_cbranch_execz .LBB105_111
; %bb.108:
	v_add_u32_e32 v7, -1, v240
	v_add_u32_e32 v8, 0x2a0, v14
	v_add_u32_e32 v9, 16, v14
	v_mov_b64_e32 v[2:3], 0
	s_mov_b64 s[4:5], 0
	v_mov_b64_e32 v[4:5], 0
.LBB105_109:                            ; =>This Inner Loop Header: Depth=1
	scratch_load_dwordx4 v[10:13], v9, off
	ds_read_b128 v[16:19], v8
	v_add_u32_e32 v7, 1, v7
	v_cmp_lt_u32_e32 vcc, 22, v7
	v_add_u32_e32 v8, 16, v8
	v_add_u32_e32 v9, 16, v9
	s_or_b64 s[4:5], vcc, s[4:5]
	s_waitcnt vmcnt(0) lgkmcnt(0)
	v_mul_f64 v[20:21], v[18:19], v[12:13]
	v_mul_f64 v[12:13], v[16:17], v[12:13]
	v_fma_f64 v[16:17], v[16:17], v[10:11], -v[20:21]
	v_fmac_f64_e32 v[12:13], v[18:19], v[10:11]
	v_add_f64 v[4:5], v[4:5], v[16:17]
	v_add_f64 v[2:3], v[2:3], v[12:13]
	s_andn2_b64 exec, exec, s[4:5]
	s_cbranch_execnz .LBB105_109
; %bb.110:
	s_or_b64 exec, exec, s[4:5]
	v_mov_b32_e32 v0, 0
	ds_read_b128 v[8:11], v0 offset:384
	s_waitcnt lgkmcnt(0)
	v_mul_f64 v[16:17], v[2:3], v[10:11]
	v_mul_f64 v[12:13], v[4:5], v[10:11]
	v_fma_f64 v[10:11], v[4:5], v[8:9], -v[16:17]
	v_fmac_f64_e32 v[12:13], v[2:3], v[8:9]
	scratch_store_dwordx4 off, v[10:13], off offset:400
.LBB105_111:
	s_or_b64 exec, exec, s[0:1]
	; wave barrier
	scratch_load_dwordx4 v[2:5], off, s33
	v_cmp_gt_u32_e32 vcc, 25, v240
	s_waitcnt vmcnt(0)
	ds_write_b128 v1, v[2:5]
	s_waitcnt lgkmcnt(0)
	; wave barrier
	s_and_saveexec_b64 s[0:1], vcc
	s_cbranch_execz .LBB105_115
; %bb.112:
	v_add_u32_e32 v7, -1, v240
	v_add_u32_e32 v8, 0x2a0, v14
	v_add_u32_e32 v9, 16, v14
	v_mov_b64_e32 v[2:3], 0
	s_mov_b64 s[4:5], 0
	v_mov_b64_e32 v[4:5], 0
.LBB105_113:                            ; =>This Inner Loop Header: Depth=1
	scratch_load_dwordx4 v[10:13], v9, off
	ds_read_b128 v[16:19], v8
	v_add_u32_e32 v7, 1, v7
	v_cmp_lt_u32_e32 vcc, 23, v7
	v_add_u32_e32 v8, 16, v8
	v_add_u32_e32 v9, 16, v9
	s_or_b64 s[4:5], vcc, s[4:5]
	s_waitcnt vmcnt(0) lgkmcnt(0)
	v_mul_f64 v[20:21], v[18:19], v[12:13]
	v_mul_f64 v[12:13], v[16:17], v[12:13]
	v_fma_f64 v[16:17], v[16:17], v[10:11], -v[20:21]
	v_fmac_f64_e32 v[12:13], v[18:19], v[10:11]
	v_add_f64 v[4:5], v[4:5], v[16:17]
	v_add_f64 v[2:3], v[2:3], v[12:13]
	s_andn2_b64 exec, exec, s[4:5]
	s_cbranch_execnz .LBB105_113
; %bb.114:
	s_or_b64 exec, exec, s[4:5]
	v_mov_b32_e32 v0, 0
	ds_read_b128 v[8:11], v0 offset:400
	s_waitcnt lgkmcnt(0)
	v_mul_f64 v[16:17], v[2:3], v[10:11]
	v_mul_f64 v[12:13], v[4:5], v[10:11]
	v_fma_f64 v[10:11], v[4:5], v[8:9], -v[16:17]
	v_fmac_f64_e32 v[12:13], v[2:3], v[8:9]
	scratch_store_dwordx4 off, v[10:13], off offset:416
.LBB105_115:
	s_or_b64 exec, exec, s[0:1]
	; wave barrier
	scratch_load_dwordx4 v[2:5], off, s31
	v_cmp_gt_u32_e32 vcc, 26, v240
	s_waitcnt vmcnt(0)
	ds_write_b128 v1, v[2:5]
	s_waitcnt lgkmcnt(0)
	; wave barrier
	s_and_saveexec_b64 s[0:1], vcc
	s_cbranch_execz .LBB105_119
; %bb.116:
	v_add_u32_e32 v7, -1, v240
	v_add_u32_e32 v8, 0x2a0, v14
	v_add_u32_e32 v9, 16, v14
	v_mov_b64_e32 v[2:3], 0
	s_mov_b64 s[4:5], 0
	v_mov_b64_e32 v[4:5], 0
.LBB105_117:                            ; =>This Inner Loop Header: Depth=1
	scratch_load_dwordx4 v[10:13], v9, off
	ds_read_b128 v[16:19], v8
	v_add_u32_e32 v7, 1, v7
	v_cmp_lt_u32_e32 vcc, 24, v7
	v_add_u32_e32 v8, 16, v8
	v_add_u32_e32 v9, 16, v9
	s_or_b64 s[4:5], vcc, s[4:5]
	s_waitcnt vmcnt(0) lgkmcnt(0)
	v_mul_f64 v[20:21], v[18:19], v[12:13]
	v_mul_f64 v[12:13], v[16:17], v[12:13]
	v_fma_f64 v[16:17], v[16:17], v[10:11], -v[20:21]
	v_fmac_f64_e32 v[12:13], v[18:19], v[10:11]
	v_add_f64 v[4:5], v[4:5], v[16:17]
	v_add_f64 v[2:3], v[2:3], v[12:13]
	s_andn2_b64 exec, exec, s[4:5]
	s_cbranch_execnz .LBB105_117
; %bb.118:
	s_or_b64 exec, exec, s[4:5]
	v_mov_b32_e32 v0, 0
	ds_read_b128 v[8:11], v0 offset:416
	s_waitcnt lgkmcnt(0)
	v_mul_f64 v[16:17], v[2:3], v[10:11]
	v_mul_f64 v[12:13], v[4:5], v[10:11]
	v_fma_f64 v[10:11], v[4:5], v[8:9], -v[16:17]
	v_fmac_f64_e32 v[12:13], v[2:3], v[8:9]
	scratch_store_dwordx4 off, v[10:13], off offset:432
.LBB105_119:
	s_or_b64 exec, exec, s[0:1]
	; wave barrier
	scratch_load_dwordx4 v[2:5], off, s30
	v_cmp_gt_u32_e32 vcc, 27, v240
	s_waitcnt vmcnt(0)
	ds_write_b128 v1, v[2:5]
	s_waitcnt lgkmcnt(0)
	; wave barrier
	s_and_saveexec_b64 s[0:1], vcc
	s_cbranch_execz .LBB105_123
; %bb.120:
	v_add_u32_e32 v7, -1, v240
	v_add_u32_e32 v8, 0x2a0, v14
	v_add_u32_e32 v9, 16, v14
	v_mov_b64_e32 v[2:3], 0
	s_mov_b64 s[4:5], 0
	v_mov_b64_e32 v[4:5], 0
.LBB105_121:                            ; =>This Inner Loop Header: Depth=1
	scratch_load_dwordx4 v[10:13], v9, off
	ds_read_b128 v[16:19], v8
	v_add_u32_e32 v7, 1, v7
	v_cmp_lt_u32_e32 vcc, 25, v7
	v_add_u32_e32 v8, 16, v8
	v_add_u32_e32 v9, 16, v9
	s_or_b64 s[4:5], vcc, s[4:5]
	s_waitcnt vmcnt(0) lgkmcnt(0)
	v_mul_f64 v[20:21], v[18:19], v[12:13]
	v_mul_f64 v[12:13], v[16:17], v[12:13]
	v_fma_f64 v[16:17], v[16:17], v[10:11], -v[20:21]
	v_fmac_f64_e32 v[12:13], v[18:19], v[10:11]
	v_add_f64 v[4:5], v[4:5], v[16:17]
	v_add_f64 v[2:3], v[2:3], v[12:13]
	s_andn2_b64 exec, exec, s[4:5]
	s_cbranch_execnz .LBB105_121
; %bb.122:
	s_or_b64 exec, exec, s[4:5]
	v_mov_b32_e32 v0, 0
	ds_read_b128 v[8:11], v0 offset:432
	s_waitcnt lgkmcnt(0)
	v_mul_f64 v[16:17], v[2:3], v[10:11]
	v_mul_f64 v[12:13], v[4:5], v[10:11]
	v_fma_f64 v[10:11], v[4:5], v[8:9], -v[16:17]
	v_fmac_f64_e32 v[12:13], v[2:3], v[8:9]
	scratch_store_dwordx4 off, v[10:13], off offset:448
.LBB105_123:
	s_or_b64 exec, exec, s[0:1]
	; wave barrier
	scratch_load_dwordx4 v[2:5], off, s29
	v_cmp_gt_u32_e32 vcc, 28, v240
	s_waitcnt vmcnt(0)
	ds_write_b128 v1, v[2:5]
	s_waitcnt lgkmcnt(0)
	; wave barrier
	s_and_saveexec_b64 s[0:1], vcc
	s_cbranch_execz .LBB105_127
; %bb.124:
	v_add_u32_e32 v7, -1, v240
	v_add_u32_e32 v8, 0x2a0, v14
	v_add_u32_e32 v9, 16, v14
	v_mov_b64_e32 v[2:3], 0
	s_mov_b64 s[4:5], 0
	v_mov_b64_e32 v[4:5], 0
.LBB105_125:                            ; =>This Inner Loop Header: Depth=1
	scratch_load_dwordx4 v[10:13], v9, off
	ds_read_b128 v[16:19], v8
	v_add_u32_e32 v7, 1, v7
	v_cmp_lt_u32_e32 vcc, 26, v7
	v_add_u32_e32 v8, 16, v8
	v_add_u32_e32 v9, 16, v9
	s_or_b64 s[4:5], vcc, s[4:5]
	s_waitcnt vmcnt(0) lgkmcnt(0)
	v_mul_f64 v[20:21], v[18:19], v[12:13]
	v_mul_f64 v[12:13], v[16:17], v[12:13]
	v_fma_f64 v[16:17], v[16:17], v[10:11], -v[20:21]
	v_fmac_f64_e32 v[12:13], v[18:19], v[10:11]
	v_add_f64 v[4:5], v[4:5], v[16:17]
	v_add_f64 v[2:3], v[2:3], v[12:13]
	s_andn2_b64 exec, exec, s[4:5]
	s_cbranch_execnz .LBB105_125
; %bb.126:
	s_or_b64 exec, exec, s[4:5]
	v_mov_b32_e32 v0, 0
	ds_read_b128 v[8:11], v0 offset:448
	s_waitcnt lgkmcnt(0)
	v_mul_f64 v[16:17], v[2:3], v[10:11]
	v_mul_f64 v[12:13], v[4:5], v[10:11]
	v_fma_f64 v[10:11], v[4:5], v[8:9], -v[16:17]
	v_fmac_f64_e32 v[12:13], v[2:3], v[8:9]
	scratch_store_dwordx4 off, v[10:13], off offset:464
.LBB105_127:
	s_or_b64 exec, exec, s[0:1]
	; wave barrier
	scratch_load_dwordx4 v[2:5], off, s28
	v_cmp_gt_u32_e32 vcc, 29, v240
	s_waitcnt vmcnt(0)
	ds_write_b128 v1, v[2:5]
	s_waitcnt lgkmcnt(0)
	; wave barrier
	s_and_saveexec_b64 s[0:1], vcc
	s_cbranch_execz .LBB105_131
; %bb.128:
	v_add_u32_e32 v7, -1, v240
	v_add_u32_e32 v8, 0x2a0, v14
	v_add_u32_e32 v9, 16, v14
	v_mov_b64_e32 v[2:3], 0
	s_mov_b64 s[4:5], 0
	v_mov_b64_e32 v[4:5], 0
.LBB105_129:                            ; =>This Inner Loop Header: Depth=1
	scratch_load_dwordx4 v[10:13], v9, off
	ds_read_b128 v[16:19], v8
	v_add_u32_e32 v7, 1, v7
	v_cmp_lt_u32_e32 vcc, 27, v7
	v_add_u32_e32 v8, 16, v8
	v_add_u32_e32 v9, 16, v9
	s_or_b64 s[4:5], vcc, s[4:5]
	s_waitcnt vmcnt(0) lgkmcnt(0)
	v_mul_f64 v[20:21], v[18:19], v[12:13]
	v_mul_f64 v[12:13], v[16:17], v[12:13]
	v_fma_f64 v[16:17], v[16:17], v[10:11], -v[20:21]
	v_fmac_f64_e32 v[12:13], v[18:19], v[10:11]
	v_add_f64 v[4:5], v[4:5], v[16:17]
	v_add_f64 v[2:3], v[2:3], v[12:13]
	s_andn2_b64 exec, exec, s[4:5]
	s_cbranch_execnz .LBB105_129
; %bb.130:
	s_or_b64 exec, exec, s[4:5]
	v_mov_b32_e32 v0, 0
	ds_read_b128 v[8:11], v0 offset:464
	s_waitcnt lgkmcnt(0)
	v_mul_f64 v[16:17], v[2:3], v[10:11]
	v_mul_f64 v[12:13], v[4:5], v[10:11]
	v_fma_f64 v[10:11], v[4:5], v[8:9], -v[16:17]
	v_fmac_f64_e32 v[12:13], v[2:3], v[8:9]
	scratch_store_dwordx4 off, v[10:13], off offset:480
.LBB105_131:
	s_or_b64 exec, exec, s[0:1]
	; wave barrier
	scratch_load_dwordx4 v[2:5], off, s27
	v_cmp_gt_u32_e32 vcc, 30, v240
	s_waitcnt vmcnt(0)
	ds_write_b128 v1, v[2:5]
	s_waitcnt lgkmcnt(0)
	; wave barrier
	s_and_saveexec_b64 s[0:1], vcc
	s_cbranch_execz .LBB105_135
; %bb.132:
	v_add_u32_e32 v7, -1, v240
	v_add_u32_e32 v8, 0x2a0, v14
	v_add_u32_e32 v9, 16, v14
	v_mov_b64_e32 v[2:3], 0
	s_mov_b64 s[4:5], 0
	v_mov_b64_e32 v[4:5], 0
.LBB105_133:                            ; =>This Inner Loop Header: Depth=1
	scratch_load_dwordx4 v[10:13], v9, off
	ds_read_b128 v[16:19], v8
	v_add_u32_e32 v7, 1, v7
	v_cmp_lt_u32_e32 vcc, 28, v7
	v_add_u32_e32 v8, 16, v8
	v_add_u32_e32 v9, 16, v9
	s_or_b64 s[4:5], vcc, s[4:5]
	s_waitcnt vmcnt(0) lgkmcnt(0)
	v_mul_f64 v[20:21], v[18:19], v[12:13]
	v_mul_f64 v[12:13], v[16:17], v[12:13]
	v_fma_f64 v[16:17], v[16:17], v[10:11], -v[20:21]
	v_fmac_f64_e32 v[12:13], v[18:19], v[10:11]
	v_add_f64 v[4:5], v[4:5], v[16:17]
	v_add_f64 v[2:3], v[2:3], v[12:13]
	s_andn2_b64 exec, exec, s[4:5]
	s_cbranch_execnz .LBB105_133
; %bb.134:
	s_or_b64 exec, exec, s[4:5]
	v_mov_b32_e32 v0, 0
	ds_read_b128 v[8:11], v0 offset:480
	s_waitcnt lgkmcnt(0)
	v_mul_f64 v[16:17], v[2:3], v[10:11]
	v_mul_f64 v[12:13], v[4:5], v[10:11]
	v_fma_f64 v[10:11], v[4:5], v[8:9], -v[16:17]
	v_fmac_f64_e32 v[12:13], v[2:3], v[8:9]
	scratch_store_dwordx4 off, v[10:13], off offset:496
.LBB105_135:
	s_or_b64 exec, exec, s[0:1]
	; wave barrier
	scratch_load_dwordx4 v[2:5], off, s26
	v_cmp_gt_u32_e32 vcc, 31, v240
	s_waitcnt vmcnt(0)
	ds_write_b128 v1, v[2:5]
	s_waitcnt lgkmcnt(0)
	; wave barrier
	s_and_saveexec_b64 s[0:1], vcc
	s_cbranch_execz .LBB105_139
; %bb.136:
	v_add_u32_e32 v7, -1, v240
	v_add_u32_e32 v8, 0x2a0, v14
	v_add_u32_e32 v9, 16, v14
	v_mov_b64_e32 v[2:3], 0
	s_mov_b64 s[4:5], 0
	v_mov_b64_e32 v[4:5], 0
.LBB105_137:                            ; =>This Inner Loop Header: Depth=1
	scratch_load_dwordx4 v[10:13], v9, off
	ds_read_b128 v[16:19], v8
	v_add_u32_e32 v7, 1, v7
	v_cmp_lt_u32_e32 vcc, 29, v7
	v_add_u32_e32 v8, 16, v8
	v_add_u32_e32 v9, 16, v9
	s_or_b64 s[4:5], vcc, s[4:5]
	s_waitcnt vmcnt(0) lgkmcnt(0)
	v_mul_f64 v[20:21], v[18:19], v[12:13]
	v_mul_f64 v[12:13], v[16:17], v[12:13]
	v_fma_f64 v[16:17], v[16:17], v[10:11], -v[20:21]
	v_fmac_f64_e32 v[12:13], v[18:19], v[10:11]
	v_add_f64 v[4:5], v[4:5], v[16:17]
	v_add_f64 v[2:3], v[2:3], v[12:13]
	s_andn2_b64 exec, exec, s[4:5]
	s_cbranch_execnz .LBB105_137
; %bb.138:
	s_or_b64 exec, exec, s[4:5]
	v_mov_b32_e32 v0, 0
	ds_read_b128 v[8:11], v0 offset:496
	s_waitcnt lgkmcnt(0)
	v_mul_f64 v[16:17], v[2:3], v[10:11]
	v_mul_f64 v[12:13], v[4:5], v[10:11]
	v_fma_f64 v[10:11], v[4:5], v[8:9], -v[16:17]
	v_fmac_f64_e32 v[12:13], v[2:3], v[8:9]
	scratch_store_dwordx4 off, v[10:13], off offset:512
.LBB105_139:
	s_or_b64 exec, exec, s[0:1]
	; wave barrier
	scratch_load_dwordx4 v[2:5], off, s25
	v_cmp_gt_u32_e32 vcc, 32, v240
	s_waitcnt vmcnt(0)
	ds_write_b128 v1, v[2:5]
	s_waitcnt lgkmcnt(0)
	; wave barrier
	s_and_saveexec_b64 s[0:1], vcc
	s_cbranch_execz .LBB105_143
; %bb.140:
	v_add_u32_e32 v7, -1, v240
	v_add_u32_e32 v8, 0x2a0, v14
	v_add_u32_e32 v9, 16, v14
	v_mov_b64_e32 v[2:3], 0
	s_mov_b64 s[4:5], 0
	v_mov_b64_e32 v[4:5], 0
.LBB105_141:                            ; =>This Inner Loop Header: Depth=1
	scratch_load_dwordx4 v[10:13], v9, off
	ds_read_b128 v[16:19], v8
	v_add_u32_e32 v7, 1, v7
	v_cmp_lt_u32_e32 vcc, 30, v7
	v_add_u32_e32 v8, 16, v8
	v_add_u32_e32 v9, 16, v9
	s_or_b64 s[4:5], vcc, s[4:5]
	s_waitcnt vmcnt(0) lgkmcnt(0)
	v_mul_f64 v[20:21], v[18:19], v[12:13]
	v_mul_f64 v[12:13], v[16:17], v[12:13]
	v_fma_f64 v[16:17], v[16:17], v[10:11], -v[20:21]
	v_fmac_f64_e32 v[12:13], v[18:19], v[10:11]
	v_add_f64 v[4:5], v[4:5], v[16:17]
	v_add_f64 v[2:3], v[2:3], v[12:13]
	s_andn2_b64 exec, exec, s[4:5]
	s_cbranch_execnz .LBB105_141
; %bb.142:
	s_or_b64 exec, exec, s[4:5]
	v_mov_b32_e32 v0, 0
	ds_read_b128 v[8:11], v0 offset:512
	s_waitcnt lgkmcnt(0)
	v_mul_f64 v[16:17], v[2:3], v[10:11]
	v_mul_f64 v[12:13], v[4:5], v[10:11]
	v_fma_f64 v[10:11], v[4:5], v[8:9], -v[16:17]
	v_fmac_f64_e32 v[12:13], v[2:3], v[8:9]
	scratch_store_dwordx4 off, v[10:13], off offset:528
.LBB105_143:
	s_or_b64 exec, exec, s[0:1]
	; wave barrier
	scratch_load_dwordx4 v[2:5], off, s24
	v_cmp_gt_u32_e32 vcc, 33, v240
	s_waitcnt vmcnt(0)
	ds_write_b128 v1, v[2:5]
	s_waitcnt lgkmcnt(0)
	; wave barrier
	s_and_saveexec_b64 s[0:1], vcc
	s_cbranch_execz .LBB105_147
; %bb.144:
	v_add_u32_e32 v7, -1, v240
	v_add_u32_e32 v8, 0x2a0, v14
	v_add_u32_e32 v9, 16, v14
	v_mov_b64_e32 v[2:3], 0
	s_mov_b64 s[4:5], 0
	v_mov_b64_e32 v[4:5], 0
.LBB105_145:                            ; =>This Inner Loop Header: Depth=1
	scratch_load_dwordx4 v[10:13], v9, off
	ds_read_b128 v[16:19], v8
	v_add_u32_e32 v7, 1, v7
	v_cmp_lt_u32_e32 vcc, 31, v7
	v_add_u32_e32 v8, 16, v8
	v_add_u32_e32 v9, 16, v9
	s_or_b64 s[4:5], vcc, s[4:5]
	s_waitcnt vmcnt(0) lgkmcnt(0)
	v_mul_f64 v[20:21], v[18:19], v[12:13]
	v_mul_f64 v[12:13], v[16:17], v[12:13]
	v_fma_f64 v[16:17], v[16:17], v[10:11], -v[20:21]
	v_fmac_f64_e32 v[12:13], v[18:19], v[10:11]
	v_add_f64 v[4:5], v[4:5], v[16:17]
	v_add_f64 v[2:3], v[2:3], v[12:13]
	s_andn2_b64 exec, exec, s[4:5]
	s_cbranch_execnz .LBB105_145
; %bb.146:
	s_or_b64 exec, exec, s[4:5]
	v_mov_b32_e32 v0, 0
	ds_read_b128 v[8:11], v0 offset:528
	s_waitcnt lgkmcnt(0)
	v_mul_f64 v[16:17], v[2:3], v[10:11]
	v_mul_f64 v[12:13], v[4:5], v[10:11]
	v_fma_f64 v[10:11], v[4:5], v[8:9], -v[16:17]
	v_fmac_f64_e32 v[12:13], v[2:3], v[8:9]
	scratch_store_dwordx4 off, v[10:13], off offset:544
.LBB105_147:
	s_or_b64 exec, exec, s[0:1]
	; wave barrier
	scratch_load_dwordx4 v[2:5], off, s23
	v_cmp_gt_u32_e32 vcc, 34, v240
	s_waitcnt vmcnt(0)
	ds_write_b128 v1, v[2:5]
	s_waitcnt lgkmcnt(0)
	; wave barrier
	s_and_saveexec_b64 s[0:1], vcc
	s_cbranch_execz .LBB105_151
; %bb.148:
	v_add_u32_e32 v7, -1, v240
	v_add_u32_e32 v8, 0x2a0, v14
	v_add_u32_e32 v9, 16, v14
	v_mov_b64_e32 v[2:3], 0
	s_mov_b64 s[4:5], 0
	v_mov_b64_e32 v[4:5], 0
.LBB105_149:                            ; =>This Inner Loop Header: Depth=1
	scratch_load_dwordx4 v[10:13], v9, off
	ds_read_b128 v[16:19], v8
	v_add_u32_e32 v7, 1, v7
	v_cmp_lt_u32_e32 vcc, 32, v7
	v_add_u32_e32 v8, 16, v8
	v_add_u32_e32 v9, 16, v9
	s_or_b64 s[4:5], vcc, s[4:5]
	s_waitcnt vmcnt(0) lgkmcnt(0)
	v_mul_f64 v[20:21], v[18:19], v[12:13]
	v_mul_f64 v[12:13], v[16:17], v[12:13]
	v_fma_f64 v[16:17], v[16:17], v[10:11], -v[20:21]
	v_fmac_f64_e32 v[12:13], v[18:19], v[10:11]
	v_add_f64 v[4:5], v[4:5], v[16:17]
	v_add_f64 v[2:3], v[2:3], v[12:13]
	s_andn2_b64 exec, exec, s[4:5]
	s_cbranch_execnz .LBB105_149
; %bb.150:
	s_or_b64 exec, exec, s[4:5]
	v_mov_b32_e32 v0, 0
	ds_read_b128 v[8:11], v0 offset:544
	s_waitcnt lgkmcnt(0)
	v_mul_f64 v[16:17], v[2:3], v[10:11]
	v_mul_f64 v[12:13], v[4:5], v[10:11]
	v_fma_f64 v[10:11], v[4:5], v[8:9], -v[16:17]
	v_fmac_f64_e32 v[12:13], v[2:3], v[8:9]
	scratch_store_dwordx4 off, v[10:13], off offset:560
.LBB105_151:
	s_or_b64 exec, exec, s[0:1]
	; wave barrier
	scratch_load_dwordx4 v[2:5], off, s22
	v_cmp_gt_u32_e32 vcc, 35, v240
	s_waitcnt vmcnt(0)
	ds_write_b128 v1, v[2:5]
	s_waitcnt lgkmcnt(0)
	; wave barrier
	s_and_saveexec_b64 s[0:1], vcc
	s_cbranch_execz .LBB105_155
; %bb.152:
	v_add_u32_e32 v7, -1, v240
	v_add_u32_e32 v8, 0x2a0, v14
	v_add_u32_e32 v9, 16, v14
	v_mov_b64_e32 v[2:3], 0
	s_mov_b64 s[4:5], 0
	v_mov_b64_e32 v[4:5], 0
.LBB105_153:                            ; =>This Inner Loop Header: Depth=1
	scratch_load_dwordx4 v[10:13], v9, off
	ds_read_b128 v[16:19], v8
	v_add_u32_e32 v7, 1, v7
	v_cmp_lt_u32_e32 vcc, 33, v7
	v_add_u32_e32 v8, 16, v8
	v_add_u32_e32 v9, 16, v9
	s_or_b64 s[4:5], vcc, s[4:5]
	s_waitcnt vmcnt(0) lgkmcnt(0)
	v_mul_f64 v[20:21], v[18:19], v[12:13]
	v_mul_f64 v[12:13], v[16:17], v[12:13]
	v_fma_f64 v[16:17], v[16:17], v[10:11], -v[20:21]
	v_fmac_f64_e32 v[12:13], v[18:19], v[10:11]
	v_add_f64 v[4:5], v[4:5], v[16:17]
	v_add_f64 v[2:3], v[2:3], v[12:13]
	s_andn2_b64 exec, exec, s[4:5]
	s_cbranch_execnz .LBB105_153
; %bb.154:
	s_or_b64 exec, exec, s[4:5]
	v_mov_b32_e32 v0, 0
	ds_read_b128 v[8:11], v0 offset:560
	s_waitcnt lgkmcnt(0)
	v_mul_f64 v[16:17], v[2:3], v[10:11]
	v_mul_f64 v[12:13], v[4:5], v[10:11]
	v_fma_f64 v[10:11], v[4:5], v[8:9], -v[16:17]
	v_fmac_f64_e32 v[12:13], v[2:3], v[8:9]
	scratch_store_dwordx4 off, v[10:13], off offset:576
.LBB105_155:
	s_or_b64 exec, exec, s[0:1]
	; wave barrier
	scratch_load_dwordx4 v[2:5], off, s21
	v_cmp_gt_u32_e32 vcc, 36, v240
	s_waitcnt vmcnt(0)
	ds_write_b128 v1, v[2:5]
	s_waitcnt lgkmcnt(0)
	; wave barrier
	s_and_saveexec_b64 s[0:1], vcc
	s_cbranch_execz .LBB105_159
; %bb.156:
	v_add_u32_e32 v7, -1, v240
	v_add_u32_e32 v8, 0x2a0, v14
	v_add_u32_e32 v9, 16, v14
	v_mov_b64_e32 v[2:3], 0
	s_mov_b64 s[4:5], 0
	v_mov_b64_e32 v[4:5], 0
.LBB105_157:                            ; =>This Inner Loop Header: Depth=1
	scratch_load_dwordx4 v[10:13], v9, off
	ds_read_b128 v[16:19], v8
	v_add_u32_e32 v7, 1, v7
	v_cmp_lt_u32_e32 vcc, 34, v7
	v_add_u32_e32 v8, 16, v8
	v_add_u32_e32 v9, 16, v9
	s_or_b64 s[4:5], vcc, s[4:5]
	s_waitcnt vmcnt(0) lgkmcnt(0)
	v_mul_f64 v[20:21], v[18:19], v[12:13]
	v_mul_f64 v[12:13], v[16:17], v[12:13]
	v_fma_f64 v[16:17], v[16:17], v[10:11], -v[20:21]
	v_fmac_f64_e32 v[12:13], v[18:19], v[10:11]
	v_add_f64 v[4:5], v[4:5], v[16:17]
	v_add_f64 v[2:3], v[2:3], v[12:13]
	s_andn2_b64 exec, exec, s[4:5]
	s_cbranch_execnz .LBB105_157
; %bb.158:
	s_or_b64 exec, exec, s[4:5]
	v_mov_b32_e32 v0, 0
	ds_read_b128 v[8:11], v0 offset:576
	s_waitcnt lgkmcnt(0)
	v_mul_f64 v[16:17], v[2:3], v[10:11]
	v_mul_f64 v[12:13], v[4:5], v[10:11]
	v_fma_f64 v[10:11], v[4:5], v[8:9], -v[16:17]
	v_fmac_f64_e32 v[12:13], v[2:3], v[8:9]
	scratch_store_dwordx4 off, v[10:13], off offset:592
.LBB105_159:
	s_or_b64 exec, exec, s[0:1]
	; wave barrier
	scratch_load_dwordx4 v[2:5], off, s20
	v_cmp_gt_u32_e32 vcc, 37, v240
	s_waitcnt vmcnt(0)
	ds_write_b128 v1, v[2:5]
	s_waitcnt lgkmcnt(0)
	; wave barrier
	s_and_saveexec_b64 s[0:1], vcc
	s_cbranch_execz .LBB105_163
; %bb.160:
	v_add_u32_e32 v7, -1, v240
	v_add_u32_e32 v8, 0x2a0, v14
	v_add_u32_e32 v9, 16, v14
	v_mov_b64_e32 v[2:3], 0
	s_mov_b64 s[4:5], 0
	v_mov_b64_e32 v[4:5], 0
.LBB105_161:                            ; =>This Inner Loop Header: Depth=1
	scratch_load_dwordx4 v[10:13], v9, off
	ds_read_b128 v[16:19], v8
	v_add_u32_e32 v7, 1, v7
	v_cmp_lt_u32_e32 vcc, 35, v7
	v_add_u32_e32 v8, 16, v8
	v_add_u32_e32 v9, 16, v9
	s_or_b64 s[4:5], vcc, s[4:5]
	s_waitcnt vmcnt(0) lgkmcnt(0)
	v_mul_f64 v[20:21], v[18:19], v[12:13]
	v_mul_f64 v[12:13], v[16:17], v[12:13]
	v_fma_f64 v[16:17], v[16:17], v[10:11], -v[20:21]
	v_fmac_f64_e32 v[12:13], v[18:19], v[10:11]
	v_add_f64 v[4:5], v[4:5], v[16:17]
	v_add_f64 v[2:3], v[2:3], v[12:13]
	s_andn2_b64 exec, exec, s[4:5]
	s_cbranch_execnz .LBB105_161
; %bb.162:
	s_or_b64 exec, exec, s[4:5]
	v_mov_b32_e32 v0, 0
	ds_read_b128 v[8:11], v0 offset:592
	s_waitcnt lgkmcnt(0)
	v_mul_f64 v[16:17], v[2:3], v[10:11]
	v_mul_f64 v[12:13], v[4:5], v[10:11]
	v_fma_f64 v[10:11], v[4:5], v[8:9], -v[16:17]
	v_fmac_f64_e32 v[12:13], v[2:3], v[8:9]
	scratch_store_dwordx4 off, v[10:13], off offset:608
.LBB105_163:
	s_or_b64 exec, exec, s[0:1]
	; wave barrier
	scratch_load_dwordx4 v[2:5], off, s19
	v_cmp_gt_u32_e32 vcc, 38, v240
	s_waitcnt vmcnt(0)
	ds_write_b128 v1, v[2:5]
	s_waitcnt lgkmcnt(0)
	; wave barrier
	s_and_saveexec_b64 s[0:1], vcc
	s_cbranch_execz .LBB105_167
; %bb.164:
	v_add_u32_e32 v7, -1, v240
	v_add_u32_e32 v8, 0x2a0, v14
	v_add_u32_e32 v9, 16, v14
	v_mov_b64_e32 v[2:3], 0
	s_mov_b64 s[4:5], 0
	v_mov_b64_e32 v[4:5], 0
.LBB105_165:                            ; =>This Inner Loop Header: Depth=1
	scratch_load_dwordx4 v[10:13], v9, off
	ds_read_b128 v[16:19], v8
	v_add_u32_e32 v7, 1, v7
	v_cmp_lt_u32_e32 vcc, 36, v7
	v_add_u32_e32 v8, 16, v8
	v_add_u32_e32 v9, 16, v9
	s_or_b64 s[4:5], vcc, s[4:5]
	s_waitcnt vmcnt(0) lgkmcnt(0)
	v_mul_f64 v[20:21], v[18:19], v[12:13]
	v_mul_f64 v[12:13], v[16:17], v[12:13]
	v_fma_f64 v[16:17], v[16:17], v[10:11], -v[20:21]
	v_fmac_f64_e32 v[12:13], v[18:19], v[10:11]
	v_add_f64 v[4:5], v[4:5], v[16:17]
	v_add_f64 v[2:3], v[2:3], v[12:13]
	s_andn2_b64 exec, exec, s[4:5]
	s_cbranch_execnz .LBB105_165
; %bb.166:
	s_or_b64 exec, exec, s[4:5]
	v_mov_b32_e32 v0, 0
	ds_read_b128 v[8:11], v0 offset:608
	s_waitcnt lgkmcnt(0)
	v_mul_f64 v[16:17], v[2:3], v[10:11]
	v_mul_f64 v[12:13], v[4:5], v[10:11]
	v_fma_f64 v[10:11], v[4:5], v[8:9], -v[16:17]
	v_fmac_f64_e32 v[12:13], v[2:3], v[8:9]
	scratch_store_dwordx4 off, v[10:13], off offset:624
.LBB105_167:
	s_or_b64 exec, exec, s[0:1]
	; wave barrier
	scratch_load_dwordx4 v[2:5], off, s18
	v_cmp_gt_u32_e32 vcc, 39, v240
	s_waitcnt vmcnt(0)
	ds_write_b128 v1, v[2:5]
	s_waitcnt lgkmcnt(0)
	; wave barrier
	s_and_saveexec_b64 s[0:1], vcc
	s_cbranch_execz .LBB105_171
; %bb.168:
	v_add_u32_e32 v7, -1, v240
	v_add_u32_e32 v8, 0x2a0, v14
	v_add_u32_e32 v9, 16, v14
	v_mov_b64_e32 v[2:3], 0
	s_mov_b64 s[4:5], 0
	v_mov_b64_e32 v[4:5], 0
.LBB105_169:                            ; =>This Inner Loop Header: Depth=1
	scratch_load_dwordx4 v[10:13], v9, off
	ds_read_b128 v[16:19], v8
	v_add_u32_e32 v7, 1, v7
	v_cmp_lt_u32_e32 vcc, 37, v7
	v_add_u32_e32 v8, 16, v8
	v_add_u32_e32 v9, 16, v9
	s_or_b64 s[4:5], vcc, s[4:5]
	s_waitcnt vmcnt(0) lgkmcnt(0)
	v_mul_f64 v[20:21], v[18:19], v[12:13]
	v_mul_f64 v[12:13], v[16:17], v[12:13]
	v_fma_f64 v[16:17], v[16:17], v[10:11], -v[20:21]
	v_fmac_f64_e32 v[12:13], v[18:19], v[10:11]
	v_add_f64 v[4:5], v[4:5], v[16:17]
	v_add_f64 v[2:3], v[2:3], v[12:13]
	s_andn2_b64 exec, exec, s[4:5]
	s_cbranch_execnz .LBB105_169
; %bb.170:
	s_or_b64 exec, exec, s[4:5]
	v_mov_b32_e32 v0, 0
	ds_read_b128 v[8:11], v0 offset:624
	s_waitcnt lgkmcnt(0)
	v_mul_f64 v[16:17], v[2:3], v[10:11]
	v_mul_f64 v[12:13], v[4:5], v[10:11]
	v_fma_f64 v[10:11], v[4:5], v[8:9], -v[16:17]
	v_fmac_f64_e32 v[12:13], v[2:3], v[8:9]
	scratch_store_dwordx4 off, v[10:13], off offset:640
.LBB105_171:
	s_or_b64 exec, exec, s[0:1]
	; wave barrier
	scratch_load_dwordx4 v[2:5], off, s17
	v_cmp_gt_u32_e32 vcc, 40, v240
	s_waitcnt vmcnt(0)
	ds_write_b128 v1, v[2:5]
	s_waitcnt lgkmcnt(0)
	; wave barrier
	s_and_saveexec_b64 s[0:1], vcc
	s_cbranch_execz .LBB105_175
; %bb.172:
	v_add_u32_e32 v7, -1, v240
	v_add_u32_e32 v8, 0x2a0, v14
	v_add_u32_e32 v9, 16, v14
	v_mov_b64_e32 v[2:3], 0
	s_mov_b64 s[4:5], 0
	v_mov_b64_e32 v[4:5], 0
.LBB105_173:                            ; =>This Inner Loop Header: Depth=1
	scratch_load_dwordx4 v[10:13], v9, off
	ds_read_b128 v[16:19], v8
	v_add_u32_e32 v7, 1, v7
	v_cmp_lt_u32_e32 vcc, 38, v7
	v_add_u32_e32 v8, 16, v8
	v_add_u32_e32 v9, 16, v9
	s_or_b64 s[4:5], vcc, s[4:5]
	s_waitcnt vmcnt(0) lgkmcnt(0)
	v_mul_f64 v[20:21], v[18:19], v[12:13]
	v_mul_f64 v[12:13], v[16:17], v[12:13]
	v_fma_f64 v[16:17], v[16:17], v[10:11], -v[20:21]
	v_fmac_f64_e32 v[12:13], v[18:19], v[10:11]
	v_add_f64 v[4:5], v[4:5], v[16:17]
	v_add_f64 v[2:3], v[2:3], v[12:13]
	s_andn2_b64 exec, exec, s[4:5]
	s_cbranch_execnz .LBB105_173
; %bb.174:
	s_or_b64 exec, exec, s[4:5]
	v_mov_b32_e32 v0, 0
	ds_read_b128 v[8:11], v0 offset:640
	s_waitcnt lgkmcnt(0)
	v_mul_f64 v[16:17], v[2:3], v[10:11]
	v_mul_f64 v[12:13], v[4:5], v[10:11]
	v_fma_f64 v[10:11], v[4:5], v[8:9], -v[16:17]
	v_fmac_f64_e32 v[12:13], v[2:3], v[8:9]
	scratch_store_dwordx4 off, v[10:13], off offset:656
.LBB105_175:
	s_or_b64 exec, exec, s[0:1]
	; wave barrier
	scratch_load_dwordx4 v[2:5], off, s16
	v_cmp_ne_u32_e32 vcc, 41, v240
	s_waitcnt vmcnt(0)
	ds_write_b128 v1, v[2:5]
	s_waitcnt lgkmcnt(0)
	; wave barrier
	s_and_saveexec_b64 s[0:1], vcc
	s_cbranch_execz .LBB105_179
; %bb.176:
	v_add_u32_e32 v1, 0x2a0, v14
	v_add_u32_e32 v7, 16, v14
	v_mov_b64_e32 v[2:3], 0
	s_mov_b64 s[4:5], 0
	v_mov_b64_e32 v[4:5], 0
.LBB105_177:                            ; =>This Inner Loop Header: Depth=1
	scratch_load_dwordx4 v[8:11], v7, off
	ds_read_b128 v[12:15], v1
	v_add_u32_e32 v6, 1, v6
	v_cmp_lt_u32_e32 vcc, 39, v6
	v_add_u32_e32 v1, 16, v1
	v_add_u32_e32 v7, 16, v7
	s_or_b64 s[4:5], vcc, s[4:5]
	s_waitcnt vmcnt(0) lgkmcnt(0)
	v_mul_f64 v[16:17], v[14:15], v[10:11]
	v_mul_f64 v[10:11], v[12:13], v[10:11]
	v_fma_f64 v[12:13], v[12:13], v[8:9], -v[16:17]
	v_fmac_f64_e32 v[10:11], v[14:15], v[8:9]
	v_add_f64 v[4:5], v[4:5], v[12:13]
	v_add_f64 v[2:3], v[2:3], v[10:11]
	s_andn2_b64 exec, exec, s[4:5]
	s_cbranch_execnz .LBB105_177
; %bb.178:
	s_or_b64 exec, exec, s[4:5]
	v_mov_b32_e32 v0, 0
	ds_read_b128 v[6:9], v0 offset:656
	s_waitcnt lgkmcnt(0)
	v_mul_f64 v[12:13], v[2:3], v[8:9]
	v_mul_f64 v[10:11], v[4:5], v[8:9]
	v_fma_f64 v[8:9], v[4:5], v[6:7], -v[12:13]
	v_fmac_f64_e32 v[10:11], v[2:3], v[6:7]
	scratch_store_dwordx4 off, v[8:11], off offset:672
.LBB105_179:
	s_or_b64 exec, exec, s[0:1]
	s_mov_b64 s[4:5], -1
	; wave barrier
.LBB105_180:
	s_and_b64 vcc, exec, s[4:5]
	s_cbranch_vccz .LBB105_182
; %bb.181:
	s_lshl_b64 s[0:1], s[2:3], 2
	s_add_u32 s0, s6, s0
	s_addc_u32 s1, s7, s1
	v_mov_b32_e32 v0, 0
	global_load_dword v0, v0, s[0:1]
	s_waitcnt vmcnt(0)
	v_cmp_ne_u32_e32 vcc, 0, v0
	s_cbranch_vccz .LBB105_183
.LBB105_182:
	s_endpgm
.LBB105_183:
	v_mov_b32_e32 v0, 0x2a0
	v_lshl_add_u32 v0, v240, 4, v0
	v_accvgpr_write_b32 a85, v0
	v_cmp_eq_u32_e32 vcc, 41, v240
	s_and_saveexec_b64 s[0:1], vcc
	s_cbranch_execz .LBB105_185
; %bb.184:
	scratch_load_dwordx4 v[2:5], off, s17
	v_mov_b32_e32 v6, 0
	v_mov_b32_e32 v7, v6
	;; [unrolled: 1-line block ×4, first 2 shown]
	v_accvgpr_read_b32 v0, a85
	scratch_store_dwordx4 off, v[6:9], off offset:656
	s_waitcnt vmcnt(1)
	ds_write_b128 v0, v[2:5]
.LBB105_185:
	s_or_b64 exec, exec, s[0:1]
	s_waitcnt lgkmcnt(0)
	; wave barrier
	scratch_load_dwordx4 v[4:7], off, off offset:672
	scratch_load_dwordx4 v[8:11], off, off offset:656
	v_mov_b32_e32 v2, 0
	ds_read_b128 v[12:15], v2 offset:1328
	v_cmp_lt_u32_e32 vcc, 39, v240
	s_waitcnt vmcnt(1) lgkmcnt(0)
	v_mul_f64 v[16:17], v[12:13], v[6:7]
	v_mul_f64 v[6:7], v[14:15], v[6:7]
	v_fmac_f64_e32 v[16:17], v[14:15], v[4:5]
	v_fma_f64 v[4:5], v[12:13], v[4:5], -v[6:7]
	v_add_f64 v[6:7], v[16:17], 0
	v_add_f64 v[4:5], v[4:5], 0
	s_waitcnt vmcnt(0)
	v_add_f64 v[4:5], v[8:9], -v[4:5]
	v_add_f64 v[6:7], v[10:11], -v[6:7]
	scratch_store_dwordx4 off, v[4:7], off offset:656
	s_and_saveexec_b64 s[0:1], vcc
	s_cbranch_execz .LBB105_187
; %bb.186:
	scratch_load_dwordx4 v[6:9], off, s18
	v_mov_b32_e32 v3, v2
	v_mov_b32_e32 v4, v2
	;; [unrolled: 1-line block ×3, first 2 shown]
	v_accvgpr_read_b32 v0, a85
	scratch_store_dwordx4 off, v[2:5], off offset:640
	s_waitcnt vmcnt(1)
	ds_write_b128 v0, v[6:9]
.LBB105_187:
	s_or_b64 exec, exec, s[0:1]
	s_waitcnt lgkmcnt(0)
	; wave barrier
	scratch_load_dwordx4 v[4:7], off, off offset:656
	scratch_load_dwordx4 v[8:11], off, off offset:672
	;; [unrolled: 1-line block ×3, first 2 shown]
	ds_read_b128 v[16:19], v2 offset:1312
	ds_read_b128 v[20:23], v2 offset:1328
	v_cmp_lt_u32_e32 vcc, 38, v240
	s_waitcnt vmcnt(2) lgkmcnt(1)
	v_mul_f64 v[2:3], v[16:17], v[6:7]
	v_mul_f64 v[6:7], v[18:19], v[6:7]
	s_waitcnt vmcnt(1) lgkmcnt(0)
	v_mul_f64 v[24:25], v[20:21], v[10:11]
	v_mul_f64 v[10:11], v[22:23], v[10:11]
	v_fmac_f64_e32 v[2:3], v[18:19], v[4:5]
	v_fma_f64 v[4:5], v[16:17], v[4:5], -v[6:7]
	v_fmac_f64_e32 v[24:25], v[22:23], v[8:9]
	v_fma_f64 v[6:7], v[20:21], v[8:9], -v[10:11]
	v_add_f64 v[2:3], v[2:3], 0
	v_add_f64 v[4:5], v[4:5], 0
	;; [unrolled: 1-line block ×4, first 2 shown]
	s_waitcnt vmcnt(0)
	v_add_f64 v[2:3], v[12:13], -v[2:3]
	v_add_f64 v[4:5], v[14:15], -v[8:9]
	scratch_store_dwordx4 off, v[2:5], off offset:640
	s_and_saveexec_b64 s[0:1], vcc
	s_cbranch_execz .LBB105_189
; %bb.188:
	scratch_load_dwordx4 v[2:5], off, s19
	v_mov_b32_e32 v6, 0
	v_mov_b32_e32 v7, v6
	;; [unrolled: 1-line block ×4, first 2 shown]
	v_accvgpr_read_b32 v0, a85
	scratch_store_dwordx4 off, v[6:9], off offset:624
	s_waitcnt vmcnt(1)
	ds_write_b128 v0, v[2:5]
.LBB105_189:
	s_or_b64 exec, exec, s[0:1]
	s_waitcnt lgkmcnt(0)
	; wave barrier
	scratch_load_dwordx4 v[4:7], off, off offset:640
	scratch_load_dwordx4 v[8:11], off, off offset:656
	;; [unrolled: 1-line block ×4, first 2 shown]
	v_mov_b32_e32 v2, 0
	ds_read_b128 v[20:23], v2 offset:1296
	ds_read_b128 v[24:27], v2 offset:1312
	;; [unrolled: 1-line block ×3, first 2 shown]
	v_cmp_lt_u32_e32 vcc, 37, v240
	s_waitcnt vmcnt(3) lgkmcnt(2)
	v_mul_f64 v[32:33], v[20:21], v[6:7]
	v_mul_f64 v[6:7], v[22:23], v[6:7]
	s_waitcnt vmcnt(2) lgkmcnt(1)
	v_mul_f64 v[34:35], v[24:25], v[10:11]
	v_mul_f64 v[10:11], v[26:27], v[10:11]
	v_fmac_f64_e32 v[32:33], v[22:23], v[4:5]
	v_fma_f64 v[4:5], v[20:21], v[4:5], -v[6:7]
	s_waitcnt vmcnt(1) lgkmcnt(0)
	v_mul_f64 v[36:37], v[28:29], v[14:15]
	v_mul_f64 v[14:15], v[30:31], v[14:15]
	v_fmac_f64_e32 v[34:35], v[26:27], v[8:9]
	v_fma_f64 v[6:7], v[24:25], v[8:9], -v[10:11]
	v_add_f64 v[10:11], v[32:33], 0
	v_add_f64 v[4:5], v[4:5], 0
	v_fmac_f64_e32 v[36:37], v[30:31], v[12:13]
	v_fma_f64 v[8:9], v[28:29], v[12:13], -v[14:15]
	v_add_f64 v[10:11], v[10:11], v[34:35]
	v_add_f64 v[4:5], v[4:5], v[6:7]
	;; [unrolled: 1-line block ×4, first 2 shown]
	s_waitcnt vmcnt(0)
	v_add_f64 v[4:5], v[16:17], -v[4:5]
	v_add_f64 v[6:7], v[18:19], -v[6:7]
	scratch_store_dwordx4 off, v[4:7], off offset:624
	s_and_saveexec_b64 s[0:1], vcc
	s_cbranch_execz .LBB105_191
; %bb.190:
	scratch_load_dwordx4 v[6:9], off, s20
	v_mov_b32_e32 v3, v2
	v_mov_b32_e32 v4, v2
	;; [unrolled: 1-line block ×3, first 2 shown]
	v_accvgpr_read_b32 v0, a85
	scratch_store_dwordx4 off, v[2:5], off offset:608
	s_waitcnt vmcnt(1)
	ds_write_b128 v0, v[6:9]
.LBB105_191:
	s_or_b64 exec, exec, s[0:1]
	s_waitcnt lgkmcnt(0)
	; wave barrier
	ds_read_b128 v[4:7], v2 offset:1280
	ds_read_b128 v[8:11], v2 offset:1296
	;; [unrolled: 1-line block ×4, first 2 shown]
	scratch_load_dwordx4 v[20:23], off, off offset:624
	scratch_load_dwordx4 v[24:27], off, off offset:640
	v_cmp_lt_u32_e32 vcc, 36, v240
	s_waitcnt vmcnt(1) lgkmcnt(3)
	v_mul_f64 v[2:3], v[4:5], v[22:23]
	v_fmac_f64_e32 v[2:3], v[6:7], v[20:21]
	s_waitcnt vmcnt(0) lgkmcnt(2)
	v_mul_f64 v[28:29], v[8:9], v[26:27]
	v_add_f64 v[2:3], v[2:3], 0
	v_fmac_f64_e32 v[28:29], v[10:11], v[24:25]
	v_add_f64 v[2:3], v[2:3], v[28:29]
	scratch_load_dwordx4 v[28:31], off, off offset:656
	s_waitcnt vmcnt(0) lgkmcnt(1)
	v_mul_f64 v[32:33], v[12:13], v[30:31]
	v_fmac_f64_e32 v[32:33], v[14:15], v[28:29]
	v_add_f64 v[2:3], v[2:3], v[32:33]
	scratch_load_dwordx4 v[32:35], off, off offset:672
	s_waitcnt vmcnt(0) lgkmcnt(0)
	v_mul_f64 v[36:37], v[16:17], v[34:35]
	v_fmac_f64_e32 v[36:37], v[18:19], v[32:33]
	v_add_f64 v[36:37], v[2:3], v[36:37]
	v_mul_f64 v[2:3], v[6:7], v[22:23]
	v_fma_f64 v[2:3], v[4:5], v[20:21], -v[2:3]
	v_mul_f64 v[4:5], v[10:11], v[26:27]
	v_add_f64 v[2:3], v[2:3], 0
	v_fma_f64 v[4:5], v[8:9], v[24:25], -v[4:5]
	v_add_f64 v[2:3], v[2:3], v[4:5]
	v_mul_f64 v[4:5], v[14:15], v[30:31]
	v_fma_f64 v[4:5], v[12:13], v[28:29], -v[4:5]
	v_add_f64 v[2:3], v[2:3], v[4:5]
	v_mul_f64 v[4:5], v[18:19], v[34:35]
	v_fma_f64 v[4:5], v[16:17], v[32:33], -v[4:5]
	v_add_f64 v[6:7], v[2:3], v[4:5]
	scratch_load_dwordx4 v[2:5], off, off offset:608
	s_waitcnt vmcnt(0)
	v_add_f64 v[2:3], v[2:3], -v[6:7]
	v_add_f64 v[4:5], v[4:5], -v[36:37]
	scratch_store_dwordx4 off, v[2:5], off offset:608
	s_and_saveexec_b64 s[0:1], vcc
	s_cbranch_execz .LBB105_193
; %bb.192:
	scratch_load_dwordx4 v[2:5], off, s21
	v_mov_b32_e32 v6, 0
	v_mov_b32_e32 v7, v6
	v_mov_b32_e32 v8, v6
	v_mov_b32_e32 v9, v6
	v_accvgpr_read_b32 v0, a85
	scratch_store_dwordx4 off, v[6:9], off offset:592
	s_waitcnt vmcnt(1)
	ds_write_b128 v0, v[2:5]
.LBB105_193:
	s_or_b64 exec, exec, s[0:1]
	s_waitcnt lgkmcnt(0)
	; wave barrier
	scratch_load_dwordx4 v[4:7], off, off offset:608
	scratch_load_dwordx4 v[8:11], off, off offset:624
	;; [unrolled: 1-line block ×6, first 2 shown]
	v_mov_b32_e32 v2, 0
	ds_read_b128 v[28:31], v2 offset:1264
	ds_read_b128 v[32:35], v2 offset:1280
	;; [unrolled: 1-line block ×5, first 2 shown]
	v_cmp_lt_u32_e32 vcc, 35, v240
	s_waitcnt vmcnt(5) lgkmcnt(4)
	v_mul_f64 v[48:49], v[28:29], v[6:7]
	v_mul_f64 v[6:7], v[30:31], v[6:7]
	s_waitcnt vmcnt(4) lgkmcnt(3)
	v_mul_f64 v[50:51], v[32:33], v[10:11]
	s_waitcnt vmcnt(3) lgkmcnt(2)
	v_mul_f64 v[52:53], v[36:37], v[14:15]
	v_mul_f64 v[10:11], v[34:35], v[10:11]
	;; [unrolled: 1-line block ×3, first 2 shown]
	v_fmac_f64_e32 v[48:49], v[30:31], v[4:5]
	v_fma_f64 v[4:5], v[28:29], v[4:5], -v[6:7]
	v_fmac_f64_e32 v[50:51], v[34:35], v[8:9]
	v_fma_f64 v[6:7], v[32:33], v[8:9], -v[10:11]
	v_fma_f64 v[8:9], v[36:37], v[12:13], -v[14:15]
	v_add_f64 v[14:15], v[48:49], 0
	v_add_f64 v[4:5], v[4:5], 0
	s_waitcnt vmcnt(2) lgkmcnt(1)
	v_mul_f64 v[54:55], v[40:41], v[18:19]
	v_mul_f64 v[18:19], v[42:43], v[18:19]
	v_fmac_f64_e32 v[52:53], v[38:39], v[12:13]
	v_add_f64 v[14:15], v[14:15], v[50:51]
	v_add_f64 v[4:5], v[4:5], v[6:7]
	s_waitcnt vmcnt(1) lgkmcnt(0)
	v_mul_f64 v[56:57], v[44:45], v[22:23]
	v_mul_f64 v[22:23], v[46:47], v[22:23]
	v_fmac_f64_e32 v[54:55], v[42:43], v[16:17]
	v_fma_f64 v[10:11], v[40:41], v[16:17], -v[18:19]
	v_add_f64 v[6:7], v[14:15], v[52:53]
	v_add_f64 v[4:5], v[4:5], v[8:9]
	v_fmac_f64_e32 v[56:57], v[46:47], v[20:21]
	v_fma_f64 v[12:13], v[44:45], v[20:21], -v[22:23]
	v_add_f64 v[6:7], v[6:7], v[54:55]
	v_add_f64 v[4:5], v[4:5], v[10:11]
	;; [unrolled: 1-line block ×4, first 2 shown]
	s_waitcnt vmcnt(0)
	v_add_f64 v[4:5], v[24:25], -v[4:5]
	v_add_f64 v[6:7], v[26:27], -v[6:7]
	scratch_store_dwordx4 off, v[4:7], off offset:592
	s_and_saveexec_b64 s[0:1], vcc
	s_cbranch_execz .LBB105_195
; %bb.194:
	scratch_load_dwordx4 v[6:9], off, s22
	v_mov_b32_e32 v3, v2
	v_mov_b32_e32 v4, v2
	;; [unrolled: 1-line block ×3, first 2 shown]
	v_accvgpr_read_b32 v0, a85
	scratch_store_dwordx4 off, v[2:5], off offset:576
	s_waitcnt vmcnt(1)
	ds_write_b128 v0, v[6:9]
.LBB105_195:
	s_or_b64 exec, exec, s[0:1]
	s_waitcnt lgkmcnt(0)
	; wave barrier
	scratch_load_dwordx4 v[4:7], off, off offset:592
	scratch_load_dwordx4 v[8:11], off, off offset:608
	;; [unrolled: 1-line block ×7, first 2 shown]
	ds_read_b128 v[32:35], v2 offset:1248
	ds_read_b128 v[36:39], v2 offset:1264
	;; [unrolled: 1-line block ×6, first 2 shown]
	v_cmp_lt_u32_e32 vcc, 34, v240
	s_waitcnt vmcnt(6) lgkmcnt(5)
	v_mul_f64 v[2:3], v[32:33], v[6:7]
	v_mul_f64 v[6:7], v[34:35], v[6:7]
	s_waitcnt vmcnt(5) lgkmcnt(4)
	v_mul_f64 v[56:57], v[36:37], v[10:11]
	v_mul_f64 v[10:11], v[38:39], v[10:11]
	v_fmac_f64_e32 v[2:3], v[34:35], v[4:5]
	v_fma_f64 v[4:5], v[32:33], v[4:5], -v[6:7]
	s_waitcnt vmcnt(4) lgkmcnt(3)
	v_mul_f64 v[58:59], v[40:41], v[14:15]
	v_mul_f64 v[14:15], v[42:43], v[14:15]
	v_fmac_f64_e32 v[56:57], v[38:39], v[8:9]
	v_fma_f64 v[6:7], v[36:37], v[8:9], -v[10:11]
	v_add_f64 v[2:3], v[2:3], 0
	v_add_f64 v[4:5], v[4:5], 0
	s_waitcnt vmcnt(3) lgkmcnt(2)
	v_mul_f64 v[60:61], v[44:45], v[18:19]
	v_mul_f64 v[18:19], v[46:47], v[18:19]
	v_fmac_f64_e32 v[58:59], v[42:43], v[12:13]
	v_fma_f64 v[8:9], v[40:41], v[12:13], -v[14:15]
	v_add_f64 v[2:3], v[2:3], v[56:57]
	v_add_f64 v[4:5], v[4:5], v[6:7]
	s_waitcnt vmcnt(2) lgkmcnt(1)
	v_mul_f64 v[62:63], v[48:49], v[22:23]
	v_mul_f64 v[22:23], v[50:51], v[22:23]
	v_fmac_f64_e32 v[60:61], v[46:47], v[16:17]
	v_fma_f64 v[10:11], v[44:45], v[16:17], -v[18:19]
	v_add_f64 v[2:3], v[2:3], v[58:59]
	v_add_f64 v[4:5], v[4:5], v[8:9]
	s_waitcnt vmcnt(1) lgkmcnt(0)
	v_mul_f64 v[64:65], v[52:53], v[26:27]
	v_mul_f64 v[26:27], v[54:55], v[26:27]
	v_fmac_f64_e32 v[62:63], v[50:51], v[20:21]
	v_fma_f64 v[12:13], v[48:49], v[20:21], -v[22:23]
	v_add_f64 v[2:3], v[2:3], v[60:61]
	v_add_f64 v[4:5], v[4:5], v[10:11]
	v_fmac_f64_e32 v[64:65], v[54:55], v[24:25]
	v_fma_f64 v[14:15], v[52:53], v[24:25], -v[26:27]
	v_add_f64 v[2:3], v[2:3], v[62:63]
	v_add_f64 v[4:5], v[4:5], v[12:13]
	v_add_f64 v[6:7], v[2:3], v[64:65]
	v_add_f64 v[2:3], v[4:5], v[14:15]
	s_waitcnt vmcnt(0)
	v_add_f64 v[2:3], v[28:29], -v[2:3]
	v_add_f64 v[4:5], v[30:31], -v[6:7]
	scratch_store_dwordx4 off, v[2:5], off offset:576
	s_and_saveexec_b64 s[0:1], vcc
	s_cbranch_execz .LBB105_197
; %bb.196:
	scratch_load_dwordx4 v[2:5], off, s23
	v_mov_b32_e32 v6, 0
	v_mov_b32_e32 v7, v6
	;; [unrolled: 1-line block ×4, first 2 shown]
	v_accvgpr_read_b32 v0, a85
	scratch_store_dwordx4 off, v[6:9], off offset:560
	s_waitcnt vmcnt(1)
	ds_write_b128 v0, v[2:5]
.LBB105_197:
	s_or_b64 exec, exec, s[0:1]
	s_waitcnt lgkmcnt(0)
	; wave barrier
	scratch_load_dwordx4 v[4:7], off, off offset:576
	scratch_load_dwordx4 v[8:11], off, off offset:592
	;; [unrolled: 1-line block ×8, first 2 shown]
	v_mov_b32_e32 v2, 0
	ds_read_b128 v[36:39], v2 offset:1232
	ds_read_b128 v[40:43], v2 offset:1248
	;; [unrolled: 1-line block ×7, first 2 shown]
	v_cmp_lt_u32_e32 vcc, 33, v240
	s_waitcnt vmcnt(7) lgkmcnt(6)
	v_mul_f64 v[64:65], v[36:37], v[6:7]
	v_mul_f64 v[6:7], v[38:39], v[6:7]
	s_waitcnt vmcnt(6) lgkmcnt(5)
	v_mul_f64 v[66:67], v[40:41], v[10:11]
	s_waitcnt vmcnt(4) lgkmcnt(3)
	v_mul_f64 v[70:71], v[48:49], v[18:19]
	v_mul_f64 v[10:11], v[42:43], v[10:11]
	;; [unrolled: 1-line block ×3, first 2 shown]
	v_fmac_f64_e32 v[64:65], v[38:39], v[4:5]
	v_fma_f64 v[4:5], v[36:37], v[4:5], -v[6:7]
	v_mul_f64 v[68:69], v[44:45], v[14:15]
	v_mul_f64 v[14:15], v[46:47], v[14:15]
	v_fmac_f64_e32 v[66:67], v[42:43], v[8:9]
	v_fma_f64 v[6:7], v[40:41], v[8:9], -v[10:11]
	v_fma_f64 v[10:11], v[48:49], v[16:17], -v[18:19]
	v_add_f64 v[18:19], v[64:65], 0
	v_add_f64 v[4:5], v[4:5], 0
	v_fmac_f64_e32 v[68:69], v[46:47], v[12:13]
	v_fma_f64 v[8:9], v[44:45], v[12:13], -v[14:15]
	v_add_f64 v[18:19], v[18:19], v[66:67]
	v_add_f64 v[4:5], v[4:5], v[6:7]
	s_waitcnt vmcnt(3) lgkmcnt(2)
	v_mul_f64 v[72:73], v[52:53], v[22:23]
	v_mul_f64 v[22:23], v[54:55], v[22:23]
	v_fmac_f64_e32 v[70:71], v[50:51], v[16:17]
	v_add_f64 v[6:7], v[18:19], v[68:69]
	v_add_f64 v[4:5], v[4:5], v[8:9]
	s_waitcnt vmcnt(2) lgkmcnt(1)
	v_mul_f64 v[74:75], v[56:57], v[26:27]
	v_mul_f64 v[26:27], v[58:59], v[26:27]
	v_fmac_f64_e32 v[72:73], v[54:55], v[20:21]
	v_fma_f64 v[12:13], v[52:53], v[20:21], -v[22:23]
	v_add_f64 v[6:7], v[6:7], v[70:71]
	v_add_f64 v[4:5], v[4:5], v[10:11]
	s_waitcnt vmcnt(1) lgkmcnt(0)
	v_mul_f64 v[76:77], v[60:61], v[30:31]
	v_mul_f64 v[30:31], v[62:63], v[30:31]
	v_fmac_f64_e32 v[74:75], v[58:59], v[24:25]
	v_fma_f64 v[14:15], v[56:57], v[24:25], -v[26:27]
	v_add_f64 v[6:7], v[6:7], v[72:73]
	v_add_f64 v[4:5], v[4:5], v[12:13]
	v_fmac_f64_e32 v[76:77], v[62:63], v[28:29]
	v_fma_f64 v[16:17], v[60:61], v[28:29], -v[30:31]
	v_add_f64 v[6:7], v[6:7], v[74:75]
	v_add_f64 v[4:5], v[4:5], v[14:15]
	;; [unrolled: 1-line block ×4, first 2 shown]
	s_waitcnt vmcnt(0)
	v_add_f64 v[4:5], v[32:33], -v[4:5]
	v_add_f64 v[6:7], v[34:35], -v[6:7]
	scratch_store_dwordx4 off, v[4:7], off offset:560
	s_and_saveexec_b64 s[0:1], vcc
	s_cbranch_execz .LBB105_199
; %bb.198:
	scratch_load_dwordx4 v[6:9], off, s24
	v_mov_b32_e32 v3, v2
	v_mov_b32_e32 v4, v2
	;; [unrolled: 1-line block ×3, first 2 shown]
	v_accvgpr_read_b32 v0, a85
	scratch_store_dwordx4 off, v[2:5], off offset:544
	s_waitcnt vmcnt(1)
	ds_write_b128 v0, v[6:9]
.LBB105_199:
	s_or_b64 exec, exec, s[0:1]
	s_waitcnt lgkmcnt(0)
	; wave barrier
	ds_read_b128 v[4:7], v2 offset:1216
	ds_read_b128 v[8:11], v2 offset:1232
	;; [unrolled: 1-line block ×4, first 2 shown]
	scratch_load_dwordx4 v[20:23], off, off offset:560
	scratch_load_dwordx4 v[40:43], off, off offset:624
	v_cmp_lt_u32_e32 vcc, 32, v240
	scratch_load_dwordx4 v[48:51], off, off offset:640
	scratch_load_dwordx4 v[56:59], off, off offset:656
	;; [unrolled: 1-line block ×3, first 2 shown]
	s_waitcnt vmcnt(4) lgkmcnt(3)
	v_mul_f64 v[24:25], v[4:5], v[22:23]
	v_fmac_f64_e32 v[24:25], v[6:7], v[20:21]
	v_add_f64 v[28:29], v[24:25], 0
	scratch_load_dwordx4 v[24:27], off, off offset:576
	s_waitcnt vmcnt(0) lgkmcnt(2)
	v_mul_f64 v[30:31], v[8:9], v[26:27]
	v_fmac_f64_e32 v[30:31], v[10:11], v[24:25]
	v_add_f64 v[32:33], v[28:29], v[30:31]
	scratch_load_dwordx4 v[28:31], off, off offset:592
	;; [unrolled: 5-line block ×3, first 2 shown]
	s_waitcnt vmcnt(0) lgkmcnt(0)
	v_mul_f64 v[38:39], v[16:17], v[34:35]
	v_fmac_f64_e32 v[38:39], v[18:19], v[32:33]
	v_add_f64 v[44:45], v[36:37], v[38:39]
	ds_read_b128 v[36:39], v2 offset:1280
	s_waitcnt lgkmcnt(0)
	v_mul_f64 v[46:47], v[36:37], v[42:43]
	v_fmac_f64_e32 v[46:47], v[38:39], v[40:41]
	v_add_f64 v[52:53], v[44:45], v[46:47]
	ds_read_b128 v[44:47], v2 offset:1296
	s_waitcnt lgkmcnt(0)
	;; [unrolled: 5-line block ×4, first 2 shown]
	v_mul_f64 v[2:3], v[60:61], v[66:67]
	v_fmac_f64_e32 v[2:3], v[62:63], v[64:65]
	v_add_f64 v[68:69], v[68:69], v[2:3]
	v_mul_f64 v[2:3], v[6:7], v[22:23]
	v_fma_f64 v[2:3], v[4:5], v[20:21], -v[2:3]
	v_mul_f64 v[4:5], v[10:11], v[26:27]
	v_add_f64 v[2:3], v[2:3], 0
	v_fma_f64 v[4:5], v[8:9], v[24:25], -v[4:5]
	v_add_f64 v[2:3], v[2:3], v[4:5]
	v_mul_f64 v[4:5], v[14:15], v[30:31]
	v_fma_f64 v[4:5], v[12:13], v[28:29], -v[4:5]
	v_add_f64 v[2:3], v[2:3], v[4:5]
	v_mul_f64 v[4:5], v[18:19], v[34:35]
	;; [unrolled: 3-line block ×6, first 2 shown]
	v_fma_f64 v[4:5], v[60:61], v[64:65], -v[4:5]
	v_add_f64 v[6:7], v[2:3], v[4:5]
	scratch_load_dwordx4 v[2:5], off, off offset:544
	s_waitcnt vmcnt(0)
	v_add_f64 v[2:3], v[2:3], -v[6:7]
	v_add_f64 v[4:5], v[4:5], -v[68:69]
	scratch_store_dwordx4 off, v[2:5], off offset:544
	s_and_saveexec_b64 s[0:1], vcc
	s_cbranch_execz .LBB105_201
; %bb.200:
	scratch_load_dwordx4 v[2:5], off, s25
	v_mov_b32_e32 v6, 0
	v_mov_b32_e32 v7, v6
	;; [unrolled: 1-line block ×4, first 2 shown]
	v_accvgpr_read_b32 v0, a85
	scratch_store_dwordx4 off, v[6:9], off offset:528
	s_waitcnt vmcnt(1)
	ds_write_b128 v0, v[2:5]
.LBB105_201:
	s_or_b64 exec, exec, s[0:1]
	v_mov_b32_e32 v2, 0
	s_waitcnt lgkmcnt(0)
	; wave barrier
	ds_read_b128 v[4:7], v2 offset:1200
	ds_read_b128 v[8:11], v2 offset:1216
	;; [unrolled: 1-line block ×4, first 2 shown]
	scratch_load_dwordx4 v[20:23], off, off offset:544
	scratch_load_dwordx4 v[40:43], off, off offset:608
	;; [unrolled: 1-line block ×3, first 2 shown]
	v_cmp_lt_u32_e32 vcc, 31, v240
	scratch_load_dwordx4 v[48:51], off, off offset:624
	scratch_load_dwordx4 v[56:59], off, off offset:640
	;; [unrolled: 1-line block ×3, first 2 shown]
	s_waitcnt vmcnt(5) lgkmcnt(3)
	v_mul_f64 v[24:25], v[4:5], v[22:23]
	v_fmac_f64_e32 v[24:25], v[6:7], v[20:21]
	v_add_f64 v[28:29], v[24:25], 0
	scratch_load_dwordx4 v[24:27], off, off offset:560
	v_mul_f64 v[6:7], v[6:7], v[22:23]
	v_fma_f64 v[4:5], v[4:5], v[20:21], -v[6:7]
	v_add_f64 v[4:5], v[4:5], 0
	s_waitcnt vmcnt(0) lgkmcnt(2)
	v_mul_f64 v[30:31], v[8:9], v[26:27]
	v_fmac_f64_e32 v[30:31], v[10:11], v[24:25]
	v_add_f64 v[32:33], v[28:29], v[30:31]
	scratch_load_dwordx4 v[28:31], off, off offset:576
	v_mul_f64 v[6:7], v[10:11], v[26:27]
	v_fma_f64 v[6:7], v[8:9], v[24:25], -v[6:7]
	v_add_f64 v[4:5], v[4:5], v[6:7]
	;; [unrolled: 8-line block ×3, first 2 shown]
	s_waitcnt vmcnt(0) lgkmcnt(0)
	v_mul_f64 v[38:39], v[16:17], v[34:35]
	v_fmac_f64_e32 v[38:39], v[18:19], v[32:33]
	v_add_f64 v[44:45], v[36:37], v[38:39]
	ds_read_b128 v[36:39], v2 offset:1264
	v_mul_f64 v[6:7], v[18:19], v[34:35]
	v_fma_f64 v[6:7], v[16:17], v[32:33], -v[6:7]
	v_add_f64 v[4:5], v[4:5], v[6:7]
	s_waitcnt lgkmcnt(0)
	v_mul_f64 v[46:47], v[36:37], v[42:43]
	v_fmac_f64_e32 v[46:47], v[38:39], v[40:41]
	v_add_f64 v[52:53], v[44:45], v[46:47]
	ds_read_b128 v[44:47], v2 offset:1280
	v_mul_f64 v[6:7], v[38:39], v[42:43]
	v_fma_f64 v[6:7], v[36:37], v[40:41], -v[6:7]
	v_add_f64 v[4:5], v[4:5], v[6:7]
	s_waitcnt lgkmcnt(0)
	;; [unrolled: 8-line block ×5, first 2 shown]
	v_mul_f64 v[6:7], v[70:71], v[74:75]
	v_fma_f64 v[6:7], v[68:69], v[72:73], -v[6:7]
	v_add_f64 v[8:9], v[4:5], v[6:7]
	scratch_load_dwordx4 v[4:7], off, off offset:528
	v_mul_f64 v[78:79], v[68:69], v[74:75]
	v_fmac_f64_e32 v[78:79], v[70:71], v[72:73]
	v_add_f64 v[76:77], v[76:77], v[78:79]
	s_waitcnt vmcnt(0)
	v_add_f64 v[4:5], v[4:5], -v[8:9]
	v_add_f64 v[6:7], v[6:7], -v[76:77]
	scratch_store_dwordx4 off, v[4:7], off offset:528
	s_and_saveexec_b64 s[0:1], vcc
	s_cbranch_execz .LBB105_203
; %bb.202:
	scratch_load_dwordx4 v[6:9], off, s26
	v_mov_b32_e32 v3, v2
	v_mov_b32_e32 v4, v2
	;; [unrolled: 1-line block ×3, first 2 shown]
	v_accvgpr_read_b32 v0, a85
	scratch_store_dwordx4 off, v[2:5], off offset:512
	s_waitcnt vmcnt(1)
	ds_write_b128 v0, v[6:9]
.LBB105_203:
	s_or_b64 exec, exec, s[0:1]
	s_waitcnt lgkmcnt(0)
	; wave barrier
	scratch_load_dwordx4 v[4:7], off, off offset:528
	scratch_load_dwordx4 v[8:11], off, off offset:544
	;; [unrolled: 1-line block ×11, first 2 shown]
	ds_read_b128 v[48:51], v2 offset:1184
	ds_read_b128 v[52:55], v2 offset:1200
	;; [unrolled: 1-line block ×10, first 2 shown]
	v_cmp_lt_u32_e32 vcc, 30, v240
	s_waitcnt vmcnt(10) lgkmcnt(9)
	v_mul_f64 v[2:3], v[48:49], v[6:7]
	v_mul_f64 v[6:7], v[50:51], v[6:7]
	s_waitcnt vmcnt(9) lgkmcnt(8)
	v_mul_f64 v[88:89], v[52:53], v[10:11]
	v_mul_f64 v[10:11], v[54:55], v[10:11]
	v_fmac_f64_e32 v[2:3], v[50:51], v[4:5]
	v_fma_f64 v[4:5], v[48:49], v[4:5], -v[6:7]
	s_waitcnt vmcnt(8) lgkmcnt(7)
	v_mul_f64 v[90:91], v[56:57], v[14:15]
	v_mul_f64 v[14:15], v[58:59], v[14:15]
	v_fmac_f64_e32 v[88:89], v[54:55], v[8:9]
	v_fma_f64 v[6:7], v[52:53], v[8:9], -v[10:11]
	v_add_f64 v[2:3], v[2:3], 0
	v_add_f64 v[4:5], v[4:5], 0
	s_waitcnt vmcnt(7) lgkmcnt(6)
	v_mul_f64 v[92:93], v[60:61], v[18:19]
	v_mul_f64 v[18:19], v[62:63], v[18:19]
	v_fmac_f64_e32 v[90:91], v[58:59], v[12:13]
	v_fma_f64 v[8:9], v[56:57], v[12:13], -v[14:15]
	v_add_f64 v[2:3], v[2:3], v[88:89]
	v_add_f64 v[4:5], v[4:5], v[6:7]
	;; [unrolled: 7-line block ×8, first 2 shown]
	v_fmac_f64_e32 v[104:105], v[86:87], v[40:41]
	v_fma_f64 v[22:23], v[84:85], v[40:41], -v[42:43]
	v_add_f64 v[2:3], v[2:3], v[102:103]
	v_add_f64 v[4:5], v[4:5], v[20:21]
	;; [unrolled: 1-line block ×4, first 2 shown]
	s_waitcnt vmcnt(0)
	v_add_f64 v[2:3], v[44:45], -v[2:3]
	v_add_f64 v[4:5], v[46:47], -v[6:7]
	scratch_store_dwordx4 off, v[2:5], off offset:512
	s_and_saveexec_b64 s[0:1], vcc
	s_cbranch_execz .LBB105_205
; %bb.204:
	scratch_load_dwordx4 v[2:5], off, s27
	v_mov_b32_e32 v6, 0
	v_mov_b32_e32 v7, v6
	;; [unrolled: 1-line block ×4, first 2 shown]
	v_accvgpr_read_b32 v0, a85
	scratch_store_dwordx4 off, v[6:9], off offset:496
	s_waitcnt vmcnt(1)
	ds_write_b128 v0, v[2:5]
.LBB105_205:
	s_or_b64 exec, exec, s[0:1]
	s_waitcnt lgkmcnt(0)
	; wave barrier
	scratch_load_dwordx4 v[4:7], off, off offset:512
	scratch_load_dwordx4 v[8:11], off, off offset:528
	scratch_load_dwordx4 v[12:15], off, off offset:544
	scratch_load_dwordx4 v[16:19], off, off offset:560
	scratch_load_dwordx4 v[20:23], off, off offset:576
	scratch_load_dwordx4 v[24:27], off, off offset:592
	scratch_load_dwordx4 v[28:31], off, off offset:608
	scratch_load_dwordx4 v[32:35], off, off offset:624
	scratch_load_dwordx4 v[36:39], off, off offset:640
	scratch_load_dwordx4 v[40:43], off, off offset:656
	scratch_load_dwordx4 v[44:47], off, off offset:672
	scratch_load_dwordx4 v[48:51], off, off offset:496
	v_mov_b32_e32 v2, 0
	ds_read_b128 v[52:55], v2 offset:1168
	ds_read_b128 v[56:59], v2 offset:1184
	;; [unrolled: 1-line block ×11, first 2 shown]
	v_cmp_lt_u32_e32 vcc, 29, v240
	s_waitcnt vmcnt(11) lgkmcnt(10)
	v_mul_f64 v[96:97], v[52:53], v[6:7]
	v_mul_f64 v[6:7], v[54:55], v[6:7]
	s_waitcnt vmcnt(10) lgkmcnt(9)
	v_mul_f64 v[98:99], v[56:57], v[10:11]
	s_waitcnt vmcnt(9) lgkmcnt(8)
	v_mul_f64 v[100:101], v[60:61], v[14:15]
	v_mul_f64 v[10:11], v[58:59], v[10:11]
	s_waitcnt vmcnt(6) lgkmcnt(5)
	v_mul_f64 v[106:107], v[72:73], v[26:27]
	v_mul_f64 v[14:15], v[62:63], v[14:15]
	;; [unrolled: 1-line block ×3, first 2 shown]
	v_fmac_f64_e32 v[96:97], v[54:55], v[4:5]
	v_fma_f64 v[4:5], v[52:53], v[4:5], -v[6:7]
	v_fmac_f64_e32 v[98:99], v[58:59], v[8:9]
	v_fma_f64 v[6:7], v[56:57], v[8:9], -v[10:11]
	v_fma_f64 v[8:9], v[60:61], v[12:13], -v[14:15]
	;; [unrolled: 1-line block ×3, first 2 shown]
	v_add_f64 v[26:27], v[96:97], 0
	v_add_f64 v[4:5], v[4:5], 0
	v_mul_f64 v[102:103], v[64:65], v[18:19]
	v_mul_f64 v[18:19], v[66:67], v[18:19]
	v_fmac_f64_e32 v[100:101], v[62:63], v[12:13]
	v_add_f64 v[26:27], v[26:27], v[98:99]
	v_add_f64 v[4:5], v[4:5], v[6:7]
	v_mul_f64 v[104:105], v[68:69], v[22:23]
	v_mul_f64 v[22:23], v[70:71], v[22:23]
	v_fmac_f64_e32 v[102:103], v[66:67], v[16:17]
	v_fma_f64 v[10:11], v[64:65], v[16:17], -v[18:19]
	v_add_f64 v[6:7], v[26:27], v[100:101]
	v_add_f64 v[4:5], v[4:5], v[8:9]
	v_fmac_f64_e32 v[104:105], v[70:71], v[20:21]
	v_fma_f64 v[12:13], v[68:69], v[20:21], -v[22:23]
	v_add_f64 v[6:7], v[6:7], v[102:103]
	v_add_f64 v[4:5], v[4:5], v[10:11]
	s_waitcnt vmcnt(5) lgkmcnt(4)
	v_mul_f64 v[108:109], v[76:77], v[30:31]
	v_mul_f64 v[30:31], v[78:79], v[30:31]
	v_fmac_f64_e32 v[106:107], v[74:75], v[24:25]
	v_add_f64 v[6:7], v[6:7], v[104:105]
	v_add_f64 v[4:5], v[4:5], v[12:13]
	s_waitcnt vmcnt(4) lgkmcnt(3)
	v_mul_f64 v[110:111], v[80:81], v[34:35]
	v_mul_f64 v[34:35], v[82:83], v[34:35]
	v_fmac_f64_e32 v[108:109], v[78:79], v[28:29]
	v_fma_f64 v[16:17], v[76:77], v[28:29], -v[30:31]
	v_add_f64 v[6:7], v[6:7], v[106:107]
	v_add_f64 v[4:5], v[4:5], v[14:15]
	s_waitcnt vmcnt(3) lgkmcnt(2)
	v_mul_f64 v[112:113], v[84:85], v[38:39]
	v_mul_f64 v[38:39], v[86:87], v[38:39]
	v_fmac_f64_e32 v[110:111], v[82:83], v[32:33]
	v_fma_f64 v[18:19], v[80:81], v[32:33], -v[34:35]
	;; [unrolled: 7-line block ×4, first 2 shown]
	v_add_f64 v[6:7], v[6:7], v[112:113]
	v_add_f64 v[4:5], v[4:5], v[20:21]
	v_fmac_f64_e32 v[116:117], v[94:95], v[44:45]
	v_fma_f64 v[24:25], v[92:93], v[44:45], -v[46:47]
	v_add_f64 v[6:7], v[6:7], v[114:115]
	v_add_f64 v[4:5], v[4:5], v[22:23]
	;; [unrolled: 1-line block ×4, first 2 shown]
	s_waitcnt vmcnt(0)
	v_add_f64 v[4:5], v[48:49], -v[4:5]
	v_add_f64 v[6:7], v[50:51], -v[6:7]
	scratch_store_dwordx4 off, v[4:7], off offset:496
	s_and_saveexec_b64 s[0:1], vcc
	s_cbranch_execz .LBB105_207
; %bb.206:
	scratch_load_dwordx4 v[6:9], off, s28
	v_mov_b32_e32 v3, v2
	v_mov_b32_e32 v4, v2
	;; [unrolled: 1-line block ×3, first 2 shown]
	v_accvgpr_read_b32 v0, a85
	scratch_store_dwordx4 off, v[2:5], off offset:480
	s_waitcnt vmcnt(1)
	ds_write_b128 v0, v[6:9]
.LBB105_207:
	s_or_b64 exec, exec, s[0:1]
	s_waitcnt lgkmcnt(0)
	; wave barrier
	scratch_load_dwordx4 v[4:7], off, off offset:496
	scratch_load_dwordx4 v[8:11], off, off offset:512
	;; [unrolled: 1-line block ×12, first 2 shown]
	ds_read_b128 v[52:55], v2 offset:1152
	ds_read_b128 v[56:59], v2 offset:1168
	;; [unrolled: 1-line block ×4, first 2 shown]
	scratch_load_dwordx4 v[68:71], off, off offset:480
	ds_read_b128 v[72:75], v2 offset:1216
	ds_read_b128 v[76:79], v2 offset:1232
	;; [unrolled: 1-line block ×8, first 2 shown]
	v_cmp_lt_u32_e32 vcc, 28, v240
	s_waitcnt vmcnt(12) lgkmcnt(11)
	v_mul_f64 v[2:3], v[52:53], v[6:7]
	s_waitcnt vmcnt(11) lgkmcnt(10)
	v_mul_f64 v[104:105], v[56:57], v[10:11]
	v_fmac_f64_e32 v[2:3], v[54:55], v[4:5]
	s_waitcnt vmcnt(10) lgkmcnt(9)
	v_mul_f64 v[106:107], v[60:61], v[14:15]
	v_mul_f64 v[6:7], v[54:55], v[6:7]
	v_fmac_f64_e32 v[104:105], v[58:59], v[8:9]
	v_add_f64 v[2:3], v[2:3], 0
	s_waitcnt vmcnt(9) lgkmcnt(8)
	v_mul_f64 v[108:109], v[64:65], v[18:19]
	v_mul_f64 v[10:11], v[58:59], v[10:11]
	v_fmac_f64_e32 v[106:107], v[62:63], v[12:13]
	v_fma_f64 v[4:5], v[52:53], v[4:5], -v[6:7]
	v_add_f64 v[2:3], v[2:3], v[104:105]
	s_waitcnt vmcnt(8) lgkmcnt(7)
	v_mul_f64 v[110:111], v[72:73], v[22:23]
	v_mul_f64 v[14:15], v[62:63], v[14:15]
	v_fmac_f64_e32 v[108:109], v[66:67], v[16:17]
	v_fma_f64 v[6:7], v[56:57], v[8:9], -v[10:11]
	v_add_f64 v[4:5], v[4:5], 0
	v_add_f64 v[2:3], v[2:3], v[106:107]
	s_waitcnt vmcnt(7) lgkmcnt(6)
	v_mul_f64 v[112:113], v[76:77], v[26:27]
	v_mul_f64 v[18:19], v[66:67], v[18:19]
	v_fmac_f64_e32 v[110:111], v[74:75], v[20:21]
	v_fma_f64 v[8:9], v[60:61], v[12:13], -v[14:15]
	v_add_f64 v[4:5], v[4:5], v[6:7]
	;; [unrolled: 7-line block ×8, first 2 shown]
	v_add_f64 v[2:3], v[2:3], v[120:121]
	v_mul_f64 v[46:47], v[98:99], v[46:47]
	v_fmac_f64_e32 v[124:125], v[102:103], v[48:49]
	v_fma_f64 v[22:23], v[92:93], v[40:41], -v[42:43]
	v_add_f64 v[4:5], v[4:5], v[20:21]
	v_add_f64 v[2:3], v[2:3], v[122:123]
	;; [unrolled: 1-line block ×4, first 2 shown]
	v_fma_f64 v[2:3], v[96:97], v[44:45], -v[46:47]
	v_add_f64 v[2:3], v[4:5], v[2:3]
	v_mul_f64 v[4:5], v[102:103], v[50:51]
	v_fma_f64 v[4:5], v[100:101], v[48:49], -v[4:5]
	v_add_f64 v[2:3], v[2:3], v[4:5]
	s_waitcnt vmcnt(0)
	v_add_f64 v[2:3], v[68:69], -v[2:3]
	v_add_f64 v[4:5], v[70:71], -v[6:7]
	scratch_store_dwordx4 off, v[2:5], off offset:480
	s_and_saveexec_b64 s[0:1], vcc
	s_cbranch_execz .LBB105_209
; %bb.208:
	scratch_load_dwordx4 v[2:5], off, s29
	v_mov_b32_e32 v6, 0
	v_mov_b32_e32 v7, v6
	;; [unrolled: 1-line block ×4, first 2 shown]
	v_accvgpr_read_b32 v0, a85
	scratch_store_dwordx4 off, v[6:9], off offset:464
	s_waitcnt vmcnt(1)
	ds_write_b128 v0, v[2:5]
.LBB105_209:
	s_or_b64 exec, exec, s[0:1]
	s_waitcnt lgkmcnt(0)
	; wave barrier
	scratch_load_dwordx4 v[4:7], off, off offset:480
	scratch_load_dwordx4 v[8:11], off, off offset:496
	;; [unrolled: 1-line block ×14, first 2 shown]
	v_mov_b32_e32 v2, 0
	ds_read_b128 v[60:63], v2 offset:1136
	ds_read_b128 v[64:67], v2 offset:1152
	;; [unrolled: 1-line block ×13, first 2 shown]
	v_cmp_lt_u32_e32 vcc, 27, v240
	s_waitcnt vmcnt(13) lgkmcnt(12)
	v_mul_f64 v[112:113], v[60:61], v[6:7]
	v_mul_f64 v[6:7], v[62:63], v[6:7]
	s_waitcnt vmcnt(12) lgkmcnt(11)
	v_mul_f64 v[114:115], v[64:65], v[10:11]
	v_mul_f64 v[10:11], v[66:67], v[10:11]
	v_fmac_f64_e32 v[112:113], v[62:63], v[4:5]
	v_fma_f64 v[4:5], v[60:61], v[4:5], -v[6:7]
	s_waitcnt vmcnt(11) lgkmcnt(10)
	v_mul_f64 v[116:117], v[68:69], v[14:15]
	v_mul_f64 v[14:15], v[70:71], v[14:15]
	v_fma_f64 v[6:7], v[64:65], v[8:9], -v[10:11]
	v_add_f64 v[4:5], v[4:5], 0
	s_waitcnt vmcnt(10) lgkmcnt(9)
	v_mul_f64 v[118:119], v[72:73], v[18:19]
	v_mul_f64 v[18:19], v[74:75], v[18:19]
	v_fmac_f64_e32 v[114:115], v[66:67], v[8:9]
	v_fma_f64 v[8:9], v[68:69], v[12:13], -v[14:15]
	v_add_f64 v[4:5], v[4:5], v[6:7]
	s_waitcnt vmcnt(9) lgkmcnt(8)
	v_mul_f64 v[120:121], v[76:77], v[22:23]
	v_mul_f64 v[22:23], v[78:79], v[22:23]
	v_fma_f64 v[10:11], v[72:73], v[16:17], -v[18:19]
	v_add_f64 v[4:5], v[4:5], v[8:9]
	s_waitcnt vmcnt(8) lgkmcnt(7)
	v_mul_f64 v[122:123], v[80:81], v[26:27]
	v_mul_f64 v[26:27], v[82:83], v[26:27]
	v_fmac_f64_e32 v[116:117], v[70:71], v[12:13]
	v_fma_f64 v[12:13], v[76:77], v[20:21], -v[22:23]
	v_add_f64 v[22:23], v[112:113], 0
	v_add_f64 v[4:5], v[4:5], v[10:11]
	s_waitcnt vmcnt(7) lgkmcnt(6)
	v_mul_f64 v[124:125], v[84:85], v[30:31]
	v_mul_f64 v[30:31], v[86:87], v[30:31]
	v_fma_f64 v[14:15], v[80:81], v[24:25], -v[26:27]
	v_add_f64 v[22:23], v[22:23], v[114:115]
	v_add_f64 v[4:5], v[4:5], v[12:13]
	s_waitcnt vmcnt(6) lgkmcnt(5)
	v_mul_f64 v[126:127], v[88:89], v[34:35]
	v_mul_f64 v[34:35], v[90:91], v[34:35]
	v_fmac_f64_e32 v[118:119], v[74:75], v[16:17]
	v_fma_f64 v[16:17], v[84:85], v[28:29], -v[30:31]
	v_add_f64 v[6:7], v[22:23], v[116:117]
	v_add_f64 v[4:5], v[4:5], v[14:15]
	s_waitcnt vmcnt(5) lgkmcnt(4)
	v_mul_f64 v[128:129], v[92:93], v[38:39]
	v_mul_f64 v[38:39], v[94:95], v[38:39]
	v_fmac_f64_e32 v[120:121], v[78:79], v[20:21]
	v_fma_f64 v[18:19], v[88:89], v[32:33], -v[34:35]
	v_add_f64 v[6:7], v[6:7], v[118:119]
	v_add_f64 v[4:5], v[4:5], v[16:17]
	v_fmac_f64_e32 v[122:123], v[82:83], v[24:25]
	v_fma_f64 v[20:21], v[92:93], v[36:37], -v[38:39]
	v_add_f64 v[6:7], v[6:7], v[120:121]
	v_add_f64 v[4:5], v[4:5], v[18:19]
	s_waitcnt vmcnt(4) lgkmcnt(3)
	v_mul_f64 v[8:9], v[98:99], v[42:43]
	v_fmac_f64_e32 v[124:125], v[86:87], v[28:29]
	v_add_f64 v[6:7], v[6:7], v[122:123]
	v_add_f64 v[4:5], v[4:5], v[20:21]
	v_fma_f64 v[8:9], v[96:97], v[40:41], -v[8:9]
	v_fmac_f64_e32 v[126:127], v[90:91], v[32:33]
	v_add_f64 v[6:7], v[6:7], v[124:125]
	v_add_f64 v[4:5], v[4:5], v[8:9]
	s_waitcnt vmcnt(3) lgkmcnt(2)
	v_mul_f64 v[8:9], v[102:103], v[46:47]
	v_mul_f64 v[130:131], v[96:97], v[42:43]
	v_fmac_f64_e32 v[128:129], v[94:95], v[36:37]
	v_add_f64 v[6:7], v[6:7], v[126:127]
	v_fma_f64 v[8:9], v[100:101], v[44:45], -v[8:9]
	v_mul_f64 v[132:133], v[100:101], v[46:47]
	v_fmac_f64_e32 v[130:131], v[98:99], v[40:41]
	v_add_f64 v[6:7], v[6:7], v[128:129]
	v_add_f64 v[4:5], v[4:5], v[8:9]
	s_waitcnt vmcnt(2) lgkmcnt(1)
	v_mul_f64 v[8:9], v[106:107], v[50:51]
	v_mul_f64 v[134:135], v[104:105], v[50:51]
	v_fmac_f64_e32 v[132:133], v[102:103], v[44:45]
	v_add_f64 v[6:7], v[6:7], v[130:131]
	v_fma_f64 v[8:9], v[104:105], v[48:49], -v[8:9]
	s_waitcnt vmcnt(1) lgkmcnt(0)
	v_mul_f64 v[136:137], v[108:109], v[54:55]
	v_fmac_f64_e32 v[134:135], v[106:107], v[48:49]
	v_add_f64 v[6:7], v[6:7], v[132:133]
	v_add_f64 v[4:5], v[4:5], v[8:9]
	v_mul_f64 v[8:9], v[110:111], v[54:55]
	v_fmac_f64_e32 v[136:137], v[110:111], v[52:53]
	v_add_f64 v[6:7], v[6:7], v[134:135]
	v_fma_f64 v[8:9], v[108:109], v[52:53], -v[8:9]
	v_add_f64 v[6:7], v[6:7], v[136:137]
	v_add_f64 v[4:5], v[4:5], v[8:9]
	s_waitcnt vmcnt(0)
	v_add_f64 v[4:5], v[56:57], -v[4:5]
	v_add_f64 v[6:7], v[58:59], -v[6:7]
	scratch_store_dwordx4 off, v[4:7], off offset:464
	s_and_saveexec_b64 s[0:1], vcc
	s_cbranch_execz .LBB105_211
; %bb.210:
	scratch_load_dwordx4 v[6:9], off, s30
	v_mov_b32_e32 v3, v2
	v_mov_b32_e32 v4, v2
	;; [unrolled: 1-line block ×3, first 2 shown]
	v_accvgpr_read_b32 v0, a85
	scratch_store_dwordx4 off, v[2:5], off offset:448
	s_waitcnt vmcnt(1)
	ds_write_b128 v0, v[6:9]
.LBB105_211:
	s_or_b64 exec, exec, s[0:1]
	s_waitcnt lgkmcnt(0)
	; wave barrier
	scratch_load_dwordx4 v[4:7], off, off offset:464
	scratch_load_dwordx4 v[8:11], off, off offset:480
	;; [unrolled: 1-line block ×14, first 2 shown]
	ds_read_b128 v[60:63], v2 offset:1120
	ds_read_b128 v[64:67], v2 offset:1136
	;; [unrolled: 1-line block ×14, first 2 shown]
	scratch_load_dwordx4 v[116:119], off, off offset:448
	v_cmp_lt_u32_e32 vcc, 26, v240
	s_waitcnt vmcnt(14) lgkmcnt(13)
	v_mul_f64 v[2:3], v[60:61], v[6:7]
	s_waitcnt vmcnt(13) lgkmcnt(12)
	v_mul_f64 v[120:121], v[64:65], v[10:11]
	v_fmac_f64_e32 v[2:3], v[62:63], v[4:5]
	s_waitcnt vmcnt(12) lgkmcnt(11)
	v_mul_f64 v[122:123], v[68:69], v[14:15]
	v_fmac_f64_e32 v[120:121], v[66:67], v[8:9]
	v_add_f64 v[2:3], v[2:3], 0
	s_waitcnt vmcnt(11) lgkmcnt(10)
	v_mul_f64 v[124:125], v[72:73], v[18:19]
	v_fmac_f64_e32 v[122:123], v[70:71], v[12:13]
	v_add_f64 v[2:3], v[2:3], v[120:121]
	;; [unrolled: 4-line block ×4, first 2 shown]
	s_waitcnt vmcnt(8) lgkmcnt(7)
	v_mul_f64 v[130:131], v[84:85], v[30:31]
	v_mul_f64 v[6:7], v[62:63], v[6:7]
	v_fmac_f64_e32 v[128:129], v[82:83], v[24:25]
	v_add_f64 v[2:3], v[2:3], v[126:127]
	s_waitcnt vmcnt(7) lgkmcnt(6)
	v_mul_f64 v[132:133], v[88:89], v[34:35]
	v_mul_f64 v[10:11], v[66:67], v[10:11]
	v_fmac_f64_e32 v[130:131], v[86:87], v[28:29]
	v_fma_f64 v[4:5], v[60:61], v[4:5], -v[6:7]
	v_add_f64 v[2:3], v[2:3], v[128:129]
	s_waitcnt vmcnt(6) lgkmcnt(5)
	v_mul_f64 v[134:135], v[92:93], v[38:39]
	v_mul_f64 v[14:15], v[70:71], v[14:15]
	v_fmac_f64_e32 v[132:133], v[90:91], v[32:33]
	v_fma_f64 v[6:7], v[64:65], v[8:9], -v[10:11]
	v_add_f64 v[4:5], v[4:5], 0
	v_add_f64 v[2:3], v[2:3], v[130:131]
	s_waitcnt vmcnt(5) lgkmcnt(4)
	v_mul_f64 v[136:137], v[96:97], v[42:43]
	v_mul_f64 v[18:19], v[74:75], v[18:19]
	v_fmac_f64_e32 v[134:135], v[94:95], v[36:37]
	v_fma_f64 v[8:9], v[68:69], v[12:13], -v[14:15]
	v_add_f64 v[4:5], v[4:5], v[6:7]
	;; [unrolled: 7-line block ×6, first 2 shown]
	v_add_f64 v[2:3], v[2:3], v[140:141]
	v_fmac_f64_e32 v[144:145], v[114:115], v[56:57]
	v_fma_f64 v[18:19], v[88:89], v[32:33], -v[34:35]
	v_add_f64 v[4:5], v[4:5], v[16:17]
	v_add_f64 v[2:3], v[2:3], v[142:143]
	;; [unrolled: 1-line block ×4, first 2 shown]
	v_mul_f64 v[4:5], v[94:95], v[38:39]
	v_fma_f64 v[4:5], v[92:93], v[36:37], -v[4:5]
	v_add_f64 v[2:3], v[2:3], v[4:5]
	v_mul_f64 v[4:5], v[98:99], v[42:43]
	v_fma_f64 v[4:5], v[96:97], v[40:41], -v[4:5]
	v_add_f64 v[2:3], v[2:3], v[4:5]
	;; [unrolled: 3-line block ×6, first 2 shown]
	s_waitcnt vmcnt(0)
	v_add_f64 v[2:3], v[116:117], -v[2:3]
	v_add_f64 v[4:5], v[118:119], -v[6:7]
	scratch_store_dwordx4 off, v[2:5], off offset:448
	s_and_saveexec_b64 s[0:1], vcc
	s_cbranch_execz .LBB105_213
; %bb.212:
	scratch_load_dwordx4 v[2:5], off, s31
	v_mov_b32_e32 v6, 0
	v_mov_b32_e32 v7, v6
	;; [unrolled: 1-line block ×4, first 2 shown]
	v_accvgpr_read_b32 v0, a85
	scratch_store_dwordx4 off, v[6:9], off offset:432
	s_waitcnt vmcnt(1)
	ds_write_b128 v0, v[2:5]
.LBB105_213:
	s_or_b64 exec, exec, s[0:1]
	s_waitcnt lgkmcnt(0)
	; wave barrier
	scratch_load_dwordx4 v[4:7], off, off offset:448
	scratch_load_dwordx4 v[8:11], off, off offset:464
	;; [unrolled: 1-line block ×16, first 2 shown]
	v_mov_b32_e32 v2, 0
	ds_read_b128 v[68:71], v2 offset:1104
	ds_read_b128 v[72:75], v2 offset:1120
	;; [unrolled: 1-line block ×15, first 2 shown]
	v_cmp_lt_u32_e32 vcc, 25, v240
	s_waitcnt vmcnt(15) lgkmcnt(14)
	v_mul_f64 v[128:129], v[68:69], v[6:7]
	v_mul_f64 v[6:7], v[70:71], v[6:7]
	s_waitcnt vmcnt(14) lgkmcnt(13)
	v_mul_f64 v[130:131], v[72:73], v[10:11]
	v_mul_f64 v[10:11], v[74:75], v[10:11]
	v_fmac_f64_e32 v[128:129], v[70:71], v[4:5]
	v_fma_f64 v[4:5], v[68:69], v[4:5], -v[6:7]
	s_waitcnt vmcnt(13) lgkmcnt(12)
	v_mul_f64 v[132:133], v[76:77], v[14:15]
	v_mul_f64 v[14:15], v[78:79], v[14:15]
	v_fma_f64 v[6:7], v[72:73], v[8:9], -v[10:11]
	v_add_f64 v[4:5], v[4:5], 0
	s_waitcnt vmcnt(12) lgkmcnt(11)
	v_mul_f64 v[134:135], v[80:81], v[18:19]
	v_mul_f64 v[18:19], v[82:83], v[18:19]
	v_fmac_f64_e32 v[130:131], v[74:75], v[8:9]
	v_fma_f64 v[8:9], v[76:77], v[12:13], -v[14:15]
	v_add_f64 v[4:5], v[4:5], v[6:7]
	s_waitcnt vmcnt(11) lgkmcnt(10)
	v_mul_f64 v[136:137], v[84:85], v[22:23]
	v_mul_f64 v[22:23], v[86:87], v[22:23]
	v_fma_f64 v[10:11], v[80:81], v[16:17], -v[18:19]
	v_add_f64 v[4:5], v[4:5], v[8:9]
	s_waitcnt vmcnt(10) lgkmcnt(9)
	v_mul_f64 v[138:139], v[88:89], v[26:27]
	v_mul_f64 v[26:27], v[90:91], v[26:27]
	v_fmac_f64_e32 v[132:133], v[78:79], v[12:13]
	v_fma_f64 v[12:13], v[84:85], v[20:21], -v[22:23]
	v_add_f64 v[4:5], v[4:5], v[10:11]
	v_fma_f64 v[14:15], v[88:89], v[24:25], -v[26:27]
	v_add_f64 v[4:5], v[4:5], v[12:13]
	s_waitcnt vmcnt(9) lgkmcnt(8)
	v_mul_f64 v[8:9], v[94:95], v[30:31]
	v_add_f64 v[4:5], v[4:5], v[14:15]
	v_fma_f64 v[8:9], v[92:93], v[28:29], -v[8:9]
	v_add_f64 v[4:5], v[4:5], v[8:9]
	s_waitcnt vmcnt(8) lgkmcnt(7)
	v_mul_f64 v[8:9], v[98:99], v[34:35]
	v_fma_f64 v[8:9], v[96:97], v[32:33], -v[8:9]
	v_fmac_f64_e32 v[134:135], v[82:83], v[16:17]
	v_add_f64 v[16:17], v[128:129], 0
	v_add_f64 v[4:5], v[4:5], v[8:9]
	s_waitcnt vmcnt(7) lgkmcnt(6)
	v_mul_f64 v[8:9], v[102:103], v[38:39]
	v_add_f64 v[16:17], v[16:17], v[130:131]
	v_fma_f64 v[8:9], v[100:101], v[36:37], -v[8:9]
	v_add_f64 v[6:7], v[16:17], v[132:133]
	v_add_f64 v[4:5], v[4:5], v[8:9]
	s_waitcnt vmcnt(6) lgkmcnt(5)
	v_mul_f64 v[8:9], v[106:107], v[42:43]
	v_fmac_f64_e32 v[136:137], v[86:87], v[20:21]
	v_add_f64 v[6:7], v[6:7], v[134:135]
	v_fma_f64 v[8:9], v[104:105], v[40:41], -v[8:9]
	v_mul_f64 v[140:141], v[92:93], v[30:31]
	v_fmac_f64_e32 v[138:139], v[90:91], v[24:25]
	v_add_f64 v[6:7], v[6:7], v[136:137]
	v_add_f64 v[4:5], v[4:5], v[8:9]
	s_waitcnt vmcnt(5) lgkmcnt(4)
	v_mul_f64 v[8:9], v[110:111], v[46:47]
	v_mul_f64 v[142:143], v[96:97], v[34:35]
	v_fmac_f64_e32 v[140:141], v[94:95], v[28:29]
	v_add_f64 v[6:7], v[6:7], v[138:139]
	v_fma_f64 v[8:9], v[108:109], v[44:45], -v[8:9]
	v_mul_f64 v[144:145], v[100:101], v[38:39]
	v_fmac_f64_e32 v[142:143], v[98:99], v[32:33]
	v_add_f64 v[6:7], v[6:7], v[140:141]
	v_add_f64 v[4:5], v[4:5], v[8:9]
	s_waitcnt vmcnt(4) lgkmcnt(3)
	v_mul_f64 v[8:9], v[114:115], v[50:51]
	;; [unrolled: 10-line block ×4, first 2 shown]
	v_mul_f64 v[154:155], v[120:121], v[58:59]
	v_fmac_f64_e32 v[152:153], v[118:119], v[52:53]
	v_add_f64 v[6:7], v[6:7], v[150:151]
	v_fma_f64 v[8:9], v[120:121], v[56:57], -v[8:9]
	s_waitcnt vmcnt(1) lgkmcnt(0)
	v_mul_f64 v[156:157], v[124:125], v[62:63]
	v_fmac_f64_e32 v[154:155], v[122:123], v[56:57]
	v_add_f64 v[6:7], v[6:7], v[152:153]
	v_add_f64 v[4:5], v[4:5], v[8:9]
	v_mul_f64 v[8:9], v[126:127], v[62:63]
	v_fmac_f64_e32 v[156:157], v[126:127], v[60:61]
	v_add_f64 v[6:7], v[6:7], v[154:155]
	v_fma_f64 v[8:9], v[124:125], v[60:61], -v[8:9]
	v_add_f64 v[6:7], v[6:7], v[156:157]
	v_add_f64 v[4:5], v[4:5], v[8:9]
	s_waitcnt vmcnt(0)
	v_add_f64 v[4:5], v[64:65], -v[4:5]
	v_add_f64 v[6:7], v[66:67], -v[6:7]
	scratch_store_dwordx4 off, v[4:7], off offset:432
	s_and_saveexec_b64 s[0:1], vcc
	s_cbranch_execz .LBB105_215
; %bb.214:
	scratch_load_dwordx4 v[6:9], off, s33
	v_mov_b32_e32 v3, v2
	v_mov_b32_e32 v4, v2
	;; [unrolled: 1-line block ×3, first 2 shown]
	v_accvgpr_read_b32 v0, a85
	scratch_store_dwordx4 off, v[2:5], off offset:416
	s_waitcnt vmcnt(1)
	ds_write_b128 v0, v[6:9]
.LBB105_215:
	s_or_b64 exec, exec, s[0:1]
	s_waitcnt lgkmcnt(0)
	; wave barrier
	scratch_load_dwordx4 v[4:7], off, off offset:432
	scratch_load_dwordx4 v[8:11], off, off offset:448
	;; [unrolled: 1-line block ×16, first 2 shown]
	ds_read_b128 v[68:71], v2 offset:1088
	ds_read_b128 v[72:75], v2 offset:1104
	;; [unrolled: 1-line block ×16, first 2 shown]
	scratch_load_dwordx4 v[132:135], off, off offset:416
	v_cmp_lt_u32_e32 vcc, 24, v240
	s_waitcnt vmcnt(16) lgkmcnt(14)
	v_mul_f64 v[2:3], v[68:69], v[6:7]
	s_waitcnt vmcnt(15)
	v_mul_f64 v[136:137], v[72:73], v[10:11]
	v_fmac_f64_e32 v[2:3], v[70:71], v[4:5]
	s_waitcnt vmcnt(14) lgkmcnt(13)
	v_mul_f64 v[138:139], v[76:77], v[14:15]
	v_fmac_f64_e32 v[136:137], v[74:75], v[8:9]
	v_add_f64 v[2:3], v[2:3], 0
	s_waitcnt vmcnt(13) lgkmcnt(12)
	v_mul_f64 v[140:141], v[80:81], v[18:19]
	v_fmac_f64_e32 v[138:139], v[78:79], v[12:13]
	v_add_f64 v[2:3], v[2:3], v[136:137]
	;; [unrolled: 4-line block ×10, first 2 shown]
	s_waitcnt vmcnt(4) lgkmcnt(3)
	v_mul_f64 v[158:159], v[116:117], v[54:55]
	v_mul_f64 v[6:7], v[70:71], v[6:7]
	v_fmac_f64_e32 v[156:157], v[114:115], v[48:49]
	v_add_f64 v[2:3], v[2:3], v[154:155]
	s_waitcnt vmcnt(3) lgkmcnt(2)
	v_mul_f64 v[160:161], v[120:121], v[58:59]
	v_mul_f64 v[10:11], v[74:75], v[10:11]
	v_fmac_f64_e32 v[158:159], v[118:119], v[52:53]
	v_fma_f64 v[4:5], v[68:69], v[4:5], -v[6:7]
	v_add_f64 v[2:3], v[2:3], v[156:157]
	s_waitcnt vmcnt(2) lgkmcnt(1)
	v_mul_f64 v[162:163], v[124:125], v[62:63]
	v_mul_f64 v[14:15], v[78:79], v[14:15]
	v_fmac_f64_e32 v[160:161], v[122:123], v[56:57]
	v_fma_f64 v[6:7], v[72:73], v[8:9], -v[10:11]
	v_add_f64 v[4:5], v[4:5], 0
	v_add_f64 v[2:3], v[2:3], v[158:159]
	s_waitcnt vmcnt(1) lgkmcnt(0)
	v_mul_f64 v[164:165], v[128:129], v[66:67]
	v_mul_f64 v[18:19], v[82:83], v[18:19]
	v_fmac_f64_e32 v[162:163], v[126:127], v[60:61]
	v_fma_f64 v[8:9], v[76:77], v[12:13], -v[14:15]
	v_add_f64 v[4:5], v[4:5], v[6:7]
	v_add_f64 v[2:3], v[2:3], v[160:161]
	v_mul_f64 v[26:27], v[86:87], v[26:27]
	v_fmac_f64_e32 v[164:165], v[130:131], v[64:65]
	v_fma_f64 v[10:11], v[80:81], v[16:17], -v[18:19]
	v_add_f64 v[4:5], v[4:5], v[8:9]
	v_add_f64 v[2:3], v[2:3], v[162:163]
	v_fma_f64 v[12:13], v[84:85], v[24:25], -v[26:27]
	v_add_f64 v[4:5], v[4:5], v[10:11]
	v_add_f64 v[6:7], v[2:3], v[164:165]
	v_mul_f64 v[2:3], v[90:91], v[22:23]
	v_add_f64 v[4:5], v[4:5], v[12:13]
	v_fma_f64 v[2:3], v[88:89], v[20:21], -v[2:3]
	v_add_f64 v[2:3], v[4:5], v[2:3]
	v_mul_f64 v[4:5], v[94:95], v[30:31]
	v_fma_f64 v[4:5], v[92:93], v[28:29], -v[4:5]
	v_add_f64 v[2:3], v[2:3], v[4:5]
	v_mul_f64 v[4:5], v[98:99], v[34:35]
	;; [unrolled: 3-line block ×10, first 2 shown]
	v_fma_f64 v[4:5], v[128:129], v[64:65], -v[4:5]
	v_add_f64 v[2:3], v[2:3], v[4:5]
	s_waitcnt vmcnt(0)
	v_add_f64 v[2:3], v[132:133], -v[2:3]
	v_add_f64 v[4:5], v[134:135], -v[6:7]
	scratch_store_dwordx4 off, v[2:5], off offset:416
	s_and_saveexec_b64 s[0:1], vcc
	s_cbranch_execz .LBB105_217
; %bb.216:
	scratch_load_dwordx4 v[2:5], off, s34
	v_mov_b32_e32 v6, 0
	v_mov_b32_e32 v7, v6
	;; [unrolled: 1-line block ×4, first 2 shown]
	v_accvgpr_read_b32 v0, a85
	scratch_store_dwordx4 off, v[6:9], off offset:400
	s_waitcnt vmcnt(1)
	ds_write_b128 v0, v[2:5]
.LBB105_217:
	s_or_b64 exec, exec, s[0:1]
	v_mov_b32_e32 v2, 0
	s_waitcnt lgkmcnt(0)
	; wave barrier
	ds_read_b128 v[16:19], v2 offset:1072
	ds_read_b128 v[12:15], v2 offset:1088
	ds_read_b128 v[8:11], v2 offset:1104
	ds_read_b128 v[4:7], v2 offset:1120
	scratch_load_dwordx4 v[20:23], off, off offset:416
	scratch_load_dwordx4 v[40:43], off, off offset:480
	;; [unrolled: 1-line block ×11, first 2 shown]
	v_cmp_lt_u32_e32 vcc, 23, v240
	scratch_load_dwordx4 v[48:51], off, off offset:496
	scratch_load_dwordx4 v[56:59], off, off offset:512
	;; [unrolled: 1-line block ×3, first 2 shown]
	s_waitcnt vmcnt(13) lgkmcnt(3)
	v_mul_f64 v[24:25], v[16:17], v[22:23]
	v_fmac_f64_e32 v[24:25], v[18:19], v[20:21]
	v_add_f64 v[28:29], v[24:25], 0
	scratch_load_dwordx4 v[24:27], off, off offset:432
	v_mul_f64 v[18:19], v[18:19], v[22:23]
	v_fma_f64 v[16:17], v[16:17], v[20:21], -v[18:19]
	v_add_f64 v[16:17], v[16:17], 0
	s_waitcnt vmcnt(0) lgkmcnt(2)
	v_mul_f64 v[30:31], v[12:13], v[26:27]
	v_fmac_f64_e32 v[30:31], v[14:15], v[24:25]
	v_add_f64 v[32:33], v[28:29], v[30:31]
	scratch_load_dwordx4 v[28:31], off, off offset:448
	v_mul_f64 v[14:15], v[14:15], v[26:27]
	v_fma_f64 v[12:13], v[12:13], v[24:25], -v[14:15]
	v_add_f64 v[12:13], v[16:17], v[12:13]
	;; [unrolled: 8-line block ×3, first 2 shown]
	s_waitcnt vmcnt(0) lgkmcnt(0)
	v_mul_f64 v[38:39], v[4:5], v[34:35]
	v_fmac_f64_e32 v[38:39], v[6:7], v[32:33]
	v_add_f64 v[44:45], v[36:37], v[38:39]
	ds_read_b128 v[36:39], v2 offset:1136
	v_mul_f64 v[6:7], v[6:7], v[34:35]
	v_fma_f64 v[4:5], v[4:5], v[32:33], -v[6:7]
	v_add_f64 v[4:5], v[8:9], v[4:5]
	s_waitcnt lgkmcnt(0)
	v_mul_f64 v[46:47], v[36:37], v[42:43]
	v_fmac_f64_e32 v[46:47], v[38:39], v[40:41]
	v_add_f64 v[52:53], v[44:45], v[46:47]
	ds_read_b128 v[44:47], v2 offset:1152
	v_mul_f64 v[6:7], v[38:39], v[42:43]
	v_fma_f64 v[6:7], v[36:37], v[40:41], -v[6:7]
	v_add_f64 v[4:5], v[4:5], v[6:7]
	s_waitcnt lgkmcnt(0)
	;; [unrolled: 8-line block ×13, first 2 shown]
	v_mul_f64 v[6:7], v[136:137], v[140:141]
	v_fma_f64 v[6:7], v[134:135], v[138:139], -v[6:7]
	v_add_f64 v[8:9], v[4:5], v[6:7]
	scratch_load_dwordx4 v[4:7], off, off offset:400
	v_mul_f64 v[142:143], v[134:135], v[140:141]
	v_fmac_f64_e32 v[142:143], v[136:137], v[138:139]
	v_add_f64 v[72:73], v[72:73], v[142:143]
	s_waitcnt vmcnt(0)
	v_add_f64 v[4:5], v[4:5], -v[8:9]
	v_add_f64 v[6:7], v[6:7], -v[72:73]
	scratch_store_dwordx4 off, v[4:7], off offset:400
	s_and_saveexec_b64 s[0:1], vcc
	s_cbranch_execz .LBB105_219
; %bb.218:
	scratch_load_dwordx4 v[6:9], off, s35
	v_mov_b32_e32 v3, v2
	v_mov_b32_e32 v4, v2
	;; [unrolled: 1-line block ×3, first 2 shown]
	v_accvgpr_read_b32 v0, a85
	scratch_store_dwordx4 off, v[2:5], off offset:384
	s_waitcnt vmcnt(1)
	ds_write_b128 v0, v[6:9]
.LBB105_219:
	s_or_b64 exec, exec, s[0:1]
	s_waitcnt lgkmcnt(0)
	; wave barrier
	ds_read_b128 v[16:19], v2 offset:1056
	ds_read_b128 v[12:15], v2 offset:1072
	;; [unrolled: 1-line block ×4, first 2 shown]
	scratch_load_dwordx4 v[20:23], off, off offset:400
	scratch_load_dwordx4 v[40:43], off, off offset:464
	;; [unrolled: 1-line block ×12, first 2 shown]
	v_cmp_lt_u32_e32 vcc, 22, v240
	scratch_load_dwordx4 v[48:51], off, off offset:480
	scratch_load_dwordx4 v[56:59], off, off offset:496
	;; [unrolled: 1-line block ×3, first 2 shown]
	s_waitcnt vmcnt(14) lgkmcnt(3)
	v_mul_f64 v[24:25], v[16:17], v[22:23]
	v_fmac_f64_e32 v[24:25], v[18:19], v[20:21]
	v_add_f64 v[28:29], v[24:25], 0
	scratch_load_dwordx4 v[24:27], off, off offset:416
	s_waitcnt vmcnt(0) lgkmcnt(2)
	v_mul_f64 v[30:31], v[12:13], v[26:27]
	v_fmac_f64_e32 v[30:31], v[14:15], v[24:25]
	v_add_f64 v[32:33], v[28:29], v[30:31]
	scratch_load_dwordx4 v[28:31], off, off offset:432
	v_mul_f64 v[14:15], v[14:15], v[26:27]
	v_fma_f64 v[12:13], v[12:13], v[24:25], -v[14:15]
	s_waitcnt vmcnt(0) lgkmcnt(1)
	v_mul_f64 v[34:35], v[8:9], v[30:31]
	v_fmac_f64_e32 v[34:35], v[10:11], v[28:29]
	v_add_f64 v[36:37], v[32:33], v[34:35]
	scratch_load_dwordx4 v[32:35], off, off offset:448
	v_mul_f64 v[10:11], v[10:11], v[30:31]
	v_fma_f64 v[8:9], v[8:9], v[28:29], -v[10:11]
	s_waitcnt vmcnt(0) lgkmcnt(0)
	v_mul_f64 v[38:39], v[4:5], v[34:35]
	v_fmac_f64_e32 v[38:39], v[6:7], v[32:33]
	v_add_f64 v[44:45], v[36:37], v[38:39]
	ds_read_b128 v[36:39], v2 offset:1120
	v_mul_f64 v[6:7], v[6:7], v[34:35]
	v_fma_f64 v[4:5], v[4:5], v[32:33], -v[6:7]
	s_waitcnt lgkmcnt(0)
	v_mul_f64 v[46:47], v[36:37], v[42:43]
	v_fmac_f64_e32 v[46:47], v[38:39], v[40:41]
	v_add_f64 v[52:53], v[44:45], v[46:47]
	ds_read_b128 v[44:47], v2 offset:1136
	s_waitcnt lgkmcnt(0)
	v_mul_f64 v[54:55], v[44:45], v[50:51]
	v_fmac_f64_e32 v[54:55], v[46:47], v[48:49]
	v_add_f64 v[60:61], v[52:53], v[54:55]
	ds_read_b128 v[52:55], v2 offset:1152
	;; [unrolled: 5-line block ×13, first 2 shown]
	s_waitcnt lgkmcnt(0)
	v_mul_f64 v[2:3], v[142:143], v[148:149]
	v_fmac_f64_e32 v[2:3], v[144:145], v[146:147]
	v_add_f64 v[80:81], v[80:81], v[2:3]
	v_mul_f64 v[2:3], v[18:19], v[22:23]
	v_fma_f64 v[2:3], v[16:17], v[20:21], -v[2:3]
	v_add_f64 v[2:3], v[2:3], 0
	v_add_f64 v[2:3], v[2:3], v[12:13]
	;; [unrolled: 1-line block ×4, first 2 shown]
	v_mul_f64 v[4:5], v[38:39], v[42:43]
	v_fma_f64 v[4:5], v[36:37], v[40:41], -v[4:5]
	v_add_f64 v[2:3], v[2:3], v[4:5]
	v_mul_f64 v[4:5], v[46:47], v[50:51]
	v_fma_f64 v[4:5], v[44:45], v[48:49], -v[4:5]
	v_add_f64 v[2:3], v[2:3], v[4:5]
	v_mul_f64 v[4:5], v[54:55], v[58:59]
	v_fma_f64 v[4:5], v[52:53], v[56:57], -v[4:5]
	v_add_f64 v[2:3], v[2:3], v[4:5]
	v_mul_f64 v[4:5], v[62:63], v[66:67]
	v_fma_f64 v[4:5], v[60:61], v[64:65], -v[4:5]
	v_add_f64 v[2:3], v[2:3], v[4:5]
	v_mul_f64 v[4:5], v[70:71], v[74:75]
	v_fma_f64 v[4:5], v[68:69], v[72:73], -v[4:5]
	v_add_f64 v[2:3], v[2:3], v[4:5]
	v_mul_f64 v[4:5], v[78:79], v[84:85]
	v_fma_f64 v[4:5], v[76:77], v[82:83], -v[4:5]
	v_add_f64 v[2:3], v[2:3], v[4:5]
	v_mul_f64 v[4:5], v[88:89], v[92:93]
	v_fma_f64 v[4:5], v[86:87], v[90:91], -v[4:5]
	v_add_f64 v[2:3], v[2:3], v[4:5]
	v_mul_f64 v[4:5], v[96:97], v[100:101]
	v_fma_f64 v[4:5], v[94:95], v[98:99], -v[4:5]
	v_add_f64 v[2:3], v[2:3], v[4:5]
	v_mul_f64 v[4:5], v[104:105], v[108:109]
	v_fma_f64 v[4:5], v[102:103], v[106:107], -v[4:5]
	v_add_f64 v[2:3], v[2:3], v[4:5]
	v_mul_f64 v[4:5], v[112:113], v[116:117]
	v_fma_f64 v[4:5], v[110:111], v[114:115], -v[4:5]
	v_add_f64 v[2:3], v[2:3], v[4:5]
	v_mul_f64 v[4:5], v[120:121], v[124:125]
	v_fma_f64 v[4:5], v[118:119], v[122:123], -v[4:5]
	v_add_f64 v[2:3], v[2:3], v[4:5]
	v_mul_f64 v[4:5], v[128:129], v[132:133]
	v_fma_f64 v[4:5], v[126:127], v[130:131], -v[4:5]
	v_add_f64 v[2:3], v[2:3], v[4:5]
	v_mul_f64 v[4:5], v[136:137], v[140:141]
	v_fma_f64 v[4:5], v[134:135], v[138:139], -v[4:5]
	v_add_f64 v[2:3], v[2:3], v[4:5]
	v_mul_f64 v[4:5], v[144:145], v[148:149]
	v_fma_f64 v[4:5], v[142:143], v[146:147], -v[4:5]
	v_add_f64 v[6:7], v[2:3], v[4:5]
	scratch_load_dwordx4 v[2:5], off, off offset:384
	s_waitcnt vmcnt(0)
	v_add_f64 v[2:3], v[2:3], -v[6:7]
	v_add_f64 v[4:5], v[4:5], -v[80:81]
	scratch_store_dwordx4 off, v[2:5], off offset:384
	s_and_saveexec_b64 s[0:1], vcc
	s_cbranch_execz .LBB105_221
; %bb.220:
	scratch_load_dwordx4 v[2:5], off, s36
	v_mov_b32_e32 v6, 0
	v_mov_b32_e32 v7, v6
	;; [unrolled: 1-line block ×4, first 2 shown]
	v_accvgpr_read_b32 v0, a85
	scratch_store_dwordx4 off, v[6:9], off offset:368
	s_waitcnt vmcnt(1)
	ds_write_b128 v0, v[2:5]
.LBB105_221:
	s_or_b64 exec, exec, s[0:1]
	v_mov_b32_e32 v2, 0
	s_waitcnt lgkmcnt(0)
	; wave barrier
	ds_read_b128 v[16:19], v2 offset:1040
	ds_read_b128 v[12:15], v2 offset:1056
	;; [unrolled: 1-line block ×4, first 2 shown]
	scratch_load_dwordx4 v[20:23], off, off offset:384
	scratch_load_dwordx4 v[40:43], off, off offset:448
	;; [unrolled: 1-line block ×13, first 2 shown]
	v_cmp_lt_u32_e32 vcc, 21, v240
	scratch_load_dwordx4 v[48:51], off, off offset:464
	scratch_load_dwordx4 v[56:59], off, off offset:480
	;; [unrolled: 1-line block ×3, first 2 shown]
	s_waitcnt vmcnt(15) lgkmcnt(3)
	v_mul_f64 v[24:25], v[16:17], v[22:23]
	v_fmac_f64_e32 v[24:25], v[18:19], v[20:21]
	v_add_f64 v[28:29], v[24:25], 0
	scratch_load_dwordx4 v[24:27], off, off offset:400
	v_mul_f64 v[18:19], v[18:19], v[22:23]
	v_fma_f64 v[16:17], v[16:17], v[20:21], -v[18:19]
	v_add_f64 v[16:17], v[16:17], 0
	s_waitcnt vmcnt(0) lgkmcnt(2)
	v_mul_f64 v[30:31], v[12:13], v[26:27]
	v_fmac_f64_e32 v[30:31], v[14:15], v[24:25]
	v_add_f64 v[32:33], v[28:29], v[30:31]
	scratch_load_dwordx4 v[28:31], off, off offset:416
	v_mul_f64 v[14:15], v[14:15], v[26:27]
	v_fma_f64 v[12:13], v[12:13], v[24:25], -v[14:15]
	v_add_f64 v[12:13], v[16:17], v[12:13]
	;; [unrolled: 8-line block ×3, first 2 shown]
	s_waitcnt vmcnt(0) lgkmcnt(0)
	v_mul_f64 v[38:39], v[4:5], v[34:35]
	v_fmac_f64_e32 v[38:39], v[6:7], v[32:33]
	v_add_f64 v[44:45], v[36:37], v[38:39]
	ds_read_b128 v[36:39], v2 offset:1104
	v_mul_f64 v[6:7], v[6:7], v[34:35]
	v_fma_f64 v[4:5], v[4:5], v[32:33], -v[6:7]
	v_add_f64 v[4:5], v[8:9], v[4:5]
	s_waitcnt lgkmcnt(0)
	v_mul_f64 v[46:47], v[36:37], v[42:43]
	v_fmac_f64_e32 v[46:47], v[38:39], v[40:41]
	v_add_f64 v[52:53], v[44:45], v[46:47]
	ds_read_b128 v[44:47], v2 offset:1120
	v_mul_f64 v[6:7], v[38:39], v[42:43]
	v_fma_f64 v[6:7], v[36:37], v[40:41], -v[6:7]
	v_add_f64 v[4:5], v[4:5], v[6:7]
	s_waitcnt lgkmcnt(0)
	;; [unrolled: 8-line block ×15, first 2 shown]
	v_mul_f64 v[6:7], v[152:153], v[156:157]
	v_fma_f64 v[6:7], v[150:151], v[154:155], -v[6:7]
	v_add_f64 v[8:9], v[4:5], v[6:7]
	scratch_load_dwordx4 v[4:7], off, off offset:368
	v_mul_f64 v[158:159], v[150:151], v[156:157]
	v_fmac_f64_e32 v[158:159], v[152:153], v[154:155]
	v_add_f64 v[88:89], v[88:89], v[158:159]
	s_waitcnt vmcnt(0)
	v_add_f64 v[4:5], v[4:5], -v[8:9]
	v_add_f64 v[6:7], v[6:7], -v[88:89]
	scratch_store_dwordx4 off, v[4:7], off offset:368
	s_and_saveexec_b64 s[0:1], vcc
	s_cbranch_execz .LBB105_223
; %bb.222:
	scratch_load_dwordx4 v[6:9], off, s37
	v_mov_b32_e32 v3, v2
	v_mov_b32_e32 v4, v2
	;; [unrolled: 1-line block ×3, first 2 shown]
	v_accvgpr_read_b32 v0, a85
	scratch_store_dwordx4 off, v[2:5], off offset:352
	s_waitcnt vmcnt(1)
	ds_write_b128 v0, v[6:9]
.LBB105_223:
	s_or_b64 exec, exec, s[0:1]
	s_waitcnt lgkmcnt(0)
	; wave barrier
	ds_read_b128 v[16:19], v2 offset:1024
	ds_read_b128 v[12:15], v2 offset:1040
	;; [unrolled: 1-line block ×4, first 2 shown]
	scratch_load_dwordx4 v[20:23], off, off offset:368
	scratch_load_dwordx4 v[40:43], off, off offset:432
	;; [unrolled: 1-line block ×14, first 2 shown]
	v_cmp_lt_u32_e32 vcc, 20, v240
	scratch_load_dwordx4 v[48:51], off, off offset:448
	scratch_load_dwordx4 v[56:59], off, off offset:464
	;; [unrolled: 1-line block ×3, first 2 shown]
	s_waitcnt vmcnt(16) lgkmcnt(3)
	v_mul_f64 v[24:25], v[16:17], v[22:23]
	v_fmac_f64_e32 v[24:25], v[18:19], v[20:21]
	v_add_f64 v[28:29], v[24:25], 0
	scratch_load_dwordx4 v[24:27], off, off offset:384
	s_waitcnt vmcnt(0) lgkmcnt(2)
	v_mul_f64 v[30:31], v[12:13], v[26:27]
	v_fmac_f64_e32 v[30:31], v[14:15], v[24:25]
	v_add_f64 v[32:33], v[28:29], v[30:31]
	scratch_load_dwordx4 v[28:31], off, off offset:400
	v_mul_f64 v[14:15], v[14:15], v[26:27]
	v_fma_f64 v[12:13], v[12:13], v[24:25], -v[14:15]
	s_waitcnt vmcnt(0) lgkmcnt(1)
	v_mul_f64 v[34:35], v[8:9], v[30:31]
	v_fmac_f64_e32 v[34:35], v[10:11], v[28:29]
	v_add_f64 v[36:37], v[32:33], v[34:35]
	scratch_load_dwordx4 v[32:35], off, off offset:416
	v_mul_f64 v[10:11], v[10:11], v[30:31]
	v_fma_f64 v[8:9], v[8:9], v[28:29], -v[10:11]
	s_waitcnt vmcnt(0) lgkmcnt(0)
	v_mul_f64 v[38:39], v[4:5], v[34:35]
	v_fmac_f64_e32 v[38:39], v[6:7], v[32:33]
	v_add_f64 v[44:45], v[36:37], v[38:39]
	ds_read_b128 v[36:39], v2 offset:1088
	v_mul_f64 v[6:7], v[6:7], v[34:35]
	v_fma_f64 v[4:5], v[4:5], v[32:33], -v[6:7]
	s_waitcnt lgkmcnt(0)
	v_mul_f64 v[46:47], v[36:37], v[42:43]
	v_fmac_f64_e32 v[46:47], v[38:39], v[40:41]
	v_add_f64 v[52:53], v[44:45], v[46:47]
	ds_read_b128 v[44:47], v2 offset:1104
	s_waitcnt lgkmcnt(0)
	v_mul_f64 v[54:55], v[44:45], v[50:51]
	v_fmac_f64_e32 v[54:55], v[46:47], v[48:49]
	v_add_f64 v[60:61], v[52:53], v[54:55]
	ds_read_b128 v[52:55], v2 offset:1120
	;; [unrolled: 5-line block ×15, first 2 shown]
	s_waitcnt lgkmcnt(0)
	v_mul_f64 v[2:3], v[158:159], v[164:165]
	v_fmac_f64_e32 v[2:3], v[160:161], v[162:163]
	v_add_f64 v[96:97], v[96:97], v[2:3]
	v_mul_f64 v[2:3], v[18:19], v[22:23]
	v_fma_f64 v[2:3], v[16:17], v[20:21], -v[2:3]
	v_add_f64 v[2:3], v[2:3], 0
	v_add_f64 v[2:3], v[2:3], v[12:13]
	;; [unrolled: 1-line block ×4, first 2 shown]
	v_mul_f64 v[4:5], v[38:39], v[42:43]
	v_fma_f64 v[4:5], v[36:37], v[40:41], -v[4:5]
	v_add_f64 v[2:3], v[2:3], v[4:5]
	v_mul_f64 v[4:5], v[46:47], v[50:51]
	v_fma_f64 v[4:5], v[44:45], v[48:49], -v[4:5]
	v_add_f64 v[2:3], v[2:3], v[4:5]
	;; [unrolled: 3-line block ×16, first 2 shown]
	scratch_load_dwordx4 v[2:5], off, off offset:352
	s_waitcnt vmcnt(0)
	v_add_f64 v[2:3], v[2:3], -v[6:7]
	v_add_f64 v[4:5], v[4:5], -v[96:97]
	scratch_store_dwordx4 off, v[2:5], off offset:352
	s_and_saveexec_b64 s[0:1], vcc
	s_cbranch_execz .LBB105_225
; %bb.224:
	scratch_load_dwordx4 v[2:5], off, s38
	v_mov_b32_e32 v6, 0
	v_mov_b32_e32 v7, v6
	;; [unrolled: 1-line block ×4, first 2 shown]
	v_accvgpr_read_b32 v0, a85
	scratch_store_dwordx4 off, v[6:9], off offset:336
	s_waitcnt vmcnt(1)
	ds_write_b128 v0, v[2:5]
.LBB105_225:
	s_or_b64 exec, exec, s[0:1]
	v_mov_b32_e32 v2, 0
	s_waitcnt lgkmcnt(0)
	; wave barrier
	ds_read_b128 v[16:19], v2 offset:1008
	ds_read_b128 v[12:15], v2 offset:1024
	;; [unrolled: 1-line block ×4, first 2 shown]
	scratch_load_dwordx4 v[20:23], off, off offset:352
	scratch_load_dwordx4 v[40:43], off, off offset:416
	;; [unrolled: 1-line block ×15, first 2 shown]
	v_cmp_lt_u32_e32 vcc, 19, v240
	scratch_load_dwordx4 v[48:51], off, off offset:432
	scratch_load_dwordx4 v[56:59], off, off offset:448
	;; [unrolled: 1-line block ×3, first 2 shown]
	s_waitcnt vmcnt(17) lgkmcnt(3)
	v_mul_f64 v[24:25], v[16:17], v[22:23]
	v_fmac_f64_e32 v[24:25], v[18:19], v[20:21]
	v_add_f64 v[28:29], v[24:25], 0
	scratch_load_dwordx4 v[24:27], off, off offset:368
	v_mul_f64 v[18:19], v[18:19], v[22:23]
	v_fma_f64 v[16:17], v[16:17], v[20:21], -v[18:19]
	v_add_f64 v[16:17], v[16:17], 0
	s_waitcnt vmcnt(0) lgkmcnt(2)
	v_mul_f64 v[30:31], v[12:13], v[26:27]
	v_fmac_f64_e32 v[30:31], v[14:15], v[24:25]
	v_add_f64 v[32:33], v[28:29], v[30:31]
	scratch_load_dwordx4 v[28:31], off, off offset:384
	v_mul_f64 v[14:15], v[14:15], v[26:27]
	v_fma_f64 v[12:13], v[12:13], v[24:25], -v[14:15]
	v_add_f64 v[12:13], v[16:17], v[12:13]
	;; [unrolled: 8-line block ×3, first 2 shown]
	s_waitcnt vmcnt(0) lgkmcnt(0)
	v_mul_f64 v[38:39], v[4:5], v[34:35]
	v_fmac_f64_e32 v[38:39], v[6:7], v[32:33]
	v_add_f64 v[44:45], v[36:37], v[38:39]
	ds_read_b128 v[36:39], v2 offset:1072
	v_mul_f64 v[6:7], v[6:7], v[34:35]
	v_fma_f64 v[4:5], v[4:5], v[32:33], -v[6:7]
	v_add_f64 v[4:5], v[8:9], v[4:5]
	s_waitcnt lgkmcnt(0)
	v_mul_f64 v[46:47], v[36:37], v[42:43]
	v_fmac_f64_e32 v[46:47], v[38:39], v[40:41]
	v_add_f64 v[52:53], v[44:45], v[46:47]
	ds_read_b128 v[44:47], v2 offset:1088
	v_mul_f64 v[6:7], v[38:39], v[42:43]
	v_fma_f64 v[6:7], v[36:37], v[40:41], -v[6:7]
	v_add_f64 v[4:5], v[4:5], v[6:7]
	s_waitcnt lgkmcnt(0)
	;; [unrolled: 8-line block ×17, first 2 shown]
	v_mul_f64 v[6:7], v[168:169], v[172:173]
	v_fma_f64 v[6:7], v[166:167], v[170:171], -v[6:7]
	v_add_f64 v[8:9], v[4:5], v[6:7]
	scratch_load_dwordx4 v[4:7], off, off offset:336
	v_mul_f64 v[174:175], v[166:167], v[172:173]
	v_fmac_f64_e32 v[174:175], v[168:169], v[170:171]
	v_add_f64 v[104:105], v[104:105], v[174:175]
	s_waitcnt vmcnt(0)
	v_add_f64 v[4:5], v[4:5], -v[8:9]
	v_add_f64 v[6:7], v[6:7], -v[104:105]
	scratch_store_dwordx4 off, v[4:7], off offset:336
	s_and_saveexec_b64 s[0:1], vcc
	s_cbranch_execz .LBB105_227
; %bb.226:
	scratch_load_dwordx4 v[6:9], off, s39
	v_mov_b32_e32 v3, v2
	v_mov_b32_e32 v4, v2
	;; [unrolled: 1-line block ×3, first 2 shown]
	v_accvgpr_read_b32 v0, a85
	scratch_store_dwordx4 off, v[2:5], off offset:320
	s_waitcnt vmcnt(1)
	ds_write_b128 v0, v[6:9]
.LBB105_227:
	s_or_b64 exec, exec, s[0:1]
	s_waitcnt lgkmcnt(0)
	; wave barrier
	ds_read_b128 v[16:19], v2 offset:992
	ds_read_b128 v[12:15], v2 offset:1008
	;; [unrolled: 1-line block ×4, first 2 shown]
	scratch_load_dwordx4 v[20:23], off, off offset:336
	scratch_load_dwordx4 v[40:43], off, off offset:400
	;; [unrolled: 1-line block ×16, first 2 shown]
	v_cmp_lt_u32_e32 vcc, 18, v240
	scratch_load_dwordx4 v[48:51], off, off offset:416
	scratch_load_dwordx4 v[56:59], off, off offset:432
	;; [unrolled: 1-line block ×3, first 2 shown]
	s_waitcnt vmcnt(18) lgkmcnt(3)
	v_mul_f64 v[24:25], v[16:17], v[22:23]
	v_fmac_f64_e32 v[24:25], v[18:19], v[20:21]
	v_add_f64 v[28:29], v[24:25], 0
	scratch_load_dwordx4 v[24:27], off, off offset:352
	s_waitcnt vmcnt(0) lgkmcnt(2)
	v_mul_f64 v[30:31], v[12:13], v[26:27]
	v_fmac_f64_e32 v[30:31], v[14:15], v[24:25]
	v_add_f64 v[32:33], v[28:29], v[30:31]
	scratch_load_dwordx4 v[28:31], off, off offset:368
	v_mul_f64 v[14:15], v[14:15], v[26:27]
	v_fma_f64 v[12:13], v[12:13], v[24:25], -v[14:15]
	s_waitcnt vmcnt(0) lgkmcnt(1)
	v_mul_f64 v[34:35], v[8:9], v[30:31]
	v_fmac_f64_e32 v[34:35], v[10:11], v[28:29]
	v_add_f64 v[36:37], v[32:33], v[34:35]
	scratch_load_dwordx4 v[32:35], off, off offset:384
	v_mul_f64 v[10:11], v[10:11], v[30:31]
	v_fma_f64 v[8:9], v[8:9], v[28:29], -v[10:11]
	s_waitcnt vmcnt(0) lgkmcnt(0)
	v_mul_f64 v[38:39], v[4:5], v[34:35]
	v_fmac_f64_e32 v[38:39], v[6:7], v[32:33]
	v_add_f64 v[44:45], v[36:37], v[38:39]
	ds_read_b128 v[36:39], v2 offset:1056
	v_mul_f64 v[6:7], v[6:7], v[34:35]
	v_fma_f64 v[4:5], v[4:5], v[32:33], -v[6:7]
	s_waitcnt lgkmcnt(0)
	v_mul_f64 v[46:47], v[36:37], v[42:43]
	v_fmac_f64_e32 v[46:47], v[38:39], v[40:41]
	v_add_f64 v[52:53], v[44:45], v[46:47]
	ds_read_b128 v[44:47], v2 offset:1072
	s_waitcnt lgkmcnt(0)
	v_mul_f64 v[54:55], v[44:45], v[50:51]
	v_fmac_f64_e32 v[54:55], v[46:47], v[48:49]
	v_add_f64 v[60:61], v[52:53], v[54:55]
	ds_read_b128 v[52:55], v2 offset:1088
	;; [unrolled: 5-line block ×17, first 2 shown]
	s_waitcnt lgkmcnt(0)
	v_mul_f64 v[2:3], v[174:175], v[180:181]
	v_fmac_f64_e32 v[2:3], v[176:177], v[178:179]
	v_add_f64 v[120:121], v[120:121], v[2:3]
	v_mul_f64 v[2:3], v[18:19], v[22:23]
	v_fma_f64 v[2:3], v[16:17], v[20:21], -v[2:3]
	v_add_f64 v[2:3], v[2:3], 0
	v_add_f64 v[2:3], v[2:3], v[12:13]
	;; [unrolled: 1-line block ×4, first 2 shown]
	v_mul_f64 v[4:5], v[38:39], v[42:43]
	v_fma_f64 v[4:5], v[36:37], v[40:41], -v[4:5]
	v_add_f64 v[2:3], v[2:3], v[4:5]
	v_mul_f64 v[4:5], v[46:47], v[50:51]
	v_fma_f64 v[4:5], v[44:45], v[48:49], -v[4:5]
	v_add_f64 v[2:3], v[2:3], v[4:5]
	;; [unrolled: 3-line block ×18, first 2 shown]
	scratch_load_dwordx4 v[2:5], off, off offset:320
	s_waitcnt vmcnt(0)
	v_add_f64 v[2:3], v[2:3], -v[6:7]
	v_add_f64 v[4:5], v[4:5], -v[120:121]
	scratch_store_dwordx4 off, v[2:5], off offset:320
	s_and_saveexec_b64 s[0:1], vcc
	s_cbranch_execz .LBB105_229
; %bb.228:
	scratch_load_dwordx4 v[2:5], off, s40
	v_mov_b32_e32 v6, 0
	v_mov_b32_e32 v7, v6
	;; [unrolled: 1-line block ×4, first 2 shown]
	v_accvgpr_read_b32 v0, a85
	scratch_store_dwordx4 off, v[6:9], off offset:304
	s_waitcnt vmcnt(1)
	ds_write_b128 v0, v[2:5]
.LBB105_229:
	s_or_b64 exec, exec, s[0:1]
	v_mov_b32_e32 v2, 0
	s_waitcnt lgkmcnt(0)
	; wave barrier
	ds_read_b128 v[16:19], v2 offset:976
	ds_read_b128 v[12:15], v2 offset:992
	;; [unrolled: 1-line block ×4, first 2 shown]
	scratch_load_dwordx4 v[20:23], off, off offset:320
	scratch_load_dwordx4 v[40:43], off, off offset:384
	;; [unrolled: 1-line block ×17, first 2 shown]
	v_cmp_lt_u32_e32 vcc, 17, v240
	scratch_load_dwordx4 v[48:51], off, off offset:400
	scratch_load_dwordx4 v[56:59], off, off offset:416
	;; [unrolled: 1-line block ×3, first 2 shown]
	s_waitcnt vmcnt(19) lgkmcnt(3)
	v_mul_f64 v[24:25], v[16:17], v[22:23]
	v_fmac_f64_e32 v[24:25], v[18:19], v[20:21]
	v_add_f64 v[28:29], v[24:25], 0
	scratch_load_dwordx4 v[24:27], off, off offset:336
	v_mul_f64 v[18:19], v[18:19], v[22:23]
	v_fma_f64 v[16:17], v[16:17], v[20:21], -v[18:19]
	v_add_f64 v[16:17], v[16:17], 0
	s_waitcnt vmcnt(0) lgkmcnt(2)
	v_mul_f64 v[30:31], v[12:13], v[26:27]
	v_fmac_f64_e32 v[30:31], v[14:15], v[24:25]
	v_add_f64 v[32:33], v[28:29], v[30:31]
	scratch_load_dwordx4 v[28:31], off, off offset:352
	v_mul_f64 v[14:15], v[14:15], v[26:27]
	v_fma_f64 v[12:13], v[12:13], v[24:25], -v[14:15]
	v_add_f64 v[12:13], v[16:17], v[12:13]
	;; [unrolled: 8-line block ×3, first 2 shown]
	s_waitcnt vmcnt(0) lgkmcnt(0)
	v_mul_f64 v[38:39], v[4:5], v[34:35]
	v_fmac_f64_e32 v[38:39], v[6:7], v[32:33]
	v_add_f64 v[44:45], v[36:37], v[38:39]
	ds_read_b128 v[36:39], v2 offset:1040
	v_mul_f64 v[6:7], v[6:7], v[34:35]
	v_fma_f64 v[4:5], v[4:5], v[32:33], -v[6:7]
	v_add_f64 v[4:5], v[8:9], v[4:5]
	s_waitcnt lgkmcnt(0)
	v_mul_f64 v[46:47], v[36:37], v[42:43]
	v_fmac_f64_e32 v[46:47], v[38:39], v[40:41]
	v_add_f64 v[52:53], v[44:45], v[46:47]
	ds_read_b128 v[44:47], v2 offset:1056
	v_mul_f64 v[6:7], v[38:39], v[42:43]
	v_fma_f64 v[6:7], v[36:37], v[40:41], -v[6:7]
	v_add_f64 v[4:5], v[4:5], v[6:7]
	s_waitcnt lgkmcnt(0)
	;; [unrolled: 8-line block ×19, first 2 shown]
	v_mul_f64 v[6:7], v[184:185], v[188:189]
	v_fma_f64 v[6:7], v[182:183], v[186:187], -v[6:7]
	v_add_f64 v[8:9], v[4:5], v[6:7]
	scratch_load_dwordx4 v[4:7], off, off offset:304
	v_mul_f64 v[190:191], v[182:183], v[188:189]
	v_fmac_f64_e32 v[190:191], v[184:185], v[186:187]
	v_add_f64 v[128:129], v[128:129], v[190:191]
	s_waitcnt vmcnt(0)
	v_add_f64 v[4:5], v[4:5], -v[8:9]
	v_add_f64 v[6:7], v[6:7], -v[128:129]
	scratch_store_dwordx4 off, v[4:7], off offset:304
	s_and_saveexec_b64 s[0:1], vcc
	s_cbranch_execz .LBB105_231
; %bb.230:
	scratch_load_dwordx4 v[6:9], off, s41
	v_mov_b32_e32 v3, v2
	v_mov_b32_e32 v4, v2
	v_mov_b32_e32 v5, v2
	v_accvgpr_read_b32 v0, a85
	scratch_store_dwordx4 off, v[2:5], off offset:288
	s_waitcnt vmcnt(1)
	ds_write_b128 v0, v[6:9]
.LBB105_231:
	s_or_b64 exec, exec, s[0:1]
	s_waitcnt lgkmcnt(0)
	; wave barrier
	ds_read_b128 v[16:19], v2 offset:960
	ds_read_b128 v[12:15], v2 offset:976
	;; [unrolled: 1-line block ×4, first 2 shown]
	scratch_load_dwordx4 v[20:23], off, off offset:304
	scratch_load_dwordx4 v[40:43], off, off offset:368
	;; [unrolled: 1-line block ×18, first 2 shown]
	v_cmp_lt_u32_e32 vcc, 16, v240
	scratch_load_dwordx4 v[48:51], off, off offset:384
	scratch_load_dwordx4 v[56:59], off, off offset:400
	;; [unrolled: 1-line block ×3, first 2 shown]
	s_waitcnt vmcnt(20) lgkmcnt(3)
	v_mul_f64 v[24:25], v[16:17], v[22:23]
	v_fmac_f64_e32 v[24:25], v[18:19], v[20:21]
	v_add_f64 v[28:29], v[24:25], 0
	scratch_load_dwordx4 v[24:27], off, off offset:320
	s_waitcnt vmcnt(0) lgkmcnt(2)
	v_mul_f64 v[30:31], v[12:13], v[26:27]
	v_fmac_f64_e32 v[30:31], v[14:15], v[24:25]
	v_add_f64 v[32:33], v[28:29], v[30:31]
	scratch_load_dwordx4 v[28:31], off, off offset:336
	v_mul_f64 v[14:15], v[14:15], v[26:27]
	v_fma_f64 v[12:13], v[12:13], v[24:25], -v[14:15]
	s_waitcnt vmcnt(0) lgkmcnt(1)
	v_mul_f64 v[34:35], v[8:9], v[30:31]
	v_fmac_f64_e32 v[34:35], v[10:11], v[28:29]
	v_add_f64 v[36:37], v[32:33], v[34:35]
	scratch_load_dwordx4 v[32:35], off, off offset:352
	v_mul_f64 v[10:11], v[10:11], v[30:31]
	v_fma_f64 v[8:9], v[8:9], v[28:29], -v[10:11]
	s_waitcnt vmcnt(0) lgkmcnt(0)
	v_mul_f64 v[38:39], v[4:5], v[34:35]
	v_fmac_f64_e32 v[38:39], v[6:7], v[32:33]
	v_add_f64 v[44:45], v[36:37], v[38:39]
	ds_read_b128 v[36:39], v2 offset:1024
	v_mul_f64 v[6:7], v[6:7], v[34:35]
	v_fma_f64 v[4:5], v[4:5], v[32:33], -v[6:7]
	s_waitcnt lgkmcnt(0)
	v_mul_f64 v[46:47], v[36:37], v[42:43]
	v_fmac_f64_e32 v[46:47], v[38:39], v[40:41]
	v_add_f64 v[52:53], v[44:45], v[46:47]
	ds_read_b128 v[44:47], v2 offset:1040
	s_waitcnt lgkmcnt(0)
	v_mul_f64 v[54:55], v[44:45], v[50:51]
	v_fmac_f64_e32 v[54:55], v[46:47], v[48:49]
	v_add_f64 v[60:61], v[52:53], v[54:55]
	ds_read_b128 v[52:55], v2 offset:1056
	;; [unrolled: 5-line block ×19, first 2 shown]
	s_waitcnt lgkmcnt(0)
	v_mul_f64 v[2:3], v[190:191], v[196:197]
	v_fmac_f64_e32 v[2:3], v[192:193], v[194:195]
	v_add_f64 v[148:149], v[148:149], v[2:3]
	v_mul_f64 v[2:3], v[18:19], v[22:23]
	v_fma_f64 v[2:3], v[16:17], v[20:21], -v[2:3]
	v_add_f64 v[2:3], v[2:3], 0
	v_add_f64 v[2:3], v[2:3], v[12:13]
	v_add_f64 v[2:3], v[2:3], v[8:9]
	v_add_f64 v[2:3], v[2:3], v[4:5]
	v_mul_f64 v[4:5], v[38:39], v[42:43]
	v_fma_f64 v[4:5], v[36:37], v[40:41], -v[4:5]
	v_add_f64 v[2:3], v[2:3], v[4:5]
	v_mul_f64 v[4:5], v[46:47], v[50:51]
	v_fma_f64 v[4:5], v[44:45], v[48:49], -v[4:5]
	v_add_f64 v[2:3], v[2:3], v[4:5]
	;; [unrolled: 3-line block ×20, first 2 shown]
	scratch_load_dwordx4 v[2:5], off, off offset:288
	s_waitcnt vmcnt(0)
	v_add_f64 v[2:3], v[2:3], -v[6:7]
	v_add_f64 v[4:5], v[4:5], -v[148:149]
	scratch_store_dwordx4 off, v[2:5], off offset:288
	s_and_saveexec_b64 s[0:1], vcc
	s_cbranch_execz .LBB105_233
; %bb.232:
	scratch_load_dwordx4 v[2:5], off, s42
	v_mov_b32_e32 v6, 0
	v_mov_b32_e32 v7, v6
	;; [unrolled: 1-line block ×4, first 2 shown]
	v_accvgpr_read_b32 v0, a85
	scratch_store_dwordx4 off, v[6:9], off offset:272
	s_waitcnt vmcnt(1)
	ds_write_b128 v0, v[2:5]
.LBB105_233:
	s_or_b64 exec, exec, s[0:1]
	v_mov_b32_e32 v2, 0
	s_waitcnt lgkmcnt(0)
	; wave barrier
	ds_read_b128 v[16:19], v2 offset:944
	ds_read_b128 v[12:15], v2 offset:960
	;; [unrolled: 1-line block ×4, first 2 shown]
	scratch_load_dwordx4 v[20:23], off, off offset:288
	scratch_load_dwordx4 v[40:43], off, off offset:352
	;; [unrolled: 1-line block ×19, first 2 shown]
	v_cmp_lt_u32_e32 vcc, 15, v240
	scratch_load_dwordx4 v[48:51], off, off offset:368
	scratch_load_dwordx4 v[56:59], off, off offset:384
	;; [unrolled: 1-line block ×3, first 2 shown]
	s_waitcnt vmcnt(21) lgkmcnt(3)
	v_mul_f64 v[24:25], v[16:17], v[22:23]
	v_fmac_f64_e32 v[24:25], v[18:19], v[20:21]
	v_add_f64 v[28:29], v[24:25], 0
	scratch_load_dwordx4 v[24:27], off, off offset:304
	v_mul_f64 v[18:19], v[18:19], v[22:23]
	v_fma_f64 v[16:17], v[16:17], v[20:21], -v[18:19]
	v_add_f64 v[16:17], v[16:17], 0
	s_waitcnt vmcnt(0) lgkmcnt(2)
	v_mul_f64 v[30:31], v[12:13], v[26:27]
	v_fmac_f64_e32 v[30:31], v[14:15], v[24:25]
	v_add_f64 v[32:33], v[28:29], v[30:31]
	scratch_load_dwordx4 v[28:31], off, off offset:320
	v_mul_f64 v[14:15], v[14:15], v[26:27]
	v_fma_f64 v[12:13], v[12:13], v[24:25], -v[14:15]
	v_add_f64 v[12:13], v[16:17], v[12:13]
	;; [unrolled: 8-line block ×3, first 2 shown]
	s_waitcnt vmcnt(0) lgkmcnt(0)
	v_mul_f64 v[38:39], v[4:5], v[34:35]
	v_fmac_f64_e32 v[38:39], v[6:7], v[32:33]
	v_add_f64 v[44:45], v[36:37], v[38:39]
	ds_read_b128 v[36:39], v2 offset:1008
	v_mul_f64 v[6:7], v[6:7], v[34:35]
	v_fma_f64 v[4:5], v[4:5], v[32:33], -v[6:7]
	v_add_f64 v[4:5], v[8:9], v[4:5]
	s_waitcnt lgkmcnt(0)
	v_mul_f64 v[46:47], v[36:37], v[42:43]
	v_fmac_f64_e32 v[46:47], v[38:39], v[40:41]
	v_add_f64 v[52:53], v[44:45], v[46:47]
	ds_read_b128 v[44:47], v2 offset:1024
	v_mul_f64 v[6:7], v[38:39], v[42:43]
	v_fma_f64 v[6:7], v[36:37], v[40:41], -v[6:7]
	v_add_f64 v[4:5], v[4:5], v[6:7]
	s_waitcnt lgkmcnt(0)
	;; [unrolled: 8-line block ×21, first 2 shown]
	v_mul_f64 v[6:7], v[200:201], v[204:205]
	v_fma_f64 v[6:7], v[198:199], v[202:203], -v[6:7]
	v_add_f64 v[8:9], v[4:5], v[6:7]
	scratch_load_dwordx4 v[4:7], off, off offset:272
	v_mul_f64 v[206:207], v[198:199], v[204:205]
	v_fmac_f64_e32 v[206:207], v[200:201], v[202:203]
	v_add_f64 v[144:145], v[144:145], v[206:207]
	s_waitcnt vmcnt(0)
	v_add_f64 v[4:5], v[4:5], -v[8:9]
	v_add_f64 v[6:7], v[6:7], -v[144:145]
	scratch_store_dwordx4 off, v[4:7], off offset:272
	s_and_saveexec_b64 s[0:1], vcc
	s_cbranch_execz .LBB105_235
; %bb.234:
	scratch_load_dwordx4 v[6:9], off, s43
	v_mov_b32_e32 v3, v2
	v_mov_b32_e32 v4, v2
	;; [unrolled: 1-line block ×3, first 2 shown]
	v_accvgpr_read_b32 v0, a85
	scratch_store_dwordx4 off, v[2:5], off offset:256
	s_waitcnt vmcnt(1)
	ds_write_b128 v0, v[6:9]
.LBB105_235:
	s_or_b64 exec, exec, s[0:1]
	s_waitcnt lgkmcnt(0)
	; wave barrier
	ds_read_b128 v[16:19], v2 offset:928
	ds_read_b128 v[12:15], v2 offset:944
	;; [unrolled: 1-line block ×4, first 2 shown]
	scratch_load_dwordx4 v[20:23], off, off offset:272
	scratch_load_dwordx4 v[40:43], off, off offset:336
	;; [unrolled: 1-line block ×20, first 2 shown]
	v_cmp_lt_u32_e32 vcc, 14, v240
	scratch_load_dwordx4 v[48:51], off, off offset:352
	scratch_load_dwordx4 v[56:59], off, off offset:368
	scratch_load_dwordx4 v[64:67], off, off offset:384
	s_waitcnt vmcnt(22) lgkmcnt(3)
	v_mul_f64 v[24:25], v[16:17], v[22:23]
	v_fmac_f64_e32 v[24:25], v[18:19], v[20:21]
	v_add_f64 v[28:29], v[24:25], 0
	scratch_load_dwordx4 v[24:27], off, off offset:288
	s_waitcnt vmcnt(0) lgkmcnt(2)
	v_mul_f64 v[30:31], v[12:13], v[26:27]
	v_fmac_f64_e32 v[30:31], v[14:15], v[24:25]
	v_add_f64 v[32:33], v[28:29], v[30:31]
	scratch_load_dwordx4 v[28:31], off, off offset:304
	v_mul_f64 v[14:15], v[14:15], v[26:27]
	v_fma_f64 v[12:13], v[12:13], v[24:25], -v[14:15]
	s_waitcnt vmcnt(0) lgkmcnt(1)
	v_mul_f64 v[34:35], v[8:9], v[30:31]
	v_fmac_f64_e32 v[34:35], v[10:11], v[28:29]
	v_add_f64 v[36:37], v[32:33], v[34:35]
	scratch_load_dwordx4 v[32:35], off, off offset:320
	v_mul_f64 v[10:11], v[10:11], v[30:31]
	v_fma_f64 v[8:9], v[8:9], v[28:29], -v[10:11]
	s_waitcnt vmcnt(0) lgkmcnt(0)
	v_mul_f64 v[38:39], v[4:5], v[34:35]
	v_fmac_f64_e32 v[38:39], v[6:7], v[32:33]
	v_add_f64 v[44:45], v[36:37], v[38:39]
	ds_read_b128 v[36:39], v2 offset:992
	v_mul_f64 v[6:7], v[6:7], v[34:35]
	v_fma_f64 v[4:5], v[4:5], v[32:33], -v[6:7]
	s_waitcnt lgkmcnt(0)
	v_mul_f64 v[46:47], v[36:37], v[42:43]
	v_fmac_f64_e32 v[46:47], v[38:39], v[40:41]
	v_add_f64 v[52:53], v[44:45], v[46:47]
	ds_read_b128 v[44:47], v2 offset:1008
	s_waitcnt lgkmcnt(0)
	v_mul_f64 v[54:55], v[44:45], v[50:51]
	v_fmac_f64_e32 v[54:55], v[46:47], v[48:49]
	v_add_f64 v[60:61], v[52:53], v[54:55]
	ds_read_b128 v[52:55], v2 offset:1024
	s_waitcnt lgkmcnt(0)
	v_mul_f64 v[62:63], v[52:53], v[58:59]
	v_fmac_f64_e32 v[62:63], v[54:55], v[56:57]
	v_add_f64 v[68:69], v[60:61], v[62:63]
	ds_read_b128 v[60:63], v2 offset:1040
	s_waitcnt lgkmcnt(0)
	v_mul_f64 v[70:71], v[60:61], v[66:67]
	v_fmac_f64_e32 v[70:71], v[62:63], v[64:65]
	v_add_f64 v[76:77], v[68:69], v[70:71]
	ds_read_b128 v[68:71], v2 offset:1056
	s_waitcnt lgkmcnt(0)
	v_mul_f64 v[78:79], v[68:69], v[74:75]
	v_fmac_f64_e32 v[78:79], v[70:71], v[72:73]
	v_add_f64 v[84:85], v[76:77], v[78:79]
	ds_read_b128 v[76:79], v2 offset:1072
	s_waitcnt lgkmcnt(0)
	v_mul_f64 v[86:87], v[76:77], v[82:83]
	v_fmac_f64_e32 v[86:87], v[78:79], v[80:81]
	v_add_f64 v[92:93], v[84:85], v[86:87]
	ds_read_b128 v[84:87], v2 offset:1088
	s_waitcnt lgkmcnt(0)
	v_mul_f64 v[94:95], v[84:85], v[90:91]
	v_fmac_f64_e32 v[94:95], v[86:87], v[88:89]
	v_add_f64 v[100:101], v[92:93], v[94:95]
	ds_read_b128 v[92:95], v2 offset:1104
	s_waitcnt lgkmcnt(0)
	v_mul_f64 v[102:103], v[92:93], v[98:99]
	v_fmac_f64_e32 v[102:103], v[94:95], v[96:97]
	v_add_f64 v[108:109], v[100:101], v[102:103]
	ds_read_b128 v[100:103], v2 offset:1120
	s_waitcnt lgkmcnt(0)
	v_mul_f64 v[110:111], v[100:101], v[106:107]
	v_fmac_f64_e32 v[110:111], v[102:103], v[104:105]
	v_add_f64 v[116:117], v[108:109], v[110:111]
	ds_read_b128 v[108:111], v2 offset:1136
	s_waitcnt lgkmcnt(0)
	v_mul_f64 v[118:119], v[108:109], v[114:115]
	v_fmac_f64_e32 v[118:119], v[110:111], v[112:113]
	v_add_f64 v[124:125], v[116:117], v[118:119]
	ds_read_b128 v[116:119], v2 offset:1152
	s_waitcnt lgkmcnt(0)
	v_mul_f64 v[126:127], v[116:117], v[122:123]
	v_fmac_f64_e32 v[126:127], v[118:119], v[120:121]
	v_add_f64 v[132:133], v[124:125], v[126:127]
	ds_read_b128 v[124:127], v2 offset:1168
	s_waitcnt lgkmcnt(0)
	v_mul_f64 v[134:135], v[124:125], v[130:131]
	v_fmac_f64_e32 v[134:135], v[126:127], v[128:129]
	v_add_f64 v[140:141], v[132:133], v[134:135]
	ds_read_b128 v[132:135], v2 offset:1184
	s_waitcnt lgkmcnt(0)
	v_mul_f64 v[142:143], v[132:133], v[138:139]
	v_fmac_f64_e32 v[142:143], v[134:135], v[136:137]
	v_add_f64 v[148:149], v[140:141], v[142:143]
	ds_read_b128 v[140:143], v2 offset:1200
	s_waitcnt lgkmcnt(0)
	v_mul_f64 v[150:151], v[140:141], v[146:147]
	v_fmac_f64_e32 v[150:151], v[142:143], v[144:145]
	v_add_f64 v[156:157], v[148:149], v[150:151]
	ds_read_b128 v[148:151], v2 offset:1216
	s_waitcnt lgkmcnt(0)
	v_mul_f64 v[158:159], v[148:149], v[154:155]
	v_fmac_f64_e32 v[158:159], v[150:151], v[152:153]
	v_add_f64 v[164:165], v[156:157], v[158:159]
	ds_read_b128 v[156:159], v2 offset:1232
	s_waitcnt lgkmcnt(0)
	v_mul_f64 v[166:167], v[156:157], v[162:163]
	v_fmac_f64_e32 v[166:167], v[158:159], v[160:161]
	v_add_f64 v[168:169], v[164:165], v[166:167]
	ds_read_b128 v[164:167], v2 offset:1248
	s_waitcnt lgkmcnt(0)
	v_mul_f64 v[174:175], v[164:165], v[172:173]
	v_fmac_f64_e32 v[174:175], v[166:167], v[170:171]
	v_add_f64 v[168:169], v[168:169], v[174:175]
	ds_read_b128 v[174:177], v2 offset:1264
	s_waitcnt lgkmcnt(0)
	v_mul_f64 v[182:183], v[174:175], v[180:181]
	v_fmac_f64_e32 v[182:183], v[176:177], v[178:179]
	v_add_f64 v[168:169], v[168:169], v[182:183]
	ds_read_b128 v[182:185], v2 offset:1280
	s_waitcnt lgkmcnt(0)
	v_mul_f64 v[190:191], v[182:183], v[188:189]
	v_fmac_f64_e32 v[190:191], v[184:185], v[186:187]
	v_add_f64 v[168:169], v[168:169], v[190:191]
	ds_read_b128 v[190:193], v2 offset:1296
	s_waitcnt lgkmcnt(0)
	v_mul_f64 v[198:199], v[190:191], v[196:197]
	v_fmac_f64_e32 v[198:199], v[192:193], v[194:195]
	v_add_f64 v[168:169], v[168:169], v[198:199]
	ds_read_b128 v[198:201], v2 offset:1312
	s_waitcnt lgkmcnt(0)
	v_mul_f64 v[206:207], v[198:199], v[204:205]
	v_fmac_f64_e32 v[206:207], v[200:201], v[202:203]
	v_add_f64 v[168:169], v[168:169], v[206:207]
	ds_read_b128 v[206:209], v2 offset:1328
	s_waitcnt lgkmcnt(0)
	v_mul_f64 v[2:3], v[206:207], v[212:213]
	v_fmac_f64_e32 v[2:3], v[208:209], v[210:211]
	v_add_f64 v[168:169], v[168:169], v[2:3]
	v_mul_f64 v[2:3], v[18:19], v[22:23]
	v_fma_f64 v[2:3], v[16:17], v[20:21], -v[2:3]
	v_add_f64 v[2:3], v[2:3], 0
	v_add_f64 v[2:3], v[2:3], v[12:13]
	;; [unrolled: 1-line block ×4, first 2 shown]
	v_mul_f64 v[4:5], v[38:39], v[42:43]
	v_fma_f64 v[4:5], v[36:37], v[40:41], -v[4:5]
	v_add_f64 v[2:3], v[2:3], v[4:5]
	v_mul_f64 v[4:5], v[46:47], v[50:51]
	v_fma_f64 v[4:5], v[44:45], v[48:49], -v[4:5]
	v_add_f64 v[2:3], v[2:3], v[4:5]
	;; [unrolled: 3-line block ×22, first 2 shown]
	scratch_load_dwordx4 v[2:5], off, off offset:256
	s_waitcnt vmcnt(0)
	v_add_f64 v[2:3], v[2:3], -v[6:7]
	v_add_f64 v[4:5], v[4:5], -v[168:169]
	scratch_store_dwordx4 off, v[2:5], off offset:256
	s_and_saveexec_b64 s[0:1], vcc
	s_cbranch_execz .LBB105_237
; %bb.236:
	scratch_load_dwordx4 v[2:5], off, s44
	v_mov_b32_e32 v6, 0
	v_mov_b32_e32 v7, v6
	;; [unrolled: 1-line block ×4, first 2 shown]
	v_accvgpr_read_b32 v0, a85
	scratch_store_dwordx4 off, v[6:9], off offset:240
	s_waitcnt vmcnt(1)
	ds_write_b128 v0, v[2:5]
.LBB105_237:
	s_or_b64 exec, exec, s[0:1]
	v_mov_b32_e32 v2, 0
	s_waitcnt lgkmcnt(0)
	; wave barrier
	ds_read_b128 v[16:19], v2 offset:912
	ds_read_b128 v[12:15], v2 offset:928
	;; [unrolled: 1-line block ×4, first 2 shown]
	scratch_load_dwordx4 v[20:23], off, off offset:256
	scratch_load_dwordx4 v[40:43], off, off offset:320
	;; [unrolled: 1-line block ×21, first 2 shown]
	v_cmp_lt_u32_e32 vcc, 13, v240
	scratch_load_dwordx4 v[48:51], off, off offset:336
	scratch_load_dwordx4 v[56:59], off, off offset:352
	;; [unrolled: 1-line block ×3, first 2 shown]
	s_waitcnt vmcnt(23) lgkmcnt(3)
	v_mul_f64 v[24:25], v[16:17], v[22:23]
	v_fmac_f64_e32 v[24:25], v[18:19], v[20:21]
	v_add_f64 v[28:29], v[24:25], 0
	scratch_load_dwordx4 v[24:27], off, off offset:272
	v_mul_f64 v[18:19], v[18:19], v[22:23]
	v_fma_f64 v[16:17], v[16:17], v[20:21], -v[18:19]
	v_add_f64 v[16:17], v[16:17], 0
	s_waitcnt vmcnt(0) lgkmcnt(2)
	v_mul_f64 v[30:31], v[12:13], v[26:27]
	v_fmac_f64_e32 v[30:31], v[14:15], v[24:25]
	v_add_f64 v[32:33], v[28:29], v[30:31]
	scratch_load_dwordx4 v[28:31], off, off offset:288
	v_mul_f64 v[14:15], v[14:15], v[26:27]
	v_fma_f64 v[12:13], v[12:13], v[24:25], -v[14:15]
	v_add_f64 v[12:13], v[16:17], v[12:13]
	;; [unrolled: 8-line block ×3, first 2 shown]
	s_waitcnt vmcnt(0) lgkmcnt(0)
	v_mul_f64 v[38:39], v[4:5], v[34:35]
	v_fmac_f64_e32 v[38:39], v[6:7], v[32:33]
	v_add_f64 v[44:45], v[36:37], v[38:39]
	ds_read_b128 v[36:39], v2 offset:976
	v_mul_f64 v[6:7], v[6:7], v[34:35]
	v_fma_f64 v[4:5], v[4:5], v[32:33], -v[6:7]
	v_add_f64 v[4:5], v[8:9], v[4:5]
	s_waitcnt lgkmcnt(0)
	v_mul_f64 v[46:47], v[36:37], v[42:43]
	v_fmac_f64_e32 v[46:47], v[38:39], v[40:41]
	v_add_f64 v[52:53], v[44:45], v[46:47]
	ds_read_b128 v[44:47], v2 offset:992
	v_mul_f64 v[6:7], v[38:39], v[42:43]
	v_fma_f64 v[6:7], v[36:37], v[40:41], -v[6:7]
	v_add_f64 v[4:5], v[4:5], v[6:7]
	s_waitcnt lgkmcnt(0)
	;; [unrolled: 8-line block ×23, first 2 shown]
	v_mul_f64 v[6:7], v[216:217], v[220:221]
	v_fma_f64 v[6:7], v[214:215], v[218:219], -v[6:7]
	v_add_f64 v[8:9], v[4:5], v[6:7]
	scratch_load_dwordx4 v[4:7], off, off offset:240
	v_mul_f64 v[222:223], v[214:215], v[220:221]
	v_fmac_f64_e32 v[222:223], v[216:217], v[218:219]
	v_add_f64 v[160:161], v[160:161], v[222:223]
	s_waitcnt vmcnt(0)
	v_add_f64 v[4:5], v[4:5], -v[8:9]
	v_add_f64 v[6:7], v[6:7], -v[160:161]
	scratch_store_dwordx4 off, v[4:7], off offset:240
	s_and_saveexec_b64 s[0:1], vcc
	s_cbranch_execz .LBB105_239
; %bb.238:
	scratch_load_dwordx4 v[6:9], off, s45
	v_mov_b32_e32 v3, v2
	v_mov_b32_e32 v4, v2
	;; [unrolled: 1-line block ×3, first 2 shown]
	v_accvgpr_read_b32 v0, a85
	scratch_store_dwordx4 off, v[2:5], off offset:224
	s_waitcnt vmcnt(1)
	ds_write_b128 v0, v[6:9]
.LBB105_239:
	s_or_b64 exec, exec, s[0:1]
	s_waitcnt lgkmcnt(0)
	; wave barrier
	ds_read_b128 v[16:19], v2 offset:896
	ds_read_b128 v[12:15], v2 offset:912
	;; [unrolled: 1-line block ×4, first 2 shown]
	scratch_load_dwordx4 v[20:23], off, off offset:240
	scratch_load_dwordx4 v[40:43], off, off offset:304
	;; [unrolled: 1-line block ×22, first 2 shown]
	v_cmp_lt_u32_e32 vcc, 12, v240
	scratch_load_dwordx4 v[48:51], off, off offset:320
	scratch_load_dwordx4 v[56:59], off, off offset:336
	;; [unrolled: 1-line block ×3, first 2 shown]
	s_waitcnt vmcnt(24) lgkmcnt(3)
	v_mul_f64 v[24:25], v[16:17], v[22:23]
	v_fmac_f64_e32 v[24:25], v[18:19], v[20:21]
	v_add_f64 v[28:29], v[24:25], 0
	scratch_load_dwordx4 v[24:27], off, off offset:256
	s_waitcnt vmcnt(0) lgkmcnt(2)
	v_mul_f64 v[30:31], v[12:13], v[26:27]
	v_fmac_f64_e32 v[30:31], v[14:15], v[24:25]
	v_add_f64 v[32:33], v[28:29], v[30:31]
	scratch_load_dwordx4 v[28:31], off, off offset:272
	v_mul_f64 v[14:15], v[14:15], v[26:27]
	v_fma_f64 v[12:13], v[12:13], v[24:25], -v[14:15]
	s_waitcnt vmcnt(0) lgkmcnt(1)
	v_mul_f64 v[34:35], v[8:9], v[30:31]
	v_fmac_f64_e32 v[34:35], v[10:11], v[28:29]
	v_add_f64 v[36:37], v[32:33], v[34:35]
	scratch_load_dwordx4 v[32:35], off, off offset:288
	v_mul_f64 v[10:11], v[10:11], v[30:31]
	v_fma_f64 v[8:9], v[8:9], v[28:29], -v[10:11]
	s_waitcnt vmcnt(0) lgkmcnt(0)
	v_mul_f64 v[38:39], v[4:5], v[34:35]
	v_fmac_f64_e32 v[38:39], v[6:7], v[32:33]
	v_add_f64 v[44:45], v[36:37], v[38:39]
	ds_read_b128 v[36:39], v2 offset:960
	v_mul_f64 v[6:7], v[6:7], v[34:35]
	v_fma_f64 v[4:5], v[4:5], v[32:33], -v[6:7]
	s_waitcnt lgkmcnt(0)
	v_mul_f64 v[46:47], v[36:37], v[42:43]
	v_fmac_f64_e32 v[46:47], v[38:39], v[40:41]
	v_add_f64 v[52:53], v[44:45], v[46:47]
	ds_read_b128 v[44:47], v2 offset:976
	s_waitcnt lgkmcnt(0)
	v_mul_f64 v[54:55], v[44:45], v[50:51]
	v_fmac_f64_e32 v[54:55], v[46:47], v[48:49]
	v_add_f64 v[60:61], v[52:53], v[54:55]
	ds_read_b128 v[52:55], v2 offset:992
	;; [unrolled: 5-line block ×23, first 2 shown]
	s_waitcnt lgkmcnt(0)
	v_mul_f64 v[2:3], v[222:223], v[228:229]
	v_fmac_f64_e32 v[2:3], v[224:225], v[226:227]
	v_add_f64 v[176:177], v[176:177], v[2:3]
	v_mul_f64 v[2:3], v[18:19], v[22:23]
	v_fma_f64 v[2:3], v[16:17], v[20:21], -v[2:3]
	v_add_f64 v[2:3], v[2:3], 0
	v_add_f64 v[2:3], v[2:3], v[12:13]
	;; [unrolled: 1-line block ×4, first 2 shown]
	v_mul_f64 v[4:5], v[38:39], v[42:43]
	v_fma_f64 v[4:5], v[36:37], v[40:41], -v[4:5]
	v_add_f64 v[2:3], v[2:3], v[4:5]
	v_mul_f64 v[4:5], v[46:47], v[50:51]
	v_fma_f64 v[4:5], v[44:45], v[48:49], -v[4:5]
	v_add_f64 v[2:3], v[2:3], v[4:5]
	;; [unrolled: 3-line block ×24, first 2 shown]
	scratch_load_dwordx4 v[2:5], off, off offset:224
	s_waitcnt vmcnt(0)
	v_add_f64 v[2:3], v[2:3], -v[6:7]
	v_add_f64 v[4:5], v[4:5], -v[176:177]
	scratch_store_dwordx4 off, v[2:5], off offset:224
	s_and_saveexec_b64 s[0:1], vcc
	s_cbranch_execz .LBB105_241
; %bb.240:
	scratch_load_dwordx4 v[2:5], off, s46
	v_mov_b32_e32 v6, 0
	v_mov_b32_e32 v7, v6
	;; [unrolled: 1-line block ×4, first 2 shown]
	v_accvgpr_read_b32 v0, a85
	scratch_store_dwordx4 off, v[6:9], off offset:208
	s_waitcnt vmcnt(1)
	ds_write_b128 v0, v[2:5]
.LBB105_241:
	s_or_b64 exec, exec, s[0:1]
	v_mov_b32_e32 v2, 0
	s_waitcnt lgkmcnt(0)
	; wave barrier
	ds_read_b128 v[16:19], v2 offset:880
	ds_read_b128 v[12:15], v2 offset:896
	;; [unrolled: 1-line block ×4, first 2 shown]
	scratch_load_dwordx4 v[20:23], off, off offset:224
	scratch_load_dwordx4 v[40:43], off, off offset:288
	;; [unrolled: 1-line block ×23, first 2 shown]
	v_cmp_lt_u32_e32 vcc, 11, v240
	scratch_load_dwordx4 v[48:51], off, off offset:304
	scratch_load_dwordx4 v[56:59], off, off offset:320
	;; [unrolled: 1-line block ×3, first 2 shown]
	s_waitcnt vmcnt(25) lgkmcnt(3)
	v_mul_f64 v[24:25], v[16:17], v[22:23]
	v_fmac_f64_e32 v[24:25], v[18:19], v[20:21]
	v_add_f64 v[28:29], v[24:25], 0
	scratch_load_dwordx4 v[24:27], off, off offset:240
	v_mul_f64 v[18:19], v[18:19], v[22:23]
	v_fma_f64 v[16:17], v[16:17], v[20:21], -v[18:19]
	v_add_f64 v[16:17], v[16:17], 0
	s_waitcnt vmcnt(0) lgkmcnt(2)
	v_mul_f64 v[30:31], v[12:13], v[26:27]
	v_fmac_f64_e32 v[30:31], v[14:15], v[24:25]
	v_add_f64 v[32:33], v[28:29], v[30:31]
	scratch_load_dwordx4 v[28:31], off, off offset:256
	v_mul_f64 v[14:15], v[14:15], v[26:27]
	v_fma_f64 v[12:13], v[12:13], v[24:25], -v[14:15]
	v_add_f64 v[12:13], v[16:17], v[12:13]
	;; [unrolled: 8-line block ×3, first 2 shown]
	s_waitcnt vmcnt(0) lgkmcnt(0)
	v_mul_f64 v[38:39], v[4:5], v[34:35]
	v_fmac_f64_e32 v[38:39], v[6:7], v[32:33]
	v_add_f64 v[44:45], v[36:37], v[38:39]
	ds_read_b128 v[36:39], v2 offset:944
	v_mul_f64 v[6:7], v[6:7], v[34:35]
	v_fma_f64 v[4:5], v[4:5], v[32:33], -v[6:7]
	v_add_f64 v[4:5], v[8:9], v[4:5]
	s_waitcnt lgkmcnt(0)
	v_mul_f64 v[46:47], v[36:37], v[42:43]
	v_fmac_f64_e32 v[46:47], v[38:39], v[40:41]
	v_add_f64 v[52:53], v[44:45], v[46:47]
	ds_read_b128 v[44:47], v2 offset:960
	v_mul_f64 v[6:7], v[38:39], v[42:43]
	v_fma_f64 v[6:7], v[36:37], v[40:41], -v[6:7]
	v_add_f64 v[4:5], v[4:5], v[6:7]
	s_waitcnt lgkmcnt(0)
	;; [unrolled: 8-line block ×25, first 2 shown]
	v_mul_f64 v[6:7], v[232:233], v[236:237]
	v_fma_f64 v[6:7], v[230:231], v[234:235], -v[6:7]
	v_add_f64 v[8:9], v[4:5], v[6:7]
	scratch_load_dwordx4 v[4:7], off, off offset:208
	v_mul_f64 v[238:239], v[230:231], v[236:237]
	v_fmac_f64_e32 v[238:239], v[232:233], v[234:235]
	v_add_f64 v[176:177], v[176:177], v[238:239]
	s_waitcnt vmcnt(0)
	v_add_f64 v[4:5], v[4:5], -v[8:9]
	v_add_f64 v[6:7], v[6:7], -v[176:177]
	scratch_store_dwordx4 off, v[4:7], off offset:208
	s_and_saveexec_b64 s[0:1], vcc
	s_cbranch_execz .LBB105_243
; %bb.242:
	scratch_load_dwordx4 v[6:9], off, s47
	v_mov_b32_e32 v3, v2
	v_mov_b32_e32 v4, v2
	;; [unrolled: 1-line block ×3, first 2 shown]
	v_accvgpr_read_b32 v0, a85
	scratch_store_dwordx4 off, v[2:5], off offset:192
	s_waitcnt vmcnt(1)
	ds_write_b128 v0, v[6:9]
.LBB105_243:
	s_or_b64 exec, exec, s[0:1]
	s_waitcnt lgkmcnt(0)
	; wave barrier
	ds_read_b128 v[16:19], v2 offset:864
	ds_read_b128 v[12:15], v2 offset:880
	;; [unrolled: 1-line block ×4, first 2 shown]
	scratch_load_dwordx4 v[20:23], off, off offset:208
	scratch_load_dwordx4 v[40:43], off, off offset:272
	;; [unrolled: 1-line block ×24, first 2 shown]
	v_cmp_lt_u32_e32 vcc, 10, v240
	scratch_load_dwordx4 v[48:51], off, off offset:288
	scratch_load_dwordx4 v[56:59], off, off offset:304
	;; [unrolled: 1-line block ×3, first 2 shown]
	ds_read_b128 v[242:245], v2 offset:1328
	s_waitcnt vmcnt(26) lgkmcnt(4)
	v_mul_f64 v[24:25], v[16:17], v[22:23]
	v_fmac_f64_e32 v[24:25], v[18:19], v[20:21]
	v_add_f64 v[28:29], v[24:25], 0
	scratch_load_dwordx4 v[24:27], off, off offset:224
	s_waitcnt vmcnt(0) lgkmcnt(3)
	v_mul_f64 v[30:31], v[12:13], v[26:27]
	v_fmac_f64_e32 v[30:31], v[14:15], v[24:25]
	v_add_f64 v[32:33], v[28:29], v[30:31]
	scratch_load_dwordx4 v[28:31], off, off offset:240
	v_mul_f64 v[14:15], v[14:15], v[26:27]
	v_fma_f64 v[12:13], v[12:13], v[24:25], -v[14:15]
	s_waitcnt vmcnt(0) lgkmcnt(2)
	v_mul_f64 v[34:35], v[8:9], v[30:31]
	v_fmac_f64_e32 v[34:35], v[10:11], v[28:29]
	v_add_f64 v[36:37], v[32:33], v[34:35]
	scratch_load_dwordx4 v[32:35], off, off offset:256
	v_mul_f64 v[10:11], v[10:11], v[30:31]
	v_fma_f64 v[8:9], v[8:9], v[28:29], -v[10:11]
	s_waitcnt vmcnt(0) lgkmcnt(1)
	v_mul_f64 v[38:39], v[4:5], v[34:35]
	v_fmac_f64_e32 v[38:39], v[6:7], v[32:33]
	v_add_f64 v[44:45], v[36:37], v[38:39]
	ds_read_b128 v[36:39], v2 offset:928
	v_mul_f64 v[6:7], v[6:7], v[34:35]
	v_fma_f64 v[4:5], v[4:5], v[32:33], -v[6:7]
	s_waitcnt lgkmcnt(0)
	v_mul_f64 v[46:47], v[36:37], v[42:43]
	v_fmac_f64_e32 v[46:47], v[38:39], v[40:41]
	v_add_f64 v[52:53], v[44:45], v[46:47]
	ds_read_b128 v[44:47], v2 offset:944
	s_waitcnt lgkmcnt(0)
	v_mul_f64 v[54:55], v[44:45], v[50:51]
	v_fmac_f64_e32 v[54:55], v[46:47], v[48:49]
	v_add_f64 v[60:61], v[52:53], v[54:55]
	ds_read_b128 v[52:55], v2 offset:960
	;; [unrolled: 5-line block ×24, first 2 shown]
	v_mul_f64 v[2:3], v[242:243], v[248:249]
	v_fmac_f64_e32 v[2:3], v[244:245], v[246:247]
	s_waitcnt lgkmcnt(0)
	v_mul_f64 v[238:239], v[230:231], v[236:237]
	v_fmac_f64_e32 v[238:239], v[232:233], v[234:235]
	v_add_f64 v[184:185], v[184:185], v[238:239]
	v_add_f64 v[184:185], v[184:185], v[2:3]
	v_mul_f64 v[2:3], v[18:19], v[22:23]
	v_fma_f64 v[2:3], v[16:17], v[20:21], -v[2:3]
	v_add_f64 v[2:3], v[2:3], 0
	v_add_f64 v[2:3], v[2:3], v[12:13]
	;; [unrolled: 1-line block ×4, first 2 shown]
	v_mul_f64 v[4:5], v[38:39], v[42:43]
	v_fma_f64 v[4:5], v[36:37], v[40:41], -v[4:5]
	v_add_f64 v[2:3], v[2:3], v[4:5]
	v_mul_f64 v[4:5], v[46:47], v[50:51]
	v_fma_f64 v[4:5], v[44:45], v[48:49], -v[4:5]
	v_add_f64 v[2:3], v[2:3], v[4:5]
	v_mul_f64 v[4:5], v[54:55], v[58:59]
	v_fma_f64 v[4:5], v[52:53], v[56:57], -v[4:5]
	v_add_f64 v[2:3], v[2:3], v[4:5]
	v_mul_f64 v[4:5], v[62:63], v[66:67]
	v_fma_f64 v[4:5], v[60:61], v[64:65], -v[4:5]
	v_add_f64 v[2:3], v[2:3], v[4:5]
	v_mul_f64 v[4:5], v[70:71], v[74:75]
	v_fma_f64 v[4:5], v[68:69], v[72:73], -v[4:5]
	v_add_f64 v[2:3], v[2:3], v[4:5]
	v_mul_f64 v[4:5], v[78:79], v[82:83]
	v_fma_f64 v[4:5], v[76:77], v[80:81], -v[4:5]
	v_add_f64 v[2:3], v[2:3], v[4:5]
	v_mul_f64 v[4:5], v[86:87], v[90:91]
	v_fma_f64 v[4:5], v[84:85], v[88:89], -v[4:5]
	v_add_f64 v[2:3], v[2:3], v[4:5]
	v_mul_f64 v[4:5], v[94:95], v[98:99]
	v_fma_f64 v[4:5], v[92:93], v[96:97], -v[4:5]
	v_add_f64 v[2:3], v[2:3], v[4:5]
	v_mul_f64 v[4:5], v[102:103], v[106:107]
	v_fma_f64 v[4:5], v[100:101], v[104:105], -v[4:5]
	v_add_f64 v[2:3], v[2:3], v[4:5]
	v_mul_f64 v[4:5], v[110:111], v[114:115]
	v_fma_f64 v[4:5], v[108:109], v[112:113], -v[4:5]
	v_add_f64 v[2:3], v[2:3], v[4:5]
	v_mul_f64 v[4:5], v[118:119], v[122:123]
	v_fma_f64 v[4:5], v[116:117], v[120:121], -v[4:5]
	v_add_f64 v[2:3], v[2:3], v[4:5]
	v_mul_f64 v[4:5], v[126:127], v[130:131]
	v_fma_f64 v[4:5], v[124:125], v[128:129], -v[4:5]
	v_add_f64 v[2:3], v[2:3], v[4:5]
	v_mul_f64 v[4:5], v[134:135], v[138:139]
	v_fma_f64 v[4:5], v[132:133], v[136:137], -v[4:5]
	v_add_f64 v[2:3], v[2:3], v[4:5]
	v_mul_f64 v[4:5], v[142:143], v[146:147]
	v_fma_f64 v[4:5], v[140:141], v[144:145], -v[4:5]
	v_add_f64 v[2:3], v[2:3], v[4:5]
	v_mul_f64 v[4:5], v[150:151], v[154:155]
	v_fma_f64 v[4:5], v[148:149], v[152:153], -v[4:5]
	v_add_f64 v[2:3], v[2:3], v[4:5]
	v_mul_f64 v[4:5], v[158:159], v[162:163]
	v_fma_f64 v[4:5], v[156:157], v[160:161], -v[4:5]
	v_add_f64 v[2:3], v[2:3], v[4:5]
	v_mul_f64 v[4:5], v[166:167], v[170:171]
	v_fma_f64 v[4:5], v[164:165], v[168:169], -v[4:5]
	v_add_f64 v[2:3], v[2:3], v[4:5]
	v_mul_f64 v[4:5], v[174:175], v[178:179]
	v_fma_f64 v[4:5], v[172:173], v[176:177], -v[4:5]
	v_add_f64 v[2:3], v[2:3], v[4:5]
	v_mul_f64 v[4:5], v[182:183], v[188:189]
	v_fma_f64 v[4:5], v[180:181], v[186:187], -v[4:5]
	v_add_f64 v[2:3], v[2:3], v[4:5]
	v_mul_f64 v[4:5], v[192:193], v[196:197]
	v_fma_f64 v[4:5], v[190:191], v[194:195], -v[4:5]
	v_add_f64 v[2:3], v[2:3], v[4:5]
	v_mul_f64 v[4:5], v[200:201], v[204:205]
	v_fma_f64 v[4:5], v[198:199], v[202:203], -v[4:5]
	v_add_f64 v[2:3], v[2:3], v[4:5]
	v_mul_f64 v[4:5], v[208:209], v[212:213]
	v_fma_f64 v[4:5], v[206:207], v[210:211], -v[4:5]
	v_add_f64 v[2:3], v[2:3], v[4:5]
	v_mul_f64 v[4:5], v[216:217], v[220:221]
	v_fma_f64 v[4:5], v[214:215], v[218:219], -v[4:5]
	v_add_f64 v[2:3], v[2:3], v[4:5]
	v_mul_f64 v[4:5], v[224:225], v[228:229]
	v_fma_f64 v[4:5], v[222:223], v[226:227], -v[4:5]
	v_add_f64 v[2:3], v[2:3], v[4:5]
	v_mul_f64 v[4:5], v[232:233], v[236:237]
	v_fma_f64 v[4:5], v[230:231], v[234:235], -v[4:5]
	v_add_f64 v[2:3], v[2:3], v[4:5]
	v_mul_f64 v[4:5], v[244:245], v[248:249]
	v_fma_f64 v[4:5], v[242:243], v[246:247], -v[4:5]
	v_add_f64 v[6:7], v[2:3], v[4:5]
	scratch_load_dwordx4 v[2:5], off, off offset:192
	s_waitcnt vmcnt(0)
	v_add_f64 v[2:3], v[2:3], -v[6:7]
	v_add_f64 v[4:5], v[4:5], -v[184:185]
	scratch_store_dwordx4 off, v[2:5], off offset:192
	s_and_saveexec_b64 s[0:1], vcc
	s_cbranch_execz .LBB105_245
; %bb.244:
	scratch_load_dwordx4 v[2:5], off, s48
	v_mov_b32_e32 v6, 0
	v_mov_b32_e32 v7, v6
	;; [unrolled: 1-line block ×4, first 2 shown]
	v_accvgpr_read_b32 v0, a85
	scratch_store_dwordx4 off, v[6:9], off offset:176
	s_waitcnt vmcnt(1)
	ds_write_b128 v0, v[2:5]
.LBB105_245:
	s_or_b64 exec, exec, s[0:1]
	s_waitcnt lgkmcnt(0)
	; wave barrier
	scratch_load_dwordx4 v[16:19], off, off offset:192
	scratch_load_dwordx4 v[12:15], off, off offset:208
	;; [unrolled: 1-line block ×32, first 2 shown]
	v_mov_b32_e32 v2, 0
	ds_read_b128 v[132:135], v2 offset:848
	ds_read_b128 v[136:139], v2 offset:864
	;; [unrolled: 1-line block ×17, first 2 shown]
	v_cmp_lt_u32_e32 vcc, 9, v240
	s_waitcnt vmcnt(31) lgkmcnt(14)
	v_mul_f64 v[200:201], v[132:133], v[18:19]
	s_waitcnt vmcnt(30)
	v_mul_f64 v[202:203], v[136:137], v[14:15]
	v_fmac_f64_e32 v[200:201], v[134:135], v[16:17]
	s_waitcnt vmcnt(29)
	v_mul_f64 v[204:205], v[140:141], v[10:11]
	v_fmac_f64_e32 v[202:203], v[138:139], v[12:13]
	v_add_f64 v[200:201], v[200:201], 0
	s_waitcnt vmcnt(28) lgkmcnt(13)
	v_mul_f64 v[206:207], v[144:145], v[6:7]
	v_fmac_f64_e32 v[204:205], v[142:143], v[8:9]
	v_add_f64 v[200:201], v[200:201], v[202:203]
	s_waitcnt vmcnt(27) lgkmcnt(12)
	;; [unrolled: 4-line block ×12, first 2 shown]
	v_mul_f64 v[228:229], v[188:189], v[62:63]
	v_fmac_f64_e32 v[226:227], v[186:187], v[56:57]
	v_add_f64 v[200:201], v[200:201], v[224:225]
	v_fmac_f64_e32 v[228:229], v[190:191], v[60:61]
	v_add_f64 v[200:201], v[200:201], v[226:227]
	s_waitcnt vmcnt(16) lgkmcnt(1)
	v_mul_f64 v[202:203], v[192:193], v[66:67]
	v_add_f64 v[200:201], v[200:201], v[228:229]
	v_fmac_f64_e32 v[202:203], v[194:195], v[64:65]
	s_waitcnt vmcnt(15) lgkmcnt(0)
	v_mul_f64 v[206:207], v[196:197], v[70:71]
	v_add_f64 v[204:205], v[200:201], v[202:203]
	ds_read_b128 v[200:203], v2 offset:1120
	v_fmac_f64_e32 v[206:207], v[198:199], v[68:69]
	v_add_f64 v[208:209], v[204:205], v[206:207]
	ds_read_b128 v[204:207], v2 offset:1136
	v_mul_f64 v[18:19], v[134:135], v[18:19]
	s_waitcnt vmcnt(14) lgkmcnt(1)
	v_mul_f64 v[210:211], v[200:201], v[74:75]
	v_fmac_f64_e32 v[210:211], v[202:203], v[72:73]
	v_add_f64 v[212:213], v[208:209], v[210:211]
	s_waitcnt vmcnt(13) lgkmcnt(0)
	v_mul_f64 v[214:215], v[204:205], v[78:79]
	ds_read_b128 v[208:211], v2 offset:1152
	v_fmac_f64_e32 v[214:215], v[206:207], v[76:77]
	v_add_f64 v[216:217], v[212:213], v[214:215]
	ds_read_b128 v[212:215], v2 offset:1168
	v_fma_f64 v[244:245], v[132:133], v[16:17], -v[18:19]
	s_waitcnt vmcnt(12) lgkmcnt(1)
	v_mul_f64 v[218:219], v[208:209], v[82:83]
	v_fmac_f64_e32 v[218:219], v[210:211], v[80:81]
	v_add_f64 v[220:221], v[216:217], v[218:219]
	s_waitcnt vmcnt(11) lgkmcnt(0)
	v_mul_f64 v[222:223], v[212:213], v[86:87]
	ds_read_b128 v[216:219], v2 offset:1184
	v_fmac_f64_e32 v[222:223], v[214:215], v[84:85]
	v_add_f64 v[224:225], v[220:221], v[222:223]
	ds_read_b128 v[220:223], v2 offset:1200
	ds_read_b128 v[16:19], v2 offset:1280
	s_waitcnt vmcnt(10) lgkmcnt(2)
	v_mul_f64 v[226:227], v[216:217], v[90:91]
	v_fmac_f64_e32 v[226:227], v[218:219], v[88:89]
	v_add_f64 v[228:229], v[224:225], v[226:227]
	s_waitcnt vmcnt(9) lgkmcnt(1)
	v_mul_f64 v[230:231], v[220:221], v[94:95]
	ds_read_b128 v[224:227], v2 offset:1216
	v_fmac_f64_e32 v[230:231], v[222:223], v[92:93]
	v_add_f64 v[232:233], v[228:229], v[230:231]
	ds_read_b128 v[228:231], v2 offset:1232
	v_mul_f64 v[14:15], v[138:139], v[14:15]
	s_waitcnt vmcnt(8) lgkmcnt(1)
	v_mul_f64 v[234:235], v[224:225], v[98:99]
	v_fmac_f64_e32 v[234:235], v[226:227], v[96:97]
	v_add_f64 v[236:237], v[232:233], v[234:235]
	s_waitcnt vmcnt(7) lgkmcnt(0)
	v_mul_f64 v[238:239], v[228:229], v[102:103]
	ds_read_b128 v[232:235], v2 offset:1248
	v_fmac_f64_e32 v[238:239], v[230:231], v[100:101]
	v_add_f64 v[242:243], v[236:237], v[238:239]
	ds_read_b128 v[236:239], v2 offset:1264
	v_fma_f64 v[136:137], v[136:137], v[12:13], -v[14:15]
	s_waitcnt vmcnt(6) lgkmcnt(1)
	v_mul_f64 v[132:133], v[232:233], v[106:107]
	v_fmac_f64_e32 v[132:133], v[234:235], v[104:105]
	v_add_f64 v[132:133], v[242:243], v[132:133]
	s_waitcnt vmcnt(5) lgkmcnt(0)
	v_mul_f64 v[134:135], v[236:237], v[110:111]
	v_fmac_f64_e32 v[134:135], v[238:239], v[108:109]
	v_add_f64 v[132:133], v[132:133], v[134:135]
	ds_read_b128 v[12:15], v2 offset:1296
	s_waitcnt vmcnt(4)
	v_mul_f64 v[134:135], v[16:17], v[114:115]
	v_fmac_f64_e32 v[134:135], v[18:19], v[112:113]
	v_add_f64 v[138:139], v[132:133], v[134:135]
	ds_read_b128 v[132:135], v2 offset:1312
	v_mul_f64 v[10:11], v[142:143], v[10:11]
	v_fma_f64 v[140:141], v[140:141], v[8:9], -v[10:11]
	ds_read_b128 v[8:11], v2 offset:1328
	s_waitcnt vmcnt(3) lgkmcnt(2)
	v_mul_f64 v[142:143], v[12:13], v[118:119]
	v_fmac_f64_e32 v[142:143], v[14:15], v[116:117]
	v_add_f64 v[138:139], v[138:139], v[142:143]
	s_waitcnt vmcnt(2) lgkmcnt(1)
	v_mul_f64 v[142:143], v[132:133], v[122:123]
	v_fmac_f64_e32 v[142:143], v[134:135], v[120:121]
	v_add_f64 v[138:139], v[138:139], v[142:143]
	;; [unrolled: 4-line block ×3, first 2 shown]
	v_add_f64 v[142:143], v[244:245], 0
	v_add_f64 v[136:137], v[142:143], v[136:137]
	v_mul_f64 v[6:7], v[146:147], v[6:7]
	v_add_f64 v[136:137], v[136:137], v[140:141]
	v_fma_f64 v[4:5], v[144:145], v[4:5], -v[6:7]
	v_mul_f64 v[6:7], v[150:151], v[22:23]
	v_add_f64 v[4:5], v[136:137], v[4:5]
	v_fma_f64 v[6:7], v[148:149], v[20:21], -v[6:7]
	v_add_f64 v[4:5], v[4:5], v[6:7]
	v_mul_f64 v[6:7], v[154:155], v[26:27]
	v_fma_f64 v[6:7], v[152:153], v[24:25], -v[6:7]
	v_add_f64 v[4:5], v[4:5], v[6:7]
	v_mul_f64 v[6:7], v[158:159], v[30:31]
	;; [unrolled: 3-line block ×26, first 2 shown]
	v_fma_f64 v[6:7], v[8:9], v[124:125], -v[6:7]
	v_add_f64 v[4:5], v[4:5], v[6:7]
	s_waitcnt vmcnt(0)
	v_add_f64 v[4:5], v[128:129], -v[4:5]
	v_add_f64 v[6:7], v[130:131], -v[138:139]
	scratch_store_dwordx4 off, v[4:7], off offset:176
	s_and_saveexec_b64 s[0:1], vcc
	s_cbranch_execz .LBB105_247
; %bb.246:
	scratch_load_dwordx4 v[6:9], off, s49
	v_mov_b32_e32 v3, v2
	v_mov_b32_e32 v4, v2
	v_mov_b32_e32 v5, v2
	v_accvgpr_read_b32 v0, a85
	scratch_store_dwordx4 off, v[2:5], off offset:160
	s_waitcnt vmcnt(1)
	ds_write_b128 v0, v[6:9]
.LBB105_247:
	s_or_b64 exec, exec, s[0:1]
	s_waitcnt lgkmcnt(0)
	; wave barrier
	scratch_load_dwordx4 v[140:143], off, off offset:176
	scratch_load_dwordx4 v[148:151], off, off offset:192
	;; [unrolled: 1-line block ×16, first 2 shown]
	ds_read_b128 v[188:191], v2 offset:832
	ds_read_b128 v[184:187], v2 offset:848
	scratch_load_dwordx4 v[56:59], off, off offset:432
	ds_read_b128 v[192:195], v2 offset:864
	ds_read_b128 v[68:71], v2 offset:880
	scratch_load_dwordx4 v[60:63], off, off offset:448
	ds_read_b128 v[88:91], v2 offset:896
	ds_read_b128 v[84:87], v2 offset:912
	;; [unrolled: 1-line block ×4, first 2 shown]
	scratch_load_dwordx4 v[64:67], off, off offset:464
	ds_read_b128 v[100:103], v2 offset:960
	ds_read_b128 v[96:99], v2 offset:976
	scratch_load_dwordx4 v[72:75], off, off offset:480
	ds_read_b128 v[116:119], v2 offset:992
	ds_read_b128 v[112:115], v2 offset:1008
	;; [unrolled: 1-line block ×4, first 2 shown]
	scratch_load_dwordx4 v[92:95], off, off offset:496
	ds_read_b128 v[132:135], v2 offset:1056
	ds_read_b128 v[128:131], v2 offset:1072
	;; [unrolled: 1-line block ×3, first 2 shown]
	scratch_load_dwordx4 v[120:123], off, off offset:512
	scratch_load_dwordx4 v[136:139], off, off offset:528
	;; [unrolled: 1-line block ×11, first 2 shown]
	v_cmp_lt_u32_e32 vcc, 8, v240
	s_waitcnt vmcnt(31) lgkmcnt(14)
	v_mul_f64 v[200:201], v[188:189], v[142:143]
	s_waitcnt vmcnt(30)
	v_mul_f64 v[202:203], v[184:185], v[150:151]
	v_fmac_f64_e32 v[200:201], v[190:191], v[140:141]
	s_waitcnt vmcnt(29)
	v_mul_f64 v[204:205], v[192:193], v[154:155]
	v_fmac_f64_e32 v[202:203], v[186:187], v[148:149]
	v_add_f64 v[200:201], v[200:201], 0
	s_waitcnt vmcnt(28) lgkmcnt(13)
	v_mul_f64 v[206:207], v[68:69], v[6:7]
	v_fmac_f64_e32 v[204:205], v[194:195], v[152:153]
	v_add_f64 v[200:201], v[200:201], v[202:203]
	s_waitcnt vmcnt(27) lgkmcnt(12)
	;; [unrolled: 4-line block ×13, first 2 shown]
	v_mul_f64 v[230:231], v[128:129], v[54:55]
	v_fmac_f64_e32 v[228:229], v[134:135], v[48:49]
	v_add_f64 v[200:201], v[200:201], v[226:227]
	v_add_f64 v[200:201], v[200:201], v[228:229]
	v_fmac_f64_e32 v[230:231], v[130:131], v[52:53]
	v_add_f64 v[204:205], v[200:201], v[230:231]
	ds_read_b128 v[200:203], v2 offset:1104
	s_waitcnt vmcnt(15) lgkmcnt(1)
	v_mul_f64 v[206:207], v[124:125], v[58:59]
	v_fmac_f64_e32 v[206:207], v[126:127], v[56:57]
	v_add_f64 v[208:209], v[204:205], v[206:207]
	ds_read_b128 v[204:207], v2 offset:1120
	s_waitcnt vmcnt(14) lgkmcnt(1)
	v_mul_f64 v[210:211], v[200:201], v[62:63]
	v_fmac_f64_e32 v[210:211], v[202:203], v[60:61]
	v_add_f64 v[212:213], v[208:209], v[210:211]
	ds_read_b128 v[208:211], v2 offset:1136
	s_waitcnt vmcnt(13) lgkmcnt(1)
	v_mul_f64 v[214:215], v[204:205], v[66:67]
	v_fmac_f64_e32 v[214:215], v[206:207], v[64:65]
	v_add_f64 v[216:217], v[212:213], v[214:215]
	ds_read_b128 v[212:215], v2 offset:1152
	s_waitcnt vmcnt(12) lgkmcnt(1)
	v_mul_f64 v[218:219], v[208:209], v[74:75]
	v_fmac_f64_e32 v[218:219], v[210:211], v[72:73]
	v_add_f64 v[220:221], v[216:217], v[218:219]
	ds_read_b128 v[216:219], v2 offset:1168
	s_waitcnt vmcnt(11) lgkmcnt(1)
	v_mul_f64 v[222:223], v[212:213], v[94:95]
	v_fmac_f64_e32 v[222:223], v[214:215], v[92:93]
	v_add_f64 v[224:225], v[220:221], v[222:223]
	ds_read_b128 v[220:223], v2 offset:1184
	s_waitcnt vmcnt(10) lgkmcnt(1)
	v_mul_f64 v[226:227], v[216:217], v[122:123]
	v_fmac_f64_e32 v[226:227], v[218:219], v[120:121]
	v_add_f64 v[228:229], v[224:225], v[226:227]
	ds_read_b128 v[224:227], v2 offset:1200
	s_waitcnt vmcnt(9) lgkmcnt(1)
	v_mul_f64 v[230:231], v[220:221], v[138:139]
	v_fmac_f64_e32 v[230:231], v[222:223], v[136:137]
	v_add_f64 v[232:233], v[228:229], v[230:231]
	ds_read_b128 v[228:231], v2 offset:1216
	s_waitcnt vmcnt(8) lgkmcnt(1)
	v_mul_f64 v[234:235], v[224:225], v[146:147]
	v_fmac_f64_e32 v[234:235], v[226:227], v[144:145]
	v_add_f64 v[236:237], v[232:233], v[234:235]
	ds_read_b128 v[232:235], v2 offset:1232
	s_waitcnt vmcnt(7) lgkmcnt(1)
	v_mul_f64 v[238:239], v[228:229], v[158:159]
	v_fmac_f64_e32 v[238:239], v[230:231], v[156:157]
	v_add_f64 v[242:243], v[236:237], v[238:239]
	ds_read_b128 v[236:239], v2 offset:1248
	s_waitcnt vmcnt(6) lgkmcnt(1)
	v_mul_f64 v[244:245], v[232:233], v[162:163]
	v_fmac_f64_e32 v[244:245], v[234:235], v[160:161]
	v_mul_f64 v[142:143], v[190:191], v[142:143]
	v_add_f64 v[244:245], v[242:243], v[244:245]
	v_fma_f64 v[242:243], v[188:189], v[140:141], -v[142:143]
	ds_read_b128 v[140:143], v2 offset:1264
	s_waitcnt vmcnt(5) lgkmcnt(1)
	v_mul_f64 v[188:189], v[236:237], v[166:167]
	v_fmac_f64_e32 v[188:189], v[238:239], v[164:165]
	v_mul_f64 v[150:151], v[186:187], v[150:151]
	v_add_f64 v[188:189], v[244:245], v[188:189]
	v_fma_f64 v[244:245], v[184:185], v[148:149], -v[150:151]
	ds_read_b128 v[148:151], v2 offset:1280
	s_waitcnt vmcnt(4) lgkmcnt(1)
	v_mul_f64 v[184:185], v[140:141], v[170:171]
	v_fmac_f64_e32 v[184:185], v[142:143], v[168:169]
	v_add_f64 v[188:189], v[188:189], v[184:185]
	ds_read_b128 v[184:187], v2 offset:1296
	v_mul_f64 v[154:155], v[194:195], v[154:155]
	s_waitcnt vmcnt(3) lgkmcnt(1)
	v_mul_f64 v[190:191], v[148:149], v[174:175]
	v_fma_f64 v[248:249], v[192:193], v[152:153], -v[154:155]
	ds_read_b128 v[152:155], v2 offset:1312
	v_fmac_f64_e32 v[190:191], v[150:151], v[172:173]
	v_add_f64 v[246:247], v[188:189], v[190:191]
	ds_read_b128 v[188:191], v2 offset:1328
	s_waitcnt vmcnt(2) lgkmcnt(2)
	v_mul_f64 v[192:193], v[184:185], v[178:179]
	v_fmac_f64_e32 v[192:193], v[186:187], v[176:177]
	v_add_f64 v[2:3], v[246:247], v[192:193]
	s_waitcnt vmcnt(1) lgkmcnt(1)
	v_mul_f64 v[192:193], v[152:153], v[182:183]
	v_fmac_f64_e32 v[192:193], v[154:155], v[180:181]
	v_add_f64 v[2:3], v[2:3], v[192:193]
	;; [unrolled: 4-line block ×3, first 2 shown]
	scratch_load_dwordx4 v[192:195], off, off offset:160
	v_add_f64 v[242:243], v[242:243], 0
	v_add_f64 v[242:243], v[242:243], v[244:245]
	v_mul_f64 v[6:7], v[70:71], v[6:7]
	v_add_f64 v[242:243], v[242:243], v[248:249]
	v_fma_f64 v[4:5], v[68:69], v[4:5], -v[6:7]
	v_mul_f64 v[6:7], v[90:91], v[10:11]
	v_add_f64 v[4:5], v[242:243], v[4:5]
	v_fma_f64 v[6:7], v[88:89], v[8:9], -v[6:7]
	v_add_f64 v[4:5], v[4:5], v[6:7]
	v_mul_f64 v[6:7], v[86:87], v[14:15]
	v_fma_f64 v[6:7], v[84:85], v[12:13], -v[6:7]
	v_add_f64 v[4:5], v[4:5], v[6:7]
	v_mul_f64 v[6:7], v[82:83], v[18:19]
	;; [unrolled: 3-line block ×27, first 2 shown]
	v_fma_f64 v[6:7], v[188:189], v[196:197], -v[6:7]
	v_add_f64 v[4:5], v[4:5], v[6:7]
	s_waitcnt vmcnt(0)
	v_add_f64 v[4:5], v[192:193], -v[4:5]
	v_add_f64 v[6:7], v[194:195], -v[2:3]
	scratch_store_dwordx4 off, v[4:7], off offset:160
	s_and_saveexec_b64 s[0:1], vcc
	s_cbranch_execz .LBB105_249
; %bb.248:
	scratch_load_dwordx4 v[2:5], off, s50
	v_mov_b32_e32 v6, 0
	v_mov_b32_e32 v7, v6
	;; [unrolled: 1-line block ×4, first 2 shown]
	v_accvgpr_read_b32 v0, a85
	scratch_store_dwordx4 off, v[6:9], off offset:144
	s_waitcnt vmcnt(1)
	ds_write_b128 v0, v[2:5]
.LBB105_249:
	s_or_b64 exec, exec, s[0:1]
	s_waitcnt lgkmcnt(0)
	; wave barrier
	scratch_load_dwordx4 v[108:111], off, off offset:160
	scratch_load_dwordx4 v[116:119], off, off offset:176
	;; [unrolled: 1-line block ×33, first 2 shown]
	v_mov_b32_e32 v2, 0
	ds_read_b128 v[220:223], v2 offset:816
	ds_read_b128 v[224:227], v2 offset:832
	;; [unrolled: 1-line block ×16, first 2 shown]
	v_cmp_lt_u32_e32 vcc, 7, v240
	s_waitcnt vmcnt(32) lgkmcnt(14)
	v_mul_f64 v[180:181], v[220:221], v[110:111]
	s_waitcnt vmcnt(31)
	v_mul_f64 v[182:183], v[224:225], v[118:119]
	v_fmac_f64_e32 v[180:181], v[222:223], v[108:109]
	s_waitcnt vmcnt(30) lgkmcnt(13)
	v_mul_f64 v[184:185], v[234:235], v[122:123]
	v_fmac_f64_e32 v[182:183], v[226:227], v[116:117]
	v_add_f64 v[180:181], v[180:181], 0
	s_waitcnt vmcnt(29) lgkmcnt(12)
	v_mul_f64 v[186:187], v[242:243], v[126:127]
	v_fmac_f64_e32 v[184:185], v[236:237], v[120:121]
	v_add_f64 v[180:181], v[180:181], v[182:183]
	;; [unrolled: 4-line block ×13, first 2 shown]
	v_fmac_f64_e32 v[208:209], v[142:143], v[40:41]
	v_add_f64 v[180:181], v[180:181], v[206:207]
	v_add_f64 v[184:185], v[180:181], v[208:209]
	ds_read_b128 v[180:183], v2 offset:1072
	s_waitcnt vmcnt(17) lgkmcnt(1)
	v_mul_f64 v[186:187], v[136:137], v[46:47]
	v_fmac_f64_e32 v[186:187], v[138:139], v[44:45]
	v_add_f64 v[188:189], v[184:185], v[186:187]
	ds_read_b128 v[184:187], v2 offset:1088
	s_waitcnt vmcnt(16) lgkmcnt(1)
	v_mul_f64 v[190:191], v[180:181], v[50:51]
	v_fmac_f64_e32 v[190:191], v[182:183], v[48:49]
	;; [unrolled: 5-line block ×10, first 2 shown]
	v_mul_f64 v[110:111], v[222:223], v[110:111]
	v_add_f64 v[228:229], v[228:229], v[230:231]
	v_fma_f64 v[230:231], v[220:221], v[108:109], -v[110:111]
	ds_read_b128 v[108:111], v2 offset:1232
	s_waitcnt vmcnt(7) lgkmcnt(1)
	v_mul_f64 v[220:221], v[216:217], v[86:87]
	v_mul_f64 v[118:119], v[226:227], v[118:119]
	v_fmac_f64_e32 v[220:221], v[218:219], v[84:85]
	v_fma_f64 v[232:233], v[224:225], v[116:117], -v[118:119]
	ds_read_b128 v[116:119], v2 offset:1248
	s_waitcnt vmcnt(6) lgkmcnt(1)
	v_mul_f64 v[222:223], v[108:109], v[90:91]
	v_add_f64 v[220:221], v[228:229], v[220:221]
	v_fmac_f64_e32 v[222:223], v[110:111], v[88:89]
	v_add_f64 v[224:225], v[220:221], v[222:223]
	ds_read_b128 v[220:223], v2 offset:1264
	v_mul_f64 v[122:123], v[236:237], v[122:123]
	v_fma_f64 v[234:235], v[234:235], v[120:121], -v[122:123]
	ds_read_b128 v[120:123], v2 offset:1280
	s_waitcnt vmcnt(5) lgkmcnt(2)
	v_mul_f64 v[226:227], v[116:117], v[94:95]
	v_fmac_f64_e32 v[226:227], v[118:119], v[92:93]
	v_mul_f64 v[126:127], v[244:245], v[126:127]
	v_add_f64 v[224:225], v[224:225], v[226:227]
	s_waitcnt vmcnt(4) lgkmcnt(1)
	v_mul_f64 v[226:227], v[220:221], v[98:99]
	v_fma_f64 v[236:237], v[242:243], v[124:125], -v[126:127]
	ds_read_b128 v[124:127], v2 offset:1296
	v_fmac_f64_e32 v[226:227], v[222:223], v[96:97]
	v_add_f64 v[228:229], v[224:225], v[226:227]
	s_waitcnt vmcnt(3) lgkmcnt(1)
	v_mul_f64 v[238:239], v[120:121], v[102:103]
	ds_read_b128 v[224:227], v2 offset:1312
	v_fmac_f64_e32 v[238:239], v[122:123], v[100:101]
	v_mul_f64 v[130:131], v[248:249], v[130:131]
	v_add_f64 v[228:229], v[228:229], v[238:239]
	v_fma_f64 v[238:239], v[246:247], v[128:129], -v[130:131]
	ds_read_b128 v[128:131], v2 offset:1328
	s_waitcnt vmcnt(2) lgkmcnt(2)
	v_mul_f64 v[242:243], v[124:125], v[106:107]
	v_fmac_f64_e32 v[242:243], v[126:127], v[104:105]
	v_add_f64 v[228:229], v[228:229], v[242:243]
	s_waitcnt vmcnt(1) lgkmcnt(1)
	v_mul_f64 v[242:243], v[224:225], v[114:115]
	v_fmac_f64_e32 v[242:243], v[226:227], v[112:113]
	v_add_f64 v[228:229], v[228:229], v[242:243]
	;; [unrolled: 4-line block ×3, first 2 shown]
	scratch_load_dwordx4 v[242:245], off, off offset:144
	v_add_f64 v[230:231], v[230:231], 0
	v_add_f64 v[230:231], v[230:231], v[232:233]
	;; [unrolled: 1-line block ×4, first 2 shown]
	v_mul_f64 v[6:7], v[178:179], v[6:7]
	v_add_f64 v[230:231], v[230:231], v[238:239]
	v_fma_f64 v[4:5], v[176:177], v[4:5], -v[6:7]
	v_mul_f64 v[6:7], v[174:175], v[10:11]
	v_add_f64 v[4:5], v[230:231], v[4:5]
	v_fma_f64 v[6:7], v[172:173], v[8:9], -v[6:7]
	v_add_f64 v[4:5], v[4:5], v[6:7]
	v_mul_f64 v[6:7], v[170:171], v[14:15]
	v_fma_f64 v[6:7], v[168:169], v[12:13], -v[6:7]
	v_add_f64 v[4:5], v[4:5], v[6:7]
	v_mul_f64 v[6:7], v[166:167], v[18:19]
	;; [unrolled: 3-line block ×26, first 2 shown]
	v_fma_f64 v[6:7], v[128:129], v[132:133], -v[6:7]
	v_add_f64 v[4:5], v[4:5], v[6:7]
	s_waitcnt vmcnt(0)
	v_add_f64 v[4:5], v[242:243], -v[4:5]
	v_add_f64 v[6:7], v[244:245], -v[228:229]
	scratch_store_dwordx4 off, v[4:7], off offset:144
	s_and_saveexec_b64 s[0:1], vcc
	s_cbranch_execz .LBB105_251
; %bb.250:
	scratch_load_dwordx4 v[6:9], off, s51
	v_mov_b32_e32 v3, v2
	v_mov_b32_e32 v4, v2
	;; [unrolled: 1-line block ×3, first 2 shown]
	v_accvgpr_read_b32 v0, a85
	scratch_store_dwordx4 off, v[2:5], off offset:128
	s_waitcnt vmcnt(1)
	ds_write_b128 v0, v[6:9]
.LBB105_251:
	s_or_b64 exec, exec, s[0:1]
	s_waitcnt lgkmcnt(0)
	; wave barrier
	scratch_load_dwordx4 v[144:147], off, off offset:144
	scratch_load_dwordx4 v[152:155], off, off offset:160
	;; [unrolled: 1-line block ×16, first 2 shown]
	ds_read_b128 v[196:199], v2 offset:800
	ds_read_b128 v[188:191], v2 offset:816
	ds_read_b128 v[180:183], v2 offset:832
	scratch_load_dwordx4 v[48:51], off, off offset:400
	ds_read_b128 v[192:195], v2 offset:848
	ds_read_b128 v[184:187], v2 offset:864
	ds_read_b128 v[64:67], v2 offset:880
	scratch_load_dwordx4 v[52:55], off, off offset:416
	;; [unrolled: 4-line block ×5, first 2 shown]
	ds_read_b128 v[116:119], v2 offset:1040
	ds_read_b128 v[112:115], v2 offset:1056
	scratch_load_dwordx4 v[108:111], off, off offset:480
	scratch_load_dwordx4 v[120:123], off, off offset:496
	;; [unrolled: 1-line block ×12, first 2 shown]
	v_cmp_lt_u32_e32 vcc, 6, v240
	s_waitcnt vmcnt(32) lgkmcnt(14)
	v_mul_f64 v[204:205], v[196:197], v[146:147]
	s_waitcnt vmcnt(31)
	v_mul_f64 v[206:207], v[188:189], v[154:155]
	v_fmac_f64_e32 v[204:205], v[198:199], v[144:145]
	s_waitcnt vmcnt(30)
	v_mul_f64 v[208:209], v[180:181], v[158:159]
	v_fmac_f64_e32 v[206:207], v[190:191], v[152:153]
	v_add_f64 v[204:205], v[204:205], 0
	s_waitcnt vmcnt(29) lgkmcnt(13)
	v_mul_f64 v[210:211], v[192:193], v[162:163]
	v_fmac_f64_e32 v[208:209], v[182:183], v[156:157]
	v_add_f64 v[204:205], v[204:205], v[206:207]
	s_waitcnt vmcnt(28) lgkmcnt(12)
	;; [unrolled: 4-line block ×12, first 2 shown]
	v_mul_f64 v[232:233], v[96:97], v[42:43]
	v_fmac_f64_e32 v[230:231], v[102:103], v[36:37]
	v_add_f64 v[204:205], v[204:205], v[228:229]
	v_fmac_f64_e32 v[232:233], v[98:99], v[40:41]
	v_add_f64 v[204:205], v[204:205], v[230:231]
	s_waitcnt vmcnt(17) lgkmcnt(1)
	v_mul_f64 v[206:207], v[116:117], v[46:47]
	v_add_f64 v[204:205], v[204:205], v[232:233]
	v_fmac_f64_e32 v[206:207], v[118:119], v[44:45]
	s_waitcnt vmcnt(16) lgkmcnt(0)
	v_mul_f64 v[210:211], v[112:113], v[50:51]
	v_add_f64 v[208:209], v[204:205], v[206:207]
	ds_read_b128 v[204:207], v2 offset:1072
	v_fmac_f64_e32 v[210:211], v[114:115], v[48:49]
	v_add_f64 v[212:213], v[208:209], v[210:211]
	ds_read_b128 v[208:211], v2 offset:1088
	v_mul_f64 v[146:147], v[198:199], v[146:147]
	s_waitcnt vmcnt(15) lgkmcnt(1)
	v_mul_f64 v[214:215], v[204:205], v[54:55]
	v_fmac_f64_e32 v[214:215], v[206:207], v[52:53]
	v_add_f64 v[216:217], v[212:213], v[214:215]
	s_waitcnt vmcnt(14) lgkmcnt(0)
	v_mul_f64 v[218:219], v[208:209], v[58:59]
	ds_read_b128 v[212:215], v2 offset:1104
	v_fmac_f64_e32 v[218:219], v[210:211], v[56:57]
	v_add_f64 v[220:221], v[216:217], v[218:219]
	ds_read_b128 v[216:219], v2 offset:1120
	v_mul_f64 v[154:155], v[190:191], v[154:155]
	s_waitcnt vmcnt(13) lgkmcnt(1)
	v_mul_f64 v[222:223], v[212:213], v[62:63]
	v_fmac_f64_e32 v[222:223], v[214:215], v[60:61]
	v_add_f64 v[224:225], v[220:221], v[222:223]
	s_waitcnt vmcnt(12) lgkmcnt(0)
	v_mul_f64 v[226:227], v[216:217], v[94:95]
	ds_read_b128 v[220:223], v2 offset:1136
	v_fmac_f64_e32 v[226:227], v[218:219], v[92:93]
	v_add_f64 v[228:229], v[224:225], v[226:227]
	ds_read_b128 v[224:227], v2 offset:1152
	v_fma_f64 v[246:247], v[188:189], v[152:153], -v[154:155]
	s_waitcnt vmcnt(11) lgkmcnt(1)
	v_mul_f64 v[230:231], v[220:221], v[110:111]
	v_fmac_f64_e32 v[230:231], v[222:223], v[108:109]
	v_add_f64 v[232:233], v[228:229], v[230:231]
	s_waitcnt vmcnt(10) lgkmcnt(0)
	v_mul_f64 v[234:235], v[224:225], v[122:123]
	ds_read_b128 v[228:231], v2 offset:1168
	v_fmac_f64_e32 v[234:235], v[226:227], v[120:121]
	v_add_f64 v[236:237], v[232:233], v[234:235]
	ds_read_b128 v[232:235], v2 offset:1184
	ds_read_b128 v[152:155], v2 offset:1232
	s_waitcnt vmcnt(9) lgkmcnt(2)
	v_mul_f64 v[238:239], v[228:229], v[126:127]
	v_fmac_f64_e32 v[238:239], v[230:231], v[124:125]
	v_add_f64 v[242:243], v[236:237], v[238:239]
	s_waitcnt vmcnt(8) lgkmcnt(1)
	v_mul_f64 v[244:245], v[232:233], v[130:131]
	ds_read_b128 v[236:239], v2 offset:1200
	v_fmac_f64_e32 v[244:245], v[234:235], v[128:129]
	v_add_f64 v[242:243], v[242:243], v[244:245]
	v_fma_f64 v[244:245], v[196:197], v[144:145], -v[146:147]
	ds_read_b128 v[144:147], v2 offset:1216
	s_waitcnt vmcnt(7) lgkmcnt(1)
	v_mul_f64 v[196:197], v[236:237], v[134:135]
	v_fmac_f64_e32 v[196:197], v[238:239], v[132:133]
	v_add_f64 v[188:189], v[242:243], v[196:197]
	v_mul_f64 v[158:159], v[182:183], v[158:159]
	s_waitcnt vmcnt(6) lgkmcnt(0)
	v_mul_f64 v[190:191], v[144:145], v[138:139]
	v_fmac_f64_e32 v[190:191], v[146:147], v[136:137]
	v_add_f64 v[196:197], v[188:189], v[190:191]
	ds_read_b128 v[188:191], v2 offset:1248
	v_fma_f64 v[242:243], v[180:181], v[156:157], -v[158:159]
	ds_read_b128 v[156:159], v2 offset:1264
	s_waitcnt vmcnt(5)
	v_mul_f64 v[198:199], v[152:153], v[142:143]
	v_fmac_f64_e32 v[198:199], v[154:155], v[140:141]
	s_waitcnt vmcnt(4) lgkmcnt(1)
	v_mul_f64 v[180:181], v[188:189], v[150:151]
	v_add_f64 v[196:197], v[196:197], v[198:199]
	v_fmac_f64_e32 v[180:181], v[190:191], v[148:149]
	v_mul_f64 v[162:163], v[194:195], v[162:163]
	v_add_f64 v[198:199], v[196:197], v[180:181]
	v_fma_f64 v[196:197], v[192:193], v[160:161], -v[162:163]
	ds_read_b128 v[160:163], v2 offset:1280
	s_waitcnt vmcnt(3) lgkmcnt(1)
	v_mul_f64 v[192:193], v[156:157], v[166:167]
	ds_read_b128 v[180:183], v2 offset:1296
	v_fmac_f64_e32 v[192:193], v[158:159], v[164:165]
	v_mul_f64 v[170:171], v[186:187], v[170:171]
	v_add_f64 v[192:193], v[198:199], v[192:193]
	v_fma_f64 v[198:199], v[184:185], v[168:169], -v[170:171]
	ds_read_b128 v[168:171], v2 offset:1312
	s_waitcnt vmcnt(2) lgkmcnt(2)
	v_mul_f64 v[184:185], v[160:161], v[174:175]
	v_fmac_f64_e32 v[184:185], v[162:163], v[172:173]
	s_waitcnt vmcnt(1) lgkmcnt(1)
	v_mul_f64 v[186:187], v[180:181], v[178:179]
	v_add_f64 v[184:185], v[192:193], v[184:185]
	v_fmac_f64_e32 v[186:187], v[182:183], v[176:177]
	v_add_f64 v[184:185], v[184:185], v[186:187]
	s_waitcnt vmcnt(0) lgkmcnt(0)
	v_mul_f64 v[186:187], v[168:169], v[202:203]
	v_fmac_f64_e32 v[186:187], v[170:171], v[200:201]
	v_add_f64 v[248:249], v[184:185], v[186:187]
	scratch_load_dwordx4 v[184:187], off, off offset:672
	v_add_f64 v[244:245], v[244:245], 0
	v_add_f64 v[244:245], v[244:245], v[246:247]
	;; [unrolled: 1-line block ×3, first 2 shown]
	scratch_load_dwordx4 v[244:247], off, off offset:128
	v_add_f64 v[196:197], v[242:243], v[196:197]
	v_mul_f64 v[6:7], v[66:67], v[6:7]
	v_add_f64 v[196:197], v[196:197], v[198:199]
	v_fma_f64 v[4:5], v[64:65], v[4:5], -v[6:7]
	v_mul_f64 v[6:7], v[78:79], v[10:11]
	v_add_f64 v[4:5], v[196:197], v[4:5]
	v_fma_f64 v[6:7], v[76:77], v[8:9], -v[6:7]
	v_add_f64 v[4:5], v[4:5], v[6:7]
	v_mul_f64 v[6:7], v[74:75], v[14:15]
	v_fma_f64 v[6:7], v[72:73], v[12:13], -v[6:7]
	v_add_f64 v[4:5], v[4:5], v[6:7]
	v_mul_f64 v[6:7], v[70:71], v[18:19]
	v_fma_f64 v[6:7], v[68:69], v[16:17], -v[6:7]
	v_add_f64 v[4:5], v[4:5], v[6:7]
	v_mul_f64 v[6:7], v[90:91], v[22:23]
	v_fma_f64 v[6:7], v[88:89], v[20:21], -v[6:7]
	v_add_f64 v[4:5], v[4:5], v[6:7]
	v_mul_f64 v[6:7], v[86:87], v[26:27]
	v_fma_f64 v[6:7], v[84:85], v[24:25], -v[6:7]
	v_add_f64 v[4:5], v[4:5], v[6:7]
	v_mul_f64 v[6:7], v[82:83], v[30:31]
	v_fma_f64 v[6:7], v[80:81], v[28:29], -v[6:7]
	v_add_f64 v[4:5], v[4:5], v[6:7]
	v_mul_f64 v[6:7], v[106:107], v[34:35]
	v_fma_f64 v[6:7], v[104:105], v[32:33], -v[6:7]
	v_add_f64 v[4:5], v[4:5], v[6:7]
	v_mul_f64 v[6:7], v[102:103], v[38:39]
	v_fma_f64 v[6:7], v[100:101], v[36:37], -v[6:7]
	v_add_f64 v[4:5], v[4:5], v[6:7]
	v_mul_f64 v[6:7], v[98:99], v[42:43]
	v_fma_f64 v[6:7], v[96:97], v[40:41], -v[6:7]
	v_add_f64 v[4:5], v[4:5], v[6:7]
	v_mul_f64 v[6:7], v[118:119], v[46:47]
	v_fma_f64 v[6:7], v[116:117], v[44:45], -v[6:7]
	v_add_f64 v[4:5], v[4:5], v[6:7]
	v_mul_f64 v[6:7], v[114:115], v[50:51]
	v_fma_f64 v[6:7], v[112:113], v[48:49], -v[6:7]
	v_add_f64 v[4:5], v[4:5], v[6:7]
	v_mul_f64 v[6:7], v[206:207], v[54:55]
	v_fma_f64 v[6:7], v[204:205], v[52:53], -v[6:7]
	v_add_f64 v[4:5], v[4:5], v[6:7]
	v_mul_f64 v[6:7], v[210:211], v[58:59]
	v_fma_f64 v[6:7], v[208:209], v[56:57], -v[6:7]
	v_add_f64 v[4:5], v[4:5], v[6:7]
	v_mul_f64 v[6:7], v[214:215], v[62:63]
	v_fma_f64 v[6:7], v[212:213], v[60:61], -v[6:7]
	v_add_f64 v[4:5], v[4:5], v[6:7]
	v_mul_f64 v[6:7], v[218:219], v[94:95]
	v_fma_f64 v[6:7], v[216:217], v[92:93], -v[6:7]
	v_add_f64 v[4:5], v[4:5], v[6:7]
	v_mul_f64 v[6:7], v[222:223], v[110:111]
	v_fma_f64 v[6:7], v[220:221], v[108:109], -v[6:7]
	v_add_f64 v[4:5], v[4:5], v[6:7]
	v_mul_f64 v[6:7], v[226:227], v[122:123]
	v_fma_f64 v[6:7], v[224:225], v[120:121], -v[6:7]
	v_add_f64 v[4:5], v[4:5], v[6:7]
	v_mul_f64 v[6:7], v[230:231], v[126:127]
	v_fma_f64 v[6:7], v[228:229], v[124:125], -v[6:7]
	v_add_f64 v[4:5], v[4:5], v[6:7]
	v_mul_f64 v[6:7], v[234:235], v[130:131]
	v_fma_f64 v[6:7], v[232:233], v[128:129], -v[6:7]
	v_add_f64 v[4:5], v[4:5], v[6:7]
	v_mul_f64 v[6:7], v[238:239], v[134:135]
	v_fma_f64 v[6:7], v[236:237], v[132:133], -v[6:7]
	v_add_f64 v[4:5], v[4:5], v[6:7]
	v_mul_f64 v[6:7], v[146:147], v[138:139]
	v_fma_f64 v[6:7], v[144:145], v[136:137], -v[6:7]
	v_add_f64 v[4:5], v[4:5], v[6:7]
	v_mul_f64 v[6:7], v[154:155], v[142:143]
	v_fma_f64 v[6:7], v[152:153], v[140:141], -v[6:7]
	v_add_f64 v[4:5], v[4:5], v[6:7]
	v_mul_f64 v[6:7], v[190:191], v[150:151]
	v_fma_f64 v[6:7], v[188:189], v[148:149], -v[6:7]
	v_add_f64 v[4:5], v[4:5], v[6:7]
	v_mul_f64 v[6:7], v[158:159], v[166:167]
	v_fma_f64 v[6:7], v[156:157], v[164:165], -v[6:7]
	v_add_f64 v[4:5], v[4:5], v[6:7]
	v_mul_f64 v[6:7], v[162:163], v[174:175]
	ds_read_b128 v[192:195], v2 offset:1328
	v_fma_f64 v[6:7], v[160:161], v[172:173], -v[6:7]
	v_add_f64 v[4:5], v[4:5], v[6:7]
	v_mul_f64 v[6:7], v[182:183], v[178:179]
	v_fma_f64 v[6:7], v[180:181], v[176:177], -v[6:7]
	v_add_f64 v[4:5], v[4:5], v[6:7]
	v_mul_f64 v[6:7], v[170:171], v[202:203]
	v_fma_f64 v[6:7], v[168:169], v[200:201], -v[6:7]
	s_waitcnt vmcnt(1) lgkmcnt(0)
	v_mul_f64 v[2:3], v[192:193], v[186:187]
	v_add_f64 v[4:5], v[4:5], v[6:7]
	v_mul_f64 v[6:7], v[194:195], v[186:187]
	v_fmac_f64_e32 v[2:3], v[194:195], v[184:185]
	v_fma_f64 v[6:7], v[192:193], v[184:185], -v[6:7]
	v_add_f64 v[2:3], v[248:249], v[2:3]
	v_add_f64 v[4:5], v[4:5], v[6:7]
	s_waitcnt vmcnt(0)
	v_add_f64 v[4:5], v[244:245], -v[4:5]
	v_add_f64 v[6:7], v[246:247], -v[2:3]
	scratch_store_dwordx4 off, v[4:7], off offset:128
	s_and_saveexec_b64 s[0:1], vcc
	s_cbranch_execz .LBB105_253
; %bb.252:
	scratch_load_dwordx4 v[2:5], off, s52
	v_mov_b32_e32 v6, 0
	v_mov_b32_e32 v7, v6
	;; [unrolled: 1-line block ×4, first 2 shown]
	v_accvgpr_read_b32 v0, a85
	scratch_store_dwordx4 off, v[6:9], off offset:112
	s_waitcnt vmcnt(1)
	ds_write_b128 v0, v[2:5]
.LBB105_253:
	s_or_b64 exec, exec, s[0:1]
	s_waitcnt lgkmcnt(0)
	; wave barrier
	scratch_load_dwordx4 v[184:187], off, off offset:128
	scratch_load_dwordx4 v[188:191], off, off offset:144
	;; [unrolled: 1-line block ×32, first 2 shown]
	v_mov_b32_e32 v2, 0
	ds_read_b128 v[192:195], v2 offset:784
	ds_read_b128 v[204:207], v2 offset:800
	;; [unrolled: 1-line block ×16, first 2 shown]
	v_cmp_lt_u32_e32 vcc, 5, v240
	s_waitcnt vmcnt(31) lgkmcnt(14)
	v_mul_f64 v[104:105], v[192:193], v[186:187]
	s_waitcnt vmcnt(30)
	v_mul_f64 v[106:107], v[204:205], v[190:191]
	v_fmac_f64_e32 v[104:105], v[194:195], v[184:185]
	s_waitcnt vmcnt(29) lgkmcnt(13)
	v_mul_f64 v[112:113], v[216:217], v[198:199]
	v_fmac_f64_e32 v[106:107], v[206:207], v[188:189]
	v_add_f64 v[104:105], v[104:105], 0
	s_waitcnt vmcnt(28) lgkmcnt(12)
	v_mul_f64 v[114:115], v[224:225], v[202:203]
	v_fmac_f64_e32 v[112:113], v[218:219], v[196:197]
	v_add_f64 v[104:105], v[104:105], v[106:107]
	;; [unrolled: 4-line block ×10, first 2 shown]
	ds_read_b128 v[152:155], v2 offset:1040
	ds_read_b128 v[156:159], v2 offset:1056
	s_waitcnt vmcnt(19) lgkmcnt(5)
	v_mul_f64 v[164:165], v[124:125], v[26:27]
	v_fmac_f64_e32 v[162:163], v[134:135], v[20:21]
	v_add_f64 v[104:105], v[104:105], v[160:161]
	s_waitcnt vmcnt(18) lgkmcnt(4)
	v_mul_f64 v[166:167], v[120:121], v[30:31]
	v_fmac_f64_e32 v[164:165], v[126:127], v[24:25]
	v_add_f64 v[104:105], v[104:105], v[162:163]
	;; [unrolled: 4-line block ×4, first 2 shown]
	v_add_f64 v[112:113], v[104:105], v[168:169]
	v_fmac_f64_e32 v[170:171], v[110:111], v[36:37]
	scratch_load_dwordx4 v[104:107], off, off offset:640
	s_waitcnt vmcnt(16) lgkmcnt(1)
	v_mul_f64 v[114:115], v[152:153], v[42:43]
	v_add_f64 v[112:113], v[112:113], v[170:171]
	v_fmac_f64_e32 v[114:115], v[154:155], v[40:41]
	v_add_f64 v[128:129], v[112:113], v[114:115]
	scratch_load_dwordx4 v[112:115], off, off offset:656
	s_waitcnt vmcnt(16) lgkmcnt(0)
	v_mul_f64 v[130:131], v[156:157], v[46:47]
	v_fmac_f64_e32 v[130:131], v[158:159], v[44:45]
	v_add_f64 v[168:169], v[128:129], v[130:131]
	scratch_load_dwordx4 v[128:131], off, off offset:672
	ds_read_b128 v[160:163], v2 offset:1072
	ds_read_b128 v[164:167], v2 offset:1088
	v_mul_f64 v[186:187], v[194:195], v[186:187]
	v_fma_f64 v[254:255], v[192:193], v[184:185], -v[186:187]
	ds_read_b128 v[184:187], v2 offset:1168
	s_waitcnt vmcnt(16) lgkmcnt(2)
	v_mul_f64 v[170:171], v[160:161], v[50:51]
	v_fmac_f64_e32 v[170:171], v[162:163], v[48:49]
	s_waitcnt vmcnt(15) lgkmcnt(1)
	v_mul_f64 v[174:175], v[164:165], v[54:55]
	v_add_f64 v[172:173], v[168:169], v[170:171]
	ds_read_b128 v[168:171], v2 offset:1104
	v_fmac_f64_e32 v[174:175], v[166:167], v[52:53]
	v_add_f64 v[176:177], v[172:173], v[174:175]
	ds_read_b128 v[172:175], v2 offset:1120
	v_mul_f64 v[190:191], v[206:207], v[190:191]
	s_waitcnt vmcnt(14) lgkmcnt(1)
	v_mul_f64 v[178:179], v[168:169], v[58:59]
	v_fmac_f64_e32 v[178:179], v[170:171], v[56:57]
	v_add_f64 v[180:181], v[176:177], v[178:179]
	s_waitcnt vmcnt(13) lgkmcnt(0)
	v_mul_f64 v[182:183], v[172:173], v[62:63]
	ds_read_b128 v[176:179], v2 offset:1136
	v_fmac_f64_e32 v[182:183], v[174:175], v[60:61]
	v_add_f64 v[232:233], v[180:181], v[182:183]
	ds_read_b128 v[180:183], v2 offset:1152
	v_fma_f64 v[250:251], v[204:205], v[188:189], -v[190:191]
	s_waitcnt vmcnt(12) lgkmcnt(1)
	v_mul_f64 v[234:235], v[176:177], v[66:67]
	v_fmac_f64_e32 v[234:235], v[178:179], v[64:65]
	v_add_f64 v[232:233], v[232:233], v[234:235]
	s_waitcnt vmcnt(11) lgkmcnt(0)
	v_mul_f64 v[192:193], v[180:181], v[70:71]
	v_fmac_f64_e32 v[192:193], v[182:183], v[68:69]
	ds_read_b128 v[188:191], v2 offset:1184
	s_waitcnt vmcnt(10)
	v_mul_f64 v[194:195], v[184:185], v[74:75]
	v_add_f64 v[192:193], v[232:233], v[192:193]
	v_fmac_f64_e32 v[194:195], v[186:187], v[72:73]
	v_add_f64 v[204:205], v[192:193], v[194:195]
	ds_read_b128 v[192:195], v2 offset:1200
	v_mul_f64 v[198:199], v[218:219], v[198:199]
	v_fma_f64 v[252:253], v[216:217], v[196:197], -v[198:199]
	ds_read_b128 v[196:199], v2 offset:1216
	s_waitcnt vmcnt(9) lgkmcnt(2)
	v_mul_f64 v[206:207], v[188:189], v[78:79]
	v_fmac_f64_e32 v[206:207], v[190:191], v[76:77]
	v_add_f64 v[204:205], v[204:205], v[206:207]
	s_waitcnt vmcnt(8) lgkmcnt(1)
	v_mul_f64 v[206:207], v[192:193], v[82:83]
	v_fmac_f64_e32 v[206:207], v[194:195], v[80:81]
	v_mul_f64 v[202:203], v[226:227], v[202:203]
	v_add_f64 v[204:205], v[204:205], v[206:207]
	v_fma_f64 v[234:235], v[224:225], v[200:201], -v[202:203]
	ds_read_b128 v[200:203], v2 offset:1232
	s_waitcnt vmcnt(7) lgkmcnt(1)
	v_mul_f64 v[206:207], v[196:197], v[86:87]
	v_fmac_f64_e32 v[206:207], v[198:199], v[84:85]
	v_add_f64 v[216:217], v[204:205], v[206:207]
	ds_read_b128 v[204:207], v2 offset:1248
	v_mul_f64 v[210:211], v[230:231], v[210:211]
	v_fma_f64 v[236:237], v[228:229], v[208:209], -v[210:211]
	ds_read_b128 v[208:211], v2 offset:1264
	s_waitcnt vmcnt(6) lgkmcnt(2)
	v_mul_f64 v[218:219], v[200:201], v[90:91]
	v_fmac_f64_e32 v[218:219], v[202:203], v[88:89]
	v_add_f64 v[216:217], v[216:217], v[218:219]
	s_waitcnt vmcnt(5) lgkmcnt(1)
	v_mul_f64 v[218:219], v[204:205], v[94:95]
	v_fmac_f64_e32 v[218:219], v[206:207], v[92:93]
	v_mul_f64 v[214:215], v[244:245], v[214:215]
	v_fma_f64 v[238:239], v[242:243], v[212:213], -v[214:215]
	ds_read_b128 v[212:215], v2 offset:1280
	v_add_f64 v[216:217], v[216:217], v[218:219]
	s_waitcnt vmcnt(4) lgkmcnt(1)
	v_mul_f64 v[218:219], v[208:209], v[102:103]
	v_fmac_f64_e32 v[218:219], v[210:211], v[100:101]
	v_add_f64 v[224:225], v[216:217], v[218:219]
	ds_read_b128 v[216:219], v2 offset:1296
	v_mul_f64 v[222:223], v[248:249], v[222:223]
	v_fma_f64 v[242:243], v[246:247], v[220:221], -v[222:223]
	ds_read_b128 v[220:223], v2 offset:1312
	s_waitcnt vmcnt(3) lgkmcnt(2)
	v_mul_f64 v[226:227], v[212:213], v[98:99]
	v_fmac_f64_e32 v[226:227], v[214:215], v[96:97]
	v_add_f64 v[224:225], v[224:225], v[226:227]
	s_waitcnt vmcnt(2) lgkmcnt(1)
	v_mul_f64 v[226:227], v[216:217], v[106:107]
	v_fmac_f64_e32 v[226:227], v[218:219], v[104:105]
	v_add_f64 v[224:225], v[224:225], v[226:227]
	s_waitcnt vmcnt(1) lgkmcnt(0)
	v_mul_f64 v[226:227], v[220:221], v[114:115]
	v_fmac_f64_e32 v[226:227], v[222:223], v[112:113]
	v_add_f64 v[228:229], v[224:225], v[226:227]
	ds_read_b128 v[224:227], v2 offset:1328
	v_mul_f64 v[6:7], v[150:151], v[6:7]
	v_fma_f64 v[4:5], v[148:149], v[4:5], -v[6:7]
	v_mul_f64 v[6:7], v[146:147], v[10:11]
	v_fma_f64 v[6:7], v[144:145], v[8:9], -v[6:7]
	s_waitcnt vmcnt(0) lgkmcnt(0)
	v_mul_f64 v[230:231], v[224:225], v[130:131]
	v_fmac_f64_e32 v[230:231], v[226:227], v[128:129]
	v_add_f64 v[232:233], v[228:229], v[230:231]
	v_add_f64 v[228:229], v[254:255], 0
	;; [unrolled: 1-line block ×4, first 2 shown]
	scratch_load_dwordx4 v[228:231], off, off offset:112
	v_add_f64 v[234:235], v[244:245], v[234:235]
	v_add_f64 v[234:235], v[234:235], v[236:237]
	;; [unrolled: 1-line block ×6, first 2 shown]
	v_mul_f64 v[6:7], v[142:143], v[14:15]
	v_fma_f64 v[6:7], v[140:141], v[12:13], -v[6:7]
	v_add_f64 v[4:5], v[4:5], v[6:7]
	v_mul_f64 v[6:7], v[138:139], v[18:19]
	v_fma_f64 v[6:7], v[136:137], v[16:17], -v[6:7]
	v_add_f64 v[4:5], v[4:5], v[6:7]
	;; [unrolled: 3-line block ×26, first 2 shown]
	s_waitcnt vmcnt(0)
	v_add_f64 v[4:5], v[228:229], -v[4:5]
	v_add_f64 v[6:7], v[230:231], -v[232:233]
	scratch_store_dwordx4 off, v[4:7], off offset:112
	s_and_saveexec_b64 s[0:1], vcc
	s_cbranch_execz .LBB105_255
; %bb.254:
	scratch_load_dwordx4 v[6:9], off, s53
	v_mov_b32_e32 v3, v2
	v_mov_b32_e32 v4, v2
	;; [unrolled: 1-line block ×3, first 2 shown]
	v_accvgpr_read_b32 v0, a85
	scratch_store_dwordx4 off, v[2:5], off offset:96
	s_waitcnt vmcnt(1)
	ds_write_b128 v0, v[6:9]
.LBB105_255:
	s_or_b64 exec, exec, s[0:1]
	s_waitcnt lgkmcnt(0)
	; wave barrier
	scratch_load_dwordx4 v[140:143], off, off offset:112
	scratch_load_dwordx4 v[144:147], off, off offset:128
	scratch_load_dwordx4 v[148:151], off, off offset:144
	scratch_load_dwordx4 v[152:155], off, off offset:160
	scratch_load_dwordx4 v[156:159], off, off offset:176
	scratch_load_dwordx4 v[160:163], off, off offset:192
	scratch_load_dwordx4 v[164:167], off, off offset:208
	scratch_load_dwordx4 v[4:7], off, off offset:224
	scratch_load_dwordx4 v[8:11], off, off offset:240
	scratch_load_dwordx4 v[12:15], off, off offset:256
	scratch_load_dwordx4 v[16:19], off, off offset:272
	scratch_load_dwordx4 v[20:23], off, off offset:288
	scratch_load_dwordx4 v[24:27], off, off offset:304
	scratch_load_dwordx4 v[28:31], off, off offset:320
	scratch_load_dwordx4 v[32:35], off, off offset:336
	scratch_load_dwordx4 v[36:39], off, off offset:352
	ds_read_b128 v[208:211], v2 offset:768
	ds_read_b128 v[200:203], v2 offset:784
	;; [unrolled: 1-line block ×3, first 2 shown]
	scratch_load_dwordx4 v[40:43], off, off offset:368
	ds_read_b128 v[204:207], v2 offset:816
	ds_read_b128 v[192:195], v2 offset:832
	;; [unrolled: 1-line block ×3, first 2 shown]
	scratch_load_dwordx4 v[44:47], off, off offset:384
	ds_read_b128 v[196:199], v2 offset:864
	ds_read_b128 v[64:67], v2 offset:880
	;; [unrolled: 1-line block ×4, first 2 shown]
	scratch_load_dwordx4 v[48:51], off, off offset:400
	ds_read_b128 v[72:75], v2 offset:928
	ds_read_b128 v[68:71], v2 offset:944
	scratch_load_dwordx4 v[56:59], off, off offset:416
	ds_read_b128 v[92:95], v2 offset:960
	ds_read_b128 v[88:91], v2 offset:976
	;; [unrolled: 1-line block ×4, first 2 shown]
	scratch_load_dwordx4 v[76:79], off, off offset:432
	scratch_load_dwordx4 v[96:99], off, off offset:448
	;; [unrolled: 1-line block ×12, first 2 shown]
	ds_read_b128 v[168:171], v2 offset:1024
	v_accvgpr_write_b32 a84, v240
	v_cmp_lt_u32_e32 vcc, 4, v240
	s_waitcnt vmcnt(31) lgkmcnt(14)
	v_mul_f64 v[172:173], v[208:209], v[142:143]
	s_waitcnt vmcnt(30)
	v_mul_f64 v[174:175], v[200:201], v[146:147]
	v_fmac_f64_e32 v[172:173], v[210:211], v[140:141]
	s_waitcnt vmcnt(29)
	v_mul_f64 v[176:177], v[188:189], v[150:151]
	v_fmac_f64_e32 v[174:175], v[202:203], v[144:145]
	v_add_f64 v[172:173], v[172:173], 0
	s_waitcnt vmcnt(28) lgkmcnt(13)
	v_mul_f64 v[178:179], v[204:205], v[154:155]
	v_fmac_f64_e32 v[176:177], v[190:191], v[148:149]
	v_add_f64 v[172:173], v[172:173], v[174:175]
	s_waitcnt vmcnt(27) lgkmcnt(12)
	;; [unrolled: 4-line block ×10, first 2 shown]
	v_mul_f64 v[224:225], v[92:93], v[26:27]
	v_fmac_f64_e32 v[222:223], v[70:71], v[20:21]
	v_add_f64 v[172:173], v[172:173], v[220:221]
	ds_read_b128 v[212:215], v2 offset:1040
	s_waitcnt vmcnt(18) lgkmcnt(4)
	v_mul_f64 v[226:227], v[88:89], v[30:31]
	v_fmac_f64_e32 v[224:225], v[94:95], v[24:25]
	v_add_f64 v[172:173], v[172:173], v[222:223]
	ds_read_b128 v[216:219], v2 offset:1056
	ds_read_b128 v[220:223], v2 offset:1072
	s_waitcnt vmcnt(17) lgkmcnt(5)
	v_mul_f64 v[228:229], v[84:85], v[34:35]
	v_fmac_f64_e32 v[226:227], v[90:91], v[28:29]
	v_add_f64 v[172:173], v[172:173], v[224:225]
	s_waitcnt vmcnt(16) lgkmcnt(4)
	v_mul_f64 v[230:231], v[80:81], v[38:39]
	v_fmac_f64_e32 v[228:229], v[86:87], v[32:33]
	v_add_f64 v[172:173], v[172:173], v[226:227]
	v_add_f64 v[176:177], v[172:173], v[228:229]
	v_fmac_f64_e32 v[230:231], v[82:83], v[36:37]
	s_waitcnt vmcnt(15) lgkmcnt(3)
	v_mul_f64 v[178:179], v[168:169], v[42:43]
	v_add_f64 v[176:177], v[176:177], v[230:231]
	v_fmac_f64_e32 v[178:179], v[170:171], v[40:41]
	s_waitcnt vmcnt(14) lgkmcnt(2)
	v_mul_f64 v[182:183], v[212:213], v[46:47]
	;; [unrolled: 4-line block ×3, first 2 shown]
	v_add_f64 v[224:225], v[180:181], v[182:183]
	v_fmac_f64_e32 v[226:227], v[218:219], v[48:49]
	v_add_f64 v[228:229], v[224:225], v[226:227]
	ds_read_b128 v[224:227], v2 offset:1088
	s_waitcnt vmcnt(12) lgkmcnt(1)
	v_mul_f64 v[230:231], v[220:221], v[58:59]
	v_fmac_f64_e32 v[230:231], v[222:223], v[56:57]
	v_add_f64 v[232:233], v[228:229], v[230:231]
	ds_read_b128 v[228:231], v2 offset:1104
	s_waitcnt vmcnt(11) lgkmcnt(1)
	v_mul_f64 v[234:235], v[224:225], v[78:79]
	;; [unrolled: 5-line block ×4, first 2 shown]
	v_fmac_f64_e32 v[244:245], v[234:235], v[100:101]
	v_mul_f64 v[142:143], v[210:211], v[142:143]
	v_add_f64 v[242:243], v[242:243], v[244:245]
	v_fma_f64 v[244:245], v[208:209], v[140:141], -v[142:143]
	ds_read_b128 v[140:143], v2 offset:1152
	s_waitcnt vmcnt(8) lgkmcnt(1)
	v_mul_f64 v[208:209], v[236:237], v[106:107]
	v_fmac_f64_e32 v[208:209], v[238:239], v[104:105]
	v_mul_f64 v[146:147], v[202:203], v[146:147]
	v_add_f64 v[208:209], v[242:243], v[208:209]
	v_fma_f64 v[242:243], v[200:201], v[144:145], -v[146:147]
	ds_read_b128 v[144:147], v2 offset:1168
	s_waitcnt vmcnt(7) lgkmcnt(1)
	v_mul_f64 v[200:201], v[140:141], v[110:111]
	scratch_load_dwordx4 v[172:175], off, off offset:624
	v_fmac_f64_e32 v[200:201], v[142:143], v[108:109]
	v_add_f64 v[208:209], v[208:209], v[200:201]
	ds_read_b128 v[200:203], v2 offset:1184
	v_mul_f64 v[150:151], v[190:191], v[150:151]
	scratch_load_dwordx4 v[176:179], off, off offset:640
	scratch_load_dwordx4 v[180:183], off, off offset:656
	v_fma_f64 v[246:247], v[188:189], v[148:149], -v[150:151]
	ds_read_b128 v[148:151], v2 offset:1200
	s_waitcnt vmcnt(9) lgkmcnt(2)
	v_mul_f64 v[210:211], v[144:145], v[114:115]
	v_fmac_f64_e32 v[210:211], v[146:147], v[112:113]
	s_waitcnt vmcnt(8) lgkmcnt(1)
	v_mul_f64 v[188:189], v[200:201], v[118:119]
	v_add_f64 v[208:209], v[208:209], v[210:211]
	v_fmac_f64_e32 v[188:189], v[202:203], v[116:117]
	v_mul_f64 v[154:155], v[206:207], v[154:155]
	s_waitcnt vmcnt(7) lgkmcnt(0)
	v_mul_f64 v[190:191], v[148:149], v[122:123]
	v_add_f64 v[188:189], v[208:209], v[188:189]
	v_fma_f64 v[248:249], v[204:205], v[152:153], -v[154:155]
	ds_read_b128 v[152:155], v2 offset:1216
	v_fmac_f64_e32 v[190:191], v[150:151], v[120:121]
	v_add_f64 v[204:205], v[188:189], v[190:191]
	ds_read_b128 v[188:191], v2 offset:1232
	v_mul_f64 v[158:159], v[194:195], v[158:159]
	s_waitcnt vmcnt(6) lgkmcnt(1)
	v_mul_f64 v[206:207], v[152:153], v[126:127]
	v_fmac_f64_e32 v[206:207], v[154:155], v[124:125]
	v_fma_f64 v[250:251], v[192:193], v[156:157], -v[158:159]
	s_waitcnt vmcnt(5) lgkmcnt(0)
	v_mul_f64 v[192:193], v[188:189], v[130:131]
	v_add_f64 v[204:205], v[204:205], v[206:207]
	v_fmac_f64_e32 v[192:193], v[190:191], v[128:129]
	v_mul_f64 v[162:163], v[186:187], v[162:163]
	v_fma_f64 v[208:209], v[184:185], v[160:161], -v[162:163]
	v_add_f64 v[184:185], v[204:205], v[192:193]
	scratch_load_dwordx4 v[204:207], off, off offset:672
	v_add_f64 v[244:245], v[244:245], 0
	v_add_f64 v[242:243], v[244:245], v[242:243]
	;; [unrolled: 1-line block ×3, first 2 shown]
	scratch_load_dwordx4 v[244:247], off, off offset:96
	v_add_f64 v[242:243], v[242:243], v[248:249]
	v_mul_f64 v[166:167], v[198:199], v[166:167]
	v_add_f64 v[242:243], v[242:243], v[250:251]
	v_fma_f64 v[210:211], v[196:197], v[164:165], -v[166:167]
	v_add_f64 v[208:209], v[242:243], v[208:209]
	v_mul_f64 v[6:7], v[66:67], v[6:7]
	v_add_f64 v[208:209], v[208:209], v[210:211]
	v_fma_f64 v[4:5], v[64:65], v[4:5], -v[6:7]
	v_mul_f64 v[6:7], v[62:63], v[10:11]
	v_add_f64 v[4:5], v[208:209], v[4:5]
	v_fma_f64 v[6:7], v[60:61], v[8:9], -v[6:7]
	v_add_f64 v[4:5], v[4:5], v[6:7]
	v_mul_f64 v[6:7], v[54:55], v[14:15]
	v_fma_f64 v[6:7], v[52:53], v[12:13], -v[6:7]
	v_add_f64 v[4:5], v[4:5], v[6:7]
	v_mul_f64 v[6:7], v[74:75], v[18:19]
	;; [unrolled: 3-line block ×12, first 2 shown]
	v_fma_f64 v[6:7], v[224:225], v[76:77], -v[6:7]
	ds_read_b128 v[156:159], v2 offset:1248
	ds_read_b128 v[160:163], v2 offset:1264
	v_add_f64 v[4:5], v[4:5], v[6:7]
	v_mul_f64 v[6:7], v[230:231], v[98:99]
	v_fma_f64 v[6:7], v[228:229], v[96:97], -v[6:7]
	v_add_f64 v[4:5], v[4:5], v[6:7]
	v_mul_f64 v[6:7], v[234:235], v[102:103]
	v_fma_f64 v[6:7], v[232:233], v[100:101], -v[6:7]
	v_add_f64 v[4:5], v[4:5], v[6:7]
	v_mul_f64 v[6:7], v[238:239], v[106:107]
	s_waitcnt vmcnt(6) lgkmcnt(1)
	v_mul_f64 v[186:187], v[156:157], v[138:139]
	v_fma_f64 v[6:7], v[236:237], v[104:105], -v[6:7]
	v_fmac_f64_e32 v[186:187], v[158:159], v[136:137]
	v_add_f64 v[4:5], v[4:5], v[6:7]
	v_mul_f64 v[6:7], v[142:143], v[110:111]
	v_add_f64 v[192:193], v[184:185], v[186:187]
	ds_read_b128 v[184:187], v2 offset:1280
	ds_read_b128 v[164:167], v2 offset:1296
	v_fma_f64 v[6:7], v[140:141], v[108:109], -v[6:7]
	v_add_f64 v[4:5], v[4:5], v[6:7]
	v_mul_f64 v[6:7], v[146:147], v[114:115]
	v_fma_f64 v[6:7], v[144:145], v[112:113], -v[6:7]
	s_waitcnt vmcnt(5) lgkmcnt(2)
	v_mul_f64 v[194:195], v[160:161], v[134:135]
	v_add_f64 v[4:5], v[4:5], v[6:7]
	v_mul_f64 v[6:7], v[202:203], v[118:119]
	v_fmac_f64_e32 v[194:195], v[162:163], v[132:133]
	v_fma_f64 v[6:7], v[200:201], v[116:117], -v[6:7]
	v_add_f64 v[192:193], v[192:193], v[194:195]
	s_waitcnt vmcnt(4) lgkmcnt(1)
	v_mul_f64 v[194:195], v[184:185], v[174:175]
	v_add_f64 v[4:5], v[4:5], v[6:7]
	v_mul_f64 v[6:7], v[150:151], v[122:123]
	v_fmac_f64_e32 v[194:195], v[186:187], v[172:173]
	v_fma_f64 v[6:7], v[148:149], v[120:121], -v[6:7]
	v_add_f64 v[192:193], v[192:193], v[194:195]
	;; [unrolled: 7-line block ×3, first 2 shown]
	ds_read_b128 v[192:195], v2 offset:1312
	v_add_f64 v[4:5], v[4:5], v[6:7]
	v_mul_f64 v[6:7], v[190:191], v[130:131]
	v_fma_f64 v[6:7], v[188:189], v[128:129], -v[6:7]
	v_add_f64 v[4:5], v[4:5], v[6:7]
	v_mul_f64 v[6:7], v[158:159], v[138:139]
	v_fma_f64 v[6:7], v[156:157], v[136:137], -v[6:7]
	v_add_f64 v[4:5], v[4:5], v[6:7]
	v_mul_f64 v[6:7], v[162:163], v[134:135]
	s_waitcnt vmcnt(2) lgkmcnt(0)
	v_mul_f64 v[198:199], v[192:193], v[182:183]
	v_fma_f64 v[6:7], v[160:161], v[132:133], -v[6:7]
	v_fmac_f64_e32 v[198:199], v[194:195], v[180:181]
	v_add_f64 v[4:5], v[4:5], v[6:7]
	v_mul_f64 v[6:7], v[186:187], v[174:175]
	v_add_f64 v[252:253], v[196:197], v[198:199]
	ds_read_b128 v[196:199], v2 offset:1328
	v_fma_f64 v[6:7], v[184:185], v[172:173], -v[6:7]
	v_add_f64 v[4:5], v[4:5], v[6:7]
	v_mul_f64 v[6:7], v[166:167], v[178:179]
	v_fma_f64 v[6:7], v[164:165], v[176:177], -v[6:7]
	v_add_f64 v[4:5], v[4:5], v[6:7]
	v_mul_f64 v[6:7], v[194:195], v[182:183]
	v_fma_f64 v[6:7], v[192:193], v[180:181], -v[6:7]
	s_waitcnt vmcnt(1) lgkmcnt(0)
	v_mul_f64 v[2:3], v[196:197], v[206:207]
	v_add_f64 v[4:5], v[4:5], v[6:7]
	v_mul_f64 v[6:7], v[198:199], v[206:207]
	v_fmac_f64_e32 v[2:3], v[198:199], v[204:205]
	v_fma_f64 v[6:7], v[196:197], v[204:205], -v[6:7]
	v_add_f64 v[2:3], v[252:253], v[2:3]
	v_add_f64 v[4:5], v[4:5], v[6:7]
	s_waitcnt vmcnt(0)
	v_add_f64 v[4:5], v[244:245], -v[4:5]
	v_add_f64 v[6:7], v[246:247], -v[2:3]
	scratch_store_dwordx4 off, v[4:7], off offset:96
	s_and_saveexec_b64 s[0:1], vcc
	s_cbranch_execz .LBB105_257
; %bb.256:
	scratch_load_dwordx4 v[2:5], off, s54
	v_mov_b32_e32 v6, 0
	v_mov_b32_e32 v7, v6
	;; [unrolled: 1-line block ×4, first 2 shown]
	v_accvgpr_read_b32 v0, a85
	scratch_store_dwordx4 off, v[6:9], off offset:80
	s_waitcnt vmcnt(1)
	ds_write_b128 v0, v[2:5]
.LBB105_257:
	s_or_b64 exec, exec, s[0:1]
	s_waitcnt lgkmcnt(0)
	; wave barrier
	scratch_load_dwordx4 v[168:171], off, off offset:96
	scratch_load_dwordx4 v[172:175], off, off offset:112
	;; [unrolled: 1-line block ×32, first 2 shown]
	v_mov_b32_e32 v2, 0
	ds_read_b128 v[176:179], v2 offset:752
	ds_read_b128 v[188:191], v2 offset:768
	;; [unrolled: 1-line block ×17, first 2 shown]
	v_accvgpr_read_b32 v0, a84
	v_cmp_lt_u32_e32 vcc, 3, v0
	s_waitcnt vmcnt(31) lgkmcnt(14)
	v_mul_f64 v[104:105], v[176:177], v[170:171]
	s_waitcnt vmcnt(30)
	v_mul_f64 v[106:107], v[188:189], v[174:175]
	v_fmac_f64_e32 v[104:105], v[178:179], v[168:169]
	s_waitcnt vmcnt(29)
	v_mul_f64 v[108:109], v[200:201], v[182:183]
	v_fmac_f64_e32 v[106:107], v[190:191], v[172:173]
	v_add_f64 v[104:105], v[104:105], 0
	s_waitcnt vmcnt(28) lgkmcnt(13)
	v_mul_f64 v[110:111], v[212:213], v[186:187]
	v_fmac_f64_e32 v[108:109], v[202:203], v[180:181]
	v_add_f64 v[104:105], v[104:105], v[106:107]
	s_waitcnt vmcnt(27) lgkmcnt(12)
	;; [unrolled: 4-line block ×12, first 2 shown]
	v_mul_f64 v[156:157], v[112:113], v[26:27]
	v_fmac_f64_e32 v[154:155], v[118:119], v[20:21]
	v_add_f64 v[104:105], v[104:105], v[152:153]
	v_fmac_f64_e32 v[156:157], v[114:115], v[24:25]
	v_add_f64 v[104:105], v[104:105], v[154:155]
	s_waitcnt vmcnt(16) lgkmcnt(1)
	v_mul_f64 v[106:107], v[100:101], v[30:31]
	v_add_f64 v[104:105], v[104:105], v[156:157]
	v_fmac_f64_e32 v[106:107], v[102:103], v[28:29]
	v_add_f64 v[108:109], v[104:105], v[106:107]
	ds_read_b128 v[144:147], v2 offset:1024
	ds_read_b128 v[148:151], v2 offset:1040
	scratch_load_dwordx4 v[104:107], off, off offset:608
	s_waitcnt vmcnt(16) lgkmcnt(2)
	v_mul_f64 v[110:111], v[96:97], v[34:35]
	v_fmac_f64_e32 v[110:111], v[98:99], v[32:33]
	v_add_f64 v[120:121], v[108:109], v[110:111]
	scratch_load_dwordx4 v[108:111], off, off offset:624
	s_waitcnt vmcnt(16) lgkmcnt(1)
	v_mul_f64 v[122:123], v[144:145], v[38:39]
	v_fmac_f64_e32 v[122:123], v[146:147], v[36:37]
	v_add_f64 v[132:133], v[120:121], v[122:123]
	s_waitcnt vmcnt(15) lgkmcnt(0)
	v_mul_f64 v[134:135], v[148:149], v[42:43]
	scratch_load_dwordx4 v[120:123], off, off offset:640
	v_fmac_f64_e32 v[134:135], v[150:151], v[40:41]
	v_add_f64 v[160:161], v[132:133], v[134:135]
	scratch_load_dwordx4 v[132:135], off, off offset:656
	ds_read_b128 v[152:155], v2 offset:1056
	ds_read_b128 v[156:159], v2 offset:1072
	v_mul_f64 v[170:171], v[178:179], v[170:171]
	v_fma_f64 v[250:251], v[176:177], v[168:169], -v[170:171]
	ds_read_b128 v[168:171], v2 offset:1120
	s_waitcnt vmcnt(16) lgkmcnt(2)
	v_mul_f64 v[162:163], v[152:153], v[46:47]
	v_fmac_f64_e32 v[162:163], v[154:155], v[44:45]
	s_waitcnt vmcnt(15) lgkmcnt(1)
	v_mul_f64 v[166:167], v[156:157], v[50:51]
	v_add_f64 v[164:165], v[160:161], v[162:163]
	ds_read_b128 v[160:163], v2 offset:1088
	v_fmac_f64_e32 v[166:167], v[158:159], v[48:49]
	v_add_f64 v[232:233], v[164:165], v[166:167]
	ds_read_b128 v[164:167], v2 offset:1104
	v_mul_f64 v[174:175], v[190:191], v[174:175]
	s_waitcnt vmcnt(14) lgkmcnt(1)
	v_mul_f64 v[234:235], v[160:161], v[54:55]
	v_fmac_f64_e32 v[234:235], v[162:163], v[52:53]
	v_add_f64 v[232:233], v[232:233], v[234:235]
	s_waitcnt vmcnt(13) lgkmcnt(0)
	v_mul_f64 v[176:177], v[164:165], v[58:59]
	v_fmac_f64_e32 v[176:177], v[166:167], v[56:57]
	v_fma_f64 v[252:253], v[188:189], v[172:173], -v[174:175]
	ds_read_b128 v[172:175], v2 offset:1136
	s_waitcnt vmcnt(12)
	v_mul_f64 v[178:179], v[168:169], v[62:63]
	v_add_f64 v[176:177], v[232:233], v[176:177]
	v_fmac_f64_e32 v[178:179], v[170:171], v[60:61]
	v_add_f64 v[188:189], v[176:177], v[178:179]
	ds_read_b128 v[176:179], v2 offset:1152
	v_mul_f64 v[182:183], v[202:203], v[182:183]
	v_fma_f64 v[254:255], v[200:201], v[180:181], -v[182:183]
	ds_read_b128 v[180:183], v2 offset:1168
	s_waitcnt vmcnt(11) lgkmcnt(2)
	v_mul_f64 v[190:191], v[172:173], v[66:67]
	v_fmac_f64_e32 v[190:191], v[174:175], v[64:65]
	v_add_f64 v[188:189], v[188:189], v[190:191]
	s_waitcnt vmcnt(10) lgkmcnt(1)
	v_mul_f64 v[190:191], v[176:177], v[70:71]
	v_fmac_f64_e32 v[190:191], v[178:179], v[68:69]
	v_mul_f64 v[186:187], v[214:215], v[186:187]
	v_fma_f64 v[240:241], v[212:213], v[184:185], -v[186:187]
	ds_read_b128 v[184:187], v2 offset:1184
	v_add_f64 v[188:189], v[188:189], v[190:191]
	s_waitcnt vmcnt(9) lgkmcnt(1)
	v_mul_f64 v[190:191], v[180:181], v[74:75]
	v_fmac_f64_e32 v[190:191], v[182:183], v[72:73]
	v_add_f64 v[200:201], v[188:189], v[190:191]
	ds_read_b128 v[188:191], v2 offset:1200
	v_mul_f64 v[194:195], v[222:223], v[194:195]
	v_fma_f64 v[232:233], v[220:221], v[192:193], -v[194:195]
	ds_read_b128 v[192:195], v2 offset:1216
	s_waitcnt vmcnt(8) lgkmcnt(2)
	v_mul_f64 v[202:203], v[184:185], v[78:79]
	v_fmac_f64_e32 v[202:203], v[186:187], v[76:77]
	v_add_f64 v[200:201], v[200:201], v[202:203]
	s_waitcnt vmcnt(7) lgkmcnt(1)
	v_mul_f64 v[202:203], v[188:189], v[82:83]
	v_fmac_f64_e32 v[202:203], v[190:191], v[80:81]
	v_mul_f64 v[198:199], v[226:227], v[198:199]
	v_add_f64 v[200:201], v[200:201], v[202:203]
	v_fma_f64 v[234:235], v[224:225], v[196:197], -v[198:199]
	ds_read_b128 v[196:199], v2 offset:1232
	s_waitcnt vmcnt(6) lgkmcnt(1)
	v_mul_f64 v[202:203], v[192:193], v[86:87]
	v_fmac_f64_e32 v[202:203], v[194:195], v[84:85]
	v_add_f64 v[212:213], v[200:201], v[202:203]
	ds_read_b128 v[200:203], v2 offset:1248
	v_mul_f64 v[206:207], v[230:231], v[206:207]
	v_fma_f64 v[236:237], v[228:229], v[204:205], -v[206:207]
	ds_read_b128 v[204:207], v2 offset:1264
	s_waitcnt vmcnt(5) lgkmcnt(2)
	v_mul_f64 v[214:215], v[196:197], v[94:95]
	v_fmac_f64_e32 v[214:215], v[198:199], v[92:93]
	v_add_f64 v[212:213], v[212:213], v[214:215]
	s_waitcnt vmcnt(4) lgkmcnt(1)
	v_mul_f64 v[214:215], v[200:201], v[90:91]
	v_fmac_f64_e32 v[214:215], v[202:203], v[88:89]
	v_mul_f64 v[210:211], v[244:245], v[210:211]
	v_fma_f64 v[238:239], v[242:243], v[208:209], -v[210:211]
	ds_read_b128 v[208:211], v2 offset:1280
	v_add_f64 v[212:213], v[212:213], v[214:215]
	s_waitcnt vmcnt(3) lgkmcnt(1)
	v_mul_f64 v[214:215], v[204:205], v[106:107]
	v_fmac_f64_e32 v[214:215], v[206:207], v[104:105]
	v_add_f64 v[220:221], v[212:213], v[214:215]
	ds_read_b128 v[212:215], v2 offset:1296
	v_mul_f64 v[218:219], v[248:249], v[218:219]
	v_fma_f64 v[242:243], v[246:247], v[216:217], -v[218:219]
	ds_read_b128 v[216:219], v2 offset:1312
	ds_read_b128 v[224:227], v2 offset:1328
	s_waitcnt vmcnt(2) lgkmcnt(3)
	v_mul_f64 v[222:223], v[208:209], v[110:111]
	v_fmac_f64_e32 v[222:223], v[210:211], v[108:109]
	v_add_f64 v[220:221], v[220:221], v[222:223]
	s_waitcnt vmcnt(1) lgkmcnt(2)
	v_mul_f64 v[222:223], v[212:213], v[122:123]
	v_fmac_f64_e32 v[222:223], v[214:215], v[120:121]
	v_add_f64 v[220:221], v[220:221], v[222:223]
	;; [unrolled: 4-line block ×3, first 2 shown]
	scratch_load_dwordx4 v[220:223], off, off offset:672
	v_mul_f64 v[6:7], v[142:143], v[6:7]
	v_fma_f64 v[4:5], v[140:141], v[4:5], -v[6:7]
	v_mul_f64 v[6:7], v[138:139], v[10:11]
	v_fma_f64 v[6:7], v[136:137], v[8:9], -v[6:7]
	s_waitcnt vmcnt(0) lgkmcnt(0)
	v_mul_f64 v[230:231], v[224:225], v[222:223]
	v_fmac_f64_e32 v[230:231], v[226:227], v[220:221]
	v_add_f64 v[246:247], v[228:229], v[230:231]
	v_add_f64 v[228:229], v[250:251], 0
	;; [unrolled: 1-line block ×6, first 2 shown]
	scratch_load_dwordx4 v[228:231], off, off offset:80
	v_add_f64 v[232:233], v[244:245], v[234:235]
	v_add_f64 v[232:233], v[232:233], v[236:237]
	;; [unrolled: 1-line block ×6, first 2 shown]
	v_mul_f64 v[6:7], v[130:131], v[14:15]
	v_fma_f64 v[6:7], v[128:129], v[12:13], -v[6:7]
	v_add_f64 v[4:5], v[4:5], v[6:7]
	v_mul_f64 v[6:7], v[126:127], v[18:19]
	v_fma_f64 v[6:7], v[124:125], v[16:17], -v[6:7]
	v_add_f64 v[4:5], v[4:5], v[6:7]
	;; [unrolled: 3-line block ×26, first 2 shown]
	s_waitcnt vmcnt(0)
	v_add_f64 v[4:5], v[228:229], -v[4:5]
	v_add_f64 v[6:7], v[230:231], -v[246:247]
	scratch_store_dwordx4 off, v[4:7], off offset:80
	s_and_saveexec_b64 s[0:1], vcc
	s_cbranch_execz .LBB105_259
; %bb.258:
	scratch_load_dwordx4 v[6:9], off, s55
	v_mov_b32_e32 v3, v2
	v_mov_b32_e32 v4, v2
	v_mov_b32_e32 v5, v2
	v_accvgpr_read_b32 v0, a85
	scratch_store_dwordx4 off, v[2:5], off offset:64
	s_waitcnt vmcnt(1)
	ds_write_b128 v0, v[6:9]
.LBB105_259:
	s_or_b64 exec, exec, s[0:1]
	s_waitcnt lgkmcnt(0)
	; wave barrier
	scratch_load_dwordx4 v[168:171], off, off offset:80
	scratch_load_dwordx4 v[172:175], off, off offset:96
	;; [unrolled: 1-line block ×16, first 2 shown]
	ds_read_b128 v[232:235], v2 offset:736
	ds_read_b128 v[176:179], v2 offset:752
	scratch_load_dwordx4 v[32:35], off, off offset:336
	ds_read_b128 v[236:239], v2 offset:768
	ds_read_b128 v[188:191], v2 offset:784
	;; [unrolled: 1-line block ×5, first 2 shown]
	scratch_load_dwordx4 v[36:39], off, off offset:352
	ds_read_b128 v[224:227], v2 offset:848
	ds_read_b128 v[220:223], v2 offset:864
	;; [unrolled: 1-line block ×3, first 2 shown]
	scratch_load_dwordx4 v[40:43], off, off offset:368
	ds_read_b128 v[64:67], v2 offset:896
	ds_read_b128 v[60:63], v2 offset:912
	;; [unrolled: 1-line block ×4, first 2 shown]
	scratch_load_dwordx4 v[48:51], off, off offset:384
	ds_read_b128 v[80:83], v2 offset:960
	ds_read_b128 v[72:75], v2 offset:976
	ds_read_b128 v[68:71], v2 offset:992
	scratch_load_dwordx4 v[76:79], off, off offset:400
	scratch_load_dwordx4 v[84:87], off, off offset:416
	;; [unrolled: 1-line block ×12, first 2 shown]
	v_accvgpr_read_b32 v0, a84
	v_cmp_lt_u32_e32 vcc, 2, v0
	s_waitcnt vmcnt(31) lgkmcnt(14)
	v_mul_f64 v[128:129], v[232:233], v[170:171]
	s_waitcnt vmcnt(30)
	v_mul_f64 v[130:131], v[176:177], v[174:175]
	v_fmac_f64_e32 v[128:129], v[234:235], v[168:169]
	s_waitcnt vmcnt(29)
	v_mul_f64 v[132:133], v[236:237], v[182:183]
	v_fmac_f64_e32 v[130:131], v[178:179], v[172:173]
	v_add_f64 v[128:129], v[128:129], 0
	s_waitcnt vmcnt(28) lgkmcnt(13)
	v_mul_f64 v[134:135], v[188:189], v[186:187]
	v_fmac_f64_e32 v[132:133], v[238:239], v[180:181]
	v_add_f64 v[128:129], v[128:129], v[130:131]
	s_waitcnt vmcnt(27) lgkmcnt(12)
	;; [unrolled: 4-line block ×13, first 2 shown]
	v_mul_f64 v[158:159], v[72:73], v[30:31]
	v_fmac_f64_e32 v[156:157], v[82:83], v[24:25]
	v_add_f64 v[128:129], v[128:129], v[154:155]
	v_add_f64 v[128:129], v[128:129], v[156:157]
	v_fmac_f64_e32 v[158:159], v[74:75], v[28:29]
	v_add_f64 v[132:133], v[128:129], v[158:159]
	ds_read_b128 v[144:147], v2 offset:1008
	ds_read_b128 v[148:151], v2 offset:1024
	scratch_load_dwordx4 v[128:131], off, off offset:592
	s_waitcnt vmcnt(16) lgkmcnt(2)
	v_mul_f64 v[134:135], v[68:69], v[34:35]
	v_fmac_f64_e32 v[134:135], v[70:71], v[32:33]
	s_waitcnt vmcnt(15) lgkmcnt(1)
	v_mul_f64 v[138:139], v[144:145], v[38:39]
	v_add_f64 v[136:137], v[132:133], v[134:135]
	scratch_load_dwordx4 v[132:135], off, off offset:608
	v_fmac_f64_e32 v[138:139], v[146:147], v[36:37]
	v_add_f64 v[140:141], v[136:137], v[138:139]
	s_waitcnt vmcnt(15) lgkmcnt(0)
	v_mul_f64 v[142:143], v[148:149], v[42:43]
	scratch_load_dwordx4 v[136:139], off, off offset:624
	v_fmac_f64_e32 v[142:143], v[150:151], v[40:41]
	v_add_f64 v[160:161], v[140:141], v[142:143]
	scratch_load_dwordx4 v[140:143], off, off offset:640
	ds_read_b128 v[152:155], v2 offset:1040
	ds_read_b128 v[156:159], v2 offset:1056
	v_mul_f64 v[170:171], v[234:235], v[170:171]
	v_fma_f64 v[246:247], v[232:233], v[168:169], -v[170:171]
	ds_read_b128 v[168:171], v2 offset:1104
	s_waitcnt vmcnt(16) lgkmcnt(2)
	v_mul_f64 v[162:163], v[152:153], v[50:51]
	v_fmac_f64_e32 v[162:163], v[154:155], v[48:49]
	s_waitcnt vmcnt(15) lgkmcnt(1)
	v_mul_f64 v[166:167], v[156:157], v[78:79]
	v_add_f64 v[164:165], v[160:161], v[162:163]
	ds_read_b128 v[160:163], v2 offset:1072
	v_fmac_f64_e32 v[166:167], v[158:159], v[76:77]
	v_add_f64 v[240:241], v[164:165], v[166:167]
	ds_read_b128 v[164:167], v2 offset:1088
	v_mul_f64 v[174:175], v[178:179], v[174:175]
	s_waitcnt vmcnt(14) lgkmcnt(1)
	v_mul_f64 v[242:243], v[160:161], v[86:87]
	v_fmac_f64_e32 v[242:243], v[162:163], v[84:85]
	v_add_f64 v[240:241], v[240:241], v[242:243]
	s_waitcnt vmcnt(13) lgkmcnt(0)
	v_mul_f64 v[232:233], v[164:165], v[90:91]
	v_fmac_f64_e32 v[232:233], v[166:167], v[88:89]
	v_add_f64 v[232:233], v[240:241], v[232:233]
	v_fma_f64 v[240:241], v[176:177], v[172:173], -v[174:175]
	ds_read_b128 v[172:175], v2 offset:1120
	s_waitcnt vmcnt(12)
	v_mul_f64 v[176:177], v[168:169], v[94:95]
	v_fmac_f64_e32 v[176:177], v[170:171], v[92:93]
	v_add_f64 v[232:233], v[232:233], v[176:177]
	ds_read_b128 v[176:179], v2 offset:1136
	v_mul_f64 v[182:183], v[238:239], v[182:183]
	v_fma_f64 v[236:237], v[236:237], v[180:181], -v[182:183]
	ds_read_b128 v[180:183], v2 offset:1152
	s_waitcnt vmcnt(11) lgkmcnt(2)
	v_mul_f64 v[234:235], v[172:173], v[98:99]
	v_fmac_f64_e32 v[234:235], v[174:175], v[96:97]
	v_add_f64 v[232:233], v[232:233], v[234:235]
	s_waitcnt vmcnt(10) lgkmcnt(1)
	v_mul_f64 v[234:235], v[176:177], v[102:103]
	v_fmac_f64_e32 v[234:235], v[178:179], v[100:101]
	v_mul_f64 v[186:187], v[190:191], v[186:187]
	s_waitcnt vmcnt(9) lgkmcnt(0)
	v_mul_f64 v[190:191], v[180:181], v[106:107]
	v_fma_f64 v[238:239], v[188:189], v[184:185], -v[186:187]
	ds_read_b128 v[184:187], v2 offset:1168
	v_add_f64 v[188:189], v[232:233], v[234:235]
	v_fmac_f64_e32 v[190:191], v[182:183], v[104:105]
	v_add_f64 v[232:233], v[188:189], v[190:191]
	ds_read_b128 v[188:191], v2 offset:1184
	v_mul_f64 v[194:195], v[230:231], v[194:195]
	v_fma_f64 v[248:249], v[228:229], v[192:193], -v[194:195]
	ds_read_b128 v[192:195], v2 offset:1200
	s_waitcnt vmcnt(8) lgkmcnt(2)
	v_mul_f64 v[234:235], v[184:185], v[110:111]
	v_fmac_f64_e32 v[234:235], v[186:187], v[108:109]
	s_waitcnt vmcnt(7) lgkmcnt(1)
	v_mul_f64 v[228:229], v[188:189], v[114:115]
	v_mul_f64 v[198:199], v[202:203], v[198:199]
	v_add_f64 v[232:233], v[232:233], v[234:235]
	v_fmac_f64_e32 v[228:229], v[190:191], v[112:113]
	v_fma_f64 v[250:251], v[200:201], v[196:197], -v[198:199]
	ds_read_b128 v[196:199], v2 offset:1216
	s_waitcnt vmcnt(6) lgkmcnt(1)
	v_mul_f64 v[200:201], v[192:193], v[118:119]
	v_add_f64 v[228:229], v[232:233], v[228:229]
	v_fmac_f64_e32 v[200:201], v[194:195], v[116:117]
	v_add_f64 v[228:229], v[228:229], v[200:201]
	ds_read_b128 v[200:203], v2 offset:1232
	v_mul_f64 v[206:207], v[214:215], v[206:207]
	v_fma_f64 v[252:253], v[212:213], v[204:205], -v[206:207]
	ds_read_b128 v[204:207], v2 offset:1248
	s_waitcnt vmcnt(5) lgkmcnt(2)
	v_mul_f64 v[230:231], v[196:197], v[126:127]
	v_fmac_f64_e32 v[230:231], v[198:199], v[124:125]
	s_waitcnt vmcnt(4) lgkmcnt(1)
	v_mul_f64 v[212:213], v[200:201], v[122:123]
	v_add_f64 v[228:229], v[228:229], v[230:231]
	v_fmac_f64_e32 v[212:213], v[202:203], v[120:121]
	v_mul_f64 v[210:211], v[226:227], v[210:211]
	s_waitcnt vmcnt(3) lgkmcnt(0)
	v_mul_f64 v[214:215], v[204:205], v[130:131]
	v_fma_f64 v[242:243], v[224:225], v[208:209], -v[210:211]
	ds_read_b128 v[208:211], v2 offset:1264
	v_add_f64 v[212:213], v[228:229], v[212:213]
	v_fmac_f64_e32 v[214:215], v[206:207], v[128:129]
	v_add_f64 v[224:225], v[212:213], v[214:215]
	ds_read_b128 v[212:215], v2 offset:1280
	v_mul_f64 v[218:219], v[222:223], v[218:219]
	v_fma_f64 v[244:245], v[220:221], v[216:217], -v[218:219]
	ds_read_b128 v[216:219], v2 offset:1296
	s_waitcnt vmcnt(2) lgkmcnt(2)
	v_mul_f64 v[220:221], v[208:209], v[134:135]
	v_fmac_f64_e32 v[220:221], v[210:211], v[132:133]
	s_waitcnt vmcnt(1) lgkmcnt(1)
	v_mul_f64 v[222:223], v[212:213], v[138:139]
	v_add_f64 v[220:221], v[224:225], v[220:221]
	v_fmac_f64_e32 v[222:223], v[214:215], v[136:137]
	v_add_f64 v[220:221], v[220:221], v[222:223]
	ds_read_b128 v[224:227], v2 offset:1312
	s_waitcnt vmcnt(0) lgkmcnt(1)
	v_mul_f64 v[222:223], v[216:217], v[142:143]
	v_fmac_f64_e32 v[222:223], v[218:219], v[140:141]
	v_add_f64 v[228:229], v[220:221], v[222:223]
	scratch_load_dwordx4 v[220:223], off, off offset:656
	scratch_load_dwordx4 v[232:235], off, off offset:672
	v_add_f64 v[246:247], v[246:247], 0
	v_add_f64 v[240:241], v[246:247], v[240:241]
	;; [unrolled: 1-line block ×6, first 2 shown]
	v_mul_f64 v[6:7], v[46:47], v[6:7]
	v_fma_f64 v[4:5], v[44:45], v[4:5], -v[6:7]
	v_mul_f64 v[6:7], v[66:67], v[10:11]
	v_fma_f64 v[6:7], v[64:65], v[8:9], -v[6:7]
	s_waitcnt vmcnt(1) lgkmcnt(0)
	v_mul_f64 v[230:231], v[224:225], v[222:223]
	v_fmac_f64_e32 v[230:231], v[226:227], v[220:221]
	v_add_f64 v[254:255], v[228:229], v[230:231]
	ds_read_b128 v[228:231], v2 offset:1328
	s_waitcnt vmcnt(0) lgkmcnt(0)
	v_mul_f64 v[2:3], v[228:229], v[234:235]
	v_fmac_f64_e32 v[2:3], v[230:231], v[232:233]
	v_add_f64 v[2:3], v[254:255], v[2:3]
	v_add_f64 v[254:255], v[236:237], v[252:253]
	scratch_load_dwordx4 v[236:239], off, off offset:64
	v_add_f64 v[240:241], v[254:255], v[242:243]
	v_add_f64 v[240:241], v[240:241], v[244:245]
	;; [unrolled: 1-line block ×4, first 2 shown]
	v_mul_f64 v[6:7], v[62:63], v[14:15]
	v_fma_f64 v[6:7], v[60:61], v[12:13], -v[6:7]
	v_add_f64 v[4:5], v[4:5], v[6:7]
	v_mul_f64 v[6:7], v[58:59], v[18:19]
	v_fma_f64 v[6:7], v[56:57], v[16:17], -v[6:7]
	v_add_f64 v[4:5], v[4:5], v[6:7]
	;; [unrolled: 3-line block ×27, first 2 shown]
	s_waitcnt vmcnt(0)
	v_add_f64 v[4:5], v[236:237], -v[4:5]
	v_add_f64 v[6:7], v[238:239], -v[2:3]
	scratch_store_dwordx4 off, v[4:7], off offset:64
	s_and_saveexec_b64 s[0:1], vcc
	s_cbranch_execz .LBB105_261
; %bb.260:
	scratch_load_dwordx4 v[2:5], off, s56
	v_mov_b32_e32 v6, 0
	v_mov_b32_e32 v7, v6
	v_mov_b32_e32 v8, v6
	v_mov_b32_e32 v9, v6
	v_accvgpr_read_b32 v0, a85
	scratch_store_dwordx4 off, v[6:9], off offset:48
	s_waitcnt vmcnt(1)
	ds_write_b128 v0, v[2:5]
.LBB105_261:
	s_or_b64 exec, exec, s[0:1]
	s_waitcnt lgkmcnt(0)
	; wave barrier
	scratch_load_dwordx4 v[80:83], off, off offset:64
	scratch_load_dwordx4 v[84:87], off, off offset:80
	;; [unrolled: 1-line block ×31, first 2 shown]
	v_mov_b32_e32 v2, 0
	ds_read_b128 v[196:199], v2 offset:720
	ds_read_b128 v[200:203], v2 offset:736
	;; [unrolled: 1-line block ×20, first 2 shown]
	s_waitcnt vmcnt(30) lgkmcnt(14)
	v_mul_f64 v[140:141], v[196:197], v[82:83]
	s_waitcnt vmcnt(29)
	v_mul_f64 v[142:143], v[200:201], v[86:87]
	v_fmac_f64_e32 v[140:141], v[198:199], v[80:81]
	s_waitcnt vmcnt(28)
	v_mul_f64 v[152:153], v[204:205], v[90:91]
	v_fmac_f64_e32 v[142:143], v[202:203], v[84:85]
	v_add_f64 v[140:141], v[140:141], 0
	s_waitcnt vmcnt(27)
	v_mul_f64 v[154:155], v[208:209], v[94:95]
	v_fmac_f64_e32 v[152:153], v[206:207], v[88:89]
	v_add_f64 v[140:141], v[140:141], v[142:143]
	;; [unrolled: 4-line block ×4, first 2 shown]
	s_waitcnt vmcnt(24) lgkmcnt(13)
	v_mul_f64 v[164:165], v[220:221], v[106:107]
	v_fmac_f64_e32 v[162:163], v[218:219], v[100:101]
	v_add_f64 v[140:141], v[140:141], v[160:161]
	s_waitcnt vmcnt(23) lgkmcnt(12)
	v_mul_f64 v[166:167], v[224:225], v[110:111]
	v_fmac_f64_e32 v[164:165], v[222:223], v[104:105]
	v_add_f64 v[140:141], v[140:141], v[162:163]
	s_waitcnt vmcnt(22) lgkmcnt(11)
	v_mul_f64 v[168:169], v[228:229], v[114:115]
	v_fmac_f64_e32 v[166:167], v[226:227], v[108:109]
	v_add_f64 v[140:141], v[140:141], v[164:165]
	s_waitcnt vmcnt(21) lgkmcnt(10)
	v_mul_f64 v[170:171], v[242:243], v[118:119]
	v_fmac_f64_e32 v[168:169], v[230:231], v[112:113]
	v_add_f64 v[140:141], v[140:141], v[166:167]
	s_waitcnt vmcnt(20) lgkmcnt(9)
	v_mul_f64 v[172:173], v[246:247], v[122:123]
	v_fmac_f64_e32 v[170:171], v[244:245], v[116:117]
	v_add_f64 v[140:141], v[140:141], v[168:169]
	s_waitcnt vmcnt(19) lgkmcnt(8)
	v_mul_f64 v[174:175], v[156:157], v[236:237]
	v_fmac_f64_e32 v[172:173], v[248:249], v[120:121]
	v_add_f64 v[140:141], v[140:141], v[170:171]
	s_waitcnt vmcnt(18) lgkmcnt(7)
	v_mul_f64 v[176:177], v[148:149], v[10:11]
	v_fmac_f64_e32 v[174:175], v[158:159], v[234:235]
	v_add_f64 v[140:141], v[140:141], v[172:173]
	s_waitcnt vmcnt(17) lgkmcnt(6)
	v_mul_f64 v[178:179], v[144:145], v[14:15]
	v_fmac_f64_e32 v[176:177], v[150:151], v[8:9]
	v_add_f64 v[140:141], v[140:141], v[174:175]
	v_fmac_f64_e32 v[178:179], v[146:147], v[12:13]
	v_add_f64 v[140:141], v[140:141], v[176:177]
	v_add_f64 v[140:141], v[140:141], v[178:179]
	ds_read_b128 v[176:179], v2 offset:992
	s_waitcnt vmcnt(16) lgkmcnt(6)
	v_mul_f64 v[180:181], v[136:137], v[18:19]
	s_waitcnt vmcnt(15) lgkmcnt(5)
	v_mul_f64 v[182:183], v[132:133], v[22:23]
	v_fmac_f64_e32 v[180:181], v[138:139], v[16:17]
	v_add_f64 v[152:153], v[140:141], v[180:181]
	v_fmac_f64_e32 v[182:183], v[134:135], v[20:21]
	scratch_load_dwordx4 v[140:143], off, off offset:560
	s_waitcnt vmcnt(15) lgkmcnt(4)
	v_mul_f64 v[154:155], v[128:129], v[26:27]
	v_add_f64 v[152:153], v[152:153], v[182:183]
	v_fmac_f64_e32 v[154:155], v[130:131], v[24:25]
	v_add_f64 v[160:161], v[152:153], v[154:155]
	ds_read_b128 v[180:183], v2 offset:1008
	s_waitcnt vmcnt(14) lgkmcnt(1)
	v_mul_f64 v[162:163], v[176:177], v[30:31]
	scratch_load_dwordx4 v[152:155], off, off offset:576
	v_fmac_f64_e32 v[162:163], v[178:179], v[28:29]
	v_add_f64 v[164:165], v[160:161], v[162:163]
	scratch_load_dwordx4 v[160:163], off, off offset:592
	s_waitcnt vmcnt(15) lgkmcnt(0)
	v_mul_f64 v[166:167], v[180:181], v[34:35]
	v_fmac_f64_e32 v[166:167], v[182:183], v[32:33]
	v_add_f64 v[168:169], v[164:165], v[166:167]
	s_waitcnt vmcnt(14)
	v_mul_f64 v[170:171], v[184:185], v[38:39]
	scratch_load_dwordx4 v[164:167], off, off offset:608
	v_fmac_f64_e32 v[170:171], v[186:187], v[36:37]
	v_add_f64 v[168:169], v[168:169], v[170:171]
	s_waitcnt vmcnt(14)
	v_mul_f64 v[170:171], v[188:189], v[42:43]
	scratch_load_dwordx4 v[172:175], off, off offset:624
	v_fmac_f64_e32 v[170:171], v[190:191], v[40:41]
	v_add_f64 v[232:233], v[168:169], v[170:171]
	scratch_load_dwordx4 v[168:171], off, off offset:640
	v_mul_f64 v[82:83], v[198:199], v[82:83]
	v_fma_f64 v[240:241], v[196:197], v[80:81], -v[82:83]
	ds_read_b128 v[196:199], v2 offset:1072
	s_waitcnt vmcnt(15)
	v_mul_f64 v[80:81], v[192:193], v[46:47]
	v_fmac_f64_e32 v[80:81], v[194:195], v[44:45]
	v_add_f64 v[232:233], v[232:233], v[80:81]
	v_mul_f64 v[80:81], v[202:203], v[86:87]
	v_fma_f64 v[250:251], v[200:201], v[84:85], -v[80:81]
	scratch_load_dwordx4 v[80:83], off, off offset:656
	ds_read_b128 v[84:87], v2 offset:1088
	v_mul_f64 v[90:91], v[206:207], v[90:91]
	v_fma_f64 v[252:253], v[204:205], v[88:89], -v[90:91]
	ds_read_b128 v[88:91], v2 offset:1104
	s_waitcnt vmcnt(15) lgkmcnt(2)
	v_mul_f64 v[200:201], v[196:197], v[50:51]
	v_fmac_f64_e32 v[200:201], v[198:199], v[48:49]
	s_waitcnt vmcnt(14) lgkmcnt(1)
	v_mul_f64 v[202:203], v[84:85], v[54:55]
	v_add_f64 v[200:201], v[232:233], v[200:201]
	v_fmac_f64_e32 v[202:203], v[86:87], v[52:53]
	v_mul_f64 v[94:95], v[210:211], v[94:95]
	v_fma_f64 v[254:255], v[208:209], v[92:93], -v[94:95]
	ds_read_b128 v[92:95], v2 offset:1120
	v_add_f64 v[200:201], v[200:201], v[202:203]
	s_waitcnt vmcnt(13) lgkmcnt(1)
	v_mul_f64 v[202:203], v[88:89], v[58:59]
	v_fmac_f64_e32 v[202:203], v[90:91], v[56:57]
	v_add_f64 v[204:205], v[200:201], v[202:203]
	ds_read_b128 v[200:203], v2 offset:1136
	v_mul_f64 v[98:99], v[214:215], v[98:99]
	v_fma_f64 v[232:233], v[212:213], v[96:97], -v[98:99]
	ds_read_b128 v[96:99], v2 offset:1152
	s_waitcnt vmcnt(12) lgkmcnt(2)
	v_mul_f64 v[206:207], v[92:93], v[62:63]
	v_fmac_f64_e32 v[206:207], v[94:95], v[60:61]
	v_add_f64 v[204:205], v[204:205], v[206:207]
	s_waitcnt vmcnt(11) lgkmcnt(1)
	v_mul_f64 v[206:207], v[200:201], v[66:67]
	v_fmac_f64_e32 v[206:207], v[202:203], v[64:65]
	v_mul_f64 v[102:103], v[218:219], v[102:103]
	v_add_f64 v[204:205], v[204:205], v[206:207]
	v_fma_f64 v[4:5], v[216:217], v[100:101], -v[102:103]
	ds_read_b128 v[100:103], v2 offset:1168
	s_waitcnt vmcnt(10) lgkmcnt(1)
	v_mul_f64 v[206:207], v[96:97], v[70:71]
	v_fmac_f64_e32 v[206:207], v[98:99], v[68:69]
	v_add_f64 v[208:209], v[204:205], v[206:207]
	ds_read_b128 v[204:207], v2 offset:1184
	v_mul_f64 v[106:107], v[222:223], v[106:107]
	v_fma_f64 v[0:1], v[220:221], v[104:105], -v[106:107]
	ds_read_b128 v[104:107], v2 offset:1200
	s_waitcnt vmcnt(9) lgkmcnt(2)
	v_mul_f64 v[210:211], v[100:101], v[74:75]
	v_fmac_f64_e32 v[210:211], v[102:103], v[72:73]
	v_add_f64 v[208:209], v[208:209], v[210:211]
	s_waitcnt vmcnt(8) lgkmcnt(1)
	v_mul_f64 v[210:211], v[204:205], v[78:79]
	v_fmac_f64_e32 v[210:211], v[206:207], v[76:77]
	v_mul_f64 v[6:7], v[226:227], v[110:111]
	v_fma_f64 v[6:7], v[224:225], v[108:109], -v[6:7]
	ds_read_b128 v[108:111], v2 offset:1216
	v_add_f64 v[208:209], v[208:209], v[210:211]
	s_waitcnt vmcnt(7) lgkmcnt(1)
	v_mul_f64 v[210:211], v[104:105], v[126:127]
	v_fmac_f64_e32 v[210:211], v[106:107], v[124:125]
	v_mul_f64 v[114:115], v[230:231], v[114:115]
	v_add_f64 v[212:213], v[208:209], v[210:211]
	ds_read_b128 v[208:211], v2 offset:1232
	v_fma_f64 v[112:113], v[228:229], v[112:113], -v[114:115]
	v_accvgpr_write_b32 a86, v112
	v_accvgpr_write_b32 a87, v113
	ds_read_b128 v[112:115], v2 offset:1248
	s_waitcnt vmcnt(6) lgkmcnt(2)
	v_mul_f64 v[214:215], v[108:109], v[142:143]
	v_fmac_f64_e32 v[214:215], v[110:111], v[140:141]
	v_add_f64 v[212:213], v[212:213], v[214:215]
	s_waitcnt vmcnt(5) lgkmcnt(1)
	v_mul_f64 v[214:215], v[208:209], v[154:155]
	v_fmac_f64_e32 v[214:215], v[210:211], v[152:153]
	v_mul_f64 v[118:119], v[244:245], v[118:119]
	v_add_f64 v[212:213], v[212:213], v[214:215]
	v_fma_f64 v[238:239], v[242:243], v[116:117], -v[118:119]
	ds_read_b128 v[116:119], v2 offset:1264
	s_waitcnt vmcnt(4) lgkmcnt(1)
	v_mul_f64 v[214:215], v[112:113], v[162:163]
	v_fmac_f64_e32 v[214:215], v[114:115], v[160:161]
	v_add_f64 v[216:217], v[212:213], v[214:215]
	ds_read_b128 v[212:215], v2 offset:1280
	v_mul_f64 v[122:123], v[248:249], v[122:123]
	v_fma_f64 v[242:243], v[246:247], v[120:121], -v[122:123]
	ds_read_b128 v[120:123], v2 offset:1296
	s_waitcnt vmcnt(3) lgkmcnt(2)
	v_mul_f64 v[218:219], v[116:117], v[166:167]
	v_fmac_f64_e32 v[218:219], v[118:119], v[164:165]
	v_add_f64 v[216:217], v[216:217], v[218:219]
	s_waitcnt vmcnt(2) lgkmcnt(1)
	v_mul_f64 v[218:219], v[212:213], v[174:175]
	v_fmac_f64_e32 v[218:219], v[214:215], v[172:173]
	v_add_f64 v[216:217], v[216:217], v[218:219]
	;; [unrolled: 4-line block ×3, first 2 shown]
	ds_read_b128 v[216:219], v2 offset:1312
	ds_read_b128 v[224:227], v2 offset:1328
	s_waitcnt vmcnt(0) lgkmcnt(1)
	v_mul_f64 v[222:223], v[216:217], v[82:83]
	v_fmac_f64_e32 v[222:223], v[218:219], v[80:81]
	v_add_f64 v[228:229], v[220:221], v[222:223]
	scratch_load_dwordx4 v[220:223], off, off offset:672
	s_waitcnt vmcnt(0) lgkmcnt(0)
	v_mul_f64 v[230:231], v[224:225], v[222:223]
	v_fmac_f64_e32 v[230:231], v[226:227], v[220:221]
	v_add_f64 v[246:247], v[228:229], v[230:231]
	v_add_f64 v[228:229], v[240:241], 0
	;; [unrolled: 1-line block ×7, first 2 shown]
	scratch_load_dwordx4 v[228:231], off, off offset:48
	v_add_f64 v[244:245], v[4:5], v[0:1]
	v_accvgpr_read_b32 v4, a86
	v_add_f64 v[0:1], v[244:245], v[6:7]
	v_accvgpr_read_b32 v5, a87
	v_add_f64 v[0:1], v[0:1], v[4:5]
	v_add_f64 v[0:1], v[0:1], v[238:239]
	v_mul_f64 v[4:5], v[158:159], v[236:237]
	v_add_f64 v[0:1], v[0:1], v[242:243]
	v_fma_f64 v[4:5], v[156:157], v[234:235], -v[4:5]
	v_add_f64 v[0:1], v[0:1], v[4:5]
	v_mul_f64 v[4:5], v[150:151], v[10:11]
	v_fma_f64 v[4:5], v[148:149], v[8:9], -v[4:5]
	v_add_f64 v[0:1], v[0:1], v[4:5]
	v_mul_f64 v[4:5], v[146:147], v[14:15]
	;; [unrolled: 3-line block ×27, first 2 shown]
	v_fma_f64 v[4:5], v[224:225], v[220:221], -v[4:5]
	v_add_f64 v[0:1], v[0:1], v[4:5]
	s_waitcnt vmcnt(0)
	v_add_f64 v[4:5], v[228:229], -v[0:1]
	v_accvgpr_read_b32 v0, a84
	v_add_f64 v[6:7], v[230:231], -v[246:247]
	v_cmp_lt_u32_e32 vcc, 1, v0
	scratch_store_dwordx4 off, v[4:7], off offset:48
	s_and_saveexec_b64 s[0:1], vcc
	s_cbranch_execz .LBB105_263
; %bb.262:
	scratch_load_dwordx4 v[6:9], off, s57
	v_mov_b32_e32 v3, v2
	v_mov_b32_e32 v4, v2
	;; [unrolled: 1-line block ×3, first 2 shown]
	v_accvgpr_read_b32 v0, a85
	scratch_store_dwordx4 off, v[2:5], off offset:32
	s_waitcnt vmcnt(1)
	ds_write_b128 v0, v[6:9]
.LBB105_263:
	s_or_b64 exec, exec, s[0:1]
	s_waitcnt lgkmcnt(0)
	; wave barrier
	scratch_load_dwordx4 v[132:135], off, off offset:48
	scratch_load_dwordx4 v[160:163], off, off offset:64
	;; [unrolled: 1-line block ×16, first 2 shown]
	ds_read_b128 v[156:159], v2 offset:704
	ds_read_b128 v[172:175], v2 offset:720
	scratch_load_dwordx4 v[24:27], off, off offset:304
	ds_read_b128 v[232:235], v2 offset:736
	ds_read_b128 v[228:231], v2 offset:752
	scratch_load_dwordx4 v[28:31], off, off offset:320
	ds_read_b128 v[236:239], v2 offset:768
	ds_read_b128 v[184:187], v2 offset:784
	;; [unrolled: 1-line block ×5, first 2 shown]
	scratch_load_dwordx4 v[32:35], off, off offset:336
	ds_read_b128 v[220:223], v2 offset:848
	ds_read_b128 v[216:219], v2 offset:864
	;; [unrolled: 1-line block ×3, first 2 shown]
	scratch_load_dwordx4 v[36:39], off, off offset:352
	ds_read_b128 v[64:67], v2 offset:896
	ds_read_b128 v[60:63], v2 offset:912
	;; [unrolled: 1-line block ×5, first 2 shown]
	scratch_load_dwordx4 v[52:55], off, off offset:368
	scratch_load_dwordx4 v[68:71], off, off offset:384
	;; [unrolled: 1-line block ×11, first 2 shown]
	ds_read_b128 v[144:147], v2 offset:1008
	ds_read_b128 v[148:151], v2 offset:1024
	;; [unrolled: 1-line block ×3, first 2 shown]
	s_waitcnt vmcnt(30) lgkmcnt(14)
	v_mul_f64 v[0:1], v[156:157], v[134:135]
	s_waitcnt vmcnt(29)
	v_mul_f64 v[108:109], v[172:173], v[162:163]
	v_fmac_f64_e32 v[0:1], v[158:159], v[132:133]
	s_waitcnt vmcnt(28)
	v_mul_f64 v[110:111], v[232:233], v[166:167]
	v_fmac_f64_e32 v[108:109], v[174:175], v[160:161]
	v_add_f64 v[0:1], v[0:1], 0
	s_waitcnt vmcnt(27)
	v_mul_f64 v[112:113], v[228:229], v[170:171]
	v_fmac_f64_e32 v[110:111], v[234:235], v[164:165]
	v_add_f64 v[0:1], v[0:1], v[108:109]
	;; [unrolled: 4-line block ×4, first 2 shown]
	s_waitcnt vmcnt(24) lgkmcnt(13)
	v_mul_f64 v[118:119], v[224:225], v[190:191]
	v_fmac_f64_e32 v[116:117], v[186:187], v[180:181]
	v_add_f64 v[0:1], v[0:1], v[114:115]
	s_waitcnt vmcnt(23) lgkmcnt(12)
	v_mul_f64 v[120:121], v[196:197], v[194:195]
	v_fmac_f64_e32 v[118:119], v[226:227], v[188:189]
	v_add_f64 v[0:1], v[0:1], v[116:117]
	;; [unrolled: 4-line block ×9, first 2 shown]
	v_fmac_f64_e32 v[138:139], v[58:59], v[16:17]
	v_add_f64 v[0:1], v[0:1], v[136:137]
	v_add_f64 v[0:1], v[0:1], v[138:139]
	ds_read_b128 v[136:139], v2 offset:976
	s_waitcnt vmcnt(15) lgkmcnt(5)
	v_mul_f64 v[140:141], v[48:49], v[22:23]
	v_fmac_f64_e32 v[140:141], v[50:51], v[20:21]
	s_waitcnt vmcnt(14) lgkmcnt(4)
	v_mul_f64 v[112:113], v[44:45], v[26:27]
	scratch_load_dwordx4 v[108:111], off, off offset:544
	v_add_f64 v[0:1], v[0:1], v[140:141]
	v_fmac_f64_e32 v[112:113], v[46:47], v[24:25]
	v_add_f64 v[0:1], v[0:1], v[112:113]
	scratch_load_dwordx4 v[112:115], off, off offset:560
	ds_read_b128 v[140:143], v2 offset:992
	s_waitcnt vmcnt(15) lgkmcnt(1)
	v_mul_f64 v[116:117], v[136:137], v[30:31]
	v_fmac_f64_e32 v[116:117], v[138:139], v[28:29]
	v_add_f64 v[0:1], v[0:1], v[116:117]
	scratch_load_dwordx4 v[116:119], off, off offset:576
	s_waitcnt vmcnt(15) lgkmcnt(0)
	v_mul_f64 v[120:121], v[140:141], v[34:35]
	v_fmac_f64_e32 v[120:121], v[142:143], v[32:33]
	s_waitcnt vmcnt(14)
	v_mul_f64 v[124:125], v[144:145], v[38:39]
	v_add_f64 v[0:1], v[0:1], v[120:121]
	scratch_load_dwordx4 v[120:123], off, off offset:592
	v_fmac_f64_e32 v[124:125], v[146:147], v[36:37]
	v_add_f64 v[0:1], v[0:1], v[124:125]
	s_waitcnt vmcnt(14)
	v_mul_f64 v[124:125], v[148:149], v[54:55]
	scratch_load_dwordx4 v[128:131], off, off offset:608
	v_fmac_f64_e32 v[124:125], v[150:151], v[52:53]
	v_add_f64 v[0:1], v[0:1], v[124:125]
	scratch_load_dwordx4 v[124:127], off, off offset:624
	v_mul_f64 v[134:135], v[158:159], v[134:135]
	v_fma_f64 v[240:241], v[156:157], v[132:133], -v[134:135]
	ds_read_b128 v[156:159], v2 offset:1056
	s_waitcnt vmcnt(15)
	v_mul_f64 v[132:133], v[152:153], v[70:71]
	v_fmac_f64_e32 v[132:133], v[154:155], v[68:69]
	v_add_f64 v[0:1], v[0:1], v[132:133]
	v_mul_f64 v[132:133], v[174:175], v[162:163]
	v_fma_f64 v[244:245], v[172:173], v[160:161], -v[132:133]
	scratch_load_dwordx4 v[132:135], off, off offset:640
	ds_read_b128 v[160:163], v2 offset:1072
	v_mul_f64 v[166:167], v[234:235], v[166:167]
	v_fma_f64 v[246:247], v[232:233], v[164:165], -v[166:167]
	ds_read_b128 v[164:167], v2 offset:1088
	s_waitcnt vmcnt(15) lgkmcnt(2)
	v_mul_f64 v[172:173], v[156:157], v[74:75]
	v_fmac_f64_e32 v[172:173], v[158:159], v[72:73]
	v_add_f64 v[0:1], v[0:1], v[172:173]
	s_waitcnt vmcnt(14) lgkmcnt(1)
	v_mul_f64 v[172:173], v[160:161], v[78:79]
	v_fmac_f64_e32 v[172:173], v[162:163], v[76:77]
	v_mul_f64 v[170:171], v[230:231], v[170:171]
	v_fma_f64 v[248:249], v[228:229], v[168:169], -v[170:171]
	ds_read_b128 v[168:171], v2 offset:1104
	v_add_f64 v[0:1], v[0:1], v[172:173]
	s_waitcnt vmcnt(13) lgkmcnt(1)
	v_mul_f64 v[172:173], v[164:165], v[82:83]
	v_fmac_f64_e32 v[172:173], v[166:167], v[80:81]
	v_add_f64 v[0:1], v[0:1], v[172:173]
	ds_read_b128 v[172:175], v2 offset:1120
	v_mul_f64 v[178:179], v[238:239], v[178:179]
	v_fma_f64 v[236:237], v[236:237], v[176:177], -v[178:179]
	ds_read_b128 v[176:179], v2 offset:1136
	s_waitcnt vmcnt(12) lgkmcnt(2)
	v_mul_f64 v[228:229], v[168:169], v[86:87]
	v_fmac_f64_e32 v[228:229], v[170:171], v[84:85]
	v_add_f64 v[0:1], v[0:1], v[228:229]
	s_waitcnt vmcnt(11) lgkmcnt(1)
	v_mul_f64 v[228:229], v[172:173], v[90:91]
	v_mul_f64 v[182:183], v[186:187], v[182:183]
	v_fmac_f64_e32 v[228:229], v[174:175], v[88:89]
	v_fma_f64 v[238:239], v[184:185], v[180:181], -v[182:183]
	ds_read_b128 v[180:183], v2 offset:1152
	s_waitcnt vmcnt(10) lgkmcnt(1)
	v_mul_f64 v[184:185], v[176:177], v[94:95]
	v_add_f64 v[0:1], v[0:1], v[228:229]
	v_fmac_f64_e32 v[184:185], v[178:179], v[92:93]
	v_add_f64 v[0:1], v[0:1], v[184:185]
	ds_read_b128 v[184:187], v2 offset:1168
	v_mul_f64 v[190:191], v[226:227], v[190:191]
	v_fma_f64 v[250:251], v[224:225], v[188:189], -v[190:191]
	ds_read_b128 v[188:191], v2 offset:1184
	s_waitcnt vmcnt(9) lgkmcnt(2)
	v_mul_f64 v[228:229], v[180:181], v[98:99]
	v_fmac_f64_e32 v[228:229], v[182:183], v[96:97]
	s_waitcnt vmcnt(8) lgkmcnt(1)
	v_mul_f64 v[224:225], v[184:185], v[102:103]
	v_mul_f64 v[194:195], v[198:199], v[194:195]
	v_add_f64 v[0:1], v[0:1], v[228:229]
	v_fmac_f64_e32 v[224:225], v[186:187], v[100:101]
	v_fma_f64 v[252:253], v[196:197], v[192:193], -v[194:195]
	s_waitcnt vmcnt(7) lgkmcnt(0)
	v_mul_f64 v[196:197], v[188:189], v[106:107]
	ds_read_b128 v[192:195], v2 offset:1200
	v_add_f64 v[0:1], v[0:1], v[224:225]
	v_fmac_f64_e32 v[196:197], v[190:191], v[104:105]
	v_add_f64 v[0:1], v[0:1], v[196:197]
	ds_read_b128 v[196:199], v2 offset:1216
	v_mul_f64 v[202:203], v[210:211], v[202:203]
	v_fma_f64 v[242:243], v[208:209], v[200:201], -v[202:203]
	ds_read_b128 v[200:203], v2 offset:1232
	s_waitcnt vmcnt(6) lgkmcnt(2)
	v_mul_f64 v[224:225], v[192:193], v[110:111]
	v_fmac_f64_e32 v[224:225], v[194:195], v[108:109]
	s_waitcnt vmcnt(5) lgkmcnt(1)
	v_mul_f64 v[208:209], v[196:197], v[114:115]
	v_add_f64 v[0:1], v[0:1], v[224:225]
	v_fmac_f64_e32 v[208:209], v[198:199], v[112:113]
	v_add_f64 v[208:209], v[0:1], v[208:209]
	v_mul_f64 v[0:1], v[222:223], v[206:207]
	v_fma_f64 v[0:1], v[220:221], v[204:205], -v[0:1]
	ds_read_b128 v[204:207], v2 offset:1248
	s_waitcnt vmcnt(4) lgkmcnt(1)
	v_mul_f64 v[210:211], v[200:201], v[118:119]
	v_fmac_f64_e32 v[210:211], v[202:203], v[116:117]
	v_add_f64 v[220:221], v[208:209], v[210:211]
	ds_read_b128 v[208:211], v2 offset:1264
	v_mul_f64 v[214:215], v[218:219], v[214:215]
	v_fma_f64 v[254:255], v[216:217], v[212:213], -v[214:215]
	ds_read_b128 v[212:215], v2 offset:1280
	s_waitcnt vmcnt(3) lgkmcnt(2)
	v_mul_f64 v[216:217], v[204:205], v[122:123]
	v_fmac_f64_e32 v[216:217], v[206:207], v[120:121]
	s_waitcnt vmcnt(2) lgkmcnt(1)
	v_mul_f64 v[218:219], v[208:209], v[130:131]
	v_add_f64 v[216:217], v[220:221], v[216:217]
	v_fmac_f64_e32 v[218:219], v[210:211], v[128:129]
	v_add_f64 v[216:217], v[216:217], v[218:219]
	s_waitcnt vmcnt(1) lgkmcnt(0)
	v_mul_f64 v[218:219], v[212:213], v[126:127]
	v_fmac_f64_e32 v[218:219], v[214:215], v[124:125]
	v_add_f64 v[220:221], v[216:217], v[218:219]
	ds_read_b128 v[216:219], v2 offset:1296
	ds_read_b128 v[224:227], v2 offset:1312
	scratch_load_dwordx4 v[232:235], off, off offset:672
	v_accvgpr_write_b32 a87, v1
	v_accvgpr_write_b32 a86, v0
	s_waitcnt vmcnt(1) lgkmcnt(1)
	v_mul_f64 v[222:223], v[216:217], v[134:135]
	v_fmac_f64_e32 v[222:223], v[218:219], v[132:133]
	v_add_f64 v[228:229], v[220:221], v[222:223]
	scratch_load_dwordx4 v[220:223], off, off offset:656
	v_mul_f64 v[6:7], v[42:43], v[6:7]
	v_fma_f64 v[4:5], v[40:41], v[4:5], -v[6:7]
	s_waitcnt vmcnt(0) lgkmcnt(0)
	v_mul_f64 v[230:231], v[224:225], v[222:223]
	v_fmac_f64_e32 v[230:231], v[226:227], v[220:221]
	v_add_f64 v[0:1], v[228:229], v[230:231]
	ds_read_b128 v[228:231], v2 offset:1328
	s_waitcnt lgkmcnt(0)
	v_mul_f64 v[2:3], v[228:229], v[234:235]
	v_fmac_f64_e32 v[2:3], v[230:231], v[232:233]
	v_add_f64 v[2:3], v[0:1], v[2:3]
	v_add_f64 v[0:1], v[240:241], 0
	;; [unrolled: 1-line block ×7, first 2 shown]
	scratch_load_dwordx4 v[236:239], off, off offset:32
	v_add_f64 v[0:1], v[0:1], v[250:251]
	v_add_f64 v[0:1], v[0:1], v[252:253]
	;; [unrolled: 1-line block ×3, first 2 shown]
	v_accvgpr_read_b32 v0, a86
	v_accvgpr_read_b32 v1, a87
	v_add_f64 v[0:1], v[244:245], v[0:1]
	v_add_f64 v[0:1], v[0:1], v[254:255]
	;; [unrolled: 1-line block ×3, first 2 shown]
	v_mul_f64 v[4:5], v[66:67], v[10:11]
	v_fma_f64 v[4:5], v[64:65], v[8:9], -v[4:5]
	v_add_f64 v[0:1], v[0:1], v[4:5]
	v_mul_f64 v[4:5], v[62:63], v[14:15]
	v_fma_f64 v[4:5], v[60:61], v[12:13], -v[4:5]
	v_add_f64 v[0:1], v[0:1], v[4:5]
	;; [unrolled: 3-line block ×28, first 2 shown]
	s_waitcnt vmcnt(0)
	v_add_f64 v[4:5], v[236:237], -v[0:1]
	v_accvgpr_read_b32 v0, a84
	v_add_f64 v[6:7], v[238:239], -v[2:3]
	v_cmp_ne_u32_e32 vcc, 0, v0
	scratch_store_dwordx4 off, v[4:7], off offset:32
	s_and_saveexec_b64 s[0:1], vcc
	s_cbranch_execz .LBB105_265
; %bb.264:
	scratch_load_dwordx4 v[2:5], off, off offset:16
	v_mov_b32_e32 v6, 0
	v_mov_b32_e32 v7, v6
	;; [unrolled: 1-line block ×4, first 2 shown]
	v_accvgpr_read_b32 v0, a85
	scratch_store_dwordx4 off, v[6:9], off offset:16
	s_waitcnt vmcnt(1)
	ds_write_b128 v0, v[2:5]
.LBB105_265:
	s_or_b64 exec, exec, s[0:1]
	s_waitcnt lgkmcnt(0)
	; wave barrier
	scratch_load_dwordx4 v[120:123], off, off offset:32
	scratch_load_dwordx4 v[124:127], off, off offset:48
	;; [unrolled: 1-line block ×30, first 2 shown]
	v_mov_b32_e32 v4, 0
	ds_read_b128 v[152:155], v4 offset:688
	ds_read_b128 v[164:167], v4 offset:704
	;; [unrolled: 1-line block ×21, first 2 shown]
	s_and_b64 vcc, exec, s[10:11]
	s_waitcnt vmcnt(29) lgkmcnt(14)
	v_mul_f64 v[88:89], v[152:153], v[122:123]
	s_waitcnt vmcnt(28)
	v_mul_f64 v[90:91], v[164:165], v[126:127]
	v_fmac_f64_e32 v[88:89], v[154:155], v[120:121]
	s_waitcnt vmcnt(27)
	v_mul_f64 v[96:97], v[176:177], v[158:159]
	v_fmac_f64_e32 v[90:91], v[166:167], v[124:125]
	v_add_f64 v[88:89], v[88:89], 0
	s_waitcnt vmcnt(26)
	v_mul_f64 v[98:99], v[188:189], v[162:163]
	v_fmac_f64_e32 v[96:97], v[178:179], v[156:157]
	v_add_f64 v[88:89], v[88:89], v[90:91]
	;; [unrolled: 4-line block ×5, first 2 shown]
	s_waitcnt vmcnt(22) lgkmcnt(13)
	v_mul_f64 v[106:107], v[220:221], v[186:187]
	v_fmac_f64_e32 v[104:105], v[218:219], v[180:181]
	v_add_f64 v[88:89], v[88:89], v[102:103]
	s_waitcnt vmcnt(21) lgkmcnt(12)
	v_mul_f64 v[108:109], v[224:225], v[194:195]
	v_fmac_f64_e32 v[106:107], v[222:223], v[184:185]
	v_add_f64 v[88:89], v[88:89], v[104:105]
	;; [unrolled: 4-line block ×9, first 2 shown]
	v_fmac_f64_e32 v[130:131], v[78:79], v[12:13]
	v_add_f64 v[88:89], v[88:89], v[128:129]
	v_add_f64 v[96:97], v[88:89], v[130:131]
	scratch_load_dwordx4 v[88:91], off, off offset:512
	ds_read_b128 v[128:131], v4 offset:960
	s_waitcnt vmcnt(14) lgkmcnt(5)
	v_mul_f64 v[98:99], v[72:73], v[18:19]
	v_accvgpr_write_b32 a88, v132
	v_fmac_f64_e32 v[98:99], v[74:75], v[16:17]
	v_accvgpr_write_b32 a89, v133
	v_accvgpr_write_b32 a90, v134
	;; [unrolled: 1-line block ×3, first 2 shown]
	v_add_f64 v[100:101], v[96:97], v[98:99]
	scratch_load_dwordx4 v[96:99], off, off offset:528
	ds_read_b128 v[132:135], v4 offset:976
	s_waitcnt vmcnt(14) lgkmcnt(1)
	v_mul_f64 v[102:103], v[128:129], v[22:23]
	v_fmac_f64_e32 v[102:103], v[130:131], v[20:21]
	v_add_f64 v[104:105], v[100:101], v[102:103]
	scratch_load_dwordx4 v[100:103], off, off offset:544
	s_waitcnt vmcnt(14) lgkmcnt(0)
	v_mul_f64 v[106:107], v[132:133], v[26:27]
	v_fmac_f64_e32 v[106:107], v[134:135], v[24:25]
	v_add_f64 v[108:109], v[104:105], v[106:107]
	scratch_load_dwordx4 v[104:107], off, off offset:560
	s_waitcnt vmcnt(14)
	v_mul_f64 v[110:111], v[136:137], v[30:31]
	v_fmac_f64_e32 v[110:111], v[138:139], v[28:29]
	v_add_f64 v[112:113], v[108:109], v[110:111]
	scratch_load_dwordx4 v[108:111], off, off offset:576
	scratch_load_dwordx4 v[116:119], off, off offset:592
	s_waitcnt vmcnt(15)
	v_mul_f64 v[114:115], v[140:141], v[34:35]
	v_fmac_f64_e32 v[114:115], v[142:143], v[32:33]
	v_add_f64 v[112:113], v[112:113], v[114:115]
	s_waitcnt vmcnt(14)
	v_mul_f64 v[114:115], v[144:145], v[38:39]
	v_fmac_f64_e32 v[114:115], v[146:147], v[36:37]
	v_add_f64 v[236:237], v[112:113], v[114:115]
	scratch_load_dwordx4 v[112:115], off, off offset:608
	v_mul_f64 v[122:123], v[154:155], v[122:123]
	v_fma_f64 v[240:241], v[152:153], v[120:121], -v[122:123]
	v_mul_f64 v[120:121], v[166:167], v[126:127]
	v_fma_f64 v[242:243], v[164:165], v[124:125], -v[120:121]
	scratch_load_dwordx4 v[120:123], off, off offset:624
	scratch_load_dwordx4 v[124:127], off, off offset:640
	ds_read_b128 v[152:155], v4 offset:1056
	v_mul_f64 v[158:159], v[178:179], v[158:159]
	v_fma_f64 v[250:251], v[176:177], v[156:157], -v[158:159]
	ds_read_b128 v[156:159], v4 offset:1072
	s_waitcnt vmcnt(16)
	v_mul_f64 v[238:239], v[148:149], v[42:43]
	v_fmac_f64_e32 v[238:239], v[150:151], v[40:41]
	s_waitcnt vmcnt(15) lgkmcnt(1)
	v_mul_f64 v[166:167], v[152:153], v[46:47]
	v_add_f64 v[164:165], v[236:237], v[238:239]
	v_fmac_f64_e32 v[166:167], v[154:155], v[44:45]
	v_mul_f64 v[162:163], v[190:191], v[162:163]
	v_add_f64 v[164:165], v[164:165], v[166:167]
	v_fma_f64 v[252:253], v[188:189], v[160:161], -v[162:163]
	ds_read_b128 v[160:163], v4 offset:1088
	s_waitcnt vmcnt(14) lgkmcnt(1)
	v_mul_f64 v[166:167], v[156:157], v[50:51]
	v_fmac_f64_e32 v[166:167], v[158:159], v[48:49]
	v_add_f64 v[176:177], v[164:165], v[166:167]
	ds_read_b128 v[164:167], v4 offset:1104
	v_mul_f64 v[170:171], v[202:203], v[170:171]
	v_fma_f64 v[236:237], v[200:201], v[168:169], -v[170:171]
	ds_read_b128 v[168:171], v4 offset:1120
	s_waitcnt vmcnt(13) lgkmcnt(2)
	v_mul_f64 v[178:179], v[160:161], v[54:55]
	v_fmac_f64_e32 v[178:179], v[162:163], v[52:53]
	v_add_f64 v[176:177], v[176:177], v[178:179]
	s_waitcnt vmcnt(12) lgkmcnt(1)
	v_mul_f64 v[178:179], v[164:165], v[58:59]
	v_fmac_f64_e32 v[178:179], v[166:167], v[56:57]
	v_mul_f64 v[174:175], v[214:215], v[174:175]
	v_add_f64 v[176:177], v[176:177], v[178:179]
	v_fma_f64 v[254:255], v[212:213], v[172:173], -v[174:175]
	ds_read_b128 v[172:175], v4 offset:1136
	s_waitcnt vmcnt(11) lgkmcnt(1)
	v_mul_f64 v[178:179], v[168:169], v[62:63]
	v_fmac_f64_e32 v[178:179], v[170:171], v[60:61]
	v_add_f64 v[188:189], v[176:177], v[178:179]
	ds_read_b128 v[176:179], v4 offset:1152
	v_accvgpr_write_b32 a87, v3
	v_mul_f64 v[182:183], v[218:219], v[182:183]
	v_accvgpr_write_b32 a86, v2
	v_accvgpr_write_b32 a85, v1
	;; [unrolled: 1-line block ×3, first 2 shown]
	v_fma_f64 v[0:1], v[216:217], v[180:181], -v[182:183]
	ds_read_b128 v[180:183], v4 offset:1168
	s_waitcnt vmcnt(10) lgkmcnt(2)
	v_mul_f64 v[190:191], v[172:173], v[66:67]
	v_fmac_f64_e32 v[190:191], v[174:175], v[64:65]
	s_waitcnt vmcnt(9) lgkmcnt(1)
	v_mul_f64 v[2:3], v[176:177], v[70:71]
	v_add_f64 v[188:189], v[188:189], v[190:191]
	v_fmac_f64_e32 v[2:3], v[178:179], v[68:69]
	v_mul_f64 v[186:187], v[222:223], v[186:187]
	v_add_f64 v[2:3], v[188:189], v[2:3]
	v_fma_f64 v[238:239], v[220:221], v[184:185], -v[186:187]
	ds_read_b128 v[184:187], v4 offset:1184
	s_waitcnt vmcnt(8) lgkmcnt(1)
	v_mul_f64 v[188:189], v[180:181], v[90:91]
	v_fmac_f64_e32 v[188:189], v[182:183], v[88:89]
	v_add_f64 v[2:3], v[2:3], v[188:189]
	ds_read_b128 v[188:191], v4 offset:1200
	s_waitcnt vmcnt(7) lgkmcnt(1)
	v_mul_f64 v[6:7], v[184:185], v[98:99]
	v_fmac_f64_e32 v[6:7], v[186:187], v[96:97]
	v_mul_f64 v[194:195], v[226:227], v[194:195]
	v_add_f64 v[2:3], v[2:3], v[6:7]
	s_waitcnt vmcnt(6) lgkmcnt(0)
	v_mul_f64 v[6:7], v[188:189], v[102:103]
	v_fma_f64 v[244:245], v[224:225], v[192:193], -v[194:195]
	ds_read_b128 v[192:195], v4 offset:1216
	v_fmac_f64_e32 v[6:7], v[190:191], v[100:101]
	v_add_f64 v[2:3], v[2:3], v[6:7]
	v_mul_f64 v[6:7], v[230:231], v[198:199]
	v_fma_f64 v[6:7], v[228:229], v[196:197], -v[6:7]
	ds_read_b128 v[196:199], v4 offset:1232
	s_waitcnt vmcnt(5) lgkmcnt(1)
	v_mul_f64 v[200:201], v[192:193], v[106:107]
	v_fmac_f64_e32 v[200:201], v[194:195], v[104:105]
	v_add_f64 v[2:3], v[2:3], v[200:201]
	ds_read_b128 v[200:203], v4 offset:1248
	s_waitcnt vmcnt(4) lgkmcnt(1)
	v_mul_f64 v[212:213], v[196:197], v[110:111]
	v_fmac_f64_e32 v[212:213], v[198:199], v[108:109]
	v_add_f64 v[212:213], v[2:3], v[212:213]
	v_mul_f64 v[2:3], v[234:235], v[206:207]
	v_fma_f64 v[2:3], v[232:233], v[204:205], -v[2:3]
	ds_read_b128 v[204:207], v4 offset:1264
	v_mul_f64 v[210:211], v[248:249], v[210:211]
	s_waitcnt vmcnt(3) lgkmcnt(1)
	v_mul_f64 v[214:215], v[200:201], v[118:119]
	v_fma_f64 v[248:249], v[246:247], v[208:209], -v[210:211]
	ds_read_b128 v[208:211], v4 offset:1280
	v_fmac_f64_e32 v[214:215], v[202:203], v[116:117]
	v_add_f64 v[216:217], v[212:213], v[214:215]
	ds_read_b128 v[212:215], v4 offset:1296
	s_waitcnt vmcnt(2) lgkmcnt(2)
	v_mul_f64 v[218:219], v[204:205], v[114:115]
	v_fmac_f64_e32 v[218:219], v[206:207], v[112:113]
	v_add_f64 v[216:217], v[216:217], v[218:219]
	s_waitcnt vmcnt(1) lgkmcnt(1)
	v_mul_f64 v[218:219], v[208:209], v[122:123]
	v_fmac_f64_e32 v[218:219], v[210:211], v[120:121]
	v_add_f64 v[216:217], v[216:217], v[218:219]
	;; [unrolled: 4-line block ×3, first 2 shown]
	scratch_load_dwordx4 v[216:219], off, off offset:656
	ds_read_b128 v[220:223], v4 offset:1312
	ds_read_b128 v[228:231], v4 offset:1328
	s_waitcnt vmcnt(0) lgkmcnt(1)
	v_mul_f64 v[226:227], v[220:221], v[218:219]
	v_fmac_f64_e32 v[226:227], v[222:223], v[216:217]
	v_add_f64 v[232:233], v[224:225], v[226:227]
	scratch_load_dwordx4 v[224:227], off, off offset:672
	s_waitcnt vmcnt(0) lgkmcnt(0)
	v_mul_f64 v[234:235], v[228:229], v[226:227]
	v_fmac_f64_e32 v[234:235], v[230:231], v[224:225]
	v_add_f64 v[246:247], v[232:233], v[234:235]
	v_add_f64 v[232:233], v[240:241], 0
	;; [unrolled: 1-line block ×8, first 2 shown]
	scratch_load_dwordx4 v[232:235], off, off offset:16
	v_add_f64 v[0:1], v[0:1], v[238:239]
	v_add_f64 v[0:1], v[0:1], v[244:245]
	v_accvgpr_read_b32 v239, a87
	v_add_f64 v[242:243], v[0:1], v[6:7]
	v_accvgpr_read_b32 v238, a86
	;; [unrolled: 2-line block ×3, first 2 shown]
	v_accvgpr_read_b32 v236, a84
	v_mul_f64 v[2:3], v[94:95], v[238:239]
	v_fma_f64 v[2:3], v[92:93], v[236:237], -v[2:3]
	v_accvgpr_read_b32 v95, a91
	v_add_f64 v[0:1], v[0:1], v[248:249]
	v_accvgpr_read_b32 v94, a90
	v_add_f64 v[0:1], v[0:1], v[2:3]
	v_accvgpr_read_b32 v93, a89
	v_accvgpr_read_b32 v92, a88
	v_mul_f64 v[2:3], v[86:87], v[94:95]
	v_fma_f64 v[2:3], v[84:85], v[92:93], -v[2:3]
	v_add_f64 v[0:1], v[0:1], v[2:3]
	v_mul_f64 v[2:3], v[82:83], v[10:11]
	v_fma_f64 v[2:3], v[80:81], v[8:9], -v[2:3]
	v_add_f64 v[0:1], v[0:1], v[2:3]
	;; [unrolled: 3-line block ×28, first 2 shown]
	s_waitcnt vmcnt(0)
	v_add_f64 v[0:1], v[232:233], -v[0:1]
	v_add_f64 v[2:3], v[234:235], -v[246:247]
	scratch_store_dwordx4 off, v[0:3], off offset:16
	s_cbranch_vccz .LBB105_348
; %bb.266:
	global_load_dword v0, v4, s[8:9] offset:160
	s_waitcnt vmcnt(0)
	v_readfirstlane_b32 s0, v0
	s_add_i32 s0, s0, -1
	s_cmp_lg_u32 s0, 40
	s_cbranch_scc0 .LBB105_268
; %bb.267:
	s_lshl_b32 s0, s0, 4
	s_add_i32 s0, s0, 16
	scratch_load_dwordx4 v[0:3], off, s0
	scratch_load_dwordx4 v[4:7], off, s17
	s_waitcnt vmcnt(1)
	scratch_store_dwordx4 off, v[0:3], s17
	s_waitcnt vmcnt(1)
	scratch_store_dwordx4 off, v[4:7], s0
.LBB105_268:
	v_mov_b32_e32 v0, 0
	global_load_dword v1, v0, s[8:9] offset:156
	s_waitcnt vmcnt(0)
	v_readfirstlane_b32 s0, v1
	s_add_i32 s0, s0, -1
	s_cmp_eq_u32 s0, 39
	s_cbranch_scc1 .LBB105_270
; %bb.269:
	s_lshl_b32 s0, s0, 4
	s_add_i32 s0, s0, 16
	scratch_load_dwordx4 v[2:5], off, s0
	scratch_load_dwordx4 v[6:9], off, s18
	s_waitcnt vmcnt(1)
	scratch_store_dwordx4 off, v[2:5], s18
	s_waitcnt vmcnt(1)
	scratch_store_dwordx4 off, v[6:9], s0
.LBB105_270:
	global_load_dword v0, v0, s[8:9] offset:152
	s_waitcnt vmcnt(0)
	v_readfirstlane_b32 s0, v0
	s_add_i32 s0, s0, -1
	s_cmp_eq_u32 s0, 38
	s_cbranch_scc1 .LBB105_272
; %bb.271:
	s_lshl_b32 s0, s0, 4
	s_add_i32 s0, s0, 16
	scratch_load_dwordx4 v[0:3], off, s0
	scratch_load_dwordx4 v[4:7], off, s19
	s_waitcnt vmcnt(1)
	scratch_store_dwordx4 off, v[0:3], s19
	s_waitcnt vmcnt(1)
	scratch_store_dwordx4 off, v[4:7], s0
.LBB105_272:
	v_mov_b32_e32 v0, 0
	global_load_dword v1, v0, s[8:9] offset:148
	s_waitcnt vmcnt(0)
	v_readfirstlane_b32 s0, v1
	s_add_i32 s0, s0, -1
	s_cmp_eq_u32 s0, 37
	s_cbranch_scc1 .LBB105_274
; %bb.273:
	s_lshl_b32 s0, s0, 4
	s_add_i32 s0, s0, 16
	scratch_load_dwordx4 v[2:5], off, s0
	scratch_load_dwordx4 v[6:9], off, s20
	s_waitcnt vmcnt(1)
	scratch_store_dwordx4 off, v[2:5], s20
	s_waitcnt vmcnt(1)
	scratch_store_dwordx4 off, v[6:9], s0
.LBB105_274:
	global_load_dword v0, v0, s[8:9] offset:144
	s_waitcnt vmcnt(0)
	v_readfirstlane_b32 s0, v0
	s_add_i32 s0, s0, -1
	s_cmp_eq_u32 s0, 36
	s_cbranch_scc1 .LBB105_276
; %bb.275:
	s_lshl_b32 s0, s0, 4
	s_add_i32 s0, s0, 16
	scratch_load_dwordx4 v[0:3], off, s0
	scratch_load_dwordx4 v[4:7], off, s21
	s_waitcnt vmcnt(1)
	scratch_store_dwordx4 off, v[0:3], s21
	s_waitcnt vmcnt(1)
	scratch_store_dwordx4 off, v[4:7], s0
.LBB105_276:
	;; [unrolled: 33-line block ×19, first 2 shown]
	v_mov_b32_e32 v0, 0
	global_load_dword v1, v0, s[8:9] offset:4
	s_waitcnt vmcnt(0)
	v_readfirstlane_b32 s0, v1
	s_add_i32 s0, s0, -1
	s_cmp_eq_u32 s0, 1
	s_cbranch_scc1 .LBB105_346
; %bb.345:
	s_lshl_b32 s0, s0, 4
	s_add_i32 s0, s0, 16
	scratch_load_dwordx4 v[2:5], off, s0
	scratch_load_dwordx4 v[6:9], off, s57
	s_waitcnt vmcnt(1)
	scratch_store_dwordx4 off, v[2:5], s57
	s_waitcnt vmcnt(1)
	scratch_store_dwordx4 off, v[6:9], s0
.LBB105_346:
	global_load_dword v0, v0, s[8:9]
	s_waitcnt vmcnt(0)
	v_readfirstlane_b32 s0, v0
	s_add_i32 s0, s0, -1
	s_cmp_eq_u32 s0, 0
	s_cbranch_scc1 .LBB105_348
; %bb.347:
	s_lshl_b32 s0, s0, 4
	s_add_i32 s0, s0, 16
	scratch_load_dwordx4 v[0:3], off, s0
	scratch_load_dwordx4 v[4:7], off, off offset:16
	s_waitcnt vmcnt(1)
	scratch_store_dwordx4 off, v[0:3], off offset:16
	s_waitcnt vmcnt(1)
	scratch_store_dwordx4 off, v[4:7], s0
.LBB105_348:
	scratch_load_dwordx4 v[0:3], off, off offset:16
	s_nop 0
	v_accvgpr_read_b32 v5, a1
	v_accvgpr_read_b32 v4, a0
	s_waitcnt vmcnt(0)
	flat_store_dwordx4 v[4:5], v[0:3]
	scratch_load_dwordx4 v[0:3], off, s57
	v_accvgpr_read_b32 v5, a3
	v_accvgpr_read_b32 v4, a2
	s_waitcnt vmcnt(0)
	flat_store_dwordx4 v[4:5], v[0:3]
	scratch_load_dwordx4 v[0:3], off, s56
	v_accvgpr_read_b32 v4, a4
	v_accvgpr_read_b32 v5, a5
	s_waitcnt vmcnt(0)
	flat_store_dwordx4 v[4:5], v[0:3]
	scratch_load_dwordx4 v[0:3], off, s55
	v_accvgpr_read_b32 v4, a6
	v_accvgpr_read_b32 v5, a7
	s_waitcnt vmcnt(0)
	flat_store_dwordx4 v[4:5], v[0:3]
	scratch_load_dwordx4 v[0:3], off, s54
	v_accvgpr_read_b32 v4, a8
	v_accvgpr_read_b32 v5, a9
	s_waitcnt vmcnt(0)
	flat_store_dwordx4 v[4:5], v[0:3]
	scratch_load_dwordx4 v[0:3], off, s53
	v_accvgpr_read_b32 v4, a10
	v_accvgpr_read_b32 v5, a11
	s_waitcnt vmcnt(0)
	flat_store_dwordx4 v[4:5], v[0:3]
	scratch_load_dwordx4 v[0:3], off, s52
	v_accvgpr_read_b32 v4, a12
	v_accvgpr_read_b32 v5, a13
	s_waitcnt vmcnt(0)
	flat_store_dwordx4 v[4:5], v[0:3]
	scratch_load_dwordx4 v[0:3], off, s51
	v_accvgpr_read_b32 v4, a14
	v_accvgpr_read_b32 v5, a15
	s_waitcnt vmcnt(0)
	flat_store_dwordx4 v[4:5], v[0:3]
	scratch_load_dwordx4 v[0:3], off, s50
	v_accvgpr_read_b32 v4, a16
	v_accvgpr_read_b32 v5, a17
	s_waitcnt vmcnt(0)
	flat_store_dwordx4 v[4:5], v[0:3]
	scratch_load_dwordx4 v[0:3], off, s49
	v_accvgpr_read_b32 v4, a18
	v_accvgpr_read_b32 v5, a19
	s_waitcnt vmcnt(0)
	flat_store_dwordx4 v[4:5], v[0:3]
	scratch_load_dwordx4 v[0:3], off, s48
	v_accvgpr_read_b32 v4, a20
	v_accvgpr_read_b32 v5, a21
	s_waitcnt vmcnt(0)
	flat_store_dwordx4 v[4:5], v[0:3]
	scratch_load_dwordx4 v[0:3], off, s47
	v_accvgpr_read_b32 v4, a22
	v_accvgpr_read_b32 v5, a23
	s_waitcnt vmcnt(0)
	flat_store_dwordx4 v[4:5], v[0:3]
	scratch_load_dwordx4 v[0:3], off, s46
	v_accvgpr_read_b32 v4, a24
	v_accvgpr_read_b32 v5, a25
	s_waitcnt vmcnt(0)
	flat_store_dwordx4 v[4:5], v[0:3]
	scratch_load_dwordx4 v[0:3], off, s45
	v_accvgpr_read_b32 v4, a26
	v_accvgpr_read_b32 v5, a27
	s_waitcnt vmcnt(0)
	flat_store_dwordx4 v[4:5], v[0:3]
	scratch_load_dwordx4 v[0:3], off, s44
	v_accvgpr_read_b32 v4, a28
	v_accvgpr_read_b32 v5, a29
	s_waitcnt vmcnt(0)
	flat_store_dwordx4 v[4:5], v[0:3]
	scratch_load_dwordx4 v[0:3], off, s43
	v_accvgpr_read_b32 v4, a30
	v_accvgpr_read_b32 v5, a31
	s_waitcnt vmcnt(0)
	flat_store_dwordx4 v[4:5], v[0:3]
	scratch_load_dwordx4 v[0:3], off, s42
	v_accvgpr_read_b32 v4, a32
	v_accvgpr_read_b32 v5, a33
	s_waitcnt vmcnt(0)
	flat_store_dwordx4 v[4:5], v[0:3]
	scratch_load_dwordx4 v[0:3], off, s41
	v_accvgpr_read_b32 v4, a34
	v_accvgpr_read_b32 v5, a35
	s_waitcnt vmcnt(0)
	flat_store_dwordx4 v[4:5], v[0:3]
	scratch_load_dwordx4 v[0:3], off, s40
	v_accvgpr_read_b32 v4, a36
	v_accvgpr_read_b32 v5, a37
	s_waitcnt vmcnt(0)
	flat_store_dwordx4 v[4:5], v[0:3]
	scratch_load_dwordx4 v[0:3], off, s39
	v_accvgpr_read_b32 v4, a38
	v_accvgpr_read_b32 v5, a39
	s_waitcnt vmcnt(0)
	flat_store_dwordx4 v[4:5], v[0:3]
	scratch_load_dwordx4 v[0:3], off, s38
	v_accvgpr_read_b32 v4, a40
	v_accvgpr_read_b32 v5, a41
	s_waitcnt vmcnt(0)
	flat_store_dwordx4 v[4:5], v[0:3]
	scratch_load_dwordx4 v[0:3], off, s37
	v_accvgpr_read_b32 v4, a42
	v_accvgpr_read_b32 v5, a43
	s_waitcnt vmcnt(0)
	flat_store_dwordx4 v[4:5], v[0:3]
	scratch_load_dwordx4 v[0:3], off, s36
	v_accvgpr_read_b32 v4, a44
	v_accvgpr_read_b32 v5, a45
	s_waitcnt vmcnt(0)
	flat_store_dwordx4 v[4:5], v[0:3]
	scratch_load_dwordx4 v[0:3], off, s35
	v_accvgpr_read_b32 v4, a46
	v_accvgpr_read_b32 v5, a47
	s_waitcnt vmcnt(0)
	flat_store_dwordx4 v[4:5], v[0:3]
	scratch_load_dwordx4 v[0:3], off, s34
	v_accvgpr_read_b32 v4, a48
	v_accvgpr_read_b32 v5, a49
	s_waitcnt vmcnt(0)
	flat_store_dwordx4 v[4:5], v[0:3]
	scratch_load_dwordx4 v[0:3], off, s33
	v_accvgpr_read_b32 v4, a50
	v_accvgpr_read_b32 v5, a51
	s_waitcnt vmcnt(0)
	flat_store_dwordx4 v[4:5], v[0:3]
	scratch_load_dwordx4 v[0:3], off, s31
	v_accvgpr_read_b32 v4, a52
	v_accvgpr_read_b32 v5, a53
	s_waitcnt vmcnt(0)
	flat_store_dwordx4 v[4:5], v[0:3]
	scratch_load_dwordx4 v[0:3], off, s30
	v_accvgpr_read_b32 v4, a54
	v_accvgpr_read_b32 v5, a55
	s_waitcnt vmcnt(0)
	flat_store_dwordx4 v[4:5], v[0:3]
	scratch_load_dwordx4 v[0:3], off, s29
	v_accvgpr_read_b32 v4, a56
	v_accvgpr_read_b32 v5, a57
	s_waitcnt vmcnt(0)
	flat_store_dwordx4 v[4:5], v[0:3]
	scratch_load_dwordx4 v[0:3], off, s28
	v_accvgpr_read_b32 v4, a58
	v_accvgpr_read_b32 v5, a59
	s_waitcnt vmcnt(0)
	flat_store_dwordx4 v[4:5], v[0:3]
	scratch_load_dwordx4 v[0:3], off, s27
	v_accvgpr_read_b32 v4, a60
	v_accvgpr_read_b32 v5, a61
	s_waitcnt vmcnt(0)
	flat_store_dwordx4 v[4:5], v[0:3]
	scratch_load_dwordx4 v[0:3], off, s26
	v_accvgpr_read_b32 v4, a62
	v_accvgpr_read_b32 v5, a63
	s_waitcnt vmcnt(0)
	flat_store_dwordx4 v[4:5], v[0:3]
	scratch_load_dwordx4 v[0:3], off, s25
	v_accvgpr_read_b32 v4, a64
	v_accvgpr_read_b32 v5, a65
	s_waitcnt vmcnt(0)
	flat_store_dwordx4 v[4:5], v[0:3]
	scratch_load_dwordx4 v[0:3], off, s24
	v_accvgpr_read_b32 v4, a66
	v_accvgpr_read_b32 v5, a67
	s_waitcnt vmcnt(0)
	flat_store_dwordx4 v[4:5], v[0:3]
	scratch_load_dwordx4 v[0:3], off, s23
	v_accvgpr_read_b32 v4, a68
	v_accvgpr_read_b32 v5, a69
	s_waitcnt vmcnt(0)
	flat_store_dwordx4 v[4:5], v[0:3]
	scratch_load_dwordx4 v[0:3], off, s22
	v_accvgpr_read_b32 v4, a70
	v_accvgpr_read_b32 v5, a71
	s_waitcnt vmcnt(0)
	flat_store_dwordx4 v[4:5], v[0:3]
	scratch_load_dwordx4 v[0:3], off, s21
	v_accvgpr_read_b32 v4, a72
	v_accvgpr_read_b32 v5, a73
	s_waitcnt vmcnt(0)
	flat_store_dwordx4 v[4:5], v[0:3]
	scratch_load_dwordx4 v[0:3], off, s20
	v_accvgpr_read_b32 v4, a74
	v_accvgpr_read_b32 v5, a75
	s_waitcnt vmcnt(0)
	flat_store_dwordx4 v[4:5], v[0:3]
	scratch_load_dwordx4 v[0:3], off, s19
	v_accvgpr_read_b32 v4, a76
	v_accvgpr_read_b32 v5, a77
	s_waitcnt vmcnt(0)
	flat_store_dwordx4 v[4:5], v[0:3]
	scratch_load_dwordx4 v[0:3], off, s18
	v_accvgpr_read_b32 v4, a78
	v_accvgpr_read_b32 v5, a79
	s_waitcnt vmcnt(0)
	flat_store_dwordx4 v[4:5], v[0:3]
	scratch_load_dwordx4 v[0:3], off, s17
	v_accvgpr_read_b32 v4, a80
	v_accvgpr_read_b32 v5, a81
	s_waitcnt vmcnt(0)
	flat_store_dwordx4 v[4:5], v[0:3]
	scratch_load_dwordx4 v[0:3], off, s16
	v_accvgpr_read_b32 v4, a82
	v_accvgpr_read_b32 v5, a83
	s_waitcnt vmcnt(0)
	flat_store_dwordx4 v[4:5], v[0:3]
	s_endpgm
	.section	.rodata,"a",@progbits
	.p2align	6, 0x0
	.amdhsa_kernel _ZN9rocsolver6v33100L18getri_kernel_smallILi42E19rocblas_complex_numIdEPKPS3_EEvT1_iilPiilS8_bb
		.amdhsa_group_segment_fixed_size 1352
		.amdhsa_private_segment_fixed_size 704
		.amdhsa_kernarg_size 60
		.amdhsa_user_sgpr_count 2
		.amdhsa_user_sgpr_dispatch_ptr 0
		.amdhsa_user_sgpr_queue_ptr 0
		.amdhsa_user_sgpr_kernarg_segment_ptr 1
		.amdhsa_user_sgpr_dispatch_id 0
		.amdhsa_user_sgpr_kernarg_preload_length 0
		.amdhsa_user_sgpr_kernarg_preload_offset 0
		.amdhsa_user_sgpr_private_segment_size 0
		.amdhsa_uses_dynamic_stack 0
		.amdhsa_enable_private_segment 1
		.amdhsa_system_sgpr_workgroup_id_x 1
		.amdhsa_system_sgpr_workgroup_id_y 0
		.amdhsa_system_sgpr_workgroup_id_z 0
		.amdhsa_system_sgpr_workgroup_info 0
		.amdhsa_system_vgpr_workitem_id 0
		.amdhsa_next_free_vgpr 348
		.amdhsa_next_free_sgpr 73
		.amdhsa_accum_offset 256
		.amdhsa_reserve_vcc 1
		.amdhsa_float_round_mode_32 0
		.amdhsa_float_round_mode_16_64 0
		.amdhsa_float_denorm_mode_32 3
		.amdhsa_float_denorm_mode_16_64 3
		.amdhsa_dx10_clamp 1
		.amdhsa_ieee_mode 1
		.amdhsa_fp16_overflow 0
		.amdhsa_tg_split 0
		.amdhsa_exception_fp_ieee_invalid_op 0
		.amdhsa_exception_fp_denorm_src 0
		.amdhsa_exception_fp_ieee_div_zero 0
		.amdhsa_exception_fp_ieee_overflow 0
		.amdhsa_exception_fp_ieee_underflow 0
		.amdhsa_exception_fp_ieee_inexact 0
		.amdhsa_exception_int_div_zero 0
	.end_amdhsa_kernel
	.section	.text._ZN9rocsolver6v33100L18getri_kernel_smallILi42E19rocblas_complex_numIdEPKPS3_EEvT1_iilPiilS8_bb,"axG",@progbits,_ZN9rocsolver6v33100L18getri_kernel_smallILi42E19rocblas_complex_numIdEPKPS3_EEvT1_iilPiilS8_bb,comdat
.Lfunc_end105:
	.size	_ZN9rocsolver6v33100L18getri_kernel_smallILi42E19rocblas_complex_numIdEPKPS3_EEvT1_iilPiilS8_bb, .Lfunc_end105-_ZN9rocsolver6v33100L18getri_kernel_smallILi42E19rocblas_complex_numIdEPKPS3_EEvT1_iilPiilS8_bb
                                        ; -- End function
	.set _ZN9rocsolver6v33100L18getri_kernel_smallILi42E19rocblas_complex_numIdEPKPS3_EEvT1_iilPiilS8_bb.num_vgpr, 256
	.set _ZN9rocsolver6v33100L18getri_kernel_smallILi42E19rocblas_complex_numIdEPKPS3_EEvT1_iilPiilS8_bb.num_agpr, 92
	.set _ZN9rocsolver6v33100L18getri_kernel_smallILi42E19rocblas_complex_numIdEPKPS3_EEvT1_iilPiilS8_bb.numbered_sgpr, 73
	.set _ZN9rocsolver6v33100L18getri_kernel_smallILi42E19rocblas_complex_numIdEPKPS3_EEvT1_iilPiilS8_bb.num_named_barrier, 0
	.set _ZN9rocsolver6v33100L18getri_kernel_smallILi42E19rocblas_complex_numIdEPKPS3_EEvT1_iilPiilS8_bb.private_seg_size, 704
	.set _ZN9rocsolver6v33100L18getri_kernel_smallILi42E19rocblas_complex_numIdEPKPS3_EEvT1_iilPiilS8_bb.uses_vcc, 1
	.set _ZN9rocsolver6v33100L18getri_kernel_smallILi42E19rocblas_complex_numIdEPKPS3_EEvT1_iilPiilS8_bb.uses_flat_scratch, 0
	.set _ZN9rocsolver6v33100L18getri_kernel_smallILi42E19rocblas_complex_numIdEPKPS3_EEvT1_iilPiilS8_bb.has_dyn_sized_stack, 0
	.set _ZN9rocsolver6v33100L18getri_kernel_smallILi42E19rocblas_complex_numIdEPKPS3_EEvT1_iilPiilS8_bb.has_recursion, 0
	.set _ZN9rocsolver6v33100L18getri_kernel_smallILi42E19rocblas_complex_numIdEPKPS3_EEvT1_iilPiilS8_bb.has_indirect_call, 0
	.section	.AMDGPU.csdata,"",@progbits
; Kernel info:
; codeLenInByte = 76776
; TotalNumSgprs: 79
; NumVgprs: 256
; NumAgprs: 92
; TotalNumVgprs: 348
; ScratchSize: 704
; MemoryBound: 0
; FloatMode: 240
; IeeeMode: 1
; LDSByteSize: 1352 bytes/workgroup (compile time only)
; SGPRBlocks: 9
; VGPRBlocks: 43
; NumSGPRsForWavesPerEU: 79
; NumVGPRsForWavesPerEU: 348
; AccumOffset: 256
; Occupancy: 1
; WaveLimiterHint : 1
; COMPUTE_PGM_RSRC2:SCRATCH_EN: 1
; COMPUTE_PGM_RSRC2:USER_SGPR: 2
; COMPUTE_PGM_RSRC2:TRAP_HANDLER: 0
; COMPUTE_PGM_RSRC2:TGID_X_EN: 1
; COMPUTE_PGM_RSRC2:TGID_Y_EN: 0
; COMPUTE_PGM_RSRC2:TGID_Z_EN: 0
; COMPUTE_PGM_RSRC2:TIDIG_COMP_CNT: 0
; COMPUTE_PGM_RSRC3_GFX90A:ACCUM_OFFSET: 63
; COMPUTE_PGM_RSRC3_GFX90A:TG_SPLIT: 0
	.section	.text._ZN9rocsolver6v33100L18getri_kernel_smallILi43E19rocblas_complex_numIdEPKPS3_EEvT1_iilPiilS8_bb,"axG",@progbits,_ZN9rocsolver6v33100L18getri_kernel_smallILi43E19rocblas_complex_numIdEPKPS3_EEvT1_iilPiilS8_bb,comdat
	.globl	_ZN9rocsolver6v33100L18getri_kernel_smallILi43E19rocblas_complex_numIdEPKPS3_EEvT1_iilPiilS8_bb ; -- Begin function _ZN9rocsolver6v33100L18getri_kernel_smallILi43E19rocblas_complex_numIdEPKPS3_EEvT1_iilPiilS8_bb
	.p2align	8
	.type	_ZN9rocsolver6v33100L18getri_kernel_smallILi43E19rocblas_complex_numIdEPKPS3_EEvT1_iilPiilS8_bb,@function
_ZN9rocsolver6v33100L18getri_kernel_smallILi43E19rocblas_complex_numIdEPKPS3_EEvT1_iilPiilS8_bb: ; @_ZN9rocsolver6v33100L18getri_kernel_smallILi43E19rocblas_complex_numIdEPKPS3_EEvT1_iilPiilS8_bb
; %bb.0:
	v_mov_b32_e32 v240, v0
	v_cmp_gt_u32_e32 vcc, 43, v240
	s_and_saveexec_b64 s[4:5], vcc
	s_cbranch_execz .LBB106_186
; %bb.1:
	s_load_dword s14, s[0:1], 0x38
	s_load_dwordx2 s[8:9], s[0:1], 0x0
	s_load_dwordx4 s[4:7], s[0:1], 0x28
	s_waitcnt lgkmcnt(0)
	s_bitcmp1_b32 s14, 8
	s_cselect_b64 s[10:11], -1, 0
	s_ashr_i32 s3, s2, 31
	s_lshl_b64 s[12:13], s[2:3], 3
	s_add_u32 s8, s8, s12
	s_addc_u32 s9, s9, s13
	s_load_dwordx2 s[12:13], s[8:9], 0x0
	s_bfe_u32 s8, s14, 0x10008
	s_cmp_eq_u32 s8, 0
                                        ; implicit-def: $sgpr8_sgpr9
	s_cbranch_scc1 .LBB106_3
; %bb.2:
	s_load_dword s8, s[0:1], 0x20
	s_load_dwordx2 s[14:15], s[0:1], 0x18
	s_mul_i32 s9, s4, s3
	s_mul_hi_u32 s16, s4, s2
	s_add_i32 s16, s16, s9
	s_mul_i32 s5, s5, s2
	s_add_i32 s5, s16, s5
	s_mul_i32 s4, s4, s2
	s_waitcnt lgkmcnt(0)
	s_ashr_i32 s9, s8, 31
	s_lshl_b64 s[4:5], s[4:5], 2
	s_add_u32 s14, s14, s4
	s_addc_u32 s15, s15, s5
	s_lshl_b64 s[4:5], s[8:9], 2
	s_add_u32 s8, s14, s4
	s_addc_u32 s9, s15, s5
.LBB106_3:
	s_load_dwordx2 s[4:5], s[0:1], 0x8
	s_load_dword s14, s[0:1], 0x38
	v_lshlrev_b32_e32 v14, 4, v240
	v_mov_b32_e32 v15, 0
	s_movk_i32 s15, 0xb0
	s_waitcnt lgkmcnt(0)
	s_ashr_i32 s1, s4, 31
	s_mov_b32 s0, s4
	s_lshl_b64 s[0:1], s[0:1], 4
	s_add_u32 s0, s12, s0
	s_addc_u32 s1, s13, s1
	v_lshl_add_u64 v[0:1], s[0:1], 0, v[14:15]
	flat_load_dwordx4 v[2:5], v[0:1]
	s_mov_b32 s12, s5
	s_ashr_i32 s13, s5, 31
	v_accvgpr_write_b32 a0, v0
	v_accvgpr_write_b32 a1, v1
	v_lshl_add_u64 v[0:1], s[12:13], 4, v[0:1]
	s_add_i32 s4, s5, s5
	v_add_u32_e32 v6, s4, v240
	v_accvgpr_write_b32 a3, v1
	v_ashrrev_i32_e32 v7, 31, v6
	v_accvgpr_write_b32 a2, v0
	s_movk_i32 s4, 0x50
	s_movk_i32 s12, 0x60
	;; [unrolled: 1-line block ×34, first 2 shown]
	s_add_i32 s54, s4, 16
	s_add_i32 s53, s12, 16
	;; [unrolled: 1-line block ×35, first 2 shown]
	s_waitcnt vmcnt(0) lgkmcnt(0)
	scratch_store_dwordx4 off, v[2:5], off offset:16
	flat_load_dwordx4 v[2:5], v[0:1]
	v_lshl_add_u64 v[0:1], v[6:7], 4, s[0:1]
	v_add_u32_e32 v6, s5, v6
	v_accvgpr_write_b32 a5, v1
	v_ashrrev_i32_e32 v7, 31, v6
	v_accvgpr_write_b32 a4, v0
	s_mov_b32 s58, 32
	s_mov_b32 s57, 48
	;; [unrolled: 1-line block ×3, first 2 shown]
	s_movk_i32 s55, 0x50
	s_waitcnt vmcnt(0) lgkmcnt(0)
	scratch_store_dwordx4 off, v[2:5], off offset:32
	flat_load_dwordx4 v[2:5], v[0:1]
	v_lshl_add_u64 v[0:1], v[6:7], 4, s[0:1]
	v_add_u32_e32 v6, s5, v6
	v_accvgpr_write_b32 a7, v1
	v_ashrrev_i32_e32 v7, 31, v6
	v_accvgpr_write_b32 a6, v0
	s_waitcnt vmcnt(0) lgkmcnt(0)
	scratch_store_dwordx4 off, v[2:5], off offset:48
	flat_load_dwordx4 v[2:5], v[0:1]
	v_lshl_add_u64 v[0:1], v[6:7], 4, s[0:1]
	v_add_u32_e32 v6, s5, v6
	v_accvgpr_write_b32 a9, v1
	v_ashrrev_i32_e32 v7, 31, v6
	v_accvgpr_write_b32 a8, v0
	;; [unrolled: 8-line block ×39, first 2 shown]
	s_movk_i32 s5, 0x90
	s_add_i32 s50, s5, 16
	s_mov_b64 s[4:5], -1
	s_waitcnt vmcnt(0) lgkmcnt(0)
	scratch_store_dwordx4 off, v[2:5], off offset:656
	flat_load_dwordx4 v[2:5], v[0:1]
	v_lshl_add_u64 v[0:1], v[6:7], 4, s[0:1]
	s_movk_i32 s0, 0x70
	s_movk_i32 s1, 0x80
	v_accvgpr_write_b32 a85, v1
	s_add_i32 s52, s0, 16
	s_add_i32 s51, s1, 16
	v_accvgpr_write_b32 a84, v0
	s_bitcmp0_b32 s14, 0
	s_waitcnt vmcnt(0) lgkmcnt(0)
	scratch_store_dwordx4 off, v[2:5], off offset:672
	flat_load_dwordx4 v[2:5], v[0:1]
	s_waitcnt vmcnt(0) lgkmcnt(0)
	scratch_store_dwordx4 off, v[2:5], off offset:688
	s_cbranch_scc1 .LBB106_184
; %bb.4:
	v_cmp_eq_u32_e64 s[0:1], 0, v240
	s_and_saveexec_b64 s[4:5], s[0:1]
; %bb.5:
	v_mov_b32_e32 v0, 0
	ds_write_b32 v0, v0 offset:1376
; %bb.6:
	s_or_b64 exec, exec, s[4:5]
	s_waitcnt lgkmcnt(0)
	; wave barrier
	scratch_load_dwordx4 v[2:5], v14, off offset:16
	s_waitcnt vmcnt(0)
	v_cmp_eq_f64_e32 vcc, 0, v[2:3]
	v_cmp_eq_f64_e64 s[4:5], 0, v[4:5]
	s_and_b64 s[4:5], vcc, s[4:5]
	s_and_saveexec_b64 s[12:13], s[4:5]
	s_cbranch_execz .LBB106_10
; %bb.7:
	v_mov_b32_e32 v1, 0
	ds_read_b32 v0, v1 offset:1376
	v_add_u32_e32 v2, 1, v240
	s_waitcnt lgkmcnt(0)
	v_readfirstlane_b32 s4, v0
	s_cmp_eq_u32 s4, 0
	s_cselect_b64 s[14:15], -1, 0
	v_cmp_gt_i32_e32 vcc, s4, v2
	s_or_b64 s[14:15], s[14:15], vcc
	s_and_b64 exec, exec, s[14:15]
	s_cbranch_execz .LBB106_10
; %bb.8:
	s_mov_b64 s[14:15], 0
	v_mov_b32_e32 v3, s4
.LBB106_9:                              ; =>This Inner Loop Header: Depth=1
	ds_cmpst_rtn_b32 v3, v1, v3, v2 offset:1376
	s_waitcnt lgkmcnt(0)
	v_cmp_ne_u32_e32 vcc, 0, v3
	v_cmp_le_i32_e64 s[4:5], v3, v2
	s_and_b64 s[4:5], vcc, s[4:5]
	s_and_b64 s[4:5], exec, s[4:5]
	s_or_b64 s[14:15], s[4:5], s[14:15]
	s_andn2_b64 exec, exec, s[14:15]
	s_cbranch_execnz .LBB106_9
.LBB106_10:
	s_or_b64 exec, exec, s[12:13]
	v_mov_b32_e32 v2, 0
	; wave barrier
	ds_read_b32 v1, v2 offset:1376
	s_and_saveexec_b64 s[4:5], s[0:1]
	s_cbranch_execz .LBB106_12
; %bb.11:
	s_lshl_b64 s[12:13], s[2:3], 2
	s_add_u32 s12, s6, s12
	s_addc_u32 s13, s7, s13
	s_waitcnt lgkmcnt(0)
	global_store_dword v2, v1, s[12:13]
.LBB106_12:
	s_or_b64 exec, exec, s[4:5]
	s_waitcnt lgkmcnt(0)
	v_cmp_ne_u32_e32 vcc, 0, v1
	s_mov_b64 s[4:5], 0
	s_cbranch_vccnz .LBB106_184
; %bb.13:
	v_add_u32_e32 v15, 16, v14
	scratch_load_dwordx4 v[2:5], v15, off
                                        ; implicit-def: $vgpr6_vgpr7
                                        ; implicit-def: $vgpr10_vgpr11
	s_waitcnt vmcnt(0)
	v_cmp_ngt_f64_e64 s[4:5], |v[2:3]|, |v[4:5]|
	s_and_saveexec_b64 s[12:13], s[4:5]
	s_xor_b64 s[4:5], exec, s[12:13]
	s_cbranch_execz .LBB106_15
; %bb.14:
	v_div_scale_f64 v[6:7], s[12:13], v[4:5], v[4:5], v[2:3]
	v_rcp_f64_e32 v[8:9], v[6:7]
	v_div_scale_f64 v[10:11], vcc, v[2:3], v[4:5], v[2:3]
	v_fma_f64 v[12:13], -v[6:7], v[8:9], 1.0
	v_fmac_f64_e32 v[8:9], v[8:9], v[12:13]
	v_fma_f64 v[12:13], -v[6:7], v[8:9], 1.0
	v_fmac_f64_e32 v[8:9], v[8:9], v[12:13]
	v_mul_f64 v[12:13], v[10:11], v[8:9]
	v_fma_f64 v[6:7], -v[6:7], v[12:13], v[10:11]
	v_div_fmas_f64 v[6:7], v[6:7], v[8:9], v[12:13]
	v_div_fixup_f64 v[6:7], v[6:7], v[4:5], v[2:3]
	v_fmac_f64_e32 v[4:5], v[2:3], v[6:7]
	v_div_scale_f64 v[2:3], s[12:13], v[4:5], v[4:5], 1.0
	v_rcp_f64_e32 v[8:9], v[2:3]
	s_nop 0
	v_fma_f64 v[10:11], -v[2:3], v[8:9], 1.0
	v_fmac_f64_e32 v[8:9], v[8:9], v[10:11]
	v_fma_f64 v[10:11], -v[2:3], v[8:9], 1.0
	v_fmac_f64_e32 v[8:9], v[8:9], v[10:11]
	v_div_scale_f64 v[10:11], vcc, 1.0, v[4:5], 1.0
	v_mul_f64 v[12:13], v[10:11], v[8:9]
	v_fma_f64 v[2:3], -v[2:3], v[12:13], v[10:11]
	s_nop 1
	v_div_fmas_f64 v[2:3], v[2:3], v[8:9], v[12:13]
	v_div_fixup_f64 v[8:9], v[2:3], v[4:5], 1.0
	v_mul_f64 v[6:7], v[6:7], v[8:9]
	v_xor_b32_e32 v9, 0x80000000, v9
	v_xor_b32_e32 v11, 0x80000000, v7
	v_mov_b32_e32 v10, v6
                                        ; implicit-def: $vgpr2_vgpr3
.LBB106_15:
	s_andn2_saveexec_b64 s[4:5], s[4:5]
	s_cbranch_execz .LBB106_17
; %bb.16:
	v_div_scale_f64 v[6:7], s[12:13], v[2:3], v[2:3], v[4:5]
	v_rcp_f64_e32 v[8:9], v[6:7]
	v_div_scale_f64 v[10:11], vcc, v[4:5], v[2:3], v[4:5]
	v_fma_f64 v[12:13], -v[6:7], v[8:9], 1.0
	v_fmac_f64_e32 v[8:9], v[8:9], v[12:13]
	v_fma_f64 v[12:13], -v[6:7], v[8:9], 1.0
	v_fmac_f64_e32 v[8:9], v[8:9], v[12:13]
	v_mul_f64 v[12:13], v[10:11], v[8:9]
	v_fma_f64 v[6:7], -v[6:7], v[12:13], v[10:11]
	v_div_fmas_f64 v[6:7], v[6:7], v[8:9], v[12:13]
	v_div_fixup_f64 v[8:9], v[6:7], v[2:3], v[4:5]
	v_fmac_f64_e32 v[2:3], v[4:5], v[8:9]
	v_div_scale_f64 v[4:5], s[12:13], v[2:3], v[2:3], 1.0
	v_rcp_f64_e32 v[6:7], v[4:5]
	s_nop 0
	v_fma_f64 v[10:11], -v[4:5], v[6:7], 1.0
	v_fmac_f64_e32 v[6:7], v[6:7], v[10:11]
	v_fma_f64 v[10:11], -v[4:5], v[6:7], 1.0
	v_fmac_f64_e32 v[6:7], v[6:7], v[10:11]
	v_div_scale_f64 v[10:11], vcc, 1.0, v[2:3], 1.0
	v_mul_f64 v[12:13], v[10:11], v[6:7]
	v_fma_f64 v[4:5], -v[4:5], v[12:13], v[10:11]
	s_nop 1
	v_div_fmas_f64 v[4:5], v[4:5], v[6:7], v[12:13]
	v_div_fixup_f64 v[6:7], v[4:5], v[2:3], 1.0
	v_xor_b32_e32 v11, 0x80000000, v7
	v_mov_b32_e32 v10, v6
	v_mul_f64 v[8:9], v[8:9], -v[6:7]
.LBB106_17:
	s_or_b64 exec, exec, s[4:5]
	scratch_store_dwordx4 v15, v[6:9], off
	scratch_load_dwordx4 v[2:5], off, s58
	v_xor_b32_e32 v13, 0x80000000, v9
	v_mov_b32_e32 v12, v8
	v_add_u32_e32 v1, 0x2b0, v14
	ds_write_b128 v14, v[10:13]
	s_waitcnt vmcnt(0)
	ds_write_b128 v14, v[2:5] offset:688
	s_waitcnt lgkmcnt(0)
	; wave barrier
	s_and_saveexec_b64 s[4:5], s[0:1]
	s_cbranch_execz .LBB106_19
; %bb.18:
	scratch_load_dwordx4 v[2:5], v15, off
	ds_read_b128 v[6:9], v1
	v_mov_b32_e32 v0, 0
	ds_read_b128 v[10:13], v0 offset:16
	s_waitcnt vmcnt(0) lgkmcnt(1)
	v_mul_f64 v[16:17], v[8:9], v[4:5]
	v_mul_f64 v[4:5], v[6:7], v[4:5]
	v_fma_f64 v[6:7], v[6:7], v[2:3], -v[16:17]
	v_fmac_f64_e32 v[4:5], v[8:9], v[2:3]
	v_add_f64 v[2:3], v[6:7], 0
	v_add_f64 v[6:7], v[4:5], 0
	s_waitcnt lgkmcnt(0)
	v_mul_f64 v[8:9], v[6:7], v[12:13]
	v_mul_f64 v[4:5], v[2:3], v[12:13]
	v_fma_f64 v[2:3], v[2:3], v[10:11], -v[8:9]
	v_fmac_f64_e32 v[4:5], v[6:7], v[10:11]
	scratch_store_dwordx4 off, v[2:5], off offset:32
.LBB106_19:
	s_or_b64 exec, exec, s[4:5]
	; wave barrier
	scratch_load_dwordx4 v[2:5], off, s57
	v_cmp_gt_u32_e32 vcc, 2, v240
	s_waitcnt vmcnt(0)
	ds_write_b128 v1, v[2:5]
	s_waitcnt lgkmcnt(0)
	; wave barrier
	s_and_saveexec_b64 s[4:5], vcc
	s_cbranch_execz .LBB106_23
; %bb.20:
	scratch_load_dwordx4 v[2:5], v15, off
	ds_read_b128 v[6:9], v1
	s_waitcnt vmcnt(0) lgkmcnt(0)
	v_mul_f64 v[10:11], v[8:9], v[4:5]
	v_mul_f64 v[12:13], v[6:7], v[4:5]
	v_fma_f64 v[4:5], v[6:7], v[2:3], -v[10:11]
	v_fmac_f64_e32 v[12:13], v[8:9], v[2:3]
	v_add_f64 v[4:5], v[4:5], 0
	v_add_f64 v[2:3], v[12:13], 0
	s_and_saveexec_b64 s[12:13], s[0:1]
	s_cbranch_execz .LBB106_22
; %bb.21:
	scratch_load_dwordx4 v[6:9], off, off offset:32
	v_mov_b32_e32 v0, 0
	ds_read_b128 v[10:13], v0 offset:704
	s_waitcnt vmcnt(0) lgkmcnt(0)
	v_mul_f64 v[16:17], v[10:11], v[8:9]
	v_mul_f64 v[8:9], v[12:13], v[8:9]
	v_fmac_f64_e32 v[16:17], v[12:13], v[6:7]
	v_fma_f64 v[6:7], v[10:11], v[6:7], -v[8:9]
	v_add_f64 v[2:3], v[2:3], v[16:17]
	v_add_f64 v[4:5], v[4:5], v[6:7]
.LBB106_22:
	s_or_b64 exec, exec, s[12:13]
	v_mov_b32_e32 v0, 0
	ds_read_b128 v[6:9], v0 offset:32
	s_waitcnt lgkmcnt(0)
	v_mul_f64 v[12:13], v[2:3], v[8:9]
	v_mul_f64 v[10:11], v[4:5], v[8:9]
	v_fma_f64 v[8:9], v[4:5], v[6:7], -v[12:13]
	v_fmac_f64_e32 v[10:11], v[2:3], v[6:7]
	scratch_store_dwordx4 off, v[8:11], off offset:48
.LBB106_23:
	s_or_b64 exec, exec, s[4:5]
	; wave barrier
	scratch_load_dwordx4 v[2:5], off, s56
	v_cmp_gt_u32_e32 vcc, 3, v240
	v_add_u32_e32 v6, -1, v240
	s_waitcnt vmcnt(0)
	ds_write_b128 v1, v[2:5]
	s_waitcnt lgkmcnt(0)
	; wave barrier
	s_and_saveexec_b64 s[0:1], vcc
	s_cbranch_execz .LBB106_27
; %bb.24:
	v_add_u32_e32 v7, -1, v240
	v_add_u32_e32 v8, 0x2b0, v14
	v_add_u32_e32 v9, 16, v14
	v_mov_b64_e32 v[2:3], 0
	s_mov_b64 s[4:5], 0
	v_mov_b64_e32 v[4:5], 0
.LBB106_25:                             ; =>This Inner Loop Header: Depth=1
	scratch_load_dwordx4 v[10:13], v9, off
	ds_read_b128 v[16:19], v8
	v_add_u32_e32 v7, 1, v7
	v_cmp_lt_u32_e32 vcc, 1, v7
	v_add_u32_e32 v8, 16, v8
	v_add_u32_e32 v9, 16, v9
	s_or_b64 s[4:5], vcc, s[4:5]
	s_waitcnt vmcnt(0) lgkmcnt(0)
	v_mul_f64 v[20:21], v[18:19], v[12:13]
	v_mul_f64 v[12:13], v[16:17], v[12:13]
	v_fma_f64 v[16:17], v[16:17], v[10:11], -v[20:21]
	v_fmac_f64_e32 v[12:13], v[18:19], v[10:11]
	v_add_f64 v[4:5], v[4:5], v[16:17]
	v_add_f64 v[2:3], v[2:3], v[12:13]
	s_andn2_b64 exec, exec, s[4:5]
	s_cbranch_execnz .LBB106_25
; %bb.26:
	s_or_b64 exec, exec, s[4:5]
	v_mov_b32_e32 v0, 0
	ds_read_b128 v[8:11], v0 offset:48
	s_waitcnt lgkmcnt(0)
	v_mul_f64 v[16:17], v[2:3], v[10:11]
	v_mul_f64 v[12:13], v[4:5], v[10:11]
	v_fma_f64 v[10:11], v[4:5], v[8:9], -v[16:17]
	v_fmac_f64_e32 v[12:13], v[2:3], v[8:9]
	scratch_store_dwordx4 off, v[10:13], off offset:64
.LBB106_27:
	s_or_b64 exec, exec, s[0:1]
	; wave barrier
	scratch_load_dwordx4 v[2:5], off, s55
	v_cmp_gt_u32_e32 vcc, 4, v240
	s_waitcnt vmcnt(0)
	ds_write_b128 v1, v[2:5]
	s_waitcnt lgkmcnt(0)
	; wave barrier
	s_and_saveexec_b64 s[0:1], vcc
	s_cbranch_execz .LBB106_31
; %bb.28:
	v_add_u32_e32 v7, -1, v240
	v_add_u32_e32 v8, 0x2b0, v14
	v_add_u32_e32 v9, 16, v14
	v_mov_b64_e32 v[2:3], 0
	s_mov_b64 s[4:5], 0
	v_mov_b64_e32 v[4:5], 0
.LBB106_29:                             ; =>This Inner Loop Header: Depth=1
	scratch_load_dwordx4 v[10:13], v9, off
	ds_read_b128 v[16:19], v8
	v_add_u32_e32 v7, 1, v7
	v_cmp_lt_u32_e32 vcc, 2, v7
	v_add_u32_e32 v8, 16, v8
	v_add_u32_e32 v9, 16, v9
	s_or_b64 s[4:5], vcc, s[4:5]
	s_waitcnt vmcnt(0) lgkmcnt(0)
	v_mul_f64 v[20:21], v[18:19], v[12:13]
	v_mul_f64 v[12:13], v[16:17], v[12:13]
	v_fma_f64 v[16:17], v[16:17], v[10:11], -v[20:21]
	v_fmac_f64_e32 v[12:13], v[18:19], v[10:11]
	v_add_f64 v[4:5], v[4:5], v[16:17]
	v_add_f64 v[2:3], v[2:3], v[12:13]
	s_andn2_b64 exec, exec, s[4:5]
	s_cbranch_execnz .LBB106_29
; %bb.30:
	s_or_b64 exec, exec, s[4:5]
	v_mov_b32_e32 v0, 0
	ds_read_b128 v[8:11], v0 offset:64
	s_waitcnt lgkmcnt(0)
	v_mul_f64 v[16:17], v[2:3], v[10:11]
	v_mul_f64 v[12:13], v[4:5], v[10:11]
	v_fma_f64 v[10:11], v[4:5], v[8:9], -v[16:17]
	v_fmac_f64_e32 v[12:13], v[2:3], v[8:9]
	scratch_store_dwordx4 off, v[10:13], off offset:80
.LBB106_31:
	s_or_b64 exec, exec, s[0:1]
	; wave barrier
	scratch_load_dwordx4 v[2:5], off, s54
	v_cmp_gt_u32_e32 vcc, 5, v240
	;; [unrolled: 45-line block ×19, first 2 shown]
	s_waitcnt vmcnt(0)
	ds_write_b128 v1, v[2:5]
	s_waitcnt lgkmcnt(0)
	; wave barrier
	s_and_saveexec_b64 s[0:1], vcc
	s_cbranch_execz .LBB106_103
; %bb.100:
	v_add_u32_e32 v7, -1, v240
	v_add_u32_e32 v8, 0x2b0, v14
	v_add_u32_e32 v9, 16, v14
	v_mov_b64_e32 v[2:3], 0
	s_mov_b64 s[4:5], 0
	v_mov_b64_e32 v[4:5], 0
.LBB106_101:                            ; =>This Inner Loop Header: Depth=1
	scratch_load_dwordx4 v[10:13], v9, off
	ds_read_b128 v[16:19], v8
	v_add_u32_e32 v7, 1, v7
	v_cmp_lt_u32_e32 vcc, 20, v7
	v_add_u32_e32 v8, 16, v8
	v_add_u32_e32 v9, 16, v9
	s_or_b64 s[4:5], vcc, s[4:5]
	s_waitcnt vmcnt(0) lgkmcnt(0)
	v_mul_f64 v[20:21], v[18:19], v[12:13]
	v_mul_f64 v[12:13], v[16:17], v[12:13]
	v_fma_f64 v[16:17], v[16:17], v[10:11], -v[20:21]
	v_fmac_f64_e32 v[12:13], v[18:19], v[10:11]
	v_add_f64 v[4:5], v[4:5], v[16:17]
	v_add_f64 v[2:3], v[2:3], v[12:13]
	s_andn2_b64 exec, exec, s[4:5]
	s_cbranch_execnz .LBB106_101
; %bb.102:
	s_or_b64 exec, exec, s[4:5]
	v_mov_b32_e32 v0, 0
	ds_read_b128 v[8:11], v0 offset:352
	s_waitcnt lgkmcnt(0)
	v_mul_f64 v[16:17], v[2:3], v[10:11]
	v_mul_f64 v[12:13], v[4:5], v[10:11]
	v_fma_f64 v[10:11], v[4:5], v[8:9], -v[16:17]
	v_fmac_f64_e32 v[12:13], v[2:3], v[8:9]
	scratch_store_dwordx4 off, v[10:13], off offset:368
.LBB106_103:
	s_or_b64 exec, exec, s[0:1]
	; wave barrier
	scratch_load_dwordx4 v[2:5], off, s36
	v_cmp_gt_u32_e32 vcc, 23, v240
	s_waitcnt vmcnt(0)
	ds_write_b128 v1, v[2:5]
	s_waitcnt lgkmcnt(0)
	; wave barrier
	s_and_saveexec_b64 s[0:1], vcc
	s_cbranch_execz .LBB106_107
; %bb.104:
	v_add_u32_e32 v7, -1, v240
	v_add_u32_e32 v8, 0x2b0, v14
	v_add_u32_e32 v9, 16, v14
	v_mov_b64_e32 v[2:3], 0
	s_mov_b64 s[4:5], 0
	v_mov_b64_e32 v[4:5], 0
.LBB106_105:                            ; =>This Inner Loop Header: Depth=1
	scratch_load_dwordx4 v[10:13], v9, off
	ds_read_b128 v[16:19], v8
	v_add_u32_e32 v7, 1, v7
	v_cmp_lt_u32_e32 vcc, 21, v7
	v_add_u32_e32 v8, 16, v8
	v_add_u32_e32 v9, 16, v9
	s_or_b64 s[4:5], vcc, s[4:5]
	s_waitcnt vmcnt(0) lgkmcnt(0)
	v_mul_f64 v[20:21], v[18:19], v[12:13]
	v_mul_f64 v[12:13], v[16:17], v[12:13]
	v_fma_f64 v[16:17], v[16:17], v[10:11], -v[20:21]
	v_fmac_f64_e32 v[12:13], v[18:19], v[10:11]
	v_add_f64 v[4:5], v[4:5], v[16:17]
	v_add_f64 v[2:3], v[2:3], v[12:13]
	s_andn2_b64 exec, exec, s[4:5]
	s_cbranch_execnz .LBB106_105
; %bb.106:
	s_or_b64 exec, exec, s[4:5]
	v_mov_b32_e32 v0, 0
	ds_read_b128 v[8:11], v0 offset:368
	s_waitcnt lgkmcnt(0)
	v_mul_f64 v[16:17], v[2:3], v[10:11]
	v_mul_f64 v[12:13], v[4:5], v[10:11]
	v_fma_f64 v[10:11], v[4:5], v[8:9], -v[16:17]
	v_fmac_f64_e32 v[12:13], v[2:3], v[8:9]
	scratch_store_dwordx4 off, v[10:13], off offset:384
.LBB106_107:
	s_or_b64 exec, exec, s[0:1]
	; wave barrier
	scratch_load_dwordx4 v[2:5], off, s35
	v_cmp_gt_u32_e32 vcc, 24, v240
	;; [unrolled: 45-line block ×19, first 2 shown]
	s_waitcnt vmcnt(0)
	ds_write_b128 v1, v[2:5]
	s_waitcnt lgkmcnt(0)
	; wave barrier
	s_and_saveexec_b64 s[0:1], vcc
	s_cbranch_execz .LBB106_179
; %bb.176:
	v_add_u32_e32 v7, -1, v240
	v_add_u32_e32 v8, 0x2b0, v14
	v_add_u32_e32 v9, 16, v14
	v_mov_b64_e32 v[2:3], 0
	s_mov_b64 s[4:5], 0
	v_mov_b64_e32 v[4:5], 0
.LBB106_177:                            ; =>This Inner Loop Header: Depth=1
	scratch_load_dwordx4 v[10:13], v9, off
	ds_read_b128 v[16:19], v8
	v_add_u32_e32 v7, 1, v7
	v_cmp_lt_u32_e32 vcc, 39, v7
	v_add_u32_e32 v8, 16, v8
	v_add_u32_e32 v9, 16, v9
	s_or_b64 s[4:5], vcc, s[4:5]
	s_waitcnt vmcnt(0) lgkmcnt(0)
	v_mul_f64 v[20:21], v[18:19], v[12:13]
	v_mul_f64 v[12:13], v[16:17], v[12:13]
	v_fma_f64 v[16:17], v[16:17], v[10:11], -v[20:21]
	v_fmac_f64_e32 v[12:13], v[18:19], v[10:11]
	v_add_f64 v[4:5], v[4:5], v[16:17]
	v_add_f64 v[2:3], v[2:3], v[12:13]
	s_andn2_b64 exec, exec, s[4:5]
	s_cbranch_execnz .LBB106_177
; %bb.178:
	s_or_b64 exec, exec, s[4:5]
	v_mov_b32_e32 v0, 0
	ds_read_b128 v[8:11], v0 offset:656
	s_waitcnt lgkmcnt(0)
	v_mul_f64 v[16:17], v[2:3], v[10:11]
	v_mul_f64 v[12:13], v[4:5], v[10:11]
	v_fma_f64 v[10:11], v[4:5], v[8:9], -v[16:17]
	v_fmac_f64_e32 v[12:13], v[2:3], v[8:9]
	scratch_store_dwordx4 off, v[10:13], off offset:672
.LBB106_179:
	s_or_b64 exec, exec, s[0:1]
	; wave barrier
	scratch_load_dwordx4 v[2:5], off, s16
	v_cmp_ne_u32_e32 vcc, 42, v240
	s_waitcnt vmcnt(0)
	ds_write_b128 v1, v[2:5]
	s_waitcnt lgkmcnt(0)
	; wave barrier
	s_and_saveexec_b64 s[0:1], vcc
	s_cbranch_execz .LBB106_183
; %bb.180:
	v_add_u32_e32 v1, 0x2b0, v14
	v_add_u32_e32 v7, 16, v14
	v_mov_b64_e32 v[2:3], 0
	s_mov_b64 s[4:5], 0
	v_mov_b64_e32 v[4:5], 0
.LBB106_181:                            ; =>This Inner Loop Header: Depth=1
	scratch_load_dwordx4 v[8:11], v7, off
	ds_read_b128 v[12:15], v1
	v_add_u32_e32 v6, 1, v6
	v_cmp_lt_u32_e32 vcc, 40, v6
	v_add_u32_e32 v1, 16, v1
	v_add_u32_e32 v7, 16, v7
	s_or_b64 s[4:5], vcc, s[4:5]
	s_waitcnt vmcnt(0) lgkmcnt(0)
	v_mul_f64 v[16:17], v[14:15], v[10:11]
	v_mul_f64 v[10:11], v[12:13], v[10:11]
	v_fma_f64 v[12:13], v[12:13], v[8:9], -v[16:17]
	v_fmac_f64_e32 v[10:11], v[14:15], v[8:9]
	v_add_f64 v[4:5], v[4:5], v[12:13]
	v_add_f64 v[2:3], v[2:3], v[10:11]
	s_andn2_b64 exec, exec, s[4:5]
	s_cbranch_execnz .LBB106_181
; %bb.182:
	s_or_b64 exec, exec, s[4:5]
	v_mov_b32_e32 v0, 0
	ds_read_b128 v[6:9], v0 offset:672
	s_waitcnt lgkmcnt(0)
	v_mul_f64 v[12:13], v[2:3], v[8:9]
	v_mul_f64 v[10:11], v[4:5], v[8:9]
	v_fma_f64 v[8:9], v[4:5], v[6:7], -v[12:13]
	v_fmac_f64_e32 v[10:11], v[2:3], v[6:7]
	scratch_store_dwordx4 off, v[8:11], off offset:688
.LBB106_183:
	s_or_b64 exec, exec, s[0:1]
	s_mov_b64 s[4:5], -1
	; wave barrier
.LBB106_184:
	s_and_b64 vcc, exec, s[4:5]
	s_cbranch_vccz .LBB106_186
; %bb.185:
	s_lshl_b64 s[0:1], s[2:3], 2
	s_add_u32 s0, s6, s0
	s_addc_u32 s1, s7, s1
	v_mov_b32_e32 v0, 0
	global_load_dword v0, v0, s[0:1]
	s_waitcnt vmcnt(0)
	v_cmp_ne_u32_e32 vcc, 0, v0
	s_cbranch_vccz .LBB106_187
.LBB106_186:
	s_endpgm
.LBB106_187:
	v_mov_b32_e32 v0, 0x2b0
	v_lshl_add_u32 v0, v240, 4, v0
	v_accvgpr_write_b32 a87, v0
	v_cmp_eq_u32_e32 vcc, 42, v240
	s_and_saveexec_b64 s[0:1], vcc
	s_cbranch_execz .LBB106_189
; %bb.188:
	scratch_load_dwordx4 v[2:5], off, s17
	v_mov_b32_e32 v6, 0
	v_mov_b32_e32 v7, v6
	;; [unrolled: 1-line block ×4, first 2 shown]
	v_accvgpr_read_b32 v0, a87
	scratch_store_dwordx4 off, v[6:9], off offset:672
	s_waitcnt vmcnt(1)
	ds_write_b128 v0, v[2:5]
.LBB106_189:
	s_or_b64 exec, exec, s[0:1]
	s_waitcnt lgkmcnt(0)
	; wave barrier
	scratch_load_dwordx4 v[4:7], off, off offset:688
	scratch_load_dwordx4 v[8:11], off, off offset:672
	v_mov_b32_e32 v2, 0
	ds_read_b128 v[12:15], v2 offset:1360
	v_cmp_lt_u32_e32 vcc, 40, v240
	s_waitcnt vmcnt(1) lgkmcnt(0)
	v_mul_f64 v[16:17], v[12:13], v[6:7]
	v_mul_f64 v[6:7], v[14:15], v[6:7]
	v_fmac_f64_e32 v[16:17], v[14:15], v[4:5]
	v_fma_f64 v[4:5], v[12:13], v[4:5], -v[6:7]
	v_add_f64 v[6:7], v[16:17], 0
	v_add_f64 v[4:5], v[4:5], 0
	s_waitcnt vmcnt(0)
	v_add_f64 v[4:5], v[8:9], -v[4:5]
	v_add_f64 v[6:7], v[10:11], -v[6:7]
	scratch_store_dwordx4 off, v[4:7], off offset:672
	s_and_saveexec_b64 s[0:1], vcc
	s_cbranch_execz .LBB106_191
; %bb.190:
	scratch_load_dwordx4 v[6:9], off, s18
	v_mov_b32_e32 v3, v2
	v_mov_b32_e32 v4, v2
	;; [unrolled: 1-line block ×3, first 2 shown]
	v_accvgpr_read_b32 v0, a87
	scratch_store_dwordx4 off, v[2:5], off offset:656
	s_waitcnt vmcnt(1)
	ds_write_b128 v0, v[6:9]
.LBB106_191:
	s_or_b64 exec, exec, s[0:1]
	s_waitcnt lgkmcnt(0)
	; wave barrier
	scratch_load_dwordx4 v[4:7], off, off offset:672
	scratch_load_dwordx4 v[8:11], off, off offset:688
	;; [unrolled: 1-line block ×3, first 2 shown]
	ds_read_b128 v[16:19], v2 offset:1344
	ds_read_b128 v[20:23], v2 offset:1360
	v_cmp_lt_u32_e32 vcc, 39, v240
	s_waitcnt vmcnt(2) lgkmcnt(1)
	v_mul_f64 v[2:3], v[16:17], v[6:7]
	v_mul_f64 v[6:7], v[18:19], v[6:7]
	s_waitcnt vmcnt(1) lgkmcnt(0)
	v_mul_f64 v[24:25], v[20:21], v[10:11]
	v_mul_f64 v[10:11], v[22:23], v[10:11]
	v_fmac_f64_e32 v[2:3], v[18:19], v[4:5]
	v_fma_f64 v[4:5], v[16:17], v[4:5], -v[6:7]
	v_fmac_f64_e32 v[24:25], v[22:23], v[8:9]
	v_fma_f64 v[6:7], v[20:21], v[8:9], -v[10:11]
	v_add_f64 v[2:3], v[2:3], 0
	v_add_f64 v[4:5], v[4:5], 0
	;; [unrolled: 1-line block ×4, first 2 shown]
	s_waitcnt vmcnt(0)
	v_add_f64 v[2:3], v[12:13], -v[2:3]
	v_add_f64 v[4:5], v[14:15], -v[8:9]
	scratch_store_dwordx4 off, v[2:5], off offset:656
	s_and_saveexec_b64 s[0:1], vcc
	s_cbranch_execz .LBB106_193
; %bb.192:
	scratch_load_dwordx4 v[2:5], off, s19
	v_mov_b32_e32 v6, 0
	v_mov_b32_e32 v7, v6
	;; [unrolled: 1-line block ×4, first 2 shown]
	v_accvgpr_read_b32 v0, a87
	scratch_store_dwordx4 off, v[6:9], off offset:640
	s_waitcnt vmcnt(1)
	ds_write_b128 v0, v[2:5]
.LBB106_193:
	s_or_b64 exec, exec, s[0:1]
	s_waitcnt lgkmcnt(0)
	; wave barrier
	scratch_load_dwordx4 v[4:7], off, off offset:656
	scratch_load_dwordx4 v[8:11], off, off offset:672
	;; [unrolled: 1-line block ×4, first 2 shown]
	v_mov_b32_e32 v2, 0
	ds_read_b128 v[20:23], v2 offset:1328
	ds_read_b128 v[24:27], v2 offset:1344
	;; [unrolled: 1-line block ×3, first 2 shown]
	v_cmp_lt_u32_e32 vcc, 38, v240
	s_waitcnt vmcnt(3) lgkmcnt(2)
	v_mul_f64 v[32:33], v[20:21], v[6:7]
	v_mul_f64 v[6:7], v[22:23], v[6:7]
	s_waitcnt vmcnt(2) lgkmcnt(1)
	v_mul_f64 v[34:35], v[24:25], v[10:11]
	v_mul_f64 v[10:11], v[26:27], v[10:11]
	v_fmac_f64_e32 v[32:33], v[22:23], v[4:5]
	v_fma_f64 v[4:5], v[20:21], v[4:5], -v[6:7]
	s_waitcnt vmcnt(1) lgkmcnt(0)
	v_mul_f64 v[36:37], v[28:29], v[14:15]
	v_mul_f64 v[14:15], v[30:31], v[14:15]
	v_fmac_f64_e32 v[34:35], v[26:27], v[8:9]
	v_fma_f64 v[6:7], v[24:25], v[8:9], -v[10:11]
	v_add_f64 v[10:11], v[32:33], 0
	v_add_f64 v[4:5], v[4:5], 0
	v_fmac_f64_e32 v[36:37], v[30:31], v[12:13]
	v_fma_f64 v[8:9], v[28:29], v[12:13], -v[14:15]
	v_add_f64 v[10:11], v[10:11], v[34:35]
	v_add_f64 v[4:5], v[4:5], v[6:7]
	;; [unrolled: 1-line block ×4, first 2 shown]
	s_waitcnt vmcnt(0)
	v_add_f64 v[4:5], v[16:17], -v[4:5]
	v_add_f64 v[6:7], v[18:19], -v[6:7]
	scratch_store_dwordx4 off, v[4:7], off offset:640
	s_and_saveexec_b64 s[0:1], vcc
	s_cbranch_execz .LBB106_195
; %bb.194:
	scratch_load_dwordx4 v[6:9], off, s20
	v_mov_b32_e32 v3, v2
	v_mov_b32_e32 v4, v2
	;; [unrolled: 1-line block ×3, first 2 shown]
	v_accvgpr_read_b32 v0, a87
	scratch_store_dwordx4 off, v[2:5], off offset:624
	s_waitcnt vmcnt(1)
	ds_write_b128 v0, v[6:9]
.LBB106_195:
	s_or_b64 exec, exec, s[0:1]
	s_waitcnt lgkmcnt(0)
	; wave barrier
	ds_read_b128 v[4:7], v2 offset:1312
	ds_read_b128 v[8:11], v2 offset:1328
	;; [unrolled: 1-line block ×4, first 2 shown]
	scratch_load_dwordx4 v[20:23], off, off offset:640
	scratch_load_dwordx4 v[24:27], off, off offset:656
	v_cmp_lt_u32_e32 vcc, 37, v240
	s_waitcnt vmcnt(1) lgkmcnt(3)
	v_mul_f64 v[2:3], v[4:5], v[22:23]
	v_fmac_f64_e32 v[2:3], v[6:7], v[20:21]
	s_waitcnt vmcnt(0) lgkmcnt(2)
	v_mul_f64 v[28:29], v[8:9], v[26:27]
	v_add_f64 v[2:3], v[2:3], 0
	v_fmac_f64_e32 v[28:29], v[10:11], v[24:25]
	v_add_f64 v[2:3], v[2:3], v[28:29]
	scratch_load_dwordx4 v[28:31], off, off offset:672
	s_waitcnt vmcnt(0) lgkmcnt(1)
	v_mul_f64 v[32:33], v[12:13], v[30:31]
	v_fmac_f64_e32 v[32:33], v[14:15], v[28:29]
	v_add_f64 v[2:3], v[2:3], v[32:33]
	scratch_load_dwordx4 v[32:35], off, off offset:688
	s_waitcnt vmcnt(0) lgkmcnt(0)
	v_mul_f64 v[36:37], v[16:17], v[34:35]
	v_fmac_f64_e32 v[36:37], v[18:19], v[32:33]
	v_add_f64 v[36:37], v[2:3], v[36:37]
	v_mul_f64 v[2:3], v[6:7], v[22:23]
	v_fma_f64 v[2:3], v[4:5], v[20:21], -v[2:3]
	v_mul_f64 v[4:5], v[10:11], v[26:27]
	v_add_f64 v[2:3], v[2:3], 0
	v_fma_f64 v[4:5], v[8:9], v[24:25], -v[4:5]
	v_add_f64 v[2:3], v[2:3], v[4:5]
	v_mul_f64 v[4:5], v[14:15], v[30:31]
	v_fma_f64 v[4:5], v[12:13], v[28:29], -v[4:5]
	v_add_f64 v[2:3], v[2:3], v[4:5]
	v_mul_f64 v[4:5], v[18:19], v[34:35]
	v_fma_f64 v[4:5], v[16:17], v[32:33], -v[4:5]
	v_add_f64 v[6:7], v[2:3], v[4:5]
	scratch_load_dwordx4 v[2:5], off, off offset:624
	s_waitcnt vmcnt(0)
	v_add_f64 v[2:3], v[2:3], -v[6:7]
	v_add_f64 v[4:5], v[4:5], -v[36:37]
	scratch_store_dwordx4 off, v[2:5], off offset:624
	s_and_saveexec_b64 s[0:1], vcc
	s_cbranch_execz .LBB106_197
; %bb.196:
	scratch_load_dwordx4 v[2:5], off, s21
	v_mov_b32_e32 v6, 0
	v_mov_b32_e32 v7, v6
	;; [unrolled: 1-line block ×4, first 2 shown]
	v_accvgpr_read_b32 v0, a87
	scratch_store_dwordx4 off, v[6:9], off offset:608
	s_waitcnt vmcnt(1)
	ds_write_b128 v0, v[2:5]
.LBB106_197:
	s_or_b64 exec, exec, s[0:1]
	s_waitcnt lgkmcnt(0)
	; wave barrier
	scratch_load_dwordx4 v[4:7], off, off offset:624
	scratch_load_dwordx4 v[8:11], off, off offset:640
	;; [unrolled: 1-line block ×6, first 2 shown]
	v_mov_b32_e32 v2, 0
	ds_read_b128 v[28:31], v2 offset:1296
	ds_read_b128 v[32:35], v2 offset:1312
	;; [unrolled: 1-line block ×5, first 2 shown]
	v_cmp_lt_u32_e32 vcc, 36, v240
	s_waitcnt vmcnt(5) lgkmcnt(4)
	v_mul_f64 v[48:49], v[28:29], v[6:7]
	v_mul_f64 v[6:7], v[30:31], v[6:7]
	s_waitcnt vmcnt(4) lgkmcnt(3)
	v_mul_f64 v[50:51], v[32:33], v[10:11]
	s_waitcnt vmcnt(3) lgkmcnt(2)
	v_mul_f64 v[52:53], v[36:37], v[14:15]
	v_mul_f64 v[10:11], v[34:35], v[10:11]
	;; [unrolled: 1-line block ×3, first 2 shown]
	v_fmac_f64_e32 v[48:49], v[30:31], v[4:5]
	v_fma_f64 v[4:5], v[28:29], v[4:5], -v[6:7]
	v_fmac_f64_e32 v[50:51], v[34:35], v[8:9]
	v_fma_f64 v[6:7], v[32:33], v[8:9], -v[10:11]
	v_fma_f64 v[8:9], v[36:37], v[12:13], -v[14:15]
	v_add_f64 v[14:15], v[48:49], 0
	v_add_f64 v[4:5], v[4:5], 0
	s_waitcnt vmcnt(2) lgkmcnt(1)
	v_mul_f64 v[54:55], v[40:41], v[18:19]
	v_mul_f64 v[18:19], v[42:43], v[18:19]
	v_fmac_f64_e32 v[52:53], v[38:39], v[12:13]
	v_add_f64 v[14:15], v[14:15], v[50:51]
	v_add_f64 v[4:5], v[4:5], v[6:7]
	s_waitcnt vmcnt(1) lgkmcnt(0)
	v_mul_f64 v[56:57], v[44:45], v[22:23]
	v_mul_f64 v[22:23], v[46:47], v[22:23]
	v_fmac_f64_e32 v[54:55], v[42:43], v[16:17]
	v_fma_f64 v[10:11], v[40:41], v[16:17], -v[18:19]
	v_add_f64 v[6:7], v[14:15], v[52:53]
	v_add_f64 v[4:5], v[4:5], v[8:9]
	v_fmac_f64_e32 v[56:57], v[46:47], v[20:21]
	v_fma_f64 v[12:13], v[44:45], v[20:21], -v[22:23]
	v_add_f64 v[6:7], v[6:7], v[54:55]
	v_add_f64 v[4:5], v[4:5], v[10:11]
	;; [unrolled: 1-line block ×4, first 2 shown]
	s_waitcnt vmcnt(0)
	v_add_f64 v[4:5], v[24:25], -v[4:5]
	v_add_f64 v[6:7], v[26:27], -v[6:7]
	scratch_store_dwordx4 off, v[4:7], off offset:608
	s_and_saveexec_b64 s[0:1], vcc
	s_cbranch_execz .LBB106_199
; %bb.198:
	scratch_load_dwordx4 v[6:9], off, s22
	v_mov_b32_e32 v3, v2
	v_mov_b32_e32 v4, v2
	;; [unrolled: 1-line block ×3, first 2 shown]
	v_accvgpr_read_b32 v0, a87
	scratch_store_dwordx4 off, v[2:5], off offset:592
	s_waitcnt vmcnt(1)
	ds_write_b128 v0, v[6:9]
.LBB106_199:
	s_or_b64 exec, exec, s[0:1]
	s_waitcnt lgkmcnt(0)
	; wave barrier
	scratch_load_dwordx4 v[4:7], off, off offset:608
	scratch_load_dwordx4 v[8:11], off, off offset:624
	;; [unrolled: 1-line block ×7, first 2 shown]
	ds_read_b128 v[32:35], v2 offset:1280
	ds_read_b128 v[36:39], v2 offset:1296
	;; [unrolled: 1-line block ×6, first 2 shown]
	v_cmp_lt_u32_e32 vcc, 35, v240
	s_waitcnt vmcnt(6) lgkmcnt(5)
	v_mul_f64 v[2:3], v[32:33], v[6:7]
	v_mul_f64 v[6:7], v[34:35], v[6:7]
	s_waitcnt vmcnt(5) lgkmcnt(4)
	v_mul_f64 v[56:57], v[36:37], v[10:11]
	v_mul_f64 v[10:11], v[38:39], v[10:11]
	v_fmac_f64_e32 v[2:3], v[34:35], v[4:5]
	v_fma_f64 v[4:5], v[32:33], v[4:5], -v[6:7]
	s_waitcnt vmcnt(4) lgkmcnt(3)
	v_mul_f64 v[58:59], v[40:41], v[14:15]
	v_mul_f64 v[14:15], v[42:43], v[14:15]
	v_fmac_f64_e32 v[56:57], v[38:39], v[8:9]
	v_fma_f64 v[6:7], v[36:37], v[8:9], -v[10:11]
	v_add_f64 v[2:3], v[2:3], 0
	v_add_f64 v[4:5], v[4:5], 0
	s_waitcnt vmcnt(3) lgkmcnt(2)
	v_mul_f64 v[60:61], v[44:45], v[18:19]
	v_mul_f64 v[18:19], v[46:47], v[18:19]
	v_fmac_f64_e32 v[58:59], v[42:43], v[12:13]
	v_fma_f64 v[8:9], v[40:41], v[12:13], -v[14:15]
	v_add_f64 v[2:3], v[2:3], v[56:57]
	v_add_f64 v[4:5], v[4:5], v[6:7]
	;; [unrolled: 7-line block ×4, first 2 shown]
	v_fmac_f64_e32 v[64:65], v[54:55], v[24:25]
	v_fma_f64 v[14:15], v[52:53], v[24:25], -v[26:27]
	v_add_f64 v[2:3], v[2:3], v[62:63]
	v_add_f64 v[4:5], v[4:5], v[12:13]
	;; [unrolled: 1-line block ×4, first 2 shown]
	s_waitcnt vmcnt(0)
	v_add_f64 v[2:3], v[28:29], -v[2:3]
	v_add_f64 v[4:5], v[30:31], -v[6:7]
	scratch_store_dwordx4 off, v[2:5], off offset:592
	s_and_saveexec_b64 s[0:1], vcc
	s_cbranch_execz .LBB106_201
; %bb.200:
	scratch_load_dwordx4 v[2:5], off, s23
	v_mov_b32_e32 v6, 0
	v_mov_b32_e32 v7, v6
	;; [unrolled: 1-line block ×4, first 2 shown]
	v_accvgpr_read_b32 v0, a87
	scratch_store_dwordx4 off, v[6:9], off offset:576
	s_waitcnt vmcnt(1)
	ds_write_b128 v0, v[2:5]
.LBB106_201:
	s_or_b64 exec, exec, s[0:1]
	s_waitcnt lgkmcnt(0)
	; wave barrier
	scratch_load_dwordx4 v[4:7], off, off offset:592
	scratch_load_dwordx4 v[8:11], off, off offset:608
	;; [unrolled: 1-line block ×8, first 2 shown]
	v_mov_b32_e32 v2, 0
	ds_read_b128 v[36:39], v2 offset:1264
	ds_read_b128 v[40:43], v2 offset:1280
	;; [unrolled: 1-line block ×7, first 2 shown]
	v_cmp_lt_u32_e32 vcc, 34, v240
	s_waitcnt vmcnt(7) lgkmcnt(6)
	v_mul_f64 v[64:65], v[36:37], v[6:7]
	v_mul_f64 v[6:7], v[38:39], v[6:7]
	s_waitcnt vmcnt(6) lgkmcnt(5)
	v_mul_f64 v[66:67], v[40:41], v[10:11]
	s_waitcnt vmcnt(4) lgkmcnt(3)
	v_mul_f64 v[70:71], v[48:49], v[18:19]
	v_mul_f64 v[10:11], v[42:43], v[10:11]
	;; [unrolled: 1-line block ×3, first 2 shown]
	v_fmac_f64_e32 v[64:65], v[38:39], v[4:5]
	v_fma_f64 v[4:5], v[36:37], v[4:5], -v[6:7]
	v_mul_f64 v[68:69], v[44:45], v[14:15]
	v_mul_f64 v[14:15], v[46:47], v[14:15]
	v_fmac_f64_e32 v[66:67], v[42:43], v[8:9]
	v_fma_f64 v[6:7], v[40:41], v[8:9], -v[10:11]
	v_fma_f64 v[10:11], v[48:49], v[16:17], -v[18:19]
	v_add_f64 v[18:19], v[64:65], 0
	v_add_f64 v[4:5], v[4:5], 0
	v_fmac_f64_e32 v[68:69], v[46:47], v[12:13]
	v_fma_f64 v[8:9], v[44:45], v[12:13], -v[14:15]
	v_add_f64 v[18:19], v[18:19], v[66:67]
	v_add_f64 v[4:5], v[4:5], v[6:7]
	s_waitcnt vmcnt(3) lgkmcnt(2)
	v_mul_f64 v[72:73], v[52:53], v[22:23]
	v_mul_f64 v[22:23], v[54:55], v[22:23]
	v_fmac_f64_e32 v[70:71], v[50:51], v[16:17]
	v_add_f64 v[6:7], v[18:19], v[68:69]
	v_add_f64 v[4:5], v[4:5], v[8:9]
	s_waitcnt vmcnt(2) lgkmcnt(1)
	v_mul_f64 v[74:75], v[56:57], v[26:27]
	v_mul_f64 v[26:27], v[58:59], v[26:27]
	v_fmac_f64_e32 v[72:73], v[54:55], v[20:21]
	v_fma_f64 v[12:13], v[52:53], v[20:21], -v[22:23]
	v_add_f64 v[6:7], v[6:7], v[70:71]
	v_add_f64 v[4:5], v[4:5], v[10:11]
	s_waitcnt vmcnt(1) lgkmcnt(0)
	v_mul_f64 v[76:77], v[60:61], v[30:31]
	v_mul_f64 v[30:31], v[62:63], v[30:31]
	v_fmac_f64_e32 v[74:75], v[58:59], v[24:25]
	v_fma_f64 v[14:15], v[56:57], v[24:25], -v[26:27]
	v_add_f64 v[6:7], v[6:7], v[72:73]
	v_add_f64 v[4:5], v[4:5], v[12:13]
	v_fmac_f64_e32 v[76:77], v[62:63], v[28:29]
	v_fma_f64 v[16:17], v[60:61], v[28:29], -v[30:31]
	v_add_f64 v[6:7], v[6:7], v[74:75]
	v_add_f64 v[4:5], v[4:5], v[14:15]
	;; [unrolled: 1-line block ×4, first 2 shown]
	s_waitcnt vmcnt(0)
	v_add_f64 v[4:5], v[32:33], -v[4:5]
	v_add_f64 v[6:7], v[34:35], -v[6:7]
	scratch_store_dwordx4 off, v[4:7], off offset:576
	s_and_saveexec_b64 s[0:1], vcc
	s_cbranch_execz .LBB106_203
; %bb.202:
	scratch_load_dwordx4 v[6:9], off, s24
	v_mov_b32_e32 v3, v2
	v_mov_b32_e32 v4, v2
	v_mov_b32_e32 v5, v2
	v_accvgpr_read_b32 v0, a87
	scratch_store_dwordx4 off, v[2:5], off offset:560
	s_waitcnt vmcnt(1)
	ds_write_b128 v0, v[6:9]
.LBB106_203:
	s_or_b64 exec, exec, s[0:1]
	s_waitcnt lgkmcnt(0)
	; wave barrier
	ds_read_b128 v[4:7], v2 offset:1248
	ds_read_b128 v[8:11], v2 offset:1264
	;; [unrolled: 1-line block ×4, first 2 shown]
	scratch_load_dwordx4 v[20:23], off, off offset:576
	scratch_load_dwordx4 v[40:43], off, off offset:640
	v_cmp_lt_u32_e32 vcc, 33, v240
	scratch_load_dwordx4 v[48:51], off, off offset:656
	scratch_load_dwordx4 v[56:59], off, off offset:672
	;; [unrolled: 1-line block ×3, first 2 shown]
	s_waitcnt vmcnt(4) lgkmcnt(3)
	v_mul_f64 v[24:25], v[4:5], v[22:23]
	v_fmac_f64_e32 v[24:25], v[6:7], v[20:21]
	v_add_f64 v[28:29], v[24:25], 0
	scratch_load_dwordx4 v[24:27], off, off offset:592
	s_waitcnt vmcnt(0) lgkmcnt(2)
	v_mul_f64 v[30:31], v[8:9], v[26:27]
	v_fmac_f64_e32 v[30:31], v[10:11], v[24:25]
	v_add_f64 v[32:33], v[28:29], v[30:31]
	scratch_load_dwordx4 v[28:31], off, off offset:608
	;; [unrolled: 5-line block ×3, first 2 shown]
	s_waitcnt vmcnt(0) lgkmcnt(0)
	v_mul_f64 v[38:39], v[16:17], v[34:35]
	v_fmac_f64_e32 v[38:39], v[18:19], v[32:33]
	v_add_f64 v[44:45], v[36:37], v[38:39]
	ds_read_b128 v[36:39], v2 offset:1312
	s_waitcnt lgkmcnt(0)
	v_mul_f64 v[46:47], v[36:37], v[42:43]
	v_fmac_f64_e32 v[46:47], v[38:39], v[40:41]
	v_add_f64 v[52:53], v[44:45], v[46:47]
	ds_read_b128 v[44:47], v2 offset:1328
	s_waitcnt lgkmcnt(0)
	;; [unrolled: 5-line block ×4, first 2 shown]
	v_mul_f64 v[2:3], v[60:61], v[66:67]
	v_fmac_f64_e32 v[2:3], v[62:63], v[64:65]
	v_add_f64 v[68:69], v[68:69], v[2:3]
	v_mul_f64 v[2:3], v[6:7], v[22:23]
	v_fma_f64 v[2:3], v[4:5], v[20:21], -v[2:3]
	v_mul_f64 v[4:5], v[10:11], v[26:27]
	v_add_f64 v[2:3], v[2:3], 0
	v_fma_f64 v[4:5], v[8:9], v[24:25], -v[4:5]
	v_add_f64 v[2:3], v[2:3], v[4:5]
	v_mul_f64 v[4:5], v[14:15], v[30:31]
	v_fma_f64 v[4:5], v[12:13], v[28:29], -v[4:5]
	v_add_f64 v[2:3], v[2:3], v[4:5]
	v_mul_f64 v[4:5], v[18:19], v[34:35]
	;; [unrolled: 3-line block ×6, first 2 shown]
	v_fma_f64 v[4:5], v[60:61], v[64:65], -v[4:5]
	v_add_f64 v[6:7], v[2:3], v[4:5]
	scratch_load_dwordx4 v[2:5], off, off offset:560
	s_waitcnt vmcnt(0)
	v_add_f64 v[2:3], v[2:3], -v[6:7]
	v_add_f64 v[4:5], v[4:5], -v[68:69]
	scratch_store_dwordx4 off, v[2:5], off offset:560
	s_and_saveexec_b64 s[0:1], vcc
	s_cbranch_execz .LBB106_205
; %bb.204:
	scratch_load_dwordx4 v[2:5], off, s25
	v_mov_b32_e32 v6, 0
	v_mov_b32_e32 v7, v6
	;; [unrolled: 1-line block ×4, first 2 shown]
	v_accvgpr_read_b32 v0, a87
	scratch_store_dwordx4 off, v[6:9], off offset:544
	s_waitcnt vmcnt(1)
	ds_write_b128 v0, v[2:5]
.LBB106_205:
	s_or_b64 exec, exec, s[0:1]
	v_mov_b32_e32 v2, 0
	s_waitcnt lgkmcnt(0)
	; wave barrier
	ds_read_b128 v[4:7], v2 offset:1232
	ds_read_b128 v[8:11], v2 offset:1248
	;; [unrolled: 1-line block ×4, first 2 shown]
	scratch_load_dwordx4 v[20:23], off, off offset:560
	scratch_load_dwordx4 v[40:43], off, off offset:624
	scratch_load_dwordx4 v[72:75], off, off offset:688
	v_cmp_lt_u32_e32 vcc, 32, v240
	scratch_load_dwordx4 v[48:51], off, off offset:640
	scratch_load_dwordx4 v[56:59], off, off offset:656
	;; [unrolled: 1-line block ×3, first 2 shown]
	s_waitcnt vmcnt(5) lgkmcnt(3)
	v_mul_f64 v[24:25], v[4:5], v[22:23]
	v_fmac_f64_e32 v[24:25], v[6:7], v[20:21]
	v_add_f64 v[28:29], v[24:25], 0
	scratch_load_dwordx4 v[24:27], off, off offset:576
	v_mul_f64 v[6:7], v[6:7], v[22:23]
	v_fma_f64 v[4:5], v[4:5], v[20:21], -v[6:7]
	v_add_f64 v[4:5], v[4:5], 0
	s_waitcnt vmcnt(0) lgkmcnt(2)
	v_mul_f64 v[30:31], v[8:9], v[26:27]
	v_fmac_f64_e32 v[30:31], v[10:11], v[24:25]
	v_add_f64 v[32:33], v[28:29], v[30:31]
	scratch_load_dwordx4 v[28:31], off, off offset:592
	v_mul_f64 v[6:7], v[10:11], v[26:27]
	v_fma_f64 v[6:7], v[8:9], v[24:25], -v[6:7]
	v_add_f64 v[4:5], v[4:5], v[6:7]
	s_waitcnt vmcnt(0) lgkmcnt(1)
	v_mul_f64 v[34:35], v[12:13], v[30:31]
	v_fmac_f64_e32 v[34:35], v[14:15], v[28:29]
	v_add_f64 v[36:37], v[32:33], v[34:35]
	scratch_load_dwordx4 v[32:35], off, off offset:608
	v_mul_f64 v[6:7], v[14:15], v[30:31]
	v_fma_f64 v[6:7], v[12:13], v[28:29], -v[6:7]
	v_add_f64 v[4:5], v[4:5], v[6:7]
	s_waitcnt vmcnt(0) lgkmcnt(0)
	v_mul_f64 v[38:39], v[16:17], v[34:35]
	v_fmac_f64_e32 v[38:39], v[18:19], v[32:33]
	v_add_f64 v[44:45], v[36:37], v[38:39]
	ds_read_b128 v[36:39], v2 offset:1296
	v_mul_f64 v[6:7], v[18:19], v[34:35]
	v_fma_f64 v[6:7], v[16:17], v[32:33], -v[6:7]
	v_add_f64 v[4:5], v[4:5], v[6:7]
	s_waitcnt lgkmcnt(0)
	v_mul_f64 v[46:47], v[36:37], v[42:43]
	v_fmac_f64_e32 v[46:47], v[38:39], v[40:41]
	v_add_f64 v[52:53], v[44:45], v[46:47]
	ds_read_b128 v[44:47], v2 offset:1312
	v_mul_f64 v[6:7], v[38:39], v[42:43]
	v_fma_f64 v[6:7], v[36:37], v[40:41], -v[6:7]
	v_add_f64 v[4:5], v[4:5], v[6:7]
	s_waitcnt lgkmcnt(0)
	;; [unrolled: 8-line block ×5, first 2 shown]
	v_mul_f64 v[6:7], v[70:71], v[74:75]
	v_fma_f64 v[6:7], v[68:69], v[72:73], -v[6:7]
	v_add_f64 v[8:9], v[4:5], v[6:7]
	scratch_load_dwordx4 v[4:7], off, off offset:544
	v_mul_f64 v[78:79], v[68:69], v[74:75]
	v_fmac_f64_e32 v[78:79], v[70:71], v[72:73]
	v_add_f64 v[76:77], v[76:77], v[78:79]
	s_waitcnt vmcnt(0)
	v_add_f64 v[4:5], v[4:5], -v[8:9]
	v_add_f64 v[6:7], v[6:7], -v[76:77]
	scratch_store_dwordx4 off, v[4:7], off offset:544
	s_and_saveexec_b64 s[0:1], vcc
	s_cbranch_execz .LBB106_207
; %bb.206:
	scratch_load_dwordx4 v[6:9], off, s26
	v_mov_b32_e32 v3, v2
	v_mov_b32_e32 v4, v2
	;; [unrolled: 1-line block ×3, first 2 shown]
	v_accvgpr_read_b32 v0, a87
	scratch_store_dwordx4 off, v[2:5], off offset:528
	s_waitcnt vmcnt(1)
	ds_write_b128 v0, v[6:9]
.LBB106_207:
	s_or_b64 exec, exec, s[0:1]
	s_waitcnt lgkmcnt(0)
	; wave barrier
	scratch_load_dwordx4 v[4:7], off, off offset:544
	scratch_load_dwordx4 v[8:11], off, off offset:560
	;; [unrolled: 1-line block ×11, first 2 shown]
	ds_read_b128 v[48:51], v2 offset:1216
	ds_read_b128 v[52:55], v2 offset:1232
	;; [unrolled: 1-line block ×10, first 2 shown]
	v_cmp_lt_u32_e32 vcc, 31, v240
	s_waitcnt vmcnt(10) lgkmcnt(9)
	v_mul_f64 v[2:3], v[48:49], v[6:7]
	v_mul_f64 v[6:7], v[50:51], v[6:7]
	s_waitcnt vmcnt(9) lgkmcnt(8)
	v_mul_f64 v[88:89], v[52:53], v[10:11]
	v_mul_f64 v[10:11], v[54:55], v[10:11]
	v_fmac_f64_e32 v[2:3], v[50:51], v[4:5]
	v_fma_f64 v[4:5], v[48:49], v[4:5], -v[6:7]
	s_waitcnt vmcnt(8) lgkmcnt(7)
	v_mul_f64 v[90:91], v[56:57], v[14:15]
	v_mul_f64 v[14:15], v[58:59], v[14:15]
	v_fmac_f64_e32 v[88:89], v[54:55], v[8:9]
	v_fma_f64 v[6:7], v[52:53], v[8:9], -v[10:11]
	v_add_f64 v[2:3], v[2:3], 0
	v_add_f64 v[4:5], v[4:5], 0
	s_waitcnt vmcnt(7) lgkmcnt(6)
	v_mul_f64 v[92:93], v[60:61], v[18:19]
	v_mul_f64 v[18:19], v[62:63], v[18:19]
	v_fmac_f64_e32 v[90:91], v[58:59], v[12:13]
	v_fma_f64 v[8:9], v[56:57], v[12:13], -v[14:15]
	v_add_f64 v[2:3], v[2:3], v[88:89]
	v_add_f64 v[4:5], v[4:5], v[6:7]
	;; [unrolled: 7-line block ×8, first 2 shown]
	v_fmac_f64_e32 v[104:105], v[86:87], v[40:41]
	v_fma_f64 v[22:23], v[84:85], v[40:41], -v[42:43]
	v_add_f64 v[2:3], v[2:3], v[102:103]
	v_add_f64 v[4:5], v[4:5], v[20:21]
	;; [unrolled: 1-line block ×4, first 2 shown]
	s_waitcnt vmcnt(0)
	v_add_f64 v[2:3], v[44:45], -v[2:3]
	v_add_f64 v[4:5], v[46:47], -v[6:7]
	scratch_store_dwordx4 off, v[2:5], off offset:528
	s_and_saveexec_b64 s[0:1], vcc
	s_cbranch_execz .LBB106_209
; %bb.208:
	scratch_load_dwordx4 v[2:5], off, s27
	v_mov_b32_e32 v6, 0
	v_mov_b32_e32 v7, v6
	;; [unrolled: 1-line block ×4, first 2 shown]
	v_accvgpr_read_b32 v0, a87
	scratch_store_dwordx4 off, v[6:9], off offset:512
	s_waitcnt vmcnt(1)
	ds_write_b128 v0, v[2:5]
.LBB106_209:
	s_or_b64 exec, exec, s[0:1]
	s_waitcnt lgkmcnt(0)
	; wave barrier
	scratch_load_dwordx4 v[4:7], off, off offset:528
	scratch_load_dwordx4 v[8:11], off, off offset:544
	;; [unrolled: 1-line block ×12, first 2 shown]
	v_mov_b32_e32 v2, 0
	ds_read_b128 v[52:55], v2 offset:1200
	ds_read_b128 v[56:59], v2 offset:1216
	;; [unrolled: 1-line block ×11, first 2 shown]
	v_cmp_lt_u32_e32 vcc, 30, v240
	s_waitcnt vmcnt(11) lgkmcnt(10)
	v_mul_f64 v[96:97], v[52:53], v[6:7]
	v_mul_f64 v[6:7], v[54:55], v[6:7]
	s_waitcnt vmcnt(10) lgkmcnt(9)
	v_mul_f64 v[98:99], v[56:57], v[10:11]
	s_waitcnt vmcnt(9) lgkmcnt(8)
	v_mul_f64 v[100:101], v[60:61], v[14:15]
	v_mul_f64 v[10:11], v[58:59], v[10:11]
	s_waitcnt vmcnt(6) lgkmcnt(5)
	v_mul_f64 v[106:107], v[72:73], v[26:27]
	v_mul_f64 v[14:15], v[62:63], v[14:15]
	;; [unrolled: 1-line block ×3, first 2 shown]
	v_fmac_f64_e32 v[96:97], v[54:55], v[4:5]
	v_fma_f64 v[4:5], v[52:53], v[4:5], -v[6:7]
	v_fmac_f64_e32 v[98:99], v[58:59], v[8:9]
	v_fma_f64 v[6:7], v[56:57], v[8:9], -v[10:11]
	v_fma_f64 v[8:9], v[60:61], v[12:13], -v[14:15]
	;; [unrolled: 1-line block ×3, first 2 shown]
	v_add_f64 v[26:27], v[96:97], 0
	v_add_f64 v[4:5], v[4:5], 0
	v_mul_f64 v[102:103], v[64:65], v[18:19]
	v_mul_f64 v[18:19], v[66:67], v[18:19]
	v_fmac_f64_e32 v[100:101], v[62:63], v[12:13]
	v_add_f64 v[26:27], v[26:27], v[98:99]
	v_add_f64 v[4:5], v[4:5], v[6:7]
	v_mul_f64 v[104:105], v[68:69], v[22:23]
	v_mul_f64 v[22:23], v[70:71], v[22:23]
	v_fmac_f64_e32 v[102:103], v[66:67], v[16:17]
	v_fma_f64 v[10:11], v[64:65], v[16:17], -v[18:19]
	v_add_f64 v[6:7], v[26:27], v[100:101]
	v_add_f64 v[4:5], v[4:5], v[8:9]
	v_fmac_f64_e32 v[104:105], v[70:71], v[20:21]
	v_fma_f64 v[12:13], v[68:69], v[20:21], -v[22:23]
	v_add_f64 v[6:7], v[6:7], v[102:103]
	v_add_f64 v[4:5], v[4:5], v[10:11]
	s_waitcnt vmcnt(5) lgkmcnt(4)
	v_mul_f64 v[108:109], v[76:77], v[30:31]
	v_mul_f64 v[30:31], v[78:79], v[30:31]
	v_fmac_f64_e32 v[106:107], v[74:75], v[24:25]
	v_add_f64 v[6:7], v[6:7], v[104:105]
	v_add_f64 v[4:5], v[4:5], v[12:13]
	s_waitcnt vmcnt(4) lgkmcnt(3)
	v_mul_f64 v[110:111], v[80:81], v[34:35]
	v_mul_f64 v[34:35], v[82:83], v[34:35]
	v_fmac_f64_e32 v[108:109], v[78:79], v[28:29]
	v_fma_f64 v[16:17], v[76:77], v[28:29], -v[30:31]
	v_add_f64 v[6:7], v[6:7], v[106:107]
	v_add_f64 v[4:5], v[4:5], v[14:15]
	s_waitcnt vmcnt(3) lgkmcnt(2)
	v_mul_f64 v[112:113], v[84:85], v[38:39]
	v_mul_f64 v[38:39], v[86:87], v[38:39]
	v_fmac_f64_e32 v[110:111], v[82:83], v[32:33]
	v_fma_f64 v[18:19], v[80:81], v[32:33], -v[34:35]
	v_add_f64 v[6:7], v[6:7], v[108:109]
	v_add_f64 v[4:5], v[4:5], v[16:17]
	s_waitcnt vmcnt(2) lgkmcnt(1)
	v_mul_f64 v[114:115], v[88:89], v[42:43]
	v_mul_f64 v[42:43], v[90:91], v[42:43]
	v_fmac_f64_e32 v[112:113], v[86:87], v[36:37]
	v_fma_f64 v[20:21], v[84:85], v[36:37], -v[38:39]
	v_add_f64 v[6:7], v[6:7], v[110:111]
	v_add_f64 v[4:5], v[4:5], v[18:19]
	s_waitcnt vmcnt(1) lgkmcnt(0)
	v_mul_f64 v[116:117], v[92:93], v[46:47]
	v_mul_f64 v[46:47], v[94:95], v[46:47]
	v_fmac_f64_e32 v[114:115], v[90:91], v[40:41]
	v_fma_f64 v[22:23], v[88:89], v[40:41], -v[42:43]
	v_add_f64 v[6:7], v[6:7], v[112:113]
	v_add_f64 v[4:5], v[4:5], v[20:21]
	v_fmac_f64_e32 v[116:117], v[94:95], v[44:45]
	v_fma_f64 v[24:25], v[92:93], v[44:45], -v[46:47]
	v_add_f64 v[6:7], v[6:7], v[114:115]
	v_add_f64 v[4:5], v[4:5], v[22:23]
	;; [unrolled: 1-line block ×4, first 2 shown]
	s_waitcnt vmcnt(0)
	v_add_f64 v[4:5], v[48:49], -v[4:5]
	v_add_f64 v[6:7], v[50:51], -v[6:7]
	scratch_store_dwordx4 off, v[4:7], off offset:512
	s_and_saveexec_b64 s[0:1], vcc
	s_cbranch_execz .LBB106_211
; %bb.210:
	scratch_load_dwordx4 v[6:9], off, s28
	v_mov_b32_e32 v3, v2
	v_mov_b32_e32 v4, v2
	;; [unrolled: 1-line block ×3, first 2 shown]
	v_accvgpr_read_b32 v0, a87
	scratch_store_dwordx4 off, v[2:5], off offset:496
	s_waitcnt vmcnt(1)
	ds_write_b128 v0, v[6:9]
.LBB106_211:
	s_or_b64 exec, exec, s[0:1]
	s_waitcnt lgkmcnt(0)
	; wave barrier
	scratch_load_dwordx4 v[4:7], off, off offset:512
	scratch_load_dwordx4 v[8:11], off, off offset:528
	;; [unrolled: 1-line block ×12, first 2 shown]
	ds_read_b128 v[52:55], v2 offset:1184
	ds_read_b128 v[56:59], v2 offset:1200
	;; [unrolled: 1-line block ×4, first 2 shown]
	scratch_load_dwordx4 v[68:71], off, off offset:496
	ds_read_b128 v[72:75], v2 offset:1248
	ds_read_b128 v[76:79], v2 offset:1264
	;; [unrolled: 1-line block ×8, first 2 shown]
	v_cmp_lt_u32_e32 vcc, 29, v240
	s_waitcnt vmcnt(12) lgkmcnt(11)
	v_mul_f64 v[2:3], v[52:53], v[6:7]
	s_waitcnt vmcnt(11) lgkmcnt(10)
	v_mul_f64 v[104:105], v[56:57], v[10:11]
	v_fmac_f64_e32 v[2:3], v[54:55], v[4:5]
	s_waitcnt vmcnt(10) lgkmcnt(9)
	v_mul_f64 v[106:107], v[60:61], v[14:15]
	v_mul_f64 v[6:7], v[54:55], v[6:7]
	v_fmac_f64_e32 v[104:105], v[58:59], v[8:9]
	v_add_f64 v[2:3], v[2:3], 0
	s_waitcnt vmcnt(9) lgkmcnt(8)
	v_mul_f64 v[108:109], v[64:65], v[18:19]
	v_mul_f64 v[10:11], v[58:59], v[10:11]
	v_fmac_f64_e32 v[106:107], v[62:63], v[12:13]
	v_fma_f64 v[4:5], v[52:53], v[4:5], -v[6:7]
	v_add_f64 v[2:3], v[2:3], v[104:105]
	s_waitcnt vmcnt(8) lgkmcnt(7)
	v_mul_f64 v[110:111], v[72:73], v[22:23]
	v_mul_f64 v[14:15], v[62:63], v[14:15]
	v_fmac_f64_e32 v[108:109], v[66:67], v[16:17]
	v_fma_f64 v[6:7], v[56:57], v[8:9], -v[10:11]
	v_add_f64 v[4:5], v[4:5], 0
	v_add_f64 v[2:3], v[2:3], v[106:107]
	s_waitcnt vmcnt(7) lgkmcnt(6)
	v_mul_f64 v[112:113], v[76:77], v[26:27]
	v_mul_f64 v[18:19], v[66:67], v[18:19]
	v_fmac_f64_e32 v[110:111], v[74:75], v[20:21]
	v_fma_f64 v[8:9], v[60:61], v[12:13], -v[14:15]
	v_add_f64 v[4:5], v[4:5], v[6:7]
	;; [unrolled: 7-line block ×8, first 2 shown]
	v_add_f64 v[2:3], v[2:3], v[120:121]
	v_mul_f64 v[46:47], v[98:99], v[46:47]
	v_fmac_f64_e32 v[124:125], v[102:103], v[48:49]
	v_fma_f64 v[22:23], v[92:93], v[40:41], -v[42:43]
	v_add_f64 v[4:5], v[4:5], v[20:21]
	v_add_f64 v[2:3], v[2:3], v[122:123]
	;; [unrolled: 1-line block ×4, first 2 shown]
	v_fma_f64 v[2:3], v[96:97], v[44:45], -v[46:47]
	v_add_f64 v[2:3], v[4:5], v[2:3]
	v_mul_f64 v[4:5], v[102:103], v[50:51]
	v_fma_f64 v[4:5], v[100:101], v[48:49], -v[4:5]
	v_add_f64 v[2:3], v[2:3], v[4:5]
	s_waitcnt vmcnt(0)
	v_add_f64 v[2:3], v[68:69], -v[2:3]
	v_add_f64 v[4:5], v[70:71], -v[6:7]
	scratch_store_dwordx4 off, v[2:5], off offset:496
	s_and_saveexec_b64 s[0:1], vcc
	s_cbranch_execz .LBB106_213
; %bb.212:
	scratch_load_dwordx4 v[2:5], off, s29
	v_mov_b32_e32 v6, 0
	v_mov_b32_e32 v7, v6
	;; [unrolled: 1-line block ×4, first 2 shown]
	v_accvgpr_read_b32 v0, a87
	scratch_store_dwordx4 off, v[6:9], off offset:480
	s_waitcnt vmcnt(1)
	ds_write_b128 v0, v[2:5]
.LBB106_213:
	s_or_b64 exec, exec, s[0:1]
	s_waitcnt lgkmcnt(0)
	; wave barrier
	scratch_load_dwordx4 v[4:7], off, off offset:496
	scratch_load_dwordx4 v[8:11], off, off offset:512
	;; [unrolled: 1-line block ×14, first 2 shown]
	v_mov_b32_e32 v2, 0
	ds_read_b128 v[60:63], v2 offset:1168
	ds_read_b128 v[64:67], v2 offset:1184
	;; [unrolled: 1-line block ×13, first 2 shown]
	v_cmp_lt_u32_e32 vcc, 28, v240
	s_waitcnt vmcnt(13) lgkmcnt(12)
	v_mul_f64 v[112:113], v[60:61], v[6:7]
	v_mul_f64 v[6:7], v[62:63], v[6:7]
	s_waitcnt vmcnt(12) lgkmcnt(11)
	v_mul_f64 v[114:115], v[64:65], v[10:11]
	v_mul_f64 v[10:11], v[66:67], v[10:11]
	v_fmac_f64_e32 v[112:113], v[62:63], v[4:5]
	v_fma_f64 v[4:5], v[60:61], v[4:5], -v[6:7]
	s_waitcnt vmcnt(11) lgkmcnt(10)
	v_mul_f64 v[116:117], v[68:69], v[14:15]
	v_mul_f64 v[14:15], v[70:71], v[14:15]
	v_fma_f64 v[6:7], v[64:65], v[8:9], -v[10:11]
	v_add_f64 v[4:5], v[4:5], 0
	s_waitcnt vmcnt(10) lgkmcnt(9)
	v_mul_f64 v[118:119], v[72:73], v[18:19]
	v_mul_f64 v[18:19], v[74:75], v[18:19]
	v_fmac_f64_e32 v[114:115], v[66:67], v[8:9]
	v_fma_f64 v[8:9], v[68:69], v[12:13], -v[14:15]
	v_add_f64 v[4:5], v[4:5], v[6:7]
	s_waitcnt vmcnt(9) lgkmcnt(8)
	v_mul_f64 v[120:121], v[76:77], v[22:23]
	v_mul_f64 v[22:23], v[78:79], v[22:23]
	v_fma_f64 v[10:11], v[72:73], v[16:17], -v[18:19]
	v_add_f64 v[4:5], v[4:5], v[8:9]
	s_waitcnt vmcnt(8) lgkmcnt(7)
	v_mul_f64 v[122:123], v[80:81], v[26:27]
	v_mul_f64 v[26:27], v[82:83], v[26:27]
	v_fmac_f64_e32 v[116:117], v[70:71], v[12:13]
	v_fma_f64 v[12:13], v[76:77], v[20:21], -v[22:23]
	v_add_f64 v[22:23], v[112:113], 0
	v_add_f64 v[4:5], v[4:5], v[10:11]
	s_waitcnt vmcnt(7) lgkmcnt(6)
	v_mul_f64 v[124:125], v[84:85], v[30:31]
	v_mul_f64 v[30:31], v[86:87], v[30:31]
	v_fma_f64 v[14:15], v[80:81], v[24:25], -v[26:27]
	v_add_f64 v[22:23], v[22:23], v[114:115]
	v_add_f64 v[4:5], v[4:5], v[12:13]
	s_waitcnt vmcnt(6) lgkmcnt(5)
	v_mul_f64 v[126:127], v[88:89], v[34:35]
	v_mul_f64 v[34:35], v[90:91], v[34:35]
	v_fmac_f64_e32 v[118:119], v[74:75], v[16:17]
	v_fma_f64 v[16:17], v[84:85], v[28:29], -v[30:31]
	v_add_f64 v[6:7], v[22:23], v[116:117]
	v_add_f64 v[4:5], v[4:5], v[14:15]
	s_waitcnt vmcnt(5) lgkmcnt(4)
	v_mul_f64 v[128:129], v[92:93], v[38:39]
	v_mul_f64 v[38:39], v[94:95], v[38:39]
	v_fmac_f64_e32 v[120:121], v[78:79], v[20:21]
	v_fma_f64 v[18:19], v[88:89], v[32:33], -v[34:35]
	v_add_f64 v[6:7], v[6:7], v[118:119]
	v_add_f64 v[4:5], v[4:5], v[16:17]
	v_fmac_f64_e32 v[122:123], v[82:83], v[24:25]
	v_fma_f64 v[20:21], v[92:93], v[36:37], -v[38:39]
	v_add_f64 v[6:7], v[6:7], v[120:121]
	v_add_f64 v[4:5], v[4:5], v[18:19]
	s_waitcnt vmcnt(4) lgkmcnt(3)
	v_mul_f64 v[8:9], v[98:99], v[42:43]
	v_fmac_f64_e32 v[124:125], v[86:87], v[28:29]
	v_add_f64 v[6:7], v[6:7], v[122:123]
	v_add_f64 v[4:5], v[4:5], v[20:21]
	v_fma_f64 v[8:9], v[96:97], v[40:41], -v[8:9]
	v_fmac_f64_e32 v[126:127], v[90:91], v[32:33]
	v_add_f64 v[6:7], v[6:7], v[124:125]
	v_add_f64 v[4:5], v[4:5], v[8:9]
	s_waitcnt vmcnt(3) lgkmcnt(2)
	v_mul_f64 v[8:9], v[102:103], v[46:47]
	v_mul_f64 v[130:131], v[96:97], v[42:43]
	v_fmac_f64_e32 v[128:129], v[94:95], v[36:37]
	v_add_f64 v[6:7], v[6:7], v[126:127]
	v_fma_f64 v[8:9], v[100:101], v[44:45], -v[8:9]
	v_mul_f64 v[132:133], v[100:101], v[46:47]
	v_fmac_f64_e32 v[130:131], v[98:99], v[40:41]
	v_add_f64 v[6:7], v[6:7], v[128:129]
	v_add_f64 v[4:5], v[4:5], v[8:9]
	s_waitcnt vmcnt(2) lgkmcnt(1)
	v_mul_f64 v[8:9], v[106:107], v[50:51]
	v_mul_f64 v[134:135], v[104:105], v[50:51]
	v_fmac_f64_e32 v[132:133], v[102:103], v[44:45]
	v_add_f64 v[6:7], v[6:7], v[130:131]
	v_fma_f64 v[8:9], v[104:105], v[48:49], -v[8:9]
	s_waitcnt vmcnt(1) lgkmcnt(0)
	v_mul_f64 v[136:137], v[108:109], v[54:55]
	v_fmac_f64_e32 v[134:135], v[106:107], v[48:49]
	v_add_f64 v[6:7], v[6:7], v[132:133]
	v_add_f64 v[4:5], v[4:5], v[8:9]
	v_mul_f64 v[8:9], v[110:111], v[54:55]
	v_fmac_f64_e32 v[136:137], v[110:111], v[52:53]
	v_add_f64 v[6:7], v[6:7], v[134:135]
	v_fma_f64 v[8:9], v[108:109], v[52:53], -v[8:9]
	v_add_f64 v[6:7], v[6:7], v[136:137]
	v_add_f64 v[4:5], v[4:5], v[8:9]
	s_waitcnt vmcnt(0)
	v_add_f64 v[4:5], v[56:57], -v[4:5]
	v_add_f64 v[6:7], v[58:59], -v[6:7]
	scratch_store_dwordx4 off, v[4:7], off offset:480
	s_and_saveexec_b64 s[0:1], vcc
	s_cbranch_execz .LBB106_215
; %bb.214:
	scratch_load_dwordx4 v[6:9], off, s30
	v_mov_b32_e32 v3, v2
	v_mov_b32_e32 v4, v2
	;; [unrolled: 1-line block ×3, first 2 shown]
	v_accvgpr_read_b32 v0, a87
	scratch_store_dwordx4 off, v[2:5], off offset:464
	s_waitcnt vmcnt(1)
	ds_write_b128 v0, v[6:9]
.LBB106_215:
	s_or_b64 exec, exec, s[0:1]
	s_waitcnt lgkmcnt(0)
	; wave barrier
	scratch_load_dwordx4 v[4:7], off, off offset:480
	scratch_load_dwordx4 v[8:11], off, off offset:496
	;; [unrolled: 1-line block ×14, first 2 shown]
	ds_read_b128 v[60:63], v2 offset:1152
	ds_read_b128 v[64:67], v2 offset:1168
	;; [unrolled: 1-line block ×14, first 2 shown]
	scratch_load_dwordx4 v[116:119], off, off offset:464
	v_cmp_lt_u32_e32 vcc, 27, v240
	s_waitcnt vmcnt(14) lgkmcnt(13)
	v_mul_f64 v[2:3], v[60:61], v[6:7]
	s_waitcnt vmcnt(13) lgkmcnt(12)
	v_mul_f64 v[120:121], v[64:65], v[10:11]
	v_fmac_f64_e32 v[2:3], v[62:63], v[4:5]
	s_waitcnt vmcnt(12) lgkmcnt(11)
	v_mul_f64 v[122:123], v[68:69], v[14:15]
	v_fmac_f64_e32 v[120:121], v[66:67], v[8:9]
	v_add_f64 v[2:3], v[2:3], 0
	s_waitcnt vmcnt(11) lgkmcnt(10)
	v_mul_f64 v[124:125], v[72:73], v[18:19]
	v_fmac_f64_e32 v[122:123], v[70:71], v[12:13]
	v_add_f64 v[2:3], v[2:3], v[120:121]
	s_waitcnt vmcnt(10) lgkmcnt(9)
	v_mul_f64 v[126:127], v[76:77], v[22:23]
	v_fmac_f64_e32 v[124:125], v[74:75], v[16:17]
	v_add_f64 v[2:3], v[2:3], v[122:123]
	s_waitcnt vmcnt(9) lgkmcnt(8)
	v_mul_f64 v[128:129], v[80:81], v[26:27]
	v_fmac_f64_e32 v[126:127], v[78:79], v[20:21]
	v_add_f64 v[2:3], v[2:3], v[124:125]
	s_waitcnt vmcnt(8) lgkmcnt(7)
	v_mul_f64 v[130:131], v[84:85], v[30:31]
	v_mul_f64 v[6:7], v[62:63], v[6:7]
	v_fmac_f64_e32 v[128:129], v[82:83], v[24:25]
	v_add_f64 v[2:3], v[2:3], v[126:127]
	s_waitcnt vmcnt(7) lgkmcnt(6)
	v_mul_f64 v[132:133], v[88:89], v[34:35]
	v_mul_f64 v[10:11], v[66:67], v[10:11]
	v_fmac_f64_e32 v[130:131], v[86:87], v[28:29]
	v_fma_f64 v[4:5], v[60:61], v[4:5], -v[6:7]
	v_add_f64 v[2:3], v[2:3], v[128:129]
	s_waitcnt vmcnt(6) lgkmcnt(5)
	v_mul_f64 v[134:135], v[92:93], v[38:39]
	v_mul_f64 v[14:15], v[70:71], v[14:15]
	v_fmac_f64_e32 v[132:133], v[90:91], v[32:33]
	v_fma_f64 v[6:7], v[64:65], v[8:9], -v[10:11]
	v_add_f64 v[4:5], v[4:5], 0
	v_add_f64 v[2:3], v[2:3], v[130:131]
	s_waitcnt vmcnt(5) lgkmcnt(4)
	v_mul_f64 v[136:137], v[96:97], v[42:43]
	v_mul_f64 v[18:19], v[74:75], v[18:19]
	v_fmac_f64_e32 v[134:135], v[94:95], v[36:37]
	v_fma_f64 v[8:9], v[68:69], v[12:13], -v[14:15]
	v_add_f64 v[4:5], v[4:5], v[6:7]
	;; [unrolled: 7-line block ×6, first 2 shown]
	v_add_f64 v[2:3], v[2:3], v[140:141]
	v_fmac_f64_e32 v[144:145], v[114:115], v[56:57]
	v_fma_f64 v[18:19], v[88:89], v[32:33], -v[34:35]
	v_add_f64 v[4:5], v[4:5], v[16:17]
	v_add_f64 v[2:3], v[2:3], v[142:143]
	;; [unrolled: 1-line block ×4, first 2 shown]
	v_mul_f64 v[4:5], v[94:95], v[38:39]
	v_fma_f64 v[4:5], v[92:93], v[36:37], -v[4:5]
	v_add_f64 v[2:3], v[2:3], v[4:5]
	v_mul_f64 v[4:5], v[98:99], v[42:43]
	v_fma_f64 v[4:5], v[96:97], v[40:41], -v[4:5]
	v_add_f64 v[2:3], v[2:3], v[4:5]
	;; [unrolled: 3-line block ×6, first 2 shown]
	s_waitcnt vmcnt(0)
	v_add_f64 v[2:3], v[116:117], -v[2:3]
	v_add_f64 v[4:5], v[118:119], -v[6:7]
	scratch_store_dwordx4 off, v[2:5], off offset:464
	s_and_saveexec_b64 s[0:1], vcc
	s_cbranch_execz .LBB106_217
; %bb.216:
	scratch_load_dwordx4 v[2:5], off, s31
	v_mov_b32_e32 v6, 0
	v_mov_b32_e32 v7, v6
	;; [unrolled: 1-line block ×4, first 2 shown]
	v_accvgpr_read_b32 v0, a87
	scratch_store_dwordx4 off, v[6:9], off offset:448
	s_waitcnt vmcnt(1)
	ds_write_b128 v0, v[2:5]
.LBB106_217:
	s_or_b64 exec, exec, s[0:1]
	s_waitcnt lgkmcnt(0)
	; wave barrier
	scratch_load_dwordx4 v[4:7], off, off offset:464
	scratch_load_dwordx4 v[8:11], off, off offset:480
	;; [unrolled: 1-line block ×16, first 2 shown]
	v_mov_b32_e32 v2, 0
	ds_read_b128 v[68:71], v2 offset:1136
	ds_read_b128 v[72:75], v2 offset:1152
	;; [unrolled: 1-line block ×15, first 2 shown]
	v_cmp_lt_u32_e32 vcc, 26, v240
	s_waitcnt vmcnt(15) lgkmcnt(14)
	v_mul_f64 v[128:129], v[68:69], v[6:7]
	v_mul_f64 v[6:7], v[70:71], v[6:7]
	s_waitcnt vmcnt(14) lgkmcnt(13)
	v_mul_f64 v[130:131], v[72:73], v[10:11]
	v_mul_f64 v[10:11], v[74:75], v[10:11]
	v_fmac_f64_e32 v[128:129], v[70:71], v[4:5]
	v_fma_f64 v[4:5], v[68:69], v[4:5], -v[6:7]
	s_waitcnt vmcnt(13) lgkmcnt(12)
	v_mul_f64 v[132:133], v[76:77], v[14:15]
	v_mul_f64 v[14:15], v[78:79], v[14:15]
	v_fma_f64 v[6:7], v[72:73], v[8:9], -v[10:11]
	v_add_f64 v[4:5], v[4:5], 0
	s_waitcnt vmcnt(12) lgkmcnt(11)
	v_mul_f64 v[134:135], v[80:81], v[18:19]
	v_mul_f64 v[18:19], v[82:83], v[18:19]
	v_fmac_f64_e32 v[130:131], v[74:75], v[8:9]
	v_fma_f64 v[8:9], v[76:77], v[12:13], -v[14:15]
	v_add_f64 v[4:5], v[4:5], v[6:7]
	s_waitcnt vmcnt(11) lgkmcnt(10)
	v_mul_f64 v[136:137], v[84:85], v[22:23]
	v_mul_f64 v[22:23], v[86:87], v[22:23]
	v_fma_f64 v[10:11], v[80:81], v[16:17], -v[18:19]
	v_add_f64 v[4:5], v[4:5], v[8:9]
	s_waitcnt vmcnt(10) lgkmcnt(9)
	v_mul_f64 v[138:139], v[88:89], v[26:27]
	v_mul_f64 v[26:27], v[90:91], v[26:27]
	v_fmac_f64_e32 v[132:133], v[78:79], v[12:13]
	v_fma_f64 v[12:13], v[84:85], v[20:21], -v[22:23]
	v_add_f64 v[4:5], v[4:5], v[10:11]
	v_fma_f64 v[14:15], v[88:89], v[24:25], -v[26:27]
	v_add_f64 v[4:5], v[4:5], v[12:13]
	s_waitcnt vmcnt(9) lgkmcnt(8)
	v_mul_f64 v[8:9], v[94:95], v[30:31]
	v_add_f64 v[4:5], v[4:5], v[14:15]
	v_fma_f64 v[8:9], v[92:93], v[28:29], -v[8:9]
	v_add_f64 v[4:5], v[4:5], v[8:9]
	s_waitcnt vmcnt(8) lgkmcnt(7)
	v_mul_f64 v[8:9], v[98:99], v[34:35]
	v_fma_f64 v[8:9], v[96:97], v[32:33], -v[8:9]
	v_fmac_f64_e32 v[134:135], v[82:83], v[16:17]
	v_add_f64 v[16:17], v[128:129], 0
	v_add_f64 v[4:5], v[4:5], v[8:9]
	s_waitcnt vmcnt(7) lgkmcnt(6)
	v_mul_f64 v[8:9], v[102:103], v[38:39]
	v_add_f64 v[16:17], v[16:17], v[130:131]
	v_fma_f64 v[8:9], v[100:101], v[36:37], -v[8:9]
	v_add_f64 v[6:7], v[16:17], v[132:133]
	v_add_f64 v[4:5], v[4:5], v[8:9]
	s_waitcnt vmcnt(6) lgkmcnt(5)
	v_mul_f64 v[8:9], v[106:107], v[42:43]
	v_fmac_f64_e32 v[136:137], v[86:87], v[20:21]
	v_add_f64 v[6:7], v[6:7], v[134:135]
	v_fma_f64 v[8:9], v[104:105], v[40:41], -v[8:9]
	v_mul_f64 v[140:141], v[92:93], v[30:31]
	v_fmac_f64_e32 v[138:139], v[90:91], v[24:25]
	v_add_f64 v[6:7], v[6:7], v[136:137]
	v_add_f64 v[4:5], v[4:5], v[8:9]
	s_waitcnt vmcnt(5) lgkmcnt(4)
	v_mul_f64 v[8:9], v[110:111], v[46:47]
	v_mul_f64 v[142:143], v[96:97], v[34:35]
	v_fmac_f64_e32 v[140:141], v[94:95], v[28:29]
	v_add_f64 v[6:7], v[6:7], v[138:139]
	v_fma_f64 v[8:9], v[108:109], v[44:45], -v[8:9]
	v_mul_f64 v[144:145], v[100:101], v[38:39]
	v_fmac_f64_e32 v[142:143], v[98:99], v[32:33]
	v_add_f64 v[6:7], v[6:7], v[140:141]
	v_add_f64 v[4:5], v[4:5], v[8:9]
	s_waitcnt vmcnt(4) lgkmcnt(3)
	v_mul_f64 v[8:9], v[114:115], v[50:51]
	;; [unrolled: 10-line block ×4, first 2 shown]
	v_mul_f64 v[154:155], v[120:121], v[58:59]
	v_fmac_f64_e32 v[152:153], v[118:119], v[52:53]
	v_add_f64 v[6:7], v[6:7], v[150:151]
	v_fma_f64 v[8:9], v[120:121], v[56:57], -v[8:9]
	s_waitcnt vmcnt(1) lgkmcnt(0)
	v_mul_f64 v[156:157], v[124:125], v[62:63]
	v_fmac_f64_e32 v[154:155], v[122:123], v[56:57]
	v_add_f64 v[6:7], v[6:7], v[152:153]
	v_add_f64 v[4:5], v[4:5], v[8:9]
	v_mul_f64 v[8:9], v[126:127], v[62:63]
	v_fmac_f64_e32 v[156:157], v[126:127], v[60:61]
	v_add_f64 v[6:7], v[6:7], v[154:155]
	v_fma_f64 v[8:9], v[124:125], v[60:61], -v[8:9]
	v_add_f64 v[6:7], v[6:7], v[156:157]
	v_add_f64 v[4:5], v[4:5], v[8:9]
	s_waitcnt vmcnt(0)
	v_add_f64 v[4:5], v[64:65], -v[4:5]
	v_add_f64 v[6:7], v[66:67], -v[6:7]
	scratch_store_dwordx4 off, v[4:7], off offset:448
	s_and_saveexec_b64 s[0:1], vcc
	s_cbranch_execz .LBB106_219
; %bb.218:
	scratch_load_dwordx4 v[6:9], off, s33
	v_mov_b32_e32 v3, v2
	v_mov_b32_e32 v4, v2
	;; [unrolled: 1-line block ×3, first 2 shown]
	v_accvgpr_read_b32 v0, a87
	scratch_store_dwordx4 off, v[2:5], off offset:432
	s_waitcnt vmcnt(1)
	ds_write_b128 v0, v[6:9]
.LBB106_219:
	s_or_b64 exec, exec, s[0:1]
	s_waitcnt lgkmcnt(0)
	; wave barrier
	scratch_load_dwordx4 v[4:7], off, off offset:448
	scratch_load_dwordx4 v[8:11], off, off offset:464
	;; [unrolled: 1-line block ×16, first 2 shown]
	ds_read_b128 v[68:71], v2 offset:1120
	ds_read_b128 v[72:75], v2 offset:1136
	ds_read_b128 v[76:79], v2 offset:1152
	ds_read_b128 v[80:83], v2 offset:1168
	ds_read_b128 v[84:87], v2 offset:1184
	ds_read_b128 v[88:91], v2 offset:1200
	ds_read_b128 v[92:95], v2 offset:1216
	ds_read_b128 v[96:99], v2 offset:1232
	ds_read_b128 v[100:103], v2 offset:1248
	ds_read_b128 v[104:107], v2 offset:1264
	ds_read_b128 v[108:111], v2 offset:1280
	ds_read_b128 v[112:115], v2 offset:1296
	ds_read_b128 v[116:119], v2 offset:1312
	ds_read_b128 v[120:123], v2 offset:1328
	ds_read_b128 v[124:127], v2 offset:1344
	ds_read_b128 v[128:131], v2 offset:1360
	scratch_load_dwordx4 v[132:135], off, off offset:432
	v_cmp_lt_u32_e32 vcc, 25, v240
	s_waitcnt vmcnt(16) lgkmcnt(14)
	v_mul_f64 v[2:3], v[68:69], v[6:7]
	s_waitcnt vmcnt(15)
	v_mul_f64 v[136:137], v[72:73], v[10:11]
	v_fmac_f64_e32 v[2:3], v[70:71], v[4:5]
	s_waitcnt vmcnt(14) lgkmcnt(13)
	v_mul_f64 v[138:139], v[76:77], v[14:15]
	v_fmac_f64_e32 v[136:137], v[74:75], v[8:9]
	v_add_f64 v[2:3], v[2:3], 0
	s_waitcnt vmcnt(13) lgkmcnt(12)
	v_mul_f64 v[140:141], v[80:81], v[18:19]
	v_fmac_f64_e32 v[138:139], v[78:79], v[12:13]
	v_add_f64 v[2:3], v[2:3], v[136:137]
	;; [unrolled: 4-line block ×10, first 2 shown]
	s_waitcnt vmcnt(4) lgkmcnt(3)
	v_mul_f64 v[158:159], v[116:117], v[54:55]
	v_mul_f64 v[6:7], v[70:71], v[6:7]
	v_fmac_f64_e32 v[156:157], v[114:115], v[48:49]
	v_add_f64 v[2:3], v[2:3], v[154:155]
	s_waitcnt vmcnt(3) lgkmcnt(2)
	v_mul_f64 v[160:161], v[120:121], v[58:59]
	v_mul_f64 v[10:11], v[74:75], v[10:11]
	v_fmac_f64_e32 v[158:159], v[118:119], v[52:53]
	v_fma_f64 v[4:5], v[68:69], v[4:5], -v[6:7]
	v_add_f64 v[2:3], v[2:3], v[156:157]
	s_waitcnt vmcnt(2) lgkmcnt(1)
	v_mul_f64 v[162:163], v[124:125], v[62:63]
	v_mul_f64 v[14:15], v[78:79], v[14:15]
	v_fmac_f64_e32 v[160:161], v[122:123], v[56:57]
	v_fma_f64 v[6:7], v[72:73], v[8:9], -v[10:11]
	v_add_f64 v[4:5], v[4:5], 0
	v_add_f64 v[2:3], v[2:3], v[158:159]
	s_waitcnt vmcnt(1) lgkmcnt(0)
	v_mul_f64 v[164:165], v[128:129], v[66:67]
	v_mul_f64 v[18:19], v[82:83], v[18:19]
	v_fmac_f64_e32 v[162:163], v[126:127], v[60:61]
	v_fma_f64 v[8:9], v[76:77], v[12:13], -v[14:15]
	v_add_f64 v[4:5], v[4:5], v[6:7]
	v_add_f64 v[2:3], v[2:3], v[160:161]
	v_mul_f64 v[26:27], v[86:87], v[26:27]
	v_fmac_f64_e32 v[164:165], v[130:131], v[64:65]
	v_fma_f64 v[10:11], v[80:81], v[16:17], -v[18:19]
	v_add_f64 v[4:5], v[4:5], v[8:9]
	v_add_f64 v[2:3], v[2:3], v[162:163]
	v_fma_f64 v[12:13], v[84:85], v[24:25], -v[26:27]
	v_add_f64 v[4:5], v[4:5], v[10:11]
	v_add_f64 v[6:7], v[2:3], v[164:165]
	v_mul_f64 v[2:3], v[90:91], v[22:23]
	v_add_f64 v[4:5], v[4:5], v[12:13]
	v_fma_f64 v[2:3], v[88:89], v[20:21], -v[2:3]
	v_add_f64 v[2:3], v[4:5], v[2:3]
	v_mul_f64 v[4:5], v[94:95], v[30:31]
	v_fma_f64 v[4:5], v[92:93], v[28:29], -v[4:5]
	v_add_f64 v[2:3], v[2:3], v[4:5]
	v_mul_f64 v[4:5], v[98:99], v[34:35]
	;; [unrolled: 3-line block ×10, first 2 shown]
	v_fma_f64 v[4:5], v[128:129], v[64:65], -v[4:5]
	v_add_f64 v[2:3], v[2:3], v[4:5]
	s_waitcnt vmcnt(0)
	v_add_f64 v[2:3], v[132:133], -v[2:3]
	v_add_f64 v[4:5], v[134:135], -v[6:7]
	scratch_store_dwordx4 off, v[2:5], off offset:432
	s_and_saveexec_b64 s[0:1], vcc
	s_cbranch_execz .LBB106_221
; %bb.220:
	scratch_load_dwordx4 v[2:5], off, s34
	v_mov_b32_e32 v6, 0
	v_mov_b32_e32 v7, v6
	;; [unrolled: 1-line block ×4, first 2 shown]
	v_accvgpr_read_b32 v0, a87
	scratch_store_dwordx4 off, v[6:9], off offset:416
	s_waitcnt vmcnt(1)
	ds_write_b128 v0, v[2:5]
.LBB106_221:
	s_or_b64 exec, exec, s[0:1]
	v_mov_b32_e32 v2, 0
	s_waitcnt lgkmcnt(0)
	; wave barrier
	ds_read_b128 v[16:19], v2 offset:1104
	ds_read_b128 v[12:15], v2 offset:1120
	;; [unrolled: 1-line block ×4, first 2 shown]
	scratch_load_dwordx4 v[20:23], off, off offset:432
	scratch_load_dwordx4 v[40:43], off, off offset:496
	;; [unrolled: 1-line block ×11, first 2 shown]
	v_cmp_lt_u32_e32 vcc, 24, v240
	scratch_load_dwordx4 v[48:51], off, off offset:512
	scratch_load_dwordx4 v[56:59], off, off offset:528
	;; [unrolled: 1-line block ×3, first 2 shown]
	s_waitcnt vmcnt(13) lgkmcnt(3)
	v_mul_f64 v[24:25], v[16:17], v[22:23]
	v_fmac_f64_e32 v[24:25], v[18:19], v[20:21]
	v_add_f64 v[28:29], v[24:25], 0
	scratch_load_dwordx4 v[24:27], off, off offset:448
	v_mul_f64 v[18:19], v[18:19], v[22:23]
	v_fma_f64 v[16:17], v[16:17], v[20:21], -v[18:19]
	v_add_f64 v[16:17], v[16:17], 0
	s_waitcnt vmcnt(0) lgkmcnt(2)
	v_mul_f64 v[30:31], v[12:13], v[26:27]
	v_fmac_f64_e32 v[30:31], v[14:15], v[24:25]
	v_add_f64 v[32:33], v[28:29], v[30:31]
	scratch_load_dwordx4 v[28:31], off, off offset:464
	v_mul_f64 v[14:15], v[14:15], v[26:27]
	v_fma_f64 v[12:13], v[12:13], v[24:25], -v[14:15]
	v_add_f64 v[12:13], v[16:17], v[12:13]
	;; [unrolled: 8-line block ×3, first 2 shown]
	s_waitcnt vmcnt(0) lgkmcnt(0)
	v_mul_f64 v[38:39], v[4:5], v[34:35]
	v_fmac_f64_e32 v[38:39], v[6:7], v[32:33]
	v_add_f64 v[44:45], v[36:37], v[38:39]
	ds_read_b128 v[36:39], v2 offset:1168
	v_mul_f64 v[6:7], v[6:7], v[34:35]
	v_fma_f64 v[4:5], v[4:5], v[32:33], -v[6:7]
	v_add_f64 v[4:5], v[8:9], v[4:5]
	s_waitcnt lgkmcnt(0)
	v_mul_f64 v[46:47], v[36:37], v[42:43]
	v_fmac_f64_e32 v[46:47], v[38:39], v[40:41]
	v_add_f64 v[52:53], v[44:45], v[46:47]
	ds_read_b128 v[44:47], v2 offset:1184
	v_mul_f64 v[6:7], v[38:39], v[42:43]
	v_fma_f64 v[6:7], v[36:37], v[40:41], -v[6:7]
	v_add_f64 v[4:5], v[4:5], v[6:7]
	s_waitcnt lgkmcnt(0)
	;; [unrolled: 8-line block ×13, first 2 shown]
	v_mul_f64 v[6:7], v[136:137], v[140:141]
	v_fma_f64 v[6:7], v[134:135], v[138:139], -v[6:7]
	v_add_f64 v[8:9], v[4:5], v[6:7]
	scratch_load_dwordx4 v[4:7], off, off offset:416
	v_mul_f64 v[142:143], v[134:135], v[140:141]
	v_fmac_f64_e32 v[142:143], v[136:137], v[138:139]
	v_add_f64 v[72:73], v[72:73], v[142:143]
	s_waitcnt vmcnt(0)
	v_add_f64 v[4:5], v[4:5], -v[8:9]
	v_add_f64 v[6:7], v[6:7], -v[72:73]
	scratch_store_dwordx4 off, v[4:7], off offset:416
	s_and_saveexec_b64 s[0:1], vcc
	s_cbranch_execz .LBB106_223
; %bb.222:
	scratch_load_dwordx4 v[6:9], off, s35
	v_mov_b32_e32 v3, v2
	v_mov_b32_e32 v4, v2
	;; [unrolled: 1-line block ×3, first 2 shown]
	v_accvgpr_read_b32 v0, a87
	scratch_store_dwordx4 off, v[2:5], off offset:400
	s_waitcnt vmcnt(1)
	ds_write_b128 v0, v[6:9]
.LBB106_223:
	s_or_b64 exec, exec, s[0:1]
	s_waitcnt lgkmcnt(0)
	; wave barrier
	ds_read_b128 v[16:19], v2 offset:1088
	ds_read_b128 v[12:15], v2 offset:1104
	;; [unrolled: 1-line block ×4, first 2 shown]
	scratch_load_dwordx4 v[20:23], off, off offset:416
	scratch_load_dwordx4 v[40:43], off, off offset:480
	;; [unrolled: 1-line block ×12, first 2 shown]
	v_cmp_lt_u32_e32 vcc, 23, v240
	scratch_load_dwordx4 v[48:51], off, off offset:496
	scratch_load_dwordx4 v[56:59], off, off offset:512
	;; [unrolled: 1-line block ×3, first 2 shown]
	s_waitcnt vmcnt(14) lgkmcnt(3)
	v_mul_f64 v[24:25], v[16:17], v[22:23]
	v_fmac_f64_e32 v[24:25], v[18:19], v[20:21]
	v_add_f64 v[28:29], v[24:25], 0
	scratch_load_dwordx4 v[24:27], off, off offset:432
	s_waitcnt vmcnt(0) lgkmcnt(2)
	v_mul_f64 v[30:31], v[12:13], v[26:27]
	v_fmac_f64_e32 v[30:31], v[14:15], v[24:25]
	v_add_f64 v[32:33], v[28:29], v[30:31]
	scratch_load_dwordx4 v[28:31], off, off offset:448
	v_mul_f64 v[14:15], v[14:15], v[26:27]
	v_fma_f64 v[12:13], v[12:13], v[24:25], -v[14:15]
	s_waitcnt vmcnt(0) lgkmcnt(1)
	v_mul_f64 v[34:35], v[8:9], v[30:31]
	v_fmac_f64_e32 v[34:35], v[10:11], v[28:29]
	v_add_f64 v[36:37], v[32:33], v[34:35]
	scratch_load_dwordx4 v[32:35], off, off offset:464
	v_mul_f64 v[10:11], v[10:11], v[30:31]
	v_fma_f64 v[8:9], v[8:9], v[28:29], -v[10:11]
	s_waitcnt vmcnt(0) lgkmcnt(0)
	v_mul_f64 v[38:39], v[4:5], v[34:35]
	v_fmac_f64_e32 v[38:39], v[6:7], v[32:33]
	v_add_f64 v[44:45], v[36:37], v[38:39]
	ds_read_b128 v[36:39], v2 offset:1152
	v_mul_f64 v[6:7], v[6:7], v[34:35]
	v_fma_f64 v[4:5], v[4:5], v[32:33], -v[6:7]
	s_waitcnt lgkmcnt(0)
	v_mul_f64 v[46:47], v[36:37], v[42:43]
	v_fmac_f64_e32 v[46:47], v[38:39], v[40:41]
	v_add_f64 v[52:53], v[44:45], v[46:47]
	ds_read_b128 v[44:47], v2 offset:1168
	s_waitcnt lgkmcnt(0)
	v_mul_f64 v[54:55], v[44:45], v[50:51]
	v_fmac_f64_e32 v[54:55], v[46:47], v[48:49]
	v_add_f64 v[60:61], v[52:53], v[54:55]
	ds_read_b128 v[52:55], v2 offset:1184
	s_waitcnt lgkmcnt(0)
	v_mul_f64 v[62:63], v[52:53], v[58:59]
	v_fmac_f64_e32 v[62:63], v[54:55], v[56:57]
	v_add_f64 v[68:69], v[60:61], v[62:63]
	ds_read_b128 v[60:63], v2 offset:1200
	s_waitcnt lgkmcnt(0)
	v_mul_f64 v[70:71], v[60:61], v[66:67]
	v_fmac_f64_e32 v[70:71], v[62:63], v[64:65]
	v_add_f64 v[76:77], v[68:69], v[70:71]
	ds_read_b128 v[68:71], v2 offset:1216
	s_waitcnt lgkmcnt(0)
	v_mul_f64 v[78:79], v[68:69], v[74:75]
	v_fmac_f64_e32 v[78:79], v[70:71], v[72:73]
	v_add_f64 v[80:81], v[76:77], v[78:79]
	ds_read_b128 v[76:79], v2 offset:1232
	s_waitcnt lgkmcnt(0)
	v_mul_f64 v[86:87], v[76:77], v[84:85]
	v_fmac_f64_e32 v[86:87], v[78:79], v[82:83]
	v_add_f64 v[80:81], v[80:81], v[86:87]
	ds_read_b128 v[86:89], v2 offset:1248
	s_waitcnt lgkmcnt(0)
	v_mul_f64 v[94:95], v[86:87], v[92:93]
	v_fmac_f64_e32 v[94:95], v[88:89], v[90:91]
	v_add_f64 v[80:81], v[80:81], v[94:95]
	ds_read_b128 v[94:97], v2 offset:1264
	s_waitcnt lgkmcnt(0)
	v_mul_f64 v[102:103], v[94:95], v[100:101]
	v_fmac_f64_e32 v[102:103], v[96:97], v[98:99]
	v_add_f64 v[80:81], v[80:81], v[102:103]
	ds_read_b128 v[102:105], v2 offset:1280
	s_waitcnt lgkmcnt(0)
	v_mul_f64 v[110:111], v[102:103], v[108:109]
	v_fmac_f64_e32 v[110:111], v[104:105], v[106:107]
	v_add_f64 v[80:81], v[80:81], v[110:111]
	ds_read_b128 v[110:113], v2 offset:1296
	s_waitcnt lgkmcnt(0)
	v_mul_f64 v[118:119], v[110:111], v[116:117]
	v_fmac_f64_e32 v[118:119], v[112:113], v[114:115]
	v_add_f64 v[80:81], v[80:81], v[118:119]
	ds_read_b128 v[118:121], v2 offset:1312
	s_waitcnt lgkmcnt(0)
	v_mul_f64 v[126:127], v[118:119], v[124:125]
	v_fmac_f64_e32 v[126:127], v[120:121], v[122:123]
	v_add_f64 v[80:81], v[80:81], v[126:127]
	ds_read_b128 v[126:129], v2 offset:1328
	s_waitcnt lgkmcnt(0)
	v_mul_f64 v[134:135], v[126:127], v[132:133]
	v_fmac_f64_e32 v[134:135], v[128:129], v[130:131]
	v_add_f64 v[80:81], v[80:81], v[134:135]
	ds_read_b128 v[134:137], v2 offset:1344
	s_waitcnt lgkmcnt(0)
	v_mul_f64 v[142:143], v[134:135], v[140:141]
	v_fmac_f64_e32 v[142:143], v[136:137], v[138:139]
	v_add_f64 v[80:81], v[80:81], v[142:143]
	ds_read_b128 v[142:145], v2 offset:1360
	s_waitcnt lgkmcnt(0)
	v_mul_f64 v[2:3], v[142:143], v[148:149]
	v_fmac_f64_e32 v[2:3], v[144:145], v[146:147]
	v_add_f64 v[80:81], v[80:81], v[2:3]
	v_mul_f64 v[2:3], v[18:19], v[22:23]
	v_fma_f64 v[2:3], v[16:17], v[20:21], -v[2:3]
	v_add_f64 v[2:3], v[2:3], 0
	v_add_f64 v[2:3], v[2:3], v[12:13]
	;; [unrolled: 1-line block ×4, first 2 shown]
	v_mul_f64 v[4:5], v[38:39], v[42:43]
	v_fma_f64 v[4:5], v[36:37], v[40:41], -v[4:5]
	v_add_f64 v[2:3], v[2:3], v[4:5]
	v_mul_f64 v[4:5], v[46:47], v[50:51]
	v_fma_f64 v[4:5], v[44:45], v[48:49], -v[4:5]
	v_add_f64 v[2:3], v[2:3], v[4:5]
	;; [unrolled: 3-line block ×14, first 2 shown]
	scratch_load_dwordx4 v[2:5], off, off offset:400
	s_waitcnt vmcnt(0)
	v_add_f64 v[2:3], v[2:3], -v[6:7]
	v_add_f64 v[4:5], v[4:5], -v[80:81]
	scratch_store_dwordx4 off, v[2:5], off offset:400
	s_and_saveexec_b64 s[0:1], vcc
	s_cbranch_execz .LBB106_225
; %bb.224:
	scratch_load_dwordx4 v[2:5], off, s36
	v_mov_b32_e32 v6, 0
	v_mov_b32_e32 v7, v6
	;; [unrolled: 1-line block ×4, first 2 shown]
	v_accvgpr_read_b32 v0, a87
	scratch_store_dwordx4 off, v[6:9], off offset:384
	s_waitcnt vmcnt(1)
	ds_write_b128 v0, v[2:5]
.LBB106_225:
	s_or_b64 exec, exec, s[0:1]
	v_mov_b32_e32 v2, 0
	s_waitcnt lgkmcnt(0)
	; wave barrier
	ds_read_b128 v[16:19], v2 offset:1072
	ds_read_b128 v[12:15], v2 offset:1088
	;; [unrolled: 1-line block ×4, first 2 shown]
	scratch_load_dwordx4 v[20:23], off, off offset:400
	scratch_load_dwordx4 v[40:43], off, off offset:464
	;; [unrolled: 1-line block ×13, first 2 shown]
	v_cmp_lt_u32_e32 vcc, 22, v240
	scratch_load_dwordx4 v[48:51], off, off offset:480
	scratch_load_dwordx4 v[56:59], off, off offset:496
	;; [unrolled: 1-line block ×3, first 2 shown]
	s_waitcnt vmcnt(15) lgkmcnt(3)
	v_mul_f64 v[24:25], v[16:17], v[22:23]
	v_fmac_f64_e32 v[24:25], v[18:19], v[20:21]
	v_add_f64 v[28:29], v[24:25], 0
	scratch_load_dwordx4 v[24:27], off, off offset:416
	v_mul_f64 v[18:19], v[18:19], v[22:23]
	v_fma_f64 v[16:17], v[16:17], v[20:21], -v[18:19]
	v_add_f64 v[16:17], v[16:17], 0
	s_waitcnt vmcnt(0) lgkmcnt(2)
	v_mul_f64 v[30:31], v[12:13], v[26:27]
	v_fmac_f64_e32 v[30:31], v[14:15], v[24:25]
	v_add_f64 v[32:33], v[28:29], v[30:31]
	scratch_load_dwordx4 v[28:31], off, off offset:432
	v_mul_f64 v[14:15], v[14:15], v[26:27]
	v_fma_f64 v[12:13], v[12:13], v[24:25], -v[14:15]
	v_add_f64 v[12:13], v[16:17], v[12:13]
	;; [unrolled: 8-line block ×3, first 2 shown]
	s_waitcnt vmcnt(0) lgkmcnt(0)
	v_mul_f64 v[38:39], v[4:5], v[34:35]
	v_fmac_f64_e32 v[38:39], v[6:7], v[32:33]
	v_add_f64 v[44:45], v[36:37], v[38:39]
	ds_read_b128 v[36:39], v2 offset:1136
	v_mul_f64 v[6:7], v[6:7], v[34:35]
	v_fma_f64 v[4:5], v[4:5], v[32:33], -v[6:7]
	v_add_f64 v[4:5], v[8:9], v[4:5]
	s_waitcnt lgkmcnt(0)
	v_mul_f64 v[46:47], v[36:37], v[42:43]
	v_fmac_f64_e32 v[46:47], v[38:39], v[40:41]
	v_add_f64 v[52:53], v[44:45], v[46:47]
	ds_read_b128 v[44:47], v2 offset:1152
	v_mul_f64 v[6:7], v[38:39], v[42:43]
	v_fma_f64 v[6:7], v[36:37], v[40:41], -v[6:7]
	v_add_f64 v[4:5], v[4:5], v[6:7]
	s_waitcnt lgkmcnt(0)
	;; [unrolled: 8-line block ×15, first 2 shown]
	v_mul_f64 v[6:7], v[152:153], v[156:157]
	v_fma_f64 v[6:7], v[150:151], v[154:155], -v[6:7]
	v_add_f64 v[8:9], v[4:5], v[6:7]
	scratch_load_dwordx4 v[4:7], off, off offset:384
	v_mul_f64 v[158:159], v[150:151], v[156:157]
	v_fmac_f64_e32 v[158:159], v[152:153], v[154:155]
	v_add_f64 v[88:89], v[88:89], v[158:159]
	s_waitcnt vmcnt(0)
	v_add_f64 v[4:5], v[4:5], -v[8:9]
	v_add_f64 v[6:7], v[6:7], -v[88:89]
	scratch_store_dwordx4 off, v[4:7], off offset:384
	s_and_saveexec_b64 s[0:1], vcc
	s_cbranch_execz .LBB106_227
; %bb.226:
	scratch_load_dwordx4 v[6:9], off, s37
	v_mov_b32_e32 v3, v2
	v_mov_b32_e32 v4, v2
	v_mov_b32_e32 v5, v2
	v_accvgpr_read_b32 v0, a87
	scratch_store_dwordx4 off, v[2:5], off offset:368
	s_waitcnt vmcnt(1)
	ds_write_b128 v0, v[6:9]
.LBB106_227:
	s_or_b64 exec, exec, s[0:1]
	s_waitcnt lgkmcnt(0)
	; wave barrier
	ds_read_b128 v[16:19], v2 offset:1056
	ds_read_b128 v[12:15], v2 offset:1072
	;; [unrolled: 1-line block ×4, first 2 shown]
	scratch_load_dwordx4 v[20:23], off, off offset:384
	scratch_load_dwordx4 v[40:43], off, off offset:448
	;; [unrolled: 1-line block ×14, first 2 shown]
	v_cmp_lt_u32_e32 vcc, 21, v240
	scratch_load_dwordx4 v[48:51], off, off offset:464
	scratch_load_dwordx4 v[56:59], off, off offset:480
	;; [unrolled: 1-line block ×3, first 2 shown]
	s_waitcnt vmcnt(16) lgkmcnt(3)
	v_mul_f64 v[24:25], v[16:17], v[22:23]
	v_fmac_f64_e32 v[24:25], v[18:19], v[20:21]
	v_add_f64 v[28:29], v[24:25], 0
	scratch_load_dwordx4 v[24:27], off, off offset:400
	s_waitcnt vmcnt(0) lgkmcnt(2)
	v_mul_f64 v[30:31], v[12:13], v[26:27]
	v_fmac_f64_e32 v[30:31], v[14:15], v[24:25]
	v_add_f64 v[32:33], v[28:29], v[30:31]
	scratch_load_dwordx4 v[28:31], off, off offset:416
	v_mul_f64 v[14:15], v[14:15], v[26:27]
	v_fma_f64 v[12:13], v[12:13], v[24:25], -v[14:15]
	s_waitcnt vmcnt(0) lgkmcnt(1)
	v_mul_f64 v[34:35], v[8:9], v[30:31]
	v_fmac_f64_e32 v[34:35], v[10:11], v[28:29]
	v_add_f64 v[36:37], v[32:33], v[34:35]
	scratch_load_dwordx4 v[32:35], off, off offset:432
	v_mul_f64 v[10:11], v[10:11], v[30:31]
	v_fma_f64 v[8:9], v[8:9], v[28:29], -v[10:11]
	s_waitcnt vmcnt(0) lgkmcnt(0)
	v_mul_f64 v[38:39], v[4:5], v[34:35]
	v_fmac_f64_e32 v[38:39], v[6:7], v[32:33]
	v_add_f64 v[44:45], v[36:37], v[38:39]
	ds_read_b128 v[36:39], v2 offset:1120
	v_mul_f64 v[6:7], v[6:7], v[34:35]
	v_fma_f64 v[4:5], v[4:5], v[32:33], -v[6:7]
	s_waitcnt lgkmcnt(0)
	v_mul_f64 v[46:47], v[36:37], v[42:43]
	v_fmac_f64_e32 v[46:47], v[38:39], v[40:41]
	v_add_f64 v[52:53], v[44:45], v[46:47]
	ds_read_b128 v[44:47], v2 offset:1136
	s_waitcnt lgkmcnt(0)
	v_mul_f64 v[54:55], v[44:45], v[50:51]
	v_fmac_f64_e32 v[54:55], v[46:47], v[48:49]
	v_add_f64 v[60:61], v[52:53], v[54:55]
	ds_read_b128 v[52:55], v2 offset:1152
	;; [unrolled: 5-line block ×15, first 2 shown]
	s_waitcnt lgkmcnt(0)
	v_mul_f64 v[2:3], v[158:159], v[164:165]
	v_fmac_f64_e32 v[2:3], v[160:161], v[162:163]
	v_add_f64 v[96:97], v[96:97], v[2:3]
	v_mul_f64 v[2:3], v[18:19], v[22:23]
	v_fma_f64 v[2:3], v[16:17], v[20:21], -v[2:3]
	v_add_f64 v[2:3], v[2:3], 0
	v_add_f64 v[2:3], v[2:3], v[12:13]
	;; [unrolled: 1-line block ×4, first 2 shown]
	v_mul_f64 v[4:5], v[38:39], v[42:43]
	v_fma_f64 v[4:5], v[36:37], v[40:41], -v[4:5]
	v_add_f64 v[2:3], v[2:3], v[4:5]
	v_mul_f64 v[4:5], v[46:47], v[50:51]
	v_fma_f64 v[4:5], v[44:45], v[48:49], -v[4:5]
	v_add_f64 v[2:3], v[2:3], v[4:5]
	;; [unrolled: 3-line block ×16, first 2 shown]
	scratch_load_dwordx4 v[2:5], off, off offset:368
	s_waitcnt vmcnt(0)
	v_add_f64 v[2:3], v[2:3], -v[6:7]
	v_add_f64 v[4:5], v[4:5], -v[96:97]
	scratch_store_dwordx4 off, v[2:5], off offset:368
	s_and_saveexec_b64 s[0:1], vcc
	s_cbranch_execz .LBB106_229
; %bb.228:
	scratch_load_dwordx4 v[2:5], off, s38
	v_mov_b32_e32 v6, 0
	v_mov_b32_e32 v7, v6
	;; [unrolled: 1-line block ×4, first 2 shown]
	v_accvgpr_read_b32 v0, a87
	scratch_store_dwordx4 off, v[6:9], off offset:352
	s_waitcnt vmcnt(1)
	ds_write_b128 v0, v[2:5]
.LBB106_229:
	s_or_b64 exec, exec, s[0:1]
	v_mov_b32_e32 v2, 0
	s_waitcnt lgkmcnt(0)
	; wave barrier
	ds_read_b128 v[16:19], v2 offset:1040
	ds_read_b128 v[12:15], v2 offset:1056
	;; [unrolled: 1-line block ×4, first 2 shown]
	scratch_load_dwordx4 v[20:23], off, off offset:368
	scratch_load_dwordx4 v[40:43], off, off offset:432
	scratch_load_dwordx4 v[72:75], off, off offset:496
	scratch_load_dwordx4 v[80:83], off, off offset:512
	scratch_load_dwordx4 v[88:91], off, off offset:528
	scratch_load_dwordx4 v[96:99], off, off offset:544
	scratch_load_dwordx4 v[106:109], off, off offset:560
	scratch_load_dwordx4 v[114:117], off, off offset:576
	scratch_load_dwordx4 v[122:125], off, off offset:592
	scratch_load_dwordx4 v[130:133], off, off offset:608
	scratch_load_dwordx4 v[138:141], off, off offset:624
	scratch_load_dwordx4 v[146:149], off, off offset:640
	scratch_load_dwordx4 v[154:157], off, off offset:656
	scratch_load_dwordx4 v[162:165], off, off offset:672
	scratch_load_dwordx4 v[170:173], off, off offset:688
	v_cmp_lt_u32_e32 vcc, 20, v240
	scratch_load_dwordx4 v[48:51], off, off offset:448
	scratch_load_dwordx4 v[56:59], off, off offset:464
	;; [unrolled: 1-line block ×3, first 2 shown]
	s_waitcnt vmcnt(17) lgkmcnt(3)
	v_mul_f64 v[24:25], v[16:17], v[22:23]
	v_fmac_f64_e32 v[24:25], v[18:19], v[20:21]
	v_add_f64 v[28:29], v[24:25], 0
	scratch_load_dwordx4 v[24:27], off, off offset:384
	v_mul_f64 v[18:19], v[18:19], v[22:23]
	v_fma_f64 v[16:17], v[16:17], v[20:21], -v[18:19]
	v_add_f64 v[16:17], v[16:17], 0
	s_waitcnt vmcnt(0) lgkmcnt(2)
	v_mul_f64 v[30:31], v[12:13], v[26:27]
	v_fmac_f64_e32 v[30:31], v[14:15], v[24:25]
	v_add_f64 v[32:33], v[28:29], v[30:31]
	scratch_load_dwordx4 v[28:31], off, off offset:400
	v_mul_f64 v[14:15], v[14:15], v[26:27]
	v_fma_f64 v[12:13], v[12:13], v[24:25], -v[14:15]
	v_add_f64 v[12:13], v[16:17], v[12:13]
	s_waitcnt vmcnt(0) lgkmcnt(1)
	v_mul_f64 v[34:35], v[8:9], v[30:31]
	v_fmac_f64_e32 v[34:35], v[10:11], v[28:29]
	v_add_f64 v[36:37], v[32:33], v[34:35]
	scratch_load_dwordx4 v[32:35], off, off offset:416
	v_mul_f64 v[10:11], v[10:11], v[30:31]
	v_fma_f64 v[8:9], v[8:9], v[28:29], -v[10:11]
	v_add_f64 v[8:9], v[12:13], v[8:9]
	s_waitcnt vmcnt(0) lgkmcnt(0)
	v_mul_f64 v[38:39], v[4:5], v[34:35]
	v_fmac_f64_e32 v[38:39], v[6:7], v[32:33]
	v_add_f64 v[44:45], v[36:37], v[38:39]
	ds_read_b128 v[36:39], v2 offset:1104
	v_mul_f64 v[6:7], v[6:7], v[34:35]
	v_fma_f64 v[4:5], v[4:5], v[32:33], -v[6:7]
	v_add_f64 v[4:5], v[8:9], v[4:5]
	s_waitcnt lgkmcnt(0)
	v_mul_f64 v[46:47], v[36:37], v[42:43]
	v_fmac_f64_e32 v[46:47], v[38:39], v[40:41]
	v_add_f64 v[52:53], v[44:45], v[46:47]
	ds_read_b128 v[44:47], v2 offset:1120
	v_mul_f64 v[6:7], v[38:39], v[42:43]
	v_fma_f64 v[6:7], v[36:37], v[40:41], -v[6:7]
	v_add_f64 v[4:5], v[4:5], v[6:7]
	s_waitcnt lgkmcnt(0)
	v_mul_f64 v[54:55], v[44:45], v[50:51]
	v_fmac_f64_e32 v[54:55], v[46:47], v[48:49]
	v_add_f64 v[60:61], v[52:53], v[54:55]
	ds_read_b128 v[52:55], v2 offset:1136
	v_mul_f64 v[6:7], v[46:47], v[50:51]
	v_fma_f64 v[6:7], v[44:45], v[48:49], -v[6:7]
	v_add_f64 v[4:5], v[4:5], v[6:7]
	s_waitcnt lgkmcnt(0)
	v_mul_f64 v[62:63], v[52:53], v[58:59]
	v_fmac_f64_e32 v[62:63], v[54:55], v[56:57]
	v_add_f64 v[68:69], v[60:61], v[62:63]
	ds_read_b128 v[60:63], v2 offset:1152
	v_mul_f64 v[6:7], v[54:55], v[58:59]
	v_fma_f64 v[6:7], v[52:53], v[56:57], -v[6:7]
	v_add_f64 v[4:5], v[4:5], v[6:7]
	s_waitcnt lgkmcnt(0)
	v_mul_f64 v[70:71], v[60:61], v[66:67]
	v_fmac_f64_e32 v[70:71], v[62:63], v[64:65]
	v_add_f64 v[76:77], v[68:69], v[70:71]
	ds_read_b128 v[68:71], v2 offset:1168
	v_mul_f64 v[6:7], v[62:63], v[66:67]
	v_fma_f64 v[6:7], v[60:61], v[64:65], -v[6:7]
	v_add_f64 v[4:5], v[4:5], v[6:7]
	s_waitcnt lgkmcnt(0)
	v_mul_f64 v[78:79], v[68:69], v[74:75]
	v_fmac_f64_e32 v[78:79], v[70:71], v[72:73]
	v_add_f64 v[84:85], v[76:77], v[78:79]
	ds_read_b128 v[76:79], v2 offset:1184
	v_mul_f64 v[6:7], v[70:71], v[74:75]
	v_fma_f64 v[6:7], v[68:69], v[72:73], -v[6:7]
	v_add_f64 v[4:5], v[4:5], v[6:7]
	s_waitcnt lgkmcnt(0)
	v_mul_f64 v[86:87], v[76:77], v[82:83]
	v_fmac_f64_e32 v[86:87], v[78:79], v[80:81]
	v_add_f64 v[92:93], v[84:85], v[86:87]
	ds_read_b128 v[84:87], v2 offset:1200
	v_mul_f64 v[6:7], v[78:79], v[82:83]
	v_fma_f64 v[6:7], v[76:77], v[80:81], -v[6:7]
	v_add_f64 v[4:5], v[4:5], v[6:7]
	s_waitcnt lgkmcnt(0)
	v_mul_f64 v[94:95], v[84:85], v[90:91]
	v_fmac_f64_e32 v[94:95], v[86:87], v[88:89]
	v_add_f64 v[100:101], v[92:93], v[94:95]
	ds_read_b128 v[92:95], v2 offset:1216
	v_mul_f64 v[6:7], v[86:87], v[90:91]
	v_fma_f64 v[6:7], v[84:85], v[88:89], -v[6:7]
	v_add_f64 v[4:5], v[4:5], v[6:7]
	s_waitcnt lgkmcnt(0)
	v_mul_f64 v[102:103], v[92:93], v[98:99]
	v_fmac_f64_e32 v[102:103], v[94:95], v[96:97]
	v_add_f64 v[104:105], v[100:101], v[102:103]
	ds_read_b128 v[100:103], v2 offset:1232
	v_mul_f64 v[6:7], v[94:95], v[98:99]
	v_fma_f64 v[6:7], v[92:93], v[96:97], -v[6:7]
	v_add_f64 v[4:5], v[4:5], v[6:7]
	s_waitcnt lgkmcnt(0)
	v_mul_f64 v[110:111], v[100:101], v[108:109]
	v_fmac_f64_e32 v[110:111], v[102:103], v[106:107]
	v_add_f64 v[104:105], v[104:105], v[110:111]
	ds_read_b128 v[110:113], v2 offset:1248
	v_mul_f64 v[6:7], v[102:103], v[108:109]
	v_fma_f64 v[6:7], v[100:101], v[106:107], -v[6:7]
	v_add_f64 v[4:5], v[4:5], v[6:7]
	s_waitcnt lgkmcnt(0)
	v_mul_f64 v[118:119], v[110:111], v[116:117]
	v_fmac_f64_e32 v[118:119], v[112:113], v[114:115]
	v_add_f64 v[104:105], v[104:105], v[118:119]
	ds_read_b128 v[118:121], v2 offset:1264
	v_mul_f64 v[6:7], v[112:113], v[116:117]
	v_fma_f64 v[6:7], v[110:111], v[114:115], -v[6:7]
	v_add_f64 v[4:5], v[4:5], v[6:7]
	s_waitcnt lgkmcnt(0)
	v_mul_f64 v[126:127], v[118:119], v[124:125]
	v_fmac_f64_e32 v[126:127], v[120:121], v[122:123]
	v_add_f64 v[104:105], v[104:105], v[126:127]
	ds_read_b128 v[126:129], v2 offset:1280
	v_mul_f64 v[6:7], v[120:121], v[124:125]
	v_fma_f64 v[6:7], v[118:119], v[122:123], -v[6:7]
	v_add_f64 v[4:5], v[4:5], v[6:7]
	s_waitcnt lgkmcnt(0)
	v_mul_f64 v[134:135], v[126:127], v[132:133]
	v_fmac_f64_e32 v[134:135], v[128:129], v[130:131]
	v_add_f64 v[104:105], v[104:105], v[134:135]
	ds_read_b128 v[134:137], v2 offset:1296
	v_mul_f64 v[6:7], v[128:129], v[132:133]
	v_fma_f64 v[6:7], v[126:127], v[130:131], -v[6:7]
	v_add_f64 v[4:5], v[4:5], v[6:7]
	s_waitcnt lgkmcnt(0)
	v_mul_f64 v[142:143], v[134:135], v[140:141]
	v_fmac_f64_e32 v[142:143], v[136:137], v[138:139]
	v_add_f64 v[104:105], v[104:105], v[142:143]
	ds_read_b128 v[142:145], v2 offset:1312
	v_mul_f64 v[6:7], v[136:137], v[140:141]
	v_fma_f64 v[6:7], v[134:135], v[138:139], -v[6:7]
	v_add_f64 v[4:5], v[4:5], v[6:7]
	s_waitcnt lgkmcnt(0)
	v_mul_f64 v[150:151], v[142:143], v[148:149]
	v_fmac_f64_e32 v[150:151], v[144:145], v[146:147]
	v_add_f64 v[104:105], v[104:105], v[150:151]
	ds_read_b128 v[150:153], v2 offset:1328
	v_mul_f64 v[6:7], v[144:145], v[148:149]
	v_fma_f64 v[6:7], v[142:143], v[146:147], -v[6:7]
	v_add_f64 v[4:5], v[4:5], v[6:7]
	s_waitcnt lgkmcnt(0)
	v_mul_f64 v[158:159], v[150:151], v[156:157]
	v_fmac_f64_e32 v[158:159], v[152:153], v[154:155]
	v_add_f64 v[104:105], v[104:105], v[158:159]
	ds_read_b128 v[158:161], v2 offset:1344
	v_mul_f64 v[6:7], v[152:153], v[156:157]
	v_fma_f64 v[6:7], v[150:151], v[154:155], -v[6:7]
	v_add_f64 v[4:5], v[4:5], v[6:7]
	s_waitcnt lgkmcnt(0)
	v_mul_f64 v[166:167], v[158:159], v[164:165]
	v_fmac_f64_e32 v[166:167], v[160:161], v[162:163]
	v_add_f64 v[104:105], v[104:105], v[166:167]
	ds_read_b128 v[166:169], v2 offset:1360
	v_mul_f64 v[6:7], v[160:161], v[164:165]
	v_fma_f64 v[6:7], v[158:159], v[162:163], -v[6:7]
	v_add_f64 v[4:5], v[4:5], v[6:7]
	s_waitcnt lgkmcnt(0)
	v_mul_f64 v[6:7], v[168:169], v[172:173]
	v_fma_f64 v[6:7], v[166:167], v[170:171], -v[6:7]
	v_add_f64 v[8:9], v[4:5], v[6:7]
	scratch_load_dwordx4 v[4:7], off, off offset:352
	v_mul_f64 v[174:175], v[166:167], v[172:173]
	v_fmac_f64_e32 v[174:175], v[168:169], v[170:171]
	v_add_f64 v[104:105], v[104:105], v[174:175]
	s_waitcnt vmcnt(0)
	v_add_f64 v[4:5], v[4:5], -v[8:9]
	v_add_f64 v[6:7], v[6:7], -v[104:105]
	scratch_store_dwordx4 off, v[4:7], off offset:352
	s_and_saveexec_b64 s[0:1], vcc
	s_cbranch_execz .LBB106_231
; %bb.230:
	scratch_load_dwordx4 v[6:9], off, s39
	v_mov_b32_e32 v3, v2
	v_mov_b32_e32 v4, v2
	;; [unrolled: 1-line block ×3, first 2 shown]
	v_accvgpr_read_b32 v0, a87
	scratch_store_dwordx4 off, v[2:5], off offset:336
	s_waitcnt vmcnt(1)
	ds_write_b128 v0, v[6:9]
.LBB106_231:
	s_or_b64 exec, exec, s[0:1]
	s_waitcnt lgkmcnt(0)
	; wave barrier
	ds_read_b128 v[16:19], v2 offset:1024
	ds_read_b128 v[12:15], v2 offset:1040
	;; [unrolled: 1-line block ×4, first 2 shown]
	scratch_load_dwordx4 v[20:23], off, off offset:352
	scratch_load_dwordx4 v[40:43], off, off offset:416
	;; [unrolled: 1-line block ×16, first 2 shown]
	v_cmp_lt_u32_e32 vcc, 19, v240
	scratch_load_dwordx4 v[48:51], off, off offset:432
	scratch_load_dwordx4 v[56:59], off, off offset:448
	;; [unrolled: 1-line block ×3, first 2 shown]
	s_waitcnt vmcnt(18) lgkmcnt(3)
	v_mul_f64 v[24:25], v[16:17], v[22:23]
	v_fmac_f64_e32 v[24:25], v[18:19], v[20:21]
	v_add_f64 v[28:29], v[24:25], 0
	scratch_load_dwordx4 v[24:27], off, off offset:368
	s_waitcnt vmcnt(0) lgkmcnt(2)
	v_mul_f64 v[30:31], v[12:13], v[26:27]
	v_fmac_f64_e32 v[30:31], v[14:15], v[24:25]
	v_add_f64 v[32:33], v[28:29], v[30:31]
	scratch_load_dwordx4 v[28:31], off, off offset:384
	v_mul_f64 v[14:15], v[14:15], v[26:27]
	v_fma_f64 v[12:13], v[12:13], v[24:25], -v[14:15]
	s_waitcnt vmcnt(0) lgkmcnt(1)
	v_mul_f64 v[34:35], v[8:9], v[30:31]
	v_fmac_f64_e32 v[34:35], v[10:11], v[28:29]
	v_add_f64 v[36:37], v[32:33], v[34:35]
	scratch_load_dwordx4 v[32:35], off, off offset:400
	v_mul_f64 v[10:11], v[10:11], v[30:31]
	v_fma_f64 v[8:9], v[8:9], v[28:29], -v[10:11]
	s_waitcnt vmcnt(0) lgkmcnt(0)
	v_mul_f64 v[38:39], v[4:5], v[34:35]
	v_fmac_f64_e32 v[38:39], v[6:7], v[32:33]
	v_add_f64 v[44:45], v[36:37], v[38:39]
	ds_read_b128 v[36:39], v2 offset:1088
	v_mul_f64 v[6:7], v[6:7], v[34:35]
	v_fma_f64 v[4:5], v[4:5], v[32:33], -v[6:7]
	s_waitcnt lgkmcnt(0)
	v_mul_f64 v[46:47], v[36:37], v[42:43]
	v_fmac_f64_e32 v[46:47], v[38:39], v[40:41]
	v_add_f64 v[52:53], v[44:45], v[46:47]
	ds_read_b128 v[44:47], v2 offset:1104
	s_waitcnt lgkmcnt(0)
	v_mul_f64 v[54:55], v[44:45], v[50:51]
	v_fmac_f64_e32 v[54:55], v[46:47], v[48:49]
	v_add_f64 v[60:61], v[52:53], v[54:55]
	ds_read_b128 v[52:55], v2 offset:1120
	;; [unrolled: 5-line block ×17, first 2 shown]
	s_waitcnt lgkmcnt(0)
	v_mul_f64 v[2:3], v[174:175], v[180:181]
	v_fmac_f64_e32 v[2:3], v[176:177], v[178:179]
	v_add_f64 v[120:121], v[120:121], v[2:3]
	v_mul_f64 v[2:3], v[18:19], v[22:23]
	v_fma_f64 v[2:3], v[16:17], v[20:21], -v[2:3]
	v_add_f64 v[2:3], v[2:3], 0
	v_add_f64 v[2:3], v[2:3], v[12:13]
	;; [unrolled: 1-line block ×4, first 2 shown]
	v_mul_f64 v[4:5], v[38:39], v[42:43]
	v_fma_f64 v[4:5], v[36:37], v[40:41], -v[4:5]
	v_add_f64 v[2:3], v[2:3], v[4:5]
	v_mul_f64 v[4:5], v[46:47], v[50:51]
	v_fma_f64 v[4:5], v[44:45], v[48:49], -v[4:5]
	v_add_f64 v[2:3], v[2:3], v[4:5]
	;; [unrolled: 3-line block ×18, first 2 shown]
	scratch_load_dwordx4 v[2:5], off, off offset:336
	s_waitcnt vmcnt(0)
	v_add_f64 v[2:3], v[2:3], -v[6:7]
	v_add_f64 v[4:5], v[4:5], -v[120:121]
	scratch_store_dwordx4 off, v[2:5], off offset:336
	s_and_saveexec_b64 s[0:1], vcc
	s_cbranch_execz .LBB106_233
; %bb.232:
	scratch_load_dwordx4 v[2:5], off, s40
	v_mov_b32_e32 v6, 0
	v_mov_b32_e32 v7, v6
	;; [unrolled: 1-line block ×4, first 2 shown]
	v_accvgpr_read_b32 v0, a87
	scratch_store_dwordx4 off, v[6:9], off offset:320
	s_waitcnt vmcnt(1)
	ds_write_b128 v0, v[2:5]
.LBB106_233:
	s_or_b64 exec, exec, s[0:1]
	v_mov_b32_e32 v2, 0
	s_waitcnt lgkmcnt(0)
	; wave barrier
	ds_read_b128 v[16:19], v2 offset:1008
	ds_read_b128 v[12:15], v2 offset:1024
	ds_read_b128 v[8:11], v2 offset:1040
	ds_read_b128 v[4:7], v2 offset:1056
	scratch_load_dwordx4 v[20:23], off, off offset:336
	scratch_load_dwordx4 v[40:43], off, off offset:400
	scratch_load_dwordx4 v[72:75], off, off offset:464
	scratch_load_dwordx4 v[80:83], off, off offset:480
	scratch_load_dwordx4 v[88:91], off, off offset:496
	scratch_load_dwordx4 v[96:99], off, off offset:512
	scratch_load_dwordx4 v[104:107], off, off offset:528
	scratch_load_dwordx4 v[112:115], off, off offset:544
	scratch_load_dwordx4 v[120:123], off, off offset:560
	scratch_load_dwordx4 v[130:133], off, off offset:576
	scratch_load_dwordx4 v[138:141], off, off offset:592
	scratch_load_dwordx4 v[146:149], off, off offset:608
	scratch_load_dwordx4 v[154:157], off, off offset:624
	scratch_load_dwordx4 v[162:165], off, off offset:640
	scratch_load_dwordx4 v[170:173], off, off offset:656
	scratch_load_dwordx4 v[178:181], off, off offset:672
	scratch_load_dwordx4 v[186:189], off, off offset:688
	v_cmp_lt_u32_e32 vcc, 18, v240
	scratch_load_dwordx4 v[48:51], off, off offset:416
	scratch_load_dwordx4 v[56:59], off, off offset:432
	;; [unrolled: 1-line block ×3, first 2 shown]
	s_waitcnt vmcnt(19) lgkmcnt(3)
	v_mul_f64 v[24:25], v[16:17], v[22:23]
	v_fmac_f64_e32 v[24:25], v[18:19], v[20:21]
	v_add_f64 v[28:29], v[24:25], 0
	scratch_load_dwordx4 v[24:27], off, off offset:352
	v_mul_f64 v[18:19], v[18:19], v[22:23]
	v_fma_f64 v[16:17], v[16:17], v[20:21], -v[18:19]
	v_add_f64 v[16:17], v[16:17], 0
	s_waitcnt vmcnt(0) lgkmcnt(2)
	v_mul_f64 v[30:31], v[12:13], v[26:27]
	v_fmac_f64_e32 v[30:31], v[14:15], v[24:25]
	v_add_f64 v[32:33], v[28:29], v[30:31]
	scratch_load_dwordx4 v[28:31], off, off offset:368
	v_mul_f64 v[14:15], v[14:15], v[26:27]
	v_fma_f64 v[12:13], v[12:13], v[24:25], -v[14:15]
	v_add_f64 v[12:13], v[16:17], v[12:13]
	;; [unrolled: 8-line block ×3, first 2 shown]
	s_waitcnt vmcnt(0) lgkmcnt(0)
	v_mul_f64 v[38:39], v[4:5], v[34:35]
	v_fmac_f64_e32 v[38:39], v[6:7], v[32:33]
	v_add_f64 v[44:45], v[36:37], v[38:39]
	ds_read_b128 v[36:39], v2 offset:1072
	v_mul_f64 v[6:7], v[6:7], v[34:35]
	v_fma_f64 v[4:5], v[4:5], v[32:33], -v[6:7]
	v_add_f64 v[4:5], v[8:9], v[4:5]
	s_waitcnt lgkmcnt(0)
	v_mul_f64 v[46:47], v[36:37], v[42:43]
	v_fmac_f64_e32 v[46:47], v[38:39], v[40:41]
	v_add_f64 v[52:53], v[44:45], v[46:47]
	ds_read_b128 v[44:47], v2 offset:1088
	v_mul_f64 v[6:7], v[38:39], v[42:43]
	v_fma_f64 v[6:7], v[36:37], v[40:41], -v[6:7]
	v_add_f64 v[4:5], v[4:5], v[6:7]
	s_waitcnt lgkmcnt(0)
	;; [unrolled: 8-line block ×19, first 2 shown]
	v_mul_f64 v[6:7], v[184:185], v[188:189]
	v_fma_f64 v[6:7], v[182:183], v[186:187], -v[6:7]
	v_add_f64 v[8:9], v[4:5], v[6:7]
	scratch_load_dwordx4 v[4:7], off, off offset:320
	v_mul_f64 v[190:191], v[182:183], v[188:189]
	v_fmac_f64_e32 v[190:191], v[184:185], v[186:187]
	v_add_f64 v[128:129], v[128:129], v[190:191]
	s_waitcnt vmcnt(0)
	v_add_f64 v[4:5], v[4:5], -v[8:9]
	v_add_f64 v[6:7], v[6:7], -v[128:129]
	scratch_store_dwordx4 off, v[4:7], off offset:320
	s_and_saveexec_b64 s[0:1], vcc
	s_cbranch_execz .LBB106_235
; %bb.234:
	scratch_load_dwordx4 v[6:9], off, s41
	v_mov_b32_e32 v3, v2
	v_mov_b32_e32 v4, v2
	;; [unrolled: 1-line block ×3, first 2 shown]
	v_accvgpr_read_b32 v0, a87
	scratch_store_dwordx4 off, v[2:5], off offset:304
	s_waitcnt vmcnt(1)
	ds_write_b128 v0, v[6:9]
.LBB106_235:
	s_or_b64 exec, exec, s[0:1]
	s_waitcnt lgkmcnt(0)
	; wave barrier
	ds_read_b128 v[16:19], v2 offset:992
	ds_read_b128 v[12:15], v2 offset:1008
	;; [unrolled: 1-line block ×4, first 2 shown]
	scratch_load_dwordx4 v[20:23], off, off offset:320
	scratch_load_dwordx4 v[40:43], off, off offset:384
	;; [unrolled: 1-line block ×18, first 2 shown]
	v_cmp_lt_u32_e32 vcc, 17, v240
	scratch_load_dwordx4 v[48:51], off, off offset:400
	scratch_load_dwordx4 v[56:59], off, off offset:416
	;; [unrolled: 1-line block ×3, first 2 shown]
	s_waitcnt vmcnt(20) lgkmcnt(3)
	v_mul_f64 v[24:25], v[16:17], v[22:23]
	v_fmac_f64_e32 v[24:25], v[18:19], v[20:21]
	v_add_f64 v[28:29], v[24:25], 0
	scratch_load_dwordx4 v[24:27], off, off offset:336
	s_waitcnt vmcnt(0) lgkmcnt(2)
	v_mul_f64 v[30:31], v[12:13], v[26:27]
	v_fmac_f64_e32 v[30:31], v[14:15], v[24:25]
	v_add_f64 v[32:33], v[28:29], v[30:31]
	scratch_load_dwordx4 v[28:31], off, off offset:352
	v_mul_f64 v[14:15], v[14:15], v[26:27]
	v_fma_f64 v[12:13], v[12:13], v[24:25], -v[14:15]
	s_waitcnt vmcnt(0) lgkmcnt(1)
	v_mul_f64 v[34:35], v[8:9], v[30:31]
	v_fmac_f64_e32 v[34:35], v[10:11], v[28:29]
	v_add_f64 v[36:37], v[32:33], v[34:35]
	scratch_load_dwordx4 v[32:35], off, off offset:368
	v_mul_f64 v[10:11], v[10:11], v[30:31]
	v_fma_f64 v[8:9], v[8:9], v[28:29], -v[10:11]
	s_waitcnt vmcnt(0) lgkmcnt(0)
	v_mul_f64 v[38:39], v[4:5], v[34:35]
	v_fmac_f64_e32 v[38:39], v[6:7], v[32:33]
	v_add_f64 v[44:45], v[36:37], v[38:39]
	ds_read_b128 v[36:39], v2 offset:1056
	v_mul_f64 v[6:7], v[6:7], v[34:35]
	v_fma_f64 v[4:5], v[4:5], v[32:33], -v[6:7]
	s_waitcnt lgkmcnt(0)
	v_mul_f64 v[46:47], v[36:37], v[42:43]
	v_fmac_f64_e32 v[46:47], v[38:39], v[40:41]
	v_add_f64 v[52:53], v[44:45], v[46:47]
	ds_read_b128 v[44:47], v2 offset:1072
	s_waitcnt lgkmcnt(0)
	v_mul_f64 v[54:55], v[44:45], v[50:51]
	v_fmac_f64_e32 v[54:55], v[46:47], v[48:49]
	v_add_f64 v[60:61], v[52:53], v[54:55]
	ds_read_b128 v[52:55], v2 offset:1088
	;; [unrolled: 5-line block ×19, first 2 shown]
	s_waitcnt lgkmcnt(0)
	v_mul_f64 v[2:3], v[190:191], v[196:197]
	v_fmac_f64_e32 v[2:3], v[192:193], v[194:195]
	v_add_f64 v[148:149], v[148:149], v[2:3]
	v_mul_f64 v[2:3], v[18:19], v[22:23]
	v_fma_f64 v[2:3], v[16:17], v[20:21], -v[2:3]
	v_add_f64 v[2:3], v[2:3], 0
	v_add_f64 v[2:3], v[2:3], v[12:13]
	;; [unrolled: 1-line block ×4, first 2 shown]
	v_mul_f64 v[4:5], v[38:39], v[42:43]
	v_fma_f64 v[4:5], v[36:37], v[40:41], -v[4:5]
	v_add_f64 v[2:3], v[2:3], v[4:5]
	v_mul_f64 v[4:5], v[46:47], v[50:51]
	v_fma_f64 v[4:5], v[44:45], v[48:49], -v[4:5]
	v_add_f64 v[2:3], v[2:3], v[4:5]
	;; [unrolled: 3-line block ×20, first 2 shown]
	scratch_load_dwordx4 v[2:5], off, off offset:304
	s_waitcnt vmcnt(0)
	v_add_f64 v[2:3], v[2:3], -v[6:7]
	v_add_f64 v[4:5], v[4:5], -v[148:149]
	scratch_store_dwordx4 off, v[2:5], off offset:304
	s_and_saveexec_b64 s[0:1], vcc
	s_cbranch_execz .LBB106_237
; %bb.236:
	scratch_load_dwordx4 v[2:5], off, s42
	v_mov_b32_e32 v6, 0
	v_mov_b32_e32 v7, v6
	v_mov_b32_e32 v8, v6
	v_mov_b32_e32 v9, v6
	v_accvgpr_read_b32 v0, a87
	scratch_store_dwordx4 off, v[6:9], off offset:288
	s_waitcnt vmcnt(1)
	ds_write_b128 v0, v[2:5]
.LBB106_237:
	s_or_b64 exec, exec, s[0:1]
	v_mov_b32_e32 v2, 0
	s_waitcnt lgkmcnt(0)
	; wave barrier
	ds_read_b128 v[16:19], v2 offset:976
	ds_read_b128 v[12:15], v2 offset:992
	;; [unrolled: 1-line block ×4, first 2 shown]
	scratch_load_dwordx4 v[20:23], off, off offset:304
	scratch_load_dwordx4 v[40:43], off, off offset:368
	;; [unrolled: 1-line block ×19, first 2 shown]
	v_cmp_lt_u32_e32 vcc, 16, v240
	scratch_load_dwordx4 v[48:51], off, off offset:384
	scratch_load_dwordx4 v[56:59], off, off offset:400
	;; [unrolled: 1-line block ×3, first 2 shown]
	s_waitcnt vmcnt(21) lgkmcnt(3)
	v_mul_f64 v[24:25], v[16:17], v[22:23]
	v_fmac_f64_e32 v[24:25], v[18:19], v[20:21]
	v_add_f64 v[28:29], v[24:25], 0
	scratch_load_dwordx4 v[24:27], off, off offset:320
	v_mul_f64 v[18:19], v[18:19], v[22:23]
	v_fma_f64 v[16:17], v[16:17], v[20:21], -v[18:19]
	v_add_f64 v[16:17], v[16:17], 0
	s_waitcnt vmcnt(0) lgkmcnt(2)
	v_mul_f64 v[30:31], v[12:13], v[26:27]
	v_fmac_f64_e32 v[30:31], v[14:15], v[24:25]
	v_add_f64 v[32:33], v[28:29], v[30:31]
	scratch_load_dwordx4 v[28:31], off, off offset:336
	v_mul_f64 v[14:15], v[14:15], v[26:27]
	v_fma_f64 v[12:13], v[12:13], v[24:25], -v[14:15]
	v_add_f64 v[12:13], v[16:17], v[12:13]
	;; [unrolled: 8-line block ×3, first 2 shown]
	s_waitcnt vmcnt(0) lgkmcnt(0)
	v_mul_f64 v[38:39], v[4:5], v[34:35]
	v_fmac_f64_e32 v[38:39], v[6:7], v[32:33]
	v_add_f64 v[44:45], v[36:37], v[38:39]
	ds_read_b128 v[36:39], v2 offset:1040
	v_mul_f64 v[6:7], v[6:7], v[34:35]
	v_fma_f64 v[4:5], v[4:5], v[32:33], -v[6:7]
	v_add_f64 v[4:5], v[8:9], v[4:5]
	s_waitcnt lgkmcnt(0)
	v_mul_f64 v[46:47], v[36:37], v[42:43]
	v_fmac_f64_e32 v[46:47], v[38:39], v[40:41]
	v_add_f64 v[52:53], v[44:45], v[46:47]
	ds_read_b128 v[44:47], v2 offset:1056
	v_mul_f64 v[6:7], v[38:39], v[42:43]
	v_fma_f64 v[6:7], v[36:37], v[40:41], -v[6:7]
	v_add_f64 v[4:5], v[4:5], v[6:7]
	s_waitcnt lgkmcnt(0)
	;; [unrolled: 8-line block ×21, first 2 shown]
	v_mul_f64 v[6:7], v[200:201], v[204:205]
	v_fma_f64 v[6:7], v[198:199], v[202:203], -v[6:7]
	v_add_f64 v[8:9], v[4:5], v[6:7]
	scratch_load_dwordx4 v[4:7], off, off offset:288
	v_mul_f64 v[206:207], v[198:199], v[204:205]
	v_fmac_f64_e32 v[206:207], v[200:201], v[202:203]
	v_add_f64 v[144:145], v[144:145], v[206:207]
	s_waitcnt vmcnt(0)
	v_add_f64 v[4:5], v[4:5], -v[8:9]
	v_add_f64 v[6:7], v[6:7], -v[144:145]
	scratch_store_dwordx4 off, v[4:7], off offset:288
	s_and_saveexec_b64 s[0:1], vcc
	s_cbranch_execz .LBB106_239
; %bb.238:
	scratch_load_dwordx4 v[6:9], off, s43
	v_mov_b32_e32 v3, v2
	v_mov_b32_e32 v4, v2
	;; [unrolled: 1-line block ×3, first 2 shown]
	v_accvgpr_read_b32 v0, a87
	scratch_store_dwordx4 off, v[2:5], off offset:272
	s_waitcnt vmcnt(1)
	ds_write_b128 v0, v[6:9]
.LBB106_239:
	s_or_b64 exec, exec, s[0:1]
	s_waitcnt lgkmcnt(0)
	; wave barrier
	ds_read_b128 v[16:19], v2 offset:960
	ds_read_b128 v[12:15], v2 offset:976
	ds_read_b128 v[8:11], v2 offset:992
	ds_read_b128 v[4:7], v2 offset:1008
	scratch_load_dwordx4 v[20:23], off, off offset:288
	scratch_load_dwordx4 v[40:43], off, off offset:352
	;; [unrolled: 1-line block ×20, first 2 shown]
	v_cmp_lt_u32_e32 vcc, 15, v240
	scratch_load_dwordx4 v[48:51], off, off offset:368
	scratch_load_dwordx4 v[56:59], off, off offset:384
	;; [unrolled: 1-line block ×3, first 2 shown]
	s_waitcnt vmcnt(22) lgkmcnt(3)
	v_mul_f64 v[24:25], v[16:17], v[22:23]
	v_fmac_f64_e32 v[24:25], v[18:19], v[20:21]
	v_add_f64 v[28:29], v[24:25], 0
	scratch_load_dwordx4 v[24:27], off, off offset:304
	s_waitcnt vmcnt(0) lgkmcnt(2)
	v_mul_f64 v[30:31], v[12:13], v[26:27]
	v_fmac_f64_e32 v[30:31], v[14:15], v[24:25]
	v_add_f64 v[32:33], v[28:29], v[30:31]
	scratch_load_dwordx4 v[28:31], off, off offset:320
	v_mul_f64 v[14:15], v[14:15], v[26:27]
	v_fma_f64 v[12:13], v[12:13], v[24:25], -v[14:15]
	s_waitcnt vmcnt(0) lgkmcnt(1)
	v_mul_f64 v[34:35], v[8:9], v[30:31]
	v_fmac_f64_e32 v[34:35], v[10:11], v[28:29]
	v_add_f64 v[36:37], v[32:33], v[34:35]
	scratch_load_dwordx4 v[32:35], off, off offset:336
	v_mul_f64 v[10:11], v[10:11], v[30:31]
	v_fma_f64 v[8:9], v[8:9], v[28:29], -v[10:11]
	s_waitcnt vmcnt(0) lgkmcnt(0)
	v_mul_f64 v[38:39], v[4:5], v[34:35]
	v_fmac_f64_e32 v[38:39], v[6:7], v[32:33]
	v_add_f64 v[44:45], v[36:37], v[38:39]
	ds_read_b128 v[36:39], v2 offset:1024
	v_mul_f64 v[6:7], v[6:7], v[34:35]
	v_fma_f64 v[4:5], v[4:5], v[32:33], -v[6:7]
	s_waitcnt lgkmcnt(0)
	v_mul_f64 v[46:47], v[36:37], v[42:43]
	v_fmac_f64_e32 v[46:47], v[38:39], v[40:41]
	v_add_f64 v[52:53], v[44:45], v[46:47]
	ds_read_b128 v[44:47], v2 offset:1040
	s_waitcnt lgkmcnt(0)
	v_mul_f64 v[54:55], v[44:45], v[50:51]
	v_fmac_f64_e32 v[54:55], v[46:47], v[48:49]
	v_add_f64 v[60:61], v[52:53], v[54:55]
	ds_read_b128 v[52:55], v2 offset:1056
	;; [unrolled: 5-line block ×21, first 2 shown]
	s_waitcnt lgkmcnt(0)
	v_mul_f64 v[2:3], v[206:207], v[212:213]
	v_fmac_f64_e32 v[2:3], v[208:209], v[210:211]
	v_add_f64 v[168:169], v[168:169], v[2:3]
	v_mul_f64 v[2:3], v[18:19], v[22:23]
	v_fma_f64 v[2:3], v[16:17], v[20:21], -v[2:3]
	v_add_f64 v[2:3], v[2:3], 0
	v_add_f64 v[2:3], v[2:3], v[12:13]
	;; [unrolled: 1-line block ×4, first 2 shown]
	v_mul_f64 v[4:5], v[38:39], v[42:43]
	v_fma_f64 v[4:5], v[36:37], v[40:41], -v[4:5]
	v_add_f64 v[2:3], v[2:3], v[4:5]
	v_mul_f64 v[4:5], v[46:47], v[50:51]
	v_fma_f64 v[4:5], v[44:45], v[48:49], -v[4:5]
	v_add_f64 v[2:3], v[2:3], v[4:5]
	;; [unrolled: 3-line block ×22, first 2 shown]
	scratch_load_dwordx4 v[2:5], off, off offset:272
	s_waitcnt vmcnt(0)
	v_add_f64 v[2:3], v[2:3], -v[6:7]
	v_add_f64 v[4:5], v[4:5], -v[168:169]
	scratch_store_dwordx4 off, v[2:5], off offset:272
	s_and_saveexec_b64 s[0:1], vcc
	s_cbranch_execz .LBB106_241
; %bb.240:
	scratch_load_dwordx4 v[2:5], off, s44
	v_mov_b32_e32 v6, 0
	v_mov_b32_e32 v7, v6
	;; [unrolled: 1-line block ×4, first 2 shown]
	v_accvgpr_read_b32 v0, a87
	scratch_store_dwordx4 off, v[6:9], off offset:256
	s_waitcnt vmcnt(1)
	ds_write_b128 v0, v[2:5]
.LBB106_241:
	s_or_b64 exec, exec, s[0:1]
	v_mov_b32_e32 v2, 0
	s_waitcnt lgkmcnt(0)
	; wave barrier
	ds_read_b128 v[16:19], v2 offset:944
	ds_read_b128 v[12:15], v2 offset:960
	;; [unrolled: 1-line block ×4, first 2 shown]
	scratch_load_dwordx4 v[20:23], off, off offset:272
	scratch_load_dwordx4 v[40:43], off, off offset:336
	;; [unrolled: 1-line block ×21, first 2 shown]
	v_cmp_lt_u32_e32 vcc, 14, v240
	scratch_load_dwordx4 v[48:51], off, off offset:352
	scratch_load_dwordx4 v[56:59], off, off offset:368
	;; [unrolled: 1-line block ×3, first 2 shown]
	s_waitcnt vmcnt(23) lgkmcnt(3)
	v_mul_f64 v[24:25], v[16:17], v[22:23]
	v_fmac_f64_e32 v[24:25], v[18:19], v[20:21]
	v_add_f64 v[28:29], v[24:25], 0
	scratch_load_dwordx4 v[24:27], off, off offset:288
	v_mul_f64 v[18:19], v[18:19], v[22:23]
	v_fma_f64 v[16:17], v[16:17], v[20:21], -v[18:19]
	v_add_f64 v[16:17], v[16:17], 0
	s_waitcnt vmcnt(0) lgkmcnt(2)
	v_mul_f64 v[30:31], v[12:13], v[26:27]
	v_fmac_f64_e32 v[30:31], v[14:15], v[24:25]
	v_add_f64 v[32:33], v[28:29], v[30:31]
	scratch_load_dwordx4 v[28:31], off, off offset:304
	v_mul_f64 v[14:15], v[14:15], v[26:27]
	v_fma_f64 v[12:13], v[12:13], v[24:25], -v[14:15]
	v_add_f64 v[12:13], v[16:17], v[12:13]
	;; [unrolled: 8-line block ×3, first 2 shown]
	s_waitcnt vmcnt(0) lgkmcnt(0)
	v_mul_f64 v[38:39], v[4:5], v[34:35]
	v_fmac_f64_e32 v[38:39], v[6:7], v[32:33]
	v_add_f64 v[44:45], v[36:37], v[38:39]
	ds_read_b128 v[36:39], v2 offset:1008
	v_mul_f64 v[6:7], v[6:7], v[34:35]
	v_fma_f64 v[4:5], v[4:5], v[32:33], -v[6:7]
	v_add_f64 v[4:5], v[8:9], v[4:5]
	s_waitcnt lgkmcnt(0)
	v_mul_f64 v[46:47], v[36:37], v[42:43]
	v_fmac_f64_e32 v[46:47], v[38:39], v[40:41]
	v_add_f64 v[52:53], v[44:45], v[46:47]
	ds_read_b128 v[44:47], v2 offset:1024
	v_mul_f64 v[6:7], v[38:39], v[42:43]
	v_fma_f64 v[6:7], v[36:37], v[40:41], -v[6:7]
	v_add_f64 v[4:5], v[4:5], v[6:7]
	s_waitcnt lgkmcnt(0)
	;; [unrolled: 8-line block ×23, first 2 shown]
	v_mul_f64 v[6:7], v[216:217], v[220:221]
	v_fma_f64 v[6:7], v[214:215], v[218:219], -v[6:7]
	v_add_f64 v[8:9], v[4:5], v[6:7]
	scratch_load_dwordx4 v[4:7], off, off offset:256
	v_mul_f64 v[222:223], v[214:215], v[220:221]
	v_fmac_f64_e32 v[222:223], v[216:217], v[218:219]
	v_add_f64 v[160:161], v[160:161], v[222:223]
	s_waitcnt vmcnt(0)
	v_add_f64 v[4:5], v[4:5], -v[8:9]
	v_add_f64 v[6:7], v[6:7], -v[160:161]
	scratch_store_dwordx4 off, v[4:7], off offset:256
	s_and_saveexec_b64 s[0:1], vcc
	s_cbranch_execz .LBB106_243
; %bb.242:
	scratch_load_dwordx4 v[6:9], off, s45
	v_mov_b32_e32 v3, v2
	v_mov_b32_e32 v4, v2
	;; [unrolled: 1-line block ×3, first 2 shown]
	v_accvgpr_read_b32 v0, a87
	scratch_store_dwordx4 off, v[2:5], off offset:240
	s_waitcnt vmcnt(1)
	ds_write_b128 v0, v[6:9]
.LBB106_243:
	s_or_b64 exec, exec, s[0:1]
	s_waitcnt lgkmcnt(0)
	; wave barrier
	ds_read_b128 v[16:19], v2 offset:928
	ds_read_b128 v[12:15], v2 offset:944
	;; [unrolled: 1-line block ×4, first 2 shown]
	scratch_load_dwordx4 v[20:23], off, off offset:256
	scratch_load_dwordx4 v[40:43], off, off offset:320
	;; [unrolled: 1-line block ×22, first 2 shown]
	v_cmp_lt_u32_e32 vcc, 13, v240
	scratch_load_dwordx4 v[48:51], off, off offset:336
	scratch_load_dwordx4 v[56:59], off, off offset:352
	;; [unrolled: 1-line block ×3, first 2 shown]
	s_waitcnt vmcnt(24) lgkmcnt(3)
	v_mul_f64 v[24:25], v[16:17], v[22:23]
	v_fmac_f64_e32 v[24:25], v[18:19], v[20:21]
	v_add_f64 v[28:29], v[24:25], 0
	scratch_load_dwordx4 v[24:27], off, off offset:272
	s_waitcnt vmcnt(0) lgkmcnt(2)
	v_mul_f64 v[30:31], v[12:13], v[26:27]
	v_fmac_f64_e32 v[30:31], v[14:15], v[24:25]
	v_add_f64 v[32:33], v[28:29], v[30:31]
	scratch_load_dwordx4 v[28:31], off, off offset:288
	v_mul_f64 v[14:15], v[14:15], v[26:27]
	v_fma_f64 v[12:13], v[12:13], v[24:25], -v[14:15]
	s_waitcnt vmcnt(0) lgkmcnt(1)
	v_mul_f64 v[34:35], v[8:9], v[30:31]
	v_fmac_f64_e32 v[34:35], v[10:11], v[28:29]
	v_add_f64 v[36:37], v[32:33], v[34:35]
	scratch_load_dwordx4 v[32:35], off, off offset:304
	v_mul_f64 v[10:11], v[10:11], v[30:31]
	v_fma_f64 v[8:9], v[8:9], v[28:29], -v[10:11]
	s_waitcnt vmcnt(0) lgkmcnt(0)
	v_mul_f64 v[38:39], v[4:5], v[34:35]
	v_fmac_f64_e32 v[38:39], v[6:7], v[32:33]
	v_add_f64 v[44:45], v[36:37], v[38:39]
	ds_read_b128 v[36:39], v2 offset:992
	v_mul_f64 v[6:7], v[6:7], v[34:35]
	v_fma_f64 v[4:5], v[4:5], v[32:33], -v[6:7]
	s_waitcnt lgkmcnt(0)
	v_mul_f64 v[46:47], v[36:37], v[42:43]
	v_fmac_f64_e32 v[46:47], v[38:39], v[40:41]
	v_add_f64 v[52:53], v[44:45], v[46:47]
	ds_read_b128 v[44:47], v2 offset:1008
	s_waitcnt lgkmcnt(0)
	v_mul_f64 v[54:55], v[44:45], v[50:51]
	v_fmac_f64_e32 v[54:55], v[46:47], v[48:49]
	v_add_f64 v[60:61], v[52:53], v[54:55]
	ds_read_b128 v[52:55], v2 offset:1024
	;; [unrolled: 5-line block ×23, first 2 shown]
	s_waitcnt lgkmcnt(0)
	v_mul_f64 v[2:3], v[222:223], v[228:229]
	v_fmac_f64_e32 v[2:3], v[224:225], v[226:227]
	v_add_f64 v[176:177], v[176:177], v[2:3]
	v_mul_f64 v[2:3], v[18:19], v[22:23]
	v_fma_f64 v[2:3], v[16:17], v[20:21], -v[2:3]
	v_add_f64 v[2:3], v[2:3], 0
	v_add_f64 v[2:3], v[2:3], v[12:13]
	;; [unrolled: 1-line block ×4, first 2 shown]
	v_mul_f64 v[4:5], v[38:39], v[42:43]
	v_fma_f64 v[4:5], v[36:37], v[40:41], -v[4:5]
	v_add_f64 v[2:3], v[2:3], v[4:5]
	v_mul_f64 v[4:5], v[46:47], v[50:51]
	v_fma_f64 v[4:5], v[44:45], v[48:49], -v[4:5]
	v_add_f64 v[2:3], v[2:3], v[4:5]
	;; [unrolled: 3-line block ×24, first 2 shown]
	scratch_load_dwordx4 v[2:5], off, off offset:240
	s_waitcnt vmcnt(0)
	v_add_f64 v[2:3], v[2:3], -v[6:7]
	v_add_f64 v[4:5], v[4:5], -v[176:177]
	scratch_store_dwordx4 off, v[2:5], off offset:240
	s_and_saveexec_b64 s[0:1], vcc
	s_cbranch_execz .LBB106_245
; %bb.244:
	scratch_load_dwordx4 v[2:5], off, s46
	v_mov_b32_e32 v6, 0
	v_mov_b32_e32 v7, v6
	;; [unrolled: 1-line block ×4, first 2 shown]
	v_accvgpr_read_b32 v0, a87
	scratch_store_dwordx4 off, v[6:9], off offset:224
	s_waitcnt vmcnt(1)
	ds_write_b128 v0, v[2:5]
.LBB106_245:
	s_or_b64 exec, exec, s[0:1]
	v_mov_b32_e32 v2, 0
	s_waitcnt lgkmcnt(0)
	; wave barrier
	ds_read_b128 v[16:19], v2 offset:912
	ds_read_b128 v[12:15], v2 offset:928
	;; [unrolled: 1-line block ×4, first 2 shown]
	scratch_load_dwordx4 v[20:23], off, off offset:240
	scratch_load_dwordx4 v[40:43], off, off offset:304
	;; [unrolled: 1-line block ×23, first 2 shown]
	v_cmp_lt_u32_e32 vcc, 12, v240
	scratch_load_dwordx4 v[48:51], off, off offset:320
	scratch_load_dwordx4 v[56:59], off, off offset:336
	;; [unrolled: 1-line block ×3, first 2 shown]
	s_waitcnt vmcnt(25) lgkmcnt(3)
	v_mul_f64 v[24:25], v[16:17], v[22:23]
	v_fmac_f64_e32 v[24:25], v[18:19], v[20:21]
	v_add_f64 v[28:29], v[24:25], 0
	scratch_load_dwordx4 v[24:27], off, off offset:256
	v_mul_f64 v[18:19], v[18:19], v[22:23]
	v_fma_f64 v[16:17], v[16:17], v[20:21], -v[18:19]
	v_add_f64 v[16:17], v[16:17], 0
	s_waitcnt vmcnt(0) lgkmcnt(2)
	v_mul_f64 v[30:31], v[12:13], v[26:27]
	v_fmac_f64_e32 v[30:31], v[14:15], v[24:25]
	v_add_f64 v[32:33], v[28:29], v[30:31]
	scratch_load_dwordx4 v[28:31], off, off offset:272
	v_mul_f64 v[14:15], v[14:15], v[26:27]
	v_fma_f64 v[12:13], v[12:13], v[24:25], -v[14:15]
	v_add_f64 v[12:13], v[16:17], v[12:13]
	;; [unrolled: 8-line block ×3, first 2 shown]
	s_waitcnt vmcnt(0) lgkmcnt(0)
	v_mul_f64 v[38:39], v[4:5], v[34:35]
	v_fmac_f64_e32 v[38:39], v[6:7], v[32:33]
	v_add_f64 v[44:45], v[36:37], v[38:39]
	ds_read_b128 v[36:39], v2 offset:976
	v_mul_f64 v[6:7], v[6:7], v[34:35]
	v_fma_f64 v[4:5], v[4:5], v[32:33], -v[6:7]
	v_add_f64 v[4:5], v[8:9], v[4:5]
	s_waitcnt lgkmcnt(0)
	v_mul_f64 v[46:47], v[36:37], v[42:43]
	v_fmac_f64_e32 v[46:47], v[38:39], v[40:41]
	v_add_f64 v[52:53], v[44:45], v[46:47]
	ds_read_b128 v[44:47], v2 offset:992
	v_mul_f64 v[6:7], v[38:39], v[42:43]
	v_fma_f64 v[6:7], v[36:37], v[40:41], -v[6:7]
	v_add_f64 v[4:5], v[4:5], v[6:7]
	s_waitcnt lgkmcnt(0)
	;; [unrolled: 8-line block ×25, first 2 shown]
	v_mul_f64 v[6:7], v[232:233], v[236:237]
	v_fma_f64 v[6:7], v[230:231], v[234:235], -v[6:7]
	v_add_f64 v[8:9], v[4:5], v[6:7]
	scratch_load_dwordx4 v[4:7], off, off offset:224
	v_mul_f64 v[238:239], v[230:231], v[236:237]
	v_fmac_f64_e32 v[238:239], v[232:233], v[234:235]
	v_add_f64 v[176:177], v[176:177], v[238:239]
	s_waitcnt vmcnt(0)
	v_add_f64 v[4:5], v[4:5], -v[8:9]
	v_add_f64 v[6:7], v[6:7], -v[176:177]
	scratch_store_dwordx4 off, v[4:7], off offset:224
	s_and_saveexec_b64 s[0:1], vcc
	s_cbranch_execz .LBB106_247
; %bb.246:
	scratch_load_dwordx4 v[6:9], off, s47
	v_mov_b32_e32 v3, v2
	v_mov_b32_e32 v4, v2
	;; [unrolled: 1-line block ×3, first 2 shown]
	v_accvgpr_read_b32 v0, a87
	scratch_store_dwordx4 off, v[2:5], off offset:208
	s_waitcnt vmcnt(1)
	ds_write_b128 v0, v[6:9]
.LBB106_247:
	s_or_b64 exec, exec, s[0:1]
	s_waitcnt lgkmcnt(0)
	; wave barrier
	ds_read_b128 v[16:19], v2 offset:896
	ds_read_b128 v[12:15], v2 offset:912
	;; [unrolled: 1-line block ×4, first 2 shown]
	scratch_load_dwordx4 v[20:23], off, off offset:224
	scratch_load_dwordx4 v[40:43], off, off offset:288
	;; [unrolled: 1-line block ×24, first 2 shown]
	v_cmp_lt_u32_e32 vcc, 11, v240
	scratch_load_dwordx4 v[48:51], off, off offset:304
	scratch_load_dwordx4 v[56:59], off, off offset:320
	;; [unrolled: 1-line block ×3, first 2 shown]
	ds_read_b128 v[242:245], v2 offset:1360
	s_waitcnt vmcnt(26) lgkmcnt(4)
	v_mul_f64 v[24:25], v[16:17], v[22:23]
	v_fmac_f64_e32 v[24:25], v[18:19], v[20:21]
	v_add_f64 v[28:29], v[24:25], 0
	scratch_load_dwordx4 v[24:27], off, off offset:240
	s_waitcnt vmcnt(0) lgkmcnt(3)
	v_mul_f64 v[30:31], v[12:13], v[26:27]
	v_fmac_f64_e32 v[30:31], v[14:15], v[24:25]
	v_add_f64 v[32:33], v[28:29], v[30:31]
	scratch_load_dwordx4 v[28:31], off, off offset:256
	v_mul_f64 v[14:15], v[14:15], v[26:27]
	v_fma_f64 v[12:13], v[12:13], v[24:25], -v[14:15]
	s_waitcnt vmcnt(0) lgkmcnt(2)
	v_mul_f64 v[34:35], v[8:9], v[30:31]
	v_fmac_f64_e32 v[34:35], v[10:11], v[28:29]
	v_add_f64 v[36:37], v[32:33], v[34:35]
	scratch_load_dwordx4 v[32:35], off, off offset:272
	v_mul_f64 v[10:11], v[10:11], v[30:31]
	v_fma_f64 v[8:9], v[8:9], v[28:29], -v[10:11]
	s_waitcnt vmcnt(0) lgkmcnt(1)
	v_mul_f64 v[38:39], v[4:5], v[34:35]
	v_fmac_f64_e32 v[38:39], v[6:7], v[32:33]
	v_add_f64 v[44:45], v[36:37], v[38:39]
	ds_read_b128 v[36:39], v2 offset:960
	v_mul_f64 v[6:7], v[6:7], v[34:35]
	v_fma_f64 v[4:5], v[4:5], v[32:33], -v[6:7]
	s_waitcnt lgkmcnt(0)
	v_mul_f64 v[46:47], v[36:37], v[42:43]
	v_fmac_f64_e32 v[46:47], v[38:39], v[40:41]
	v_add_f64 v[52:53], v[44:45], v[46:47]
	ds_read_b128 v[44:47], v2 offset:976
	s_waitcnt lgkmcnt(0)
	v_mul_f64 v[54:55], v[44:45], v[50:51]
	v_fmac_f64_e32 v[54:55], v[46:47], v[48:49]
	v_add_f64 v[60:61], v[52:53], v[54:55]
	ds_read_b128 v[52:55], v2 offset:992
	;; [unrolled: 5-line block ×24, first 2 shown]
	v_mul_f64 v[2:3], v[242:243], v[248:249]
	v_fmac_f64_e32 v[2:3], v[244:245], v[246:247]
	s_waitcnt lgkmcnt(0)
	v_mul_f64 v[238:239], v[230:231], v[236:237]
	v_fmac_f64_e32 v[238:239], v[232:233], v[234:235]
	v_add_f64 v[184:185], v[184:185], v[238:239]
	v_add_f64 v[184:185], v[184:185], v[2:3]
	v_mul_f64 v[2:3], v[18:19], v[22:23]
	v_fma_f64 v[2:3], v[16:17], v[20:21], -v[2:3]
	v_add_f64 v[2:3], v[2:3], 0
	v_add_f64 v[2:3], v[2:3], v[12:13]
	;; [unrolled: 1-line block ×4, first 2 shown]
	v_mul_f64 v[4:5], v[38:39], v[42:43]
	v_fma_f64 v[4:5], v[36:37], v[40:41], -v[4:5]
	v_add_f64 v[2:3], v[2:3], v[4:5]
	v_mul_f64 v[4:5], v[46:47], v[50:51]
	v_fma_f64 v[4:5], v[44:45], v[48:49], -v[4:5]
	v_add_f64 v[2:3], v[2:3], v[4:5]
	;; [unrolled: 3-line block ×26, first 2 shown]
	scratch_load_dwordx4 v[2:5], off, off offset:208
	s_waitcnt vmcnt(0)
	v_add_f64 v[2:3], v[2:3], -v[6:7]
	v_add_f64 v[4:5], v[4:5], -v[184:185]
	scratch_store_dwordx4 off, v[2:5], off offset:208
	s_and_saveexec_b64 s[0:1], vcc
	s_cbranch_execz .LBB106_249
; %bb.248:
	scratch_load_dwordx4 v[2:5], off, s48
	v_mov_b32_e32 v6, 0
	v_mov_b32_e32 v7, v6
	;; [unrolled: 1-line block ×4, first 2 shown]
	v_accvgpr_read_b32 v0, a87
	scratch_store_dwordx4 off, v[6:9], off offset:192
	s_waitcnt vmcnt(1)
	ds_write_b128 v0, v[2:5]
.LBB106_249:
	s_or_b64 exec, exec, s[0:1]
	s_waitcnt lgkmcnt(0)
	; wave barrier
	scratch_load_dwordx4 v[16:19], off, off offset:208
	scratch_load_dwordx4 v[12:15], off, off offset:224
	;; [unrolled: 1-line block ×32, first 2 shown]
	v_mov_b32_e32 v2, 0
	ds_read_b128 v[132:135], v2 offset:880
	ds_read_b128 v[136:139], v2 offset:896
	;; [unrolled: 1-line block ×17, first 2 shown]
	v_cmp_lt_u32_e32 vcc, 10, v240
	s_waitcnt vmcnt(31) lgkmcnt(14)
	v_mul_f64 v[200:201], v[132:133], v[18:19]
	s_waitcnt vmcnt(30)
	v_mul_f64 v[202:203], v[136:137], v[14:15]
	v_fmac_f64_e32 v[200:201], v[134:135], v[16:17]
	s_waitcnt vmcnt(29)
	v_mul_f64 v[204:205], v[140:141], v[10:11]
	v_fmac_f64_e32 v[202:203], v[138:139], v[12:13]
	v_add_f64 v[200:201], v[200:201], 0
	s_waitcnt vmcnt(28) lgkmcnt(13)
	v_mul_f64 v[206:207], v[144:145], v[6:7]
	v_fmac_f64_e32 v[204:205], v[142:143], v[8:9]
	v_add_f64 v[200:201], v[200:201], v[202:203]
	s_waitcnt vmcnt(27) lgkmcnt(12)
	;; [unrolled: 4-line block ×12, first 2 shown]
	v_mul_f64 v[228:229], v[188:189], v[62:63]
	v_fmac_f64_e32 v[226:227], v[186:187], v[56:57]
	v_add_f64 v[200:201], v[200:201], v[224:225]
	v_fmac_f64_e32 v[228:229], v[190:191], v[60:61]
	v_add_f64 v[200:201], v[200:201], v[226:227]
	s_waitcnt vmcnt(16) lgkmcnt(1)
	v_mul_f64 v[202:203], v[192:193], v[66:67]
	v_add_f64 v[200:201], v[200:201], v[228:229]
	v_fmac_f64_e32 v[202:203], v[194:195], v[64:65]
	s_waitcnt vmcnt(15) lgkmcnt(0)
	v_mul_f64 v[206:207], v[196:197], v[70:71]
	v_add_f64 v[204:205], v[200:201], v[202:203]
	ds_read_b128 v[200:203], v2 offset:1152
	v_fmac_f64_e32 v[206:207], v[198:199], v[68:69]
	v_add_f64 v[208:209], v[204:205], v[206:207]
	ds_read_b128 v[204:207], v2 offset:1168
	v_mul_f64 v[18:19], v[134:135], v[18:19]
	s_waitcnt vmcnt(14) lgkmcnt(1)
	v_mul_f64 v[210:211], v[200:201], v[74:75]
	v_fmac_f64_e32 v[210:211], v[202:203], v[72:73]
	v_add_f64 v[212:213], v[208:209], v[210:211]
	s_waitcnt vmcnt(13) lgkmcnt(0)
	v_mul_f64 v[214:215], v[204:205], v[78:79]
	ds_read_b128 v[208:211], v2 offset:1184
	v_fmac_f64_e32 v[214:215], v[206:207], v[76:77]
	v_add_f64 v[216:217], v[212:213], v[214:215]
	ds_read_b128 v[212:215], v2 offset:1200
	v_fma_f64 v[244:245], v[132:133], v[16:17], -v[18:19]
	s_waitcnt vmcnt(12) lgkmcnt(1)
	v_mul_f64 v[218:219], v[208:209], v[82:83]
	v_fmac_f64_e32 v[218:219], v[210:211], v[80:81]
	v_add_f64 v[220:221], v[216:217], v[218:219]
	s_waitcnt vmcnt(11) lgkmcnt(0)
	v_mul_f64 v[222:223], v[212:213], v[86:87]
	ds_read_b128 v[216:219], v2 offset:1216
	v_fmac_f64_e32 v[222:223], v[214:215], v[84:85]
	v_add_f64 v[224:225], v[220:221], v[222:223]
	ds_read_b128 v[220:223], v2 offset:1232
	ds_read_b128 v[16:19], v2 offset:1312
	s_waitcnt vmcnt(10) lgkmcnt(2)
	v_mul_f64 v[226:227], v[216:217], v[90:91]
	v_fmac_f64_e32 v[226:227], v[218:219], v[88:89]
	v_add_f64 v[228:229], v[224:225], v[226:227]
	s_waitcnt vmcnt(9) lgkmcnt(1)
	v_mul_f64 v[230:231], v[220:221], v[94:95]
	ds_read_b128 v[224:227], v2 offset:1248
	v_fmac_f64_e32 v[230:231], v[222:223], v[92:93]
	v_add_f64 v[232:233], v[228:229], v[230:231]
	ds_read_b128 v[228:231], v2 offset:1264
	v_mul_f64 v[14:15], v[138:139], v[14:15]
	s_waitcnt vmcnt(8) lgkmcnt(1)
	v_mul_f64 v[234:235], v[224:225], v[98:99]
	v_fmac_f64_e32 v[234:235], v[226:227], v[96:97]
	v_add_f64 v[236:237], v[232:233], v[234:235]
	s_waitcnt vmcnt(7) lgkmcnt(0)
	v_mul_f64 v[238:239], v[228:229], v[102:103]
	ds_read_b128 v[232:235], v2 offset:1280
	v_fmac_f64_e32 v[238:239], v[230:231], v[100:101]
	v_add_f64 v[242:243], v[236:237], v[238:239]
	ds_read_b128 v[236:239], v2 offset:1296
	v_fma_f64 v[136:137], v[136:137], v[12:13], -v[14:15]
	s_waitcnt vmcnt(6) lgkmcnt(1)
	v_mul_f64 v[132:133], v[232:233], v[106:107]
	v_fmac_f64_e32 v[132:133], v[234:235], v[104:105]
	v_add_f64 v[132:133], v[242:243], v[132:133]
	s_waitcnt vmcnt(5) lgkmcnt(0)
	v_mul_f64 v[134:135], v[236:237], v[110:111]
	v_fmac_f64_e32 v[134:135], v[238:239], v[108:109]
	v_add_f64 v[132:133], v[132:133], v[134:135]
	ds_read_b128 v[12:15], v2 offset:1328
	s_waitcnt vmcnt(4)
	v_mul_f64 v[134:135], v[16:17], v[114:115]
	v_fmac_f64_e32 v[134:135], v[18:19], v[112:113]
	v_add_f64 v[138:139], v[132:133], v[134:135]
	ds_read_b128 v[132:135], v2 offset:1344
	v_mul_f64 v[10:11], v[142:143], v[10:11]
	v_fma_f64 v[140:141], v[140:141], v[8:9], -v[10:11]
	ds_read_b128 v[8:11], v2 offset:1360
	s_waitcnt vmcnt(3) lgkmcnt(2)
	v_mul_f64 v[142:143], v[12:13], v[118:119]
	v_fmac_f64_e32 v[142:143], v[14:15], v[116:117]
	v_add_f64 v[138:139], v[138:139], v[142:143]
	s_waitcnt vmcnt(2) lgkmcnt(1)
	v_mul_f64 v[142:143], v[132:133], v[122:123]
	v_fmac_f64_e32 v[142:143], v[134:135], v[120:121]
	v_add_f64 v[138:139], v[138:139], v[142:143]
	;; [unrolled: 4-line block ×3, first 2 shown]
	v_add_f64 v[142:143], v[244:245], 0
	v_add_f64 v[136:137], v[142:143], v[136:137]
	v_mul_f64 v[6:7], v[146:147], v[6:7]
	v_add_f64 v[136:137], v[136:137], v[140:141]
	v_fma_f64 v[4:5], v[144:145], v[4:5], -v[6:7]
	v_mul_f64 v[6:7], v[150:151], v[22:23]
	v_add_f64 v[4:5], v[136:137], v[4:5]
	v_fma_f64 v[6:7], v[148:149], v[20:21], -v[6:7]
	v_add_f64 v[4:5], v[4:5], v[6:7]
	v_mul_f64 v[6:7], v[154:155], v[26:27]
	v_fma_f64 v[6:7], v[152:153], v[24:25], -v[6:7]
	v_add_f64 v[4:5], v[4:5], v[6:7]
	v_mul_f64 v[6:7], v[158:159], v[30:31]
	;; [unrolled: 3-line block ×26, first 2 shown]
	v_fma_f64 v[6:7], v[8:9], v[124:125], -v[6:7]
	v_add_f64 v[4:5], v[4:5], v[6:7]
	s_waitcnt vmcnt(0)
	v_add_f64 v[4:5], v[128:129], -v[4:5]
	v_add_f64 v[6:7], v[130:131], -v[138:139]
	scratch_store_dwordx4 off, v[4:7], off offset:192
	s_and_saveexec_b64 s[0:1], vcc
	s_cbranch_execz .LBB106_251
; %bb.250:
	scratch_load_dwordx4 v[6:9], off, s49
	v_mov_b32_e32 v3, v2
	v_mov_b32_e32 v4, v2
	;; [unrolled: 1-line block ×3, first 2 shown]
	v_accvgpr_read_b32 v0, a87
	scratch_store_dwordx4 off, v[2:5], off offset:176
	s_waitcnt vmcnt(1)
	ds_write_b128 v0, v[6:9]
.LBB106_251:
	s_or_b64 exec, exec, s[0:1]
	s_waitcnt lgkmcnt(0)
	; wave barrier
	scratch_load_dwordx4 v[140:143], off, off offset:192
	scratch_load_dwordx4 v[148:151], off, off offset:208
	;; [unrolled: 1-line block ×16, first 2 shown]
	ds_read_b128 v[188:191], v2 offset:864
	ds_read_b128 v[184:187], v2 offset:880
	scratch_load_dwordx4 v[56:59], off, off offset:448
	ds_read_b128 v[192:195], v2 offset:896
	ds_read_b128 v[68:71], v2 offset:912
	scratch_load_dwordx4 v[60:63], off, off offset:464
	ds_read_b128 v[88:91], v2 offset:928
	ds_read_b128 v[84:87], v2 offset:944
	;; [unrolled: 1-line block ×4, first 2 shown]
	scratch_load_dwordx4 v[64:67], off, off offset:480
	ds_read_b128 v[100:103], v2 offset:992
	ds_read_b128 v[96:99], v2 offset:1008
	scratch_load_dwordx4 v[72:75], off, off offset:496
	ds_read_b128 v[116:119], v2 offset:1024
	ds_read_b128 v[112:115], v2 offset:1040
	;; [unrolled: 1-line block ×4, first 2 shown]
	scratch_load_dwordx4 v[92:95], off, off offset:512
	ds_read_b128 v[132:135], v2 offset:1088
	ds_read_b128 v[128:131], v2 offset:1104
	ds_read_b128 v[124:127], v2 offset:1120
	scratch_load_dwordx4 v[120:123], off, off offset:528
	scratch_load_dwordx4 v[136:139], off, off offset:544
	;; [unrolled: 1-line block ×11, first 2 shown]
	v_cmp_lt_u32_e32 vcc, 9, v240
	s_waitcnt vmcnt(31) lgkmcnt(14)
	v_mul_f64 v[200:201], v[188:189], v[142:143]
	s_waitcnt vmcnt(30)
	v_mul_f64 v[202:203], v[184:185], v[150:151]
	v_fmac_f64_e32 v[200:201], v[190:191], v[140:141]
	s_waitcnt vmcnt(29)
	v_mul_f64 v[204:205], v[192:193], v[154:155]
	v_fmac_f64_e32 v[202:203], v[186:187], v[148:149]
	v_add_f64 v[200:201], v[200:201], 0
	s_waitcnt vmcnt(28) lgkmcnt(13)
	v_mul_f64 v[206:207], v[68:69], v[6:7]
	v_fmac_f64_e32 v[204:205], v[194:195], v[152:153]
	v_add_f64 v[200:201], v[200:201], v[202:203]
	s_waitcnt vmcnt(27) lgkmcnt(12)
	v_mul_f64 v[208:209], v[88:89], v[10:11]
	v_fmac_f64_e32 v[206:207], v[70:71], v[4:5]
	v_add_f64 v[200:201], v[200:201], v[204:205]
	s_waitcnt vmcnt(26) lgkmcnt(11)
	v_mul_f64 v[210:211], v[84:85], v[14:15]
	v_fmac_f64_e32 v[208:209], v[90:91], v[8:9]
	v_add_f64 v[200:201], v[200:201], v[206:207]
	s_waitcnt vmcnt(25) lgkmcnt(10)
	v_mul_f64 v[212:213], v[80:81], v[18:19]
	v_fmac_f64_e32 v[210:211], v[86:87], v[12:13]
	v_add_f64 v[200:201], v[200:201], v[208:209]
	s_waitcnt vmcnt(24) lgkmcnt(9)
	v_mul_f64 v[214:215], v[76:77], v[22:23]
	v_fmac_f64_e32 v[212:213], v[82:83], v[16:17]
	v_add_f64 v[200:201], v[200:201], v[210:211]
	s_waitcnt vmcnt(23) lgkmcnt(8)
	v_mul_f64 v[216:217], v[100:101], v[26:27]
	v_fmac_f64_e32 v[214:215], v[78:79], v[20:21]
	v_add_f64 v[200:201], v[200:201], v[212:213]
	s_waitcnt vmcnt(22) lgkmcnt(7)
	v_mul_f64 v[218:219], v[96:97], v[30:31]
	v_fmac_f64_e32 v[216:217], v[102:103], v[24:25]
	v_add_f64 v[200:201], v[200:201], v[214:215]
	s_waitcnt vmcnt(21) lgkmcnt(6)
	v_mul_f64 v[220:221], v[116:117], v[34:35]
	v_fmac_f64_e32 v[218:219], v[98:99], v[28:29]
	v_add_f64 v[200:201], v[200:201], v[216:217]
	s_waitcnt vmcnt(20) lgkmcnt(5)
	v_mul_f64 v[222:223], v[112:113], v[38:39]
	v_fmac_f64_e32 v[220:221], v[118:119], v[32:33]
	v_add_f64 v[200:201], v[200:201], v[218:219]
	s_waitcnt vmcnt(19) lgkmcnt(4)
	v_mul_f64 v[224:225], v[108:109], v[42:43]
	v_fmac_f64_e32 v[222:223], v[114:115], v[36:37]
	v_add_f64 v[200:201], v[200:201], v[220:221]
	s_waitcnt vmcnt(18) lgkmcnt(3)
	v_mul_f64 v[226:227], v[104:105], v[46:47]
	v_fmac_f64_e32 v[224:225], v[110:111], v[40:41]
	v_add_f64 v[200:201], v[200:201], v[222:223]
	s_waitcnt vmcnt(17) lgkmcnt(2)
	v_mul_f64 v[228:229], v[132:133], v[50:51]
	v_fmac_f64_e32 v[226:227], v[106:107], v[44:45]
	v_add_f64 v[200:201], v[200:201], v[224:225]
	s_waitcnt vmcnt(16) lgkmcnt(1)
	v_mul_f64 v[230:231], v[128:129], v[54:55]
	v_fmac_f64_e32 v[228:229], v[134:135], v[48:49]
	v_add_f64 v[200:201], v[200:201], v[226:227]
	v_add_f64 v[200:201], v[200:201], v[228:229]
	v_fmac_f64_e32 v[230:231], v[130:131], v[52:53]
	v_add_f64 v[204:205], v[200:201], v[230:231]
	ds_read_b128 v[200:203], v2 offset:1136
	s_waitcnt vmcnt(15) lgkmcnt(1)
	v_mul_f64 v[206:207], v[124:125], v[58:59]
	v_fmac_f64_e32 v[206:207], v[126:127], v[56:57]
	v_add_f64 v[208:209], v[204:205], v[206:207]
	ds_read_b128 v[204:207], v2 offset:1152
	s_waitcnt vmcnt(14) lgkmcnt(1)
	v_mul_f64 v[210:211], v[200:201], v[62:63]
	;; [unrolled: 5-line block ×10, first 2 shown]
	v_fmac_f64_e32 v[244:245], v[234:235], v[160:161]
	v_mul_f64 v[142:143], v[190:191], v[142:143]
	v_add_f64 v[244:245], v[242:243], v[244:245]
	v_fma_f64 v[242:243], v[188:189], v[140:141], -v[142:143]
	ds_read_b128 v[140:143], v2 offset:1296
	s_waitcnt vmcnt(5) lgkmcnt(1)
	v_mul_f64 v[188:189], v[236:237], v[166:167]
	v_fmac_f64_e32 v[188:189], v[238:239], v[164:165]
	v_mul_f64 v[150:151], v[186:187], v[150:151]
	v_add_f64 v[188:189], v[244:245], v[188:189]
	v_fma_f64 v[244:245], v[184:185], v[148:149], -v[150:151]
	ds_read_b128 v[148:151], v2 offset:1312
	s_waitcnt vmcnt(4) lgkmcnt(1)
	v_mul_f64 v[184:185], v[140:141], v[170:171]
	v_fmac_f64_e32 v[184:185], v[142:143], v[168:169]
	v_add_f64 v[188:189], v[188:189], v[184:185]
	ds_read_b128 v[184:187], v2 offset:1328
	v_mul_f64 v[154:155], v[194:195], v[154:155]
	s_waitcnt vmcnt(3) lgkmcnt(1)
	v_mul_f64 v[190:191], v[148:149], v[174:175]
	v_fma_f64 v[248:249], v[192:193], v[152:153], -v[154:155]
	ds_read_b128 v[152:155], v2 offset:1344
	v_fmac_f64_e32 v[190:191], v[150:151], v[172:173]
	v_add_f64 v[246:247], v[188:189], v[190:191]
	ds_read_b128 v[188:191], v2 offset:1360
	s_waitcnt vmcnt(2) lgkmcnt(2)
	v_mul_f64 v[192:193], v[184:185], v[178:179]
	v_fmac_f64_e32 v[192:193], v[186:187], v[176:177]
	v_add_f64 v[2:3], v[246:247], v[192:193]
	s_waitcnt vmcnt(1) lgkmcnt(1)
	v_mul_f64 v[192:193], v[152:153], v[182:183]
	v_fmac_f64_e32 v[192:193], v[154:155], v[180:181]
	v_add_f64 v[2:3], v[2:3], v[192:193]
	;; [unrolled: 4-line block ×3, first 2 shown]
	scratch_load_dwordx4 v[192:195], off, off offset:176
	v_add_f64 v[242:243], v[242:243], 0
	v_add_f64 v[242:243], v[242:243], v[244:245]
	v_mul_f64 v[6:7], v[70:71], v[6:7]
	v_add_f64 v[242:243], v[242:243], v[248:249]
	v_fma_f64 v[4:5], v[68:69], v[4:5], -v[6:7]
	v_mul_f64 v[6:7], v[90:91], v[10:11]
	v_add_f64 v[4:5], v[242:243], v[4:5]
	v_fma_f64 v[6:7], v[88:89], v[8:9], -v[6:7]
	v_add_f64 v[4:5], v[4:5], v[6:7]
	v_mul_f64 v[6:7], v[86:87], v[14:15]
	v_fma_f64 v[6:7], v[84:85], v[12:13], -v[6:7]
	v_add_f64 v[4:5], v[4:5], v[6:7]
	v_mul_f64 v[6:7], v[82:83], v[18:19]
	;; [unrolled: 3-line block ×27, first 2 shown]
	v_fma_f64 v[6:7], v[188:189], v[196:197], -v[6:7]
	v_add_f64 v[4:5], v[4:5], v[6:7]
	s_waitcnt vmcnt(0)
	v_add_f64 v[4:5], v[192:193], -v[4:5]
	v_add_f64 v[6:7], v[194:195], -v[2:3]
	scratch_store_dwordx4 off, v[4:7], off offset:176
	s_and_saveexec_b64 s[0:1], vcc
	s_cbranch_execz .LBB106_253
; %bb.252:
	scratch_load_dwordx4 v[2:5], off, s50
	v_mov_b32_e32 v6, 0
	v_mov_b32_e32 v7, v6
	;; [unrolled: 1-line block ×4, first 2 shown]
	v_accvgpr_read_b32 v0, a87
	scratch_store_dwordx4 off, v[6:9], off offset:160
	s_waitcnt vmcnt(1)
	ds_write_b128 v0, v[2:5]
.LBB106_253:
	s_or_b64 exec, exec, s[0:1]
	s_waitcnt lgkmcnt(0)
	; wave barrier
	scratch_load_dwordx4 v[108:111], off, off offset:176
	scratch_load_dwordx4 v[116:119], off, off offset:192
	;; [unrolled: 1-line block ×33, first 2 shown]
	v_mov_b32_e32 v2, 0
	ds_read_b128 v[220:223], v2 offset:848
	ds_read_b128 v[224:227], v2 offset:864
	;; [unrolled: 1-line block ×16, first 2 shown]
	v_cmp_lt_u32_e32 vcc, 8, v240
	s_waitcnt vmcnt(32) lgkmcnt(14)
	v_mul_f64 v[180:181], v[220:221], v[110:111]
	s_waitcnt vmcnt(31)
	v_mul_f64 v[182:183], v[224:225], v[118:119]
	v_fmac_f64_e32 v[180:181], v[222:223], v[108:109]
	s_waitcnt vmcnt(30) lgkmcnt(13)
	v_mul_f64 v[184:185], v[234:235], v[122:123]
	v_fmac_f64_e32 v[182:183], v[226:227], v[116:117]
	v_add_f64 v[180:181], v[180:181], 0
	s_waitcnt vmcnt(29) lgkmcnt(12)
	v_mul_f64 v[186:187], v[242:243], v[126:127]
	v_fmac_f64_e32 v[184:185], v[236:237], v[120:121]
	v_add_f64 v[180:181], v[180:181], v[182:183]
	;; [unrolled: 4-line block ×13, first 2 shown]
	v_fmac_f64_e32 v[208:209], v[142:143], v[40:41]
	v_add_f64 v[180:181], v[180:181], v[206:207]
	v_add_f64 v[184:185], v[180:181], v[208:209]
	ds_read_b128 v[180:183], v2 offset:1104
	s_waitcnt vmcnt(17) lgkmcnt(1)
	v_mul_f64 v[186:187], v[136:137], v[46:47]
	v_fmac_f64_e32 v[186:187], v[138:139], v[44:45]
	v_add_f64 v[188:189], v[184:185], v[186:187]
	ds_read_b128 v[184:187], v2 offset:1120
	s_waitcnt vmcnt(16) lgkmcnt(1)
	v_mul_f64 v[190:191], v[180:181], v[50:51]
	v_fmac_f64_e32 v[190:191], v[182:183], v[48:49]
	;; [unrolled: 5-line block ×10, first 2 shown]
	v_mul_f64 v[110:111], v[222:223], v[110:111]
	v_add_f64 v[228:229], v[228:229], v[230:231]
	v_fma_f64 v[230:231], v[220:221], v[108:109], -v[110:111]
	ds_read_b128 v[108:111], v2 offset:1264
	s_waitcnt vmcnt(7) lgkmcnt(1)
	v_mul_f64 v[220:221], v[216:217], v[86:87]
	v_mul_f64 v[118:119], v[226:227], v[118:119]
	v_fmac_f64_e32 v[220:221], v[218:219], v[84:85]
	v_fma_f64 v[232:233], v[224:225], v[116:117], -v[118:119]
	ds_read_b128 v[116:119], v2 offset:1280
	s_waitcnt vmcnt(6) lgkmcnt(1)
	v_mul_f64 v[222:223], v[108:109], v[90:91]
	v_add_f64 v[220:221], v[228:229], v[220:221]
	v_fmac_f64_e32 v[222:223], v[110:111], v[88:89]
	v_add_f64 v[224:225], v[220:221], v[222:223]
	ds_read_b128 v[220:223], v2 offset:1296
	v_mul_f64 v[122:123], v[236:237], v[122:123]
	v_fma_f64 v[234:235], v[234:235], v[120:121], -v[122:123]
	ds_read_b128 v[120:123], v2 offset:1312
	s_waitcnt vmcnt(5) lgkmcnt(2)
	v_mul_f64 v[226:227], v[116:117], v[94:95]
	v_fmac_f64_e32 v[226:227], v[118:119], v[92:93]
	v_mul_f64 v[126:127], v[244:245], v[126:127]
	v_add_f64 v[224:225], v[224:225], v[226:227]
	s_waitcnt vmcnt(4) lgkmcnt(1)
	v_mul_f64 v[226:227], v[220:221], v[98:99]
	v_fma_f64 v[236:237], v[242:243], v[124:125], -v[126:127]
	ds_read_b128 v[124:127], v2 offset:1328
	v_fmac_f64_e32 v[226:227], v[222:223], v[96:97]
	v_add_f64 v[228:229], v[224:225], v[226:227]
	s_waitcnt vmcnt(3) lgkmcnt(1)
	v_mul_f64 v[238:239], v[120:121], v[102:103]
	ds_read_b128 v[224:227], v2 offset:1344
	v_fmac_f64_e32 v[238:239], v[122:123], v[100:101]
	v_mul_f64 v[130:131], v[248:249], v[130:131]
	v_add_f64 v[228:229], v[228:229], v[238:239]
	v_fma_f64 v[238:239], v[246:247], v[128:129], -v[130:131]
	ds_read_b128 v[128:131], v2 offset:1360
	s_waitcnt vmcnt(2) lgkmcnt(2)
	v_mul_f64 v[242:243], v[124:125], v[106:107]
	v_fmac_f64_e32 v[242:243], v[126:127], v[104:105]
	v_add_f64 v[228:229], v[228:229], v[242:243]
	s_waitcnt vmcnt(1) lgkmcnt(1)
	v_mul_f64 v[242:243], v[224:225], v[114:115]
	v_fmac_f64_e32 v[242:243], v[226:227], v[112:113]
	v_add_f64 v[228:229], v[228:229], v[242:243]
	;; [unrolled: 4-line block ×3, first 2 shown]
	scratch_load_dwordx4 v[242:245], off, off offset:160
	v_add_f64 v[230:231], v[230:231], 0
	v_add_f64 v[230:231], v[230:231], v[232:233]
	;; [unrolled: 1-line block ×4, first 2 shown]
	v_mul_f64 v[6:7], v[178:179], v[6:7]
	v_add_f64 v[230:231], v[230:231], v[238:239]
	v_fma_f64 v[4:5], v[176:177], v[4:5], -v[6:7]
	v_mul_f64 v[6:7], v[174:175], v[10:11]
	v_add_f64 v[4:5], v[230:231], v[4:5]
	v_fma_f64 v[6:7], v[172:173], v[8:9], -v[6:7]
	v_add_f64 v[4:5], v[4:5], v[6:7]
	v_mul_f64 v[6:7], v[170:171], v[14:15]
	v_fma_f64 v[6:7], v[168:169], v[12:13], -v[6:7]
	v_add_f64 v[4:5], v[4:5], v[6:7]
	v_mul_f64 v[6:7], v[166:167], v[18:19]
	;; [unrolled: 3-line block ×26, first 2 shown]
	v_fma_f64 v[6:7], v[128:129], v[132:133], -v[6:7]
	v_add_f64 v[4:5], v[4:5], v[6:7]
	s_waitcnt vmcnt(0)
	v_add_f64 v[4:5], v[242:243], -v[4:5]
	v_add_f64 v[6:7], v[244:245], -v[228:229]
	scratch_store_dwordx4 off, v[4:7], off offset:160
	s_and_saveexec_b64 s[0:1], vcc
	s_cbranch_execz .LBB106_255
; %bb.254:
	scratch_load_dwordx4 v[6:9], off, s51
	v_mov_b32_e32 v3, v2
	v_mov_b32_e32 v4, v2
	;; [unrolled: 1-line block ×3, first 2 shown]
	v_accvgpr_read_b32 v0, a87
	scratch_store_dwordx4 off, v[2:5], off offset:144
	s_waitcnt vmcnt(1)
	ds_write_b128 v0, v[6:9]
.LBB106_255:
	s_or_b64 exec, exec, s[0:1]
	s_waitcnt lgkmcnt(0)
	; wave barrier
	scratch_load_dwordx4 v[144:147], off, off offset:160
	scratch_load_dwordx4 v[152:155], off, off offset:176
	;; [unrolled: 1-line block ×16, first 2 shown]
	ds_read_b128 v[196:199], v2 offset:832
	ds_read_b128 v[188:191], v2 offset:848
	ds_read_b128 v[180:183], v2 offset:864
	scratch_load_dwordx4 v[48:51], off, off offset:416
	ds_read_b128 v[192:195], v2 offset:880
	ds_read_b128 v[184:187], v2 offset:896
	ds_read_b128 v[64:67], v2 offset:912
	scratch_load_dwordx4 v[52:55], off, off offset:432
	;; [unrolled: 4-line block ×5, first 2 shown]
	ds_read_b128 v[116:119], v2 offset:1072
	ds_read_b128 v[112:115], v2 offset:1088
	scratch_load_dwordx4 v[108:111], off, off offset:496
	scratch_load_dwordx4 v[120:123], off, off offset:512
	;; [unrolled: 1-line block ×12, first 2 shown]
	v_cmp_lt_u32_e32 vcc, 7, v240
	s_waitcnt vmcnt(32) lgkmcnt(14)
	v_mul_f64 v[204:205], v[196:197], v[146:147]
	s_waitcnt vmcnt(31)
	v_mul_f64 v[206:207], v[188:189], v[154:155]
	v_fmac_f64_e32 v[204:205], v[198:199], v[144:145]
	s_waitcnt vmcnt(30)
	v_mul_f64 v[208:209], v[180:181], v[158:159]
	v_fmac_f64_e32 v[206:207], v[190:191], v[152:153]
	v_add_f64 v[204:205], v[204:205], 0
	s_waitcnt vmcnt(29) lgkmcnt(13)
	v_mul_f64 v[210:211], v[192:193], v[162:163]
	v_fmac_f64_e32 v[208:209], v[182:183], v[156:157]
	v_add_f64 v[204:205], v[204:205], v[206:207]
	s_waitcnt vmcnt(28) lgkmcnt(12)
	;; [unrolled: 4-line block ×12, first 2 shown]
	v_mul_f64 v[232:233], v[96:97], v[42:43]
	v_fmac_f64_e32 v[230:231], v[102:103], v[36:37]
	v_add_f64 v[204:205], v[204:205], v[228:229]
	v_fmac_f64_e32 v[232:233], v[98:99], v[40:41]
	v_add_f64 v[204:205], v[204:205], v[230:231]
	s_waitcnt vmcnt(17) lgkmcnt(1)
	v_mul_f64 v[206:207], v[116:117], v[46:47]
	v_add_f64 v[204:205], v[204:205], v[232:233]
	v_fmac_f64_e32 v[206:207], v[118:119], v[44:45]
	s_waitcnt vmcnt(16) lgkmcnt(0)
	v_mul_f64 v[210:211], v[112:113], v[50:51]
	v_add_f64 v[208:209], v[204:205], v[206:207]
	ds_read_b128 v[204:207], v2 offset:1104
	v_fmac_f64_e32 v[210:211], v[114:115], v[48:49]
	v_add_f64 v[212:213], v[208:209], v[210:211]
	ds_read_b128 v[208:211], v2 offset:1120
	v_mul_f64 v[146:147], v[198:199], v[146:147]
	s_waitcnt vmcnt(15) lgkmcnt(1)
	v_mul_f64 v[214:215], v[204:205], v[54:55]
	v_fmac_f64_e32 v[214:215], v[206:207], v[52:53]
	v_add_f64 v[216:217], v[212:213], v[214:215]
	s_waitcnt vmcnt(14) lgkmcnt(0)
	v_mul_f64 v[218:219], v[208:209], v[58:59]
	ds_read_b128 v[212:215], v2 offset:1136
	v_fmac_f64_e32 v[218:219], v[210:211], v[56:57]
	v_add_f64 v[220:221], v[216:217], v[218:219]
	ds_read_b128 v[216:219], v2 offset:1152
	v_mul_f64 v[154:155], v[190:191], v[154:155]
	s_waitcnt vmcnt(13) lgkmcnt(1)
	v_mul_f64 v[222:223], v[212:213], v[62:63]
	v_fmac_f64_e32 v[222:223], v[214:215], v[60:61]
	v_add_f64 v[224:225], v[220:221], v[222:223]
	s_waitcnt vmcnt(12) lgkmcnt(0)
	v_mul_f64 v[226:227], v[216:217], v[94:95]
	ds_read_b128 v[220:223], v2 offset:1168
	v_fmac_f64_e32 v[226:227], v[218:219], v[92:93]
	v_add_f64 v[228:229], v[224:225], v[226:227]
	ds_read_b128 v[224:227], v2 offset:1184
	v_fma_f64 v[246:247], v[188:189], v[152:153], -v[154:155]
	s_waitcnt vmcnt(11) lgkmcnt(1)
	v_mul_f64 v[230:231], v[220:221], v[110:111]
	v_fmac_f64_e32 v[230:231], v[222:223], v[108:109]
	v_add_f64 v[232:233], v[228:229], v[230:231]
	s_waitcnt vmcnt(10) lgkmcnt(0)
	v_mul_f64 v[234:235], v[224:225], v[122:123]
	ds_read_b128 v[228:231], v2 offset:1200
	v_fmac_f64_e32 v[234:235], v[226:227], v[120:121]
	v_add_f64 v[236:237], v[232:233], v[234:235]
	ds_read_b128 v[232:235], v2 offset:1216
	ds_read_b128 v[152:155], v2 offset:1264
	s_waitcnt vmcnt(9) lgkmcnt(2)
	v_mul_f64 v[238:239], v[228:229], v[126:127]
	v_fmac_f64_e32 v[238:239], v[230:231], v[124:125]
	v_add_f64 v[242:243], v[236:237], v[238:239]
	s_waitcnt vmcnt(8) lgkmcnt(1)
	v_mul_f64 v[244:245], v[232:233], v[130:131]
	ds_read_b128 v[236:239], v2 offset:1232
	v_fmac_f64_e32 v[244:245], v[234:235], v[128:129]
	v_add_f64 v[242:243], v[242:243], v[244:245]
	v_fma_f64 v[244:245], v[196:197], v[144:145], -v[146:147]
	ds_read_b128 v[144:147], v2 offset:1248
	s_waitcnt vmcnt(7) lgkmcnt(1)
	v_mul_f64 v[196:197], v[236:237], v[134:135]
	v_fmac_f64_e32 v[196:197], v[238:239], v[132:133]
	v_add_f64 v[188:189], v[242:243], v[196:197]
	v_mul_f64 v[158:159], v[182:183], v[158:159]
	s_waitcnt vmcnt(6) lgkmcnt(0)
	v_mul_f64 v[190:191], v[144:145], v[138:139]
	v_fmac_f64_e32 v[190:191], v[146:147], v[136:137]
	v_add_f64 v[196:197], v[188:189], v[190:191]
	ds_read_b128 v[188:191], v2 offset:1280
	v_fma_f64 v[242:243], v[180:181], v[156:157], -v[158:159]
	ds_read_b128 v[156:159], v2 offset:1296
	s_waitcnt vmcnt(5)
	v_mul_f64 v[198:199], v[152:153], v[142:143]
	v_fmac_f64_e32 v[198:199], v[154:155], v[140:141]
	s_waitcnt vmcnt(4) lgkmcnt(1)
	v_mul_f64 v[180:181], v[188:189], v[150:151]
	v_add_f64 v[196:197], v[196:197], v[198:199]
	v_fmac_f64_e32 v[180:181], v[190:191], v[148:149]
	v_mul_f64 v[162:163], v[194:195], v[162:163]
	v_add_f64 v[198:199], v[196:197], v[180:181]
	v_fma_f64 v[196:197], v[192:193], v[160:161], -v[162:163]
	ds_read_b128 v[160:163], v2 offset:1312
	s_waitcnt vmcnt(3) lgkmcnt(1)
	v_mul_f64 v[192:193], v[156:157], v[166:167]
	ds_read_b128 v[180:183], v2 offset:1328
	v_fmac_f64_e32 v[192:193], v[158:159], v[164:165]
	v_mul_f64 v[170:171], v[186:187], v[170:171]
	v_add_f64 v[192:193], v[198:199], v[192:193]
	v_fma_f64 v[198:199], v[184:185], v[168:169], -v[170:171]
	ds_read_b128 v[168:171], v2 offset:1344
	s_waitcnt vmcnt(2) lgkmcnt(2)
	v_mul_f64 v[184:185], v[160:161], v[174:175]
	v_fmac_f64_e32 v[184:185], v[162:163], v[172:173]
	s_waitcnt vmcnt(1) lgkmcnt(1)
	v_mul_f64 v[186:187], v[180:181], v[178:179]
	v_add_f64 v[184:185], v[192:193], v[184:185]
	v_fmac_f64_e32 v[186:187], v[182:183], v[176:177]
	v_add_f64 v[184:185], v[184:185], v[186:187]
	s_waitcnt vmcnt(0) lgkmcnt(0)
	v_mul_f64 v[186:187], v[168:169], v[202:203]
	v_fmac_f64_e32 v[186:187], v[170:171], v[200:201]
	v_add_f64 v[248:249], v[184:185], v[186:187]
	scratch_load_dwordx4 v[184:187], off, off offset:688
	v_add_f64 v[244:245], v[244:245], 0
	v_add_f64 v[244:245], v[244:245], v[246:247]
	v_add_f64 v[242:243], v[244:245], v[242:243]
	scratch_load_dwordx4 v[244:247], off, off offset:144
	v_add_f64 v[196:197], v[242:243], v[196:197]
	v_mul_f64 v[6:7], v[66:67], v[6:7]
	v_add_f64 v[196:197], v[196:197], v[198:199]
	v_fma_f64 v[4:5], v[64:65], v[4:5], -v[6:7]
	v_mul_f64 v[6:7], v[78:79], v[10:11]
	v_add_f64 v[4:5], v[196:197], v[4:5]
	v_fma_f64 v[6:7], v[76:77], v[8:9], -v[6:7]
	v_add_f64 v[4:5], v[4:5], v[6:7]
	v_mul_f64 v[6:7], v[74:75], v[14:15]
	v_fma_f64 v[6:7], v[72:73], v[12:13], -v[6:7]
	v_add_f64 v[4:5], v[4:5], v[6:7]
	v_mul_f64 v[6:7], v[70:71], v[18:19]
	;; [unrolled: 3-line block ×24, first 2 shown]
	ds_read_b128 v[192:195], v2 offset:1360
	v_fma_f64 v[6:7], v[160:161], v[172:173], -v[6:7]
	v_add_f64 v[4:5], v[4:5], v[6:7]
	v_mul_f64 v[6:7], v[182:183], v[178:179]
	v_fma_f64 v[6:7], v[180:181], v[176:177], -v[6:7]
	v_add_f64 v[4:5], v[4:5], v[6:7]
	v_mul_f64 v[6:7], v[170:171], v[202:203]
	v_fma_f64 v[6:7], v[168:169], v[200:201], -v[6:7]
	s_waitcnt vmcnt(1) lgkmcnt(0)
	v_mul_f64 v[2:3], v[192:193], v[186:187]
	v_add_f64 v[4:5], v[4:5], v[6:7]
	v_mul_f64 v[6:7], v[194:195], v[186:187]
	v_fmac_f64_e32 v[2:3], v[194:195], v[184:185]
	v_fma_f64 v[6:7], v[192:193], v[184:185], -v[6:7]
	v_add_f64 v[2:3], v[248:249], v[2:3]
	v_add_f64 v[4:5], v[4:5], v[6:7]
	s_waitcnt vmcnt(0)
	v_add_f64 v[4:5], v[244:245], -v[4:5]
	v_add_f64 v[6:7], v[246:247], -v[2:3]
	scratch_store_dwordx4 off, v[4:7], off offset:144
	s_and_saveexec_b64 s[0:1], vcc
	s_cbranch_execz .LBB106_257
; %bb.256:
	scratch_load_dwordx4 v[2:5], off, s52
	v_mov_b32_e32 v6, 0
	v_mov_b32_e32 v7, v6
	;; [unrolled: 1-line block ×4, first 2 shown]
	v_accvgpr_read_b32 v0, a87
	scratch_store_dwordx4 off, v[6:9], off offset:128
	s_waitcnt vmcnt(1)
	ds_write_b128 v0, v[2:5]
.LBB106_257:
	s_or_b64 exec, exec, s[0:1]
	s_waitcnt lgkmcnt(0)
	; wave barrier
	scratch_load_dwordx4 v[184:187], off, off offset:144
	scratch_load_dwordx4 v[188:191], off, off offset:160
	;; [unrolled: 1-line block ×32, first 2 shown]
	v_mov_b32_e32 v2, 0
	ds_read_b128 v[192:195], v2 offset:816
	ds_read_b128 v[204:207], v2 offset:832
	;; [unrolled: 1-line block ×16, first 2 shown]
	v_cmp_lt_u32_e32 vcc, 6, v240
	s_waitcnt vmcnt(31) lgkmcnt(14)
	v_mul_f64 v[104:105], v[192:193], v[186:187]
	s_waitcnt vmcnt(30)
	v_mul_f64 v[106:107], v[204:205], v[190:191]
	v_fmac_f64_e32 v[104:105], v[194:195], v[184:185]
	s_waitcnt vmcnt(29) lgkmcnt(13)
	v_mul_f64 v[112:113], v[216:217], v[198:199]
	v_fmac_f64_e32 v[106:107], v[206:207], v[188:189]
	v_add_f64 v[104:105], v[104:105], 0
	s_waitcnt vmcnt(28) lgkmcnt(12)
	v_mul_f64 v[114:115], v[224:225], v[202:203]
	v_fmac_f64_e32 v[112:113], v[218:219], v[196:197]
	v_add_f64 v[104:105], v[104:105], v[106:107]
	;; [unrolled: 4-line block ×10, first 2 shown]
	ds_read_b128 v[152:155], v2 offset:1072
	ds_read_b128 v[156:159], v2 offset:1088
	s_waitcnt vmcnt(19) lgkmcnt(5)
	v_mul_f64 v[164:165], v[124:125], v[26:27]
	v_fmac_f64_e32 v[162:163], v[134:135], v[20:21]
	v_add_f64 v[104:105], v[104:105], v[160:161]
	s_waitcnt vmcnt(18) lgkmcnt(4)
	v_mul_f64 v[166:167], v[120:121], v[30:31]
	v_fmac_f64_e32 v[164:165], v[126:127], v[24:25]
	v_add_f64 v[104:105], v[104:105], v[162:163]
	;; [unrolled: 4-line block ×4, first 2 shown]
	v_add_f64 v[112:113], v[104:105], v[168:169]
	v_fmac_f64_e32 v[170:171], v[110:111], v[36:37]
	scratch_load_dwordx4 v[104:107], off, off offset:656
	s_waitcnt vmcnt(16) lgkmcnt(1)
	v_mul_f64 v[114:115], v[152:153], v[42:43]
	v_add_f64 v[112:113], v[112:113], v[170:171]
	v_fmac_f64_e32 v[114:115], v[154:155], v[40:41]
	v_add_f64 v[128:129], v[112:113], v[114:115]
	scratch_load_dwordx4 v[112:115], off, off offset:672
	s_waitcnt vmcnt(16) lgkmcnt(0)
	v_mul_f64 v[130:131], v[156:157], v[46:47]
	v_fmac_f64_e32 v[130:131], v[158:159], v[44:45]
	v_add_f64 v[168:169], v[128:129], v[130:131]
	scratch_load_dwordx4 v[128:131], off, off offset:688
	ds_read_b128 v[160:163], v2 offset:1104
	ds_read_b128 v[164:167], v2 offset:1120
	v_mul_f64 v[186:187], v[194:195], v[186:187]
	v_fma_f64 v[250:251], v[192:193], v[184:185], -v[186:187]
	ds_read_b128 v[184:187], v2 offset:1200
	s_waitcnt vmcnt(16) lgkmcnt(2)
	v_mul_f64 v[170:171], v[160:161], v[50:51]
	v_fmac_f64_e32 v[170:171], v[162:163], v[48:49]
	s_waitcnt vmcnt(15) lgkmcnt(1)
	v_mul_f64 v[174:175], v[164:165], v[54:55]
	v_add_f64 v[172:173], v[168:169], v[170:171]
	ds_read_b128 v[168:171], v2 offset:1136
	v_fmac_f64_e32 v[174:175], v[166:167], v[52:53]
	v_add_f64 v[176:177], v[172:173], v[174:175]
	ds_read_b128 v[172:175], v2 offset:1152
	v_mul_f64 v[190:191], v[206:207], v[190:191]
	s_waitcnt vmcnt(14) lgkmcnt(1)
	v_mul_f64 v[178:179], v[168:169], v[58:59]
	v_fmac_f64_e32 v[178:179], v[170:171], v[56:57]
	v_add_f64 v[180:181], v[176:177], v[178:179]
	s_waitcnt vmcnt(13) lgkmcnt(0)
	v_mul_f64 v[182:183], v[172:173], v[62:63]
	ds_read_b128 v[176:179], v2 offset:1168
	v_fmac_f64_e32 v[182:183], v[174:175], v[60:61]
	v_add_f64 v[232:233], v[180:181], v[182:183]
	ds_read_b128 v[180:183], v2 offset:1184
	v_fma_f64 v[252:253], v[204:205], v[188:189], -v[190:191]
	s_waitcnt vmcnt(12) lgkmcnt(1)
	v_mul_f64 v[234:235], v[176:177], v[66:67]
	v_fmac_f64_e32 v[234:235], v[178:179], v[64:65]
	v_add_f64 v[232:233], v[232:233], v[234:235]
	s_waitcnt vmcnt(11) lgkmcnt(0)
	v_mul_f64 v[192:193], v[180:181], v[70:71]
	v_fmac_f64_e32 v[192:193], v[182:183], v[68:69]
	ds_read_b128 v[188:191], v2 offset:1216
	s_waitcnt vmcnt(10)
	v_mul_f64 v[194:195], v[184:185], v[74:75]
	v_add_f64 v[192:193], v[232:233], v[192:193]
	v_fmac_f64_e32 v[194:195], v[186:187], v[72:73]
	v_add_f64 v[204:205], v[192:193], v[194:195]
	ds_read_b128 v[192:195], v2 offset:1232
	v_mul_f64 v[198:199], v[218:219], v[198:199]
	v_fma_f64 v[254:255], v[216:217], v[196:197], -v[198:199]
	ds_read_b128 v[196:199], v2 offset:1248
	s_waitcnt vmcnt(9) lgkmcnt(2)
	v_mul_f64 v[206:207], v[188:189], v[78:79]
	v_fmac_f64_e32 v[206:207], v[190:191], v[76:77]
	v_add_f64 v[204:205], v[204:205], v[206:207]
	s_waitcnt vmcnt(8) lgkmcnt(1)
	v_mul_f64 v[206:207], v[192:193], v[82:83]
	v_fmac_f64_e32 v[206:207], v[194:195], v[80:81]
	v_mul_f64 v[202:203], v[226:227], v[202:203]
	v_add_f64 v[204:205], v[204:205], v[206:207]
	v_fma_f64 v[234:235], v[224:225], v[200:201], -v[202:203]
	ds_read_b128 v[200:203], v2 offset:1264
	s_waitcnt vmcnt(7) lgkmcnt(1)
	v_mul_f64 v[206:207], v[196:197], v[86:87]
	v_fmac_f64_e32 v[206:207], v[198:199], v[84:85]
	v_add_f64 v[216:217], v[204:205], v[206:207]
	ds_read_b128 v[204:207], v2 offset:1280
	v_mul_f64 v[210:211], v[230:231], v[210:211]
	v_fma_f64 v[236:237], v[228:229], v[208:209], -v[210:211]
	ds_read_b128 v[208:211], v2 offset:1296
	s_waitcnt vmcnt(6) lgkmcnt(2)
	v_mul_f64 v[218:219], v[200:201], v[90:91]
	v_fmac_f64_e32 v[218:219], v[202:203], v[88:89]
	v_add_f64 v[216:217], v[216:217], v[218:219]
	s_waitcnt vmcnt(5) lgkmcnt(1)
	v_mul_f64 v[218:219], v[204:205], v[94:95]
	v_fmac_f64_e32 v[218:219], v[206:207], v[92:93]
	v_mul_f64 v[214:215], v[244:245], v[214:215]
	v_fma_f64 v[238:239], v[242:243], v[212:213], -v[214:215]
	ds_read_b128 v[212:215], v2 offset:1312
	v_add_f64 v[216:217], v[216:217], v[218:219]
	s_waitcnt vmcnt(4) lgkmcnt(1)
	v_mul_f64 v[218:219], v[208:209], v[102:103]
	v_fmac_f64_e32 v[218:219], v[210:211], v[100:101]
	v_add_f64 v[224:225], v[216:217], v[218:219]
	ds_read_b128 v[216:219], v2 offset:1328
	v_mul_f64 v[222:223], v[248:249], v[222:223]
	v_fma_f64 v[242:243], v[246:247], v[220:221], -v[222:223]
	ds_read_b128 v[220:223], v2 offset:1344
	s_waitcnt vmcnt(3) lgkmcnt(2)
	v_mul_f64 v[226:227], v[212:213], v[98:99]
	v_fmac_f64_e32 v[226:227], v[214:215], v[96:97]
	v_add_f64 v[224:225], v[224:225], v[226:227]
	s_waitcnt vmcnt(2) lgkmcnt(1)
	v_mul_f64 v[226:227], v[216:217], v[106:107]
	v_fmac_f64_e32 v[226:227], v[218:219], v[104:105]
	v_add_f64 v[224:225], v[224:225], v[226:227]
	;; [unrolled: 4-line block ×3, first 2 shown]
	ds_read_b128 v[224:227], v2 offset:1360
	v_mul_f64 v[6:7], v[150:151], v[6:7]
	v_fma_f64 v[4:5], v[148:149], v[4:5], -v[6:7]
	v_mul_f64 v[6:7], v[146:147], v[10:11]
	v_fma_f64 v[6:7], v[144:145], v[8:9], -v[6:7]
	s_waitcnt vmcnt(0) lgkmcnt(0)
	v_mul_f64 v[230:231], v[224:225], v[130:131]
	v_fmac_f64_e32 v[230:231], v[226:227], v[128:129]
	v_add_f64 v[232:233], v[228:229], v[230:231]
	v_add_f64 v[228:229], v[250:251], 0
	;; [unrolled: 1-line block ×4, first 2 shown]
	scratch_load_dwordx4 v[228:231], off, off offset:128
	v_add_f64 v[234:235], v[244:245], v[234:235]
	v_add_f64 v[234:235], v[234:235], v[236:237]
	;; [unrolled: 1-line block ×6, first 2 shown]
	v_mul_f64 v[6:7], v[142:143], v[14:15]
	v_fma_f64 v[6:7], v[140:141], v[12:13], -v[6:7]
	v_add_f64 v[4:5], v[4:5], v[6:7]
	v_mul_f64 v[6:7], v[138:139], v[18:19]
	v_fma_f64 v[6:7], v[136:137], v[16:17], -v[6:7]
	v_add_f64 v[4:5], v[4:5], v[6:7]
	;; [unrolled: 3-line block ×26, first 2 shown]
	s_waitcnt vmcnt(0)
	v_add_f64 v[4:5], v[228:229], -v[4:5]
	v_add_f64 v[6:7], v[230:231], -v[232:233]
	scratch_store_dwordx4 off, v[4:7], off offset:128
	s_and_saveexec_b64 s[0:1], vcc
	s_cbranch_execz .LBB106_259
; %bb.258:
	scratch_load_dwordx4 v[6:9], off, s53
	v_mov_b32_e32 v3, v2
	v_mov_b32_e32 v4, v2
	;; [unrolled: 1-line block ×3, first 2 shown]
	v_accvgpr_read_b32 v0, a87
	scratch_store_dwordx4 off, v[2:5], off offset:112
	s_waitcnt vmcnt(1)
	ds_write_b128 v0, v[6:9]
.LBB106_259:
	s_or_b64 exec, exec, s[0:1]
	s_waitcnt lgkmcnt(0)
	; wave barrier
	scratch_load_dwordx4 v[140:143], off, off offset:128
	scratch_load_dwordx4 v[144:147], off, off offset:144
	;; [unrolled: 1-line block ×16, first 2 shown]
	ds_read_b128 v[208:211], v2 offset:800
	ds_read_b128 v[200:203], v2 offset:816
	;; [unrolled: 1-line block ×3, first 2 shown]
	scratch_load_dwordx4 v[40:43], off, off offset:384
	ds_read_b128 v[204:207], v2 offset:848
	ds_read_b128 v[192:195], v2 offset:864
	;; [unrolled: 1-line block ×3, first 2 shown]
	scratch_load_dwordx4 v[44:47], off, off offset:400
	ds_read_b128 v[196:199], v2 offset:896
	ds_read_b128 v[64:67], v2 offset:912
	;; [unrolled: 1-line block ×4, first 2 shown]
	scratch_load_dwordx4 v[48:51], off, off offset:416
	ds_read_b128 v[72:75], v2 offset:960
	ds_read_b128 v[68:71], v2 offset:976
	scratch_load_dwordx4 v[56:59], off, off offset:432
	ds_read_b128 v[92:95], v2 offset:992
	ds_read_b128 v[88:91], v2 offset:1008
	;; [unrolled: 1-line block ×4, first 2 shown]
	scratch_load_dwordx4 v[76:79], off, off offset:448
	scratch_load_dwordx4 v[96:99], off, off offset:464
	;; [unrolled: 1-line block ×12, first 2 shown]
	ds_read_b128 v[168:171], v2 offset:1056
	v_accvgpr_write_b32 a86, v240
	v_cmp_lt_u32_e32 vcc, 5, v240
	s_waitcnt vmcnt(31) lgkmcnt(14)
	v_mul_f64 v[172:173], v[208:209], v[142:143]
	s_waitcnt vmcnt(30)
	v_mul_f64 v[174:175], v[200:201], v[146:147]
	v_fmac_f64_e32 v[172:173], v[210:211], v[140:141]
	s_waitcnt vmcnt(29)
	v_mul_f64 v[176:177], v[188:189], v[150:151]
	v_fmac_f64_e32 v[174:175], v[202:203], v[144:145]
	v_add_f64 v[172:173], v[172:173], 0
	s_waitcnt vmcnt(28) lgkmcnt(13)
	v_mul_f64 v[178:179], v[204:205], v[154:155]
	v_fmac_f64_e32 v[176:177], v[190:191], v[148:149]
	v_add_f64 v[172:173], v[172:173], v[174:175]
	s_waitcnt vmcnt(27) lgkmcnt(12)
	;; [unrolled: 4-line block ×10, first 2 shown]
	v_mul_f64 v[224:225], v[92:93], v[26:27]
	v_fmac_f64_e32 v[222:223], v[70:71], v[20:21]
	v_add_f64 v[172:173], v[172:173], v[220:221]
	ds_read_b128 v[212:215], v2 offset:1072
	s_waitcnt vmcnt(18) lgkmcnt(4)
	v_mul_f64 v[226:227], v[88:89], v[30:31]
	v_fmac_f64_e32 v[224:225], v[94:95], v[24:25]
	v_add_f64 v[172:173], v[172:173], v[222:223]
	ds_read_b128 v[216:219], v2 offset:1088
	ds_read_b128 v[220:223], v2 offset:1104
	s_waitcnt vmcnt(17) lgkmcnt(5)
	v_mul_f64 v[228:229], v[84:85], v[34:35]
	v_fmac_f64_e32 v[226:227], v[90:91], v[28:29]
	v_add_f64 v[172:173], v[172:173], v[224:225]
	s_waitcnt vmcnt(16) lgkmcnt(4)
	v_mul_f64 v[230:231], v[80:81], v[38:39]
	v_fmac_f64_e32 v[228:229], v[86:87], v[32:33]
	v_add_f64 v[172:173], v[172:173], v[226:227]
	v_add_f64 v[176:177], v[172:173], v[228:229]
	v_fmac_f64_e32 v[230:231], v[82:83], v[36:37]
	s_waitcnt vmcnt(15) lgkmcnt(3)
	v_mul_f64 v[178:179], v[168:169], v[42:43]
	v_add_f64 v[176:177], v[176:177], v[230:231]
	v_fmac_f64_e32 v[178:179], v[170:171], v[40:41]
	s_waitcnt vmcnt(14) lgkmcnt(2)
	v_mul_f64 v[182:183], v[212:213], v[46:47]
	;; [unrolled: 4-line block ×3, first 2 shown]
	v_add_f64 v[224:225], v[180:181], v[182:183]
	v_fmac_f64_e32 v[226:227], v[218:219], v[48:49]
	v_add_f64 v[228:229], v[224:225], v[226:227]
	ds_read_b128 v[224:227], v2 offset:1120
	s_waitcnt vmcnt(12) lgkmcnt(1)
	v_mul_f64 v[230:231], v[220:221], v[58:59]
	v_fmac_f64_e32 v[230:231], v[222:223], v[56:57]
	v_add_f64 v[232:233], v[228:229], v[230:231]
	ds_read_b128 v[228:231], v2 offset:1136
	s_waitcnt vmcnt(11) lgkmcnt(1)
	v_mul_f64 v[234:235], v[224:225], v[78:79]
	v_fmac_f64_e32 v[234:235], v[226:227], v[76:77]
	v_add_f64 v[236:237], v[232:233], v[234:235]
	ds_read_b128 v[232:235], v2 offset:1152
	s_waitcnt vmcnt(10) lgkmcnt(1)
	v_mul_f64 v[238:239], v[228:229], v[98:99]
	v_fmac_f64_e32 v[238:239], v[230:231], v[96:97]
	v_add_f64 v[242:243], v[236:237], v[238:239]
	ds_read_b128 v[236:239], v2 offset:1168
	s_waitcnt vmcnt(9) lgkmcnt(1)
	v_mul_f64 v[244:245], v[232:233], v[102:103]
	v_fmac_f64_e32 v[244:245], v[234:235], v[100:101]
	v_mul_f64 v[142:143], v[210:211], v[142:143]
	v_add_f64 v[242:243], v[242:243], v[244:245]
	v_fma_f64 v[244:245], v[208:209], v[140:141], -v[142:143]
	ds_read_b128 v[140:143], v2 offset:1184
	s_waitcnt vmcnt(8) lgkmcnt(1)
	v_mul_f64 v[208:209], v[236:237], v[106:107]
	v_fmac_f64_e32 v[208:209], v[238:239], v[104:105]
	v_mul_f64 v[146:147], v[202:203], v[146:147]
	v_add_f64 v[208:209], v[242:243], v[208:209]
	v_fma_f64 v[242:243], v[200:201], v[144:145], -v[146:147]
	ds_read_b128 v[144:147], v2 offset:1200
	s_waitcnt vmcnt(7) lgkmcnt(1)
	v_mul_f64 v[200:201], v[140:141], v[110:111]
	scratch_load_dwordx4 v[172:175], off, off offset:640
	v_fmac_f64_e32 v[200:201], v[142:143], v[108:109]
	v_add_f64 v[208:209], v[208:209], v[200:201]
	ds_read_b128 v[200:203], v2 offset:1216
	v_mul_f64 v[150:151], v[190:191], v[150:151]
	scratch_load_dwordx4 v[176:179], off, off offset:656
	scratch_load_dwordx4 v[180:183], off, off offset:672
	v_fma_f64 v[246:247], v[188:189], v[148:149], -v[150:151]
	ds_read_b128 v[148:151], v2 offset:1232
	s_waitcnt vmcnt(9) lgkmcnt(2)
	v_mul_f64 v[210:211], v[144:145], v[114:115]
	v_fmac_f64_e32 v[210:211], v[146:147], v[112:113]
	s_waitcnt vmcnt(8) lgkmcnt(1)
	v_mul_f64 v[188:189], v[200:201], v[118:119]
	v_add_f64 v[208:209], v[208:209], v[210:211]
	v_fmac_f64_e32 v[188:189], v[202:203], v[116:117]
	v_mul_f64 v[154:155], v[206:207], v[154:155]
	s_waitcnt vmcnt(7) lgkmcnt(0)
	v_mul_f64 v[190:191], v[148:149], v[122:123]
	v_add_f64 v[188:189], v[208:209], v[188:189]
	v_fma_f64 v[248:249], v[204:205], v[152:153], -v[154:155]
	ds_read_b128 v[152:155], v2 offset:1248
	v_fmac_f64_e32 v[190:191], v[150:151], v[120:121]
	v_add_f64 v[204:205], v[188:189], v[190:191]
	ds_read_b128 v[188:191], v2 offset:1264
	v_mul_f64 v[158:159], v[194:195], v[158:159]
	s_waitcnt vmcnt(6) lgkmcnt(1)
	v_mul_f64 v[206:207], v[152:153], v[126:127]
	v_fmac_f64_e32 v[206:207], v[154:155], v[124:125]
	v_fma_f64 v[250:251], v[192:193], v[156:157], -v[158:159]
	s_waitcnt vmcnt(5) lgkmcnt(0)
	v_mul_f64 v[192:193], v[188:189], v[130:131]
	v_add_f64 v[204:205], v[204:205], v[206:207]
	v_fmac_f64_e32 v[192:193], v[190:191], v[128:129]
	v_mul_f64 v[162:163], v[186:187], v[162:163]
	v_fma_f64 v[208:209], v[184:185], v[160:161], -v[162:163]
	v_add_f64 v[184:185], v[204:205], v[192:193]
	scratch_load_dwordx4 v[204:207], off, off offset:688
	v_add_f64 v[244:245], v[244:245], 0
	v_add_f64 v[242:243], v[244:245], v[242:243]
	;; [unrolled: 1-line block ×3, first 2 shown]
	scratch_load_dwordx4 v[244:247], off, off offset:112
	v_add_f64 v[242:243], v[242:243], v[248:249]
	v_mul_f64 v[166:167], v[198:199], v[166:167]
	v_add_f64 v[242:243], v[242:243], v[250:251]
	v_fma_f64 v[210:211], v[196:197], v[164:165], -v[166:167]
	v_add_f64 v[208:209], v[242:243], v[208:209]
	v_mul_f64 v[6:7], v[66:67], v[6:7]
	v_add_f64 v[208:209], v[208:209], v[210:211]
	v_fma_f64 v[4:5], v[64:65], v[4:5], -v[6:7]
	v_mul_f64 v[6:7], v[62:63], v[10:11]
	v_add_f64 v[4:5], v[208:209], v[4:5]
	v_fma_f64 v[6:7], v[60:61], v[8:9], -v[6:7]
	v_add_f64 v[4:5], v[4:5], v[6:7]
	v_mul_f64 v[6:7], v[54:55], v[14:15]
	v_fma_f64 v[6:7], v[52:53], v[12:13], -v[6:7]
	v_add_f64 v[4:5], v[4:5], v[6:7]
	v_mul_f64 v[6:7], v[74:75], v[18:19]
	;; [unrolled: 3-line block ×12, first 2 shown]
	v_fma_f64 v[6:7], v[224:225], v[76:77], -v[6:7]
	ds_read_b128 v[156:159], v2 offset:1280
	ds_read_b128 v[160:163], v2 offset:1296
	v_add_f64 v[4:5], v[4:5], v[6:7]
	v_mul_f64 v[6:7], v[230:231], v[98:99]
	v_fma_f64 v[6:7], v[228:229], v[96:97], -v[6:7]
	v_add_f64 v[4:5], v[4:5], v[6:7]
	v_mul_f64 v[6:7], v[234:235], v[102:103]
	v_fma_f64 v[6:7], v[232:233], v[100:101], -v[6:7]
	v_add_f64 v[4:5], v[4:5], v[6:7]
	v_mul_f64 v[6:7], v[238:239], v[106:107]
	s_waitcnt vmcnt(6) lgkmcnt(1)
	v_mul_f64 v[186:187], v[156:157], v[138:139]
	v_fma_f64 v[6:7], v[236:237], v[104:105], -v[6:7]
	v_fmac_f64_e32 v[186:187], v[158:159], v[136:137]
	v_add_f64 v[4:5], v[4:5], v[6:7]
	v_mul_f64 v[6:7], v[142:143], v[110:111]
	v_add_f64 v[192:193], v[184:185], v[186:187]
	ds_read_b128 v[184:187], v2 offset:1312
	ds_read_b128 v[164:167], v2 offset:1328
	v_fma_f64 v[6:7], v[140:141], v[108:109], -v[6:7]
	v_add_f64 v[4:5], v[4:5], v[6:7]
	v_mul_f64 v[6:7], v[146:147], v[114:115]
	v_fma_f64 v[6:7], v[144:145], v[112:113], -v[6:7]
	s_waitcnt vmcnt(5) lgkmcnt(2)
	v_mul_f64 v[194:195], v[160:161], v[134:135]
	v_add_f64 v[4:5], v[4:5], v[6:7]
	v_mul_f64 v[6:7], v[202:203], v[118:119]
	v_fmac_f64_e32 v[194:195], v[162:163], v[132:133]
	v_fma_f64 v[6:7], v[200:201], v[116:117], -v[6:7]
	v_add_f64 v[192:193], v[192:193], v[194:195]
	s_waitcnt vmcnt(4) lgkmcnt(1)
	v_mul_f64 v[194:195], v[184:185], v[174:175]
	v_add_f64 v[4:5], v[4:5], v[6:7]
	v_mul_f64 v[6:7], v[150:151], v[122:123]
	v_fmac_f64_e32 v[194:195], v[186:187], v[172:173]
	v_fma_f64 v[6:7], v[148:149], v[120:121], -v[6:7]
	v_add_f64 v[192:193], v[192:193], v[194:195]
	s_waitcnt vmcnt(3) lgkmcnt(0)
	v_mul_f64 v[194:195], v[164:165], v[178:179]
	v_add_f64 v[4:5], v[4:5], v[6:7]
	v_mul_f64 v[6:7], v[154:155], v[126:127]
	v_fmac_f64_e32 v[194:195], v[166:167], v[176:177]
	v_fma_f64 v[6:7], v[152:153], v[124:125], -v[6:7]
	v_add_f64 v[196:197], v[192:193], v[194:195]
	ds_read_b128 v[192:195], v2 offset:1344
	v_add_f64 v[4:5], v[4:5], v[6:7]
	v_mul_f64 v[6:7], v[190:191], v[130:131]
	v_fma_f64 v[6:7], v[188:189], v[128:129], -v[6:7]
	v_add_f64 v[4:5], v[4:5], v[6:7]
	v_mul_f64 v[6:7], v[158:159], v[138:139]
	v_fma_f64 v[6:7], v[156:157], v[136:137], -v[6:7]
	v_add_f64 v[4:5], v[4:5], v[6:7]
	v_mul_f64 v[6:7], v[162:163], v[134:135]
	s_waitcnt vmcnt(2) lgkmcnt(0)
	v_mul_f64 v[198:199], v[192:193], v[182:183]
	v_fma_f64 v[6:7], v[160:161], v[132:133], -v[6:7]
	v_fmac_f64_e32 v[198:199], v[194:195], v[180:181]
	v_add_f64 v[4:5], v[4:5], v[6:7]
	v_mul_f64 v[6:7], v[186:187], v[174:175]
	v_add_f64 v[252:253], v[196:197], v[198:199]
	ds_read_b128 v[196:199], v2 offset:1360
	v_fma_f64 v[6:7], v[184:185], v[172:173], -v[6:7]
	v_add_f64 v[4:5], v[4:5], v[6:7]
	v_mul_f64 v[6:7], v[166:167], v[178:179]
	v_fma_f64 v[6:7], v[164:165], v[176:177], -v[6:7]
	v_add_f64 v[4:5], v[4:5], v[6:7]
	v_mul_f64 v[6:7], v[194:195], v[182:183]
	v_fma_f64 v[6:7], v[192:193], v[180:181], -v[6:7]
	s_waitcnt vmcnt(1) lgkmcnt(0)
	v_mul_f64 v[2:3], v[196:197], v[206:207]
	v_add_f64 v[4:5], v[4:5], v[6:7]
	v_mul_f64 v[6:7], v[198:199], v[206:207]
	v_fmac_f64_e32 v[2:3], v[198:199], v[204:205]
	v_fma_f64 v[6:7], v[196:197], v[204:205], -v[6:7]
	v_add_f64 v[2:3], v[252:253], v[2:3]
	v_add_f64 v[4:5], v[4:5], v[6:7]
	s_waitcnt vmcnt(0)
	v_add_f64 v[4:5], v[244:245], -v[4:5]
	v_add_f64 v[6:7], v[246:247], -v[2:3]
	scratch_store_dwordx4 off, v[4:7], off offset:112
	s_and_saveexec_b64 s[0:1], vcc
	s_cbranch_execz .LBB106_261
; %bb.260:
	scratch_load_dwordx4 v[2:5], off, s54
	v_mov_b32_e32 v6, 0
	v_mov_b32_e32 v7, v6
	;; [unrolled: 1-line block ×4, first 2 shown]
	v_accvgpr_read_b32 v0, a87
	scratch_store_dwordx4 off, v[6:9], off offset:96
	s_waitcnt vmcnt(1)
	ds_write_b128 v0, v[2:5]
.LBB106_261:
	s_or_b64 exec, exec, s[0:1]
	s_waitcnt lgkmcnt(0)
	; wave barrier
	scratch_load_dwordx4 v[168:171], off, off offset:112
	scratch_load_dwordx4 v[172:175], off, off offset:128
	;; [unrolled: 1-line block ×32, first 2 shown]
	v_mov_b32_e32 v2, 0
	ds_read_b128 v[176:179], v2 offset:784
	ds_read_b128 v[188:191], v2 offset:800
	;; [unrolled: 1-line block ×17, first 2 shown]
	v_accvgpr_read_b32 v0, a86
	v_cmp_lt_u32_e32 vcc, 4, v0
	s_waitcnt vmcnt(31) lgkmcnt(14)
	v_mul_f64 v[104:105], v[176:177], v[170:171]
	s_waitcnt vmcnt(30)
	v_mul_f64 v[106:107], v[188:189], v[174:175]
	v_fmac_f64_e32 v[104:105], v[178:179], v[168:169]
	s_waitcnt vmcnt(29)
	v_mul_f64 v[108:109], v[200:201], v[182:183]
	v_fmac_f64_e32 v[106:107], v[190:191], v[172:173]
	v_add_f64 v[104:105], v[104:105], 0
	s_waitcnt vmcnt(28) lgkmcnt(13)
	v_mul_f64 v[110:111], v[212:213], v[186:187]
	v_fmac_f64_e32 v[108:109], v[202:203], v[180:181]
	v_add_f64 v[104:105], v[104:105], v[106:107]
	s_waitcnt vmcnt(27) lgkmcnt(12)
	v_mul_f64 v[120:121], v[220:221], v[194:195]
	v_fmac_f64_e32 v[110:111], v[214:215], v[184:185]
	v_add_f64 v[104:105], v[104:105], v[108:109]
	s_waitcnt vmcnt(26) lgkmcnt(11)
	v_mul_f64 v[122:123], v[224:225], v[198:199]
	v_fmac_f64_e32 v[120:121], v[222:223], v[192:193]
	v_add_f64 v[104:105], v[104:105], v[110:111]
	s_waitcnt vmcnt(25) lgkmcnt(10)
	v_mul_f64 v[132:133], v[228:229], v[206:207]
	v_fmac_f64_e32 v[122:123], v[226:227], v[196:197]
	v_add_f64 v[104:105], v[104:105], v[120:121]
	s_waitcnt vmcnt(24) lgkmcnt(9)
	v_mul_f64 v[134:135], v[242:243], v[210:211]
	v_fmac_f64_e32 v[132:133], v[230:231], v[204:205]
	v_add_f64 v[104:105], v[104:105], v[122:123]
	s_waitcnt vmcnt(23) lgkmcnt(8)
	v_mul_f64 v[144:145], v[246:247], v[218:219]
	v_fmac_f64_e32 v[134:135], v[244:245], v[208:209]
	v_add_f64 v[104:105], v[104:105], v[132:133]
	s_waitcnt vmcnt(22) lgkmcnt(7)
	v_mul_f64 v[146:147], v[140:141], v[6:7]
	v_fmac_f64_e32 v[144:145], v[248:249], v[216:217]
	v_add_f64 v[104:105], v[104:105], v[134:135]
	s_waitcnt vmcnt(21) lgkmcnt(6)
	v_mul_f64 v[148:149], v[136:137], v[10:11]
	v_fmac_f64_e32 v[146:147], v[142:143], v[4:5]
	v_add_f64 v[104:105], v[104:105], v[144:145]
	s_waitcnt vmcnt(20) lgkmcnt(5)
	v_mul_f64 v[150:151], v[128:129], v[14:15]
	v_fmac_f64_e32 v[148:149], v[138:139], v[8:9]
	v_add_f64 v[104:105], v[104:105], v[146:147]
	s_waitcnt vmcnt(19) lgkmcnt(4)
	v_mul_f64 v[152:153], v[124:125], v[18:19]
	v_fmac_f64_e32 v[150:151], v[130:131], v[12:13]
	v_add_f64 v[104:105], v[104:105], v[148:149]
	s_waitcnt vmcnt(18) lgkmcnt(3)
	v_mul_f64 v[154:155], v[116:117], v[22:23]
	v_fmac_f64_e32 v[152:153], v[126:127], v[16:17]
	v_add_f64 v[104:105], v[104:105], v[150:151]
	s_waitcnt vmcnt(17) lgkmcnt(2)
	v_mul_f64 v[156:157], v[112:113], v[26:27]
	v_fmac_f64_e32 v[154:155], v[118:119], v[20:21]
	v_add_f64 v[104:105], v[104:105], v[152:153]
	v_fmac_f64_e32 v[156:157], v[114:115], v[24:25]
	v_add_f64 v[104:105], v[104:105], v[154:155]
	s_waitcnt vmcnt(16) lgkmcnt(1)
	v_mul_f64 v[106:107], v[100:101], v[30:31]
	v_add_f64 v[104:105], v[104:105], v[156:157]
	v_fmac_f64_e32 v[106:107], v[102:103], v[28:29]
	v_add_f64 v[108:109], v[104:105], v[106:107]
	ds_read_b128 v[144:147], v2 offset:1056
	ds_read_b128 v[148:151], v2 offset:1072
	scratch_load_dwordx4 v[104:107], off, off offset:624
	s_waitcnt vmcnt(16) lgkmcnt(2)
	v_mul_f64 v[110:111], v[96:97], v[34:35]
	v_fmac_f64_e32 v[110:111], v[98:99], v[32:33]
	v_add_f64 v[120:121], v[108:109], v[110:111]
	scratch_load_dwordx4 v[108:111], off, off offset:640
	s_waitcnt vmcnt(16) lgkmcnt(1)
	v_mul_f64 v[122:123], v[144:145], v[38:39]
	v_fmac_f64_e32 v[122:123], v[146:147], v[36:37]
	v_add_f64 v[132:133], v[120:121], v[122:123]
	s_waitcnt vmcnt(15) lgkmcnt(0)
	v_mul_f64 v[134:135], v[148:149], v[42:43]
	scratch_load_dwordx4 v[120:123], off, off offset:656
	v_fmac_f64_e32 v[134:135], v[150:151], v[40:41]
	v_add_f64 v[160:161], v[132:133], v[134:135]
	scratch_load_dwordx4 v[132:135], off, off offset:672
	ds_read_b128 v[152:155], v2 offset:1088
	ds_read_b128 v[156:159], v2 offset:1104
	v_mul_f64 v[170:171], v[178:179], v[170:171]
	v_fma_f64 v[250:251], v[176:177], v[168:169], -v[170:171]
	ds_read_b128 v[168:171], v2 offset:1152
	s_waitcnt vmcnt(16) lgkmcnt(2)
	v_mul_f64 v[162:163], v[152:153], v[46:47]
	v_fmac_f64_e32 v[162:163], v[154:155], v[44:45]
	s_waitcnt vmcnt(15) lgkmcnt(1)
	v_mul_f64 v[166:167], v[156:157], v[50:51]
	v_add_f64 v[164:165], v[160:161], v[162:163]
	ds_read_b128 v[160:163], v2 offset:1120
	v_fmac_f64_e32 v[166:167], v[158:159], v[48:49]
	v_add_f64 v[232:233], v[164:165], v[166:167]
	ds_read_b128 v[164:167], v2 offset:1136
	v_mul_f64 v[174:175], v[190:191], v[174:175]
	s_waitcnt vmcnt(14) lgkmcnt(1)
	v_mul_f64 v[234:235], v[160:161], v[54:55]
	v_fmac_f64_e32 v[234:235], v[162:163], v[52:53]
	v_add_f64 v[232:233], v[232:233], v[234:235]
	s_waitcnt vmcnt(13) lgkmcnt(0)
	v_mul_f64 v[176:177], v[164:165], v[58:59]
	v_fmac_f64_e32 v[176:177], v[166:167], v[56:57]
	v_fma_f64 v[252:253], v[188:189], v[172:173], -v[174:175]
	ds_read_b128 v[172:175], v2 offset:1168
	s_waitcnt vmcnt(12)
	v_mul_f64 v[178:179], v[168:169], v[62:63]
	v_add_f64 v[176:177], v[232:233], v[176:177]
	v_fmac_f64_e32 v[178:179], v[170:171], v[60:61]
	v_add_f64 v[188:189], v[176:177], v[178:179]
	ds_read_b128 v[176:179], v2 offset:1184
	v_mul_f64 v[182:183], v[202:203], v[182:183]
	v_fma_f64 v[254:255], v[200:201], v[180:181], -v[182:183]
	ds_read_b128 v[180:183], v2 offset:1200
	s_waitcnt vmcnt(11) lgkmcnt(2)
	v_mul_f64 v[190:191], v[172:173], v[66:67]
	v_fmac_f64_e32 v[190:191], v[174:175], v[64:65]
	v_add_f64 v[188:189], v[188:189], v[190:191]
	s_waitcnt vmcnt(10) lgkmcnt(1)
	v_mul_f64 v[190:191], v[176:177], v[70:71]
	v_fmac_f64_e32 v[190:191], v[178:179], v[68:69]
	v_mul_f64 v[186:187], v[214:215], v[186:187]
	v_fma_f64 v[240:241], v[212:213], v[184:185], -v[186:187]
	ds_read_b128 v[184:187], v2 offset:1216
	v_add_f64 v[188:189], v[188:189], v[190:191]
	s_waitcnt vmcnt(9) lgkmcnt(1)
	v_mul_f64 v[190:191], v[180:181], v[74:75]
	v_fmac_f64_e32 v[190:191], v[182:183], v[72:73]
	v_add_f64 v[200:201], v[188:189], v[190:191]
	ds_read_b128 v[188:191], v2 offset:1232
	v_mul_f64 v[194:195], v[222:223], v[194:195]
	v_fma_f64 v[232:233], v[220:221], v[192:193], -v[194:195]
	ds_read_b128 v[192:195], v2 offset:1248
	s_waitcnt vmcnt(8) lgkmcnt(2)
	v_mul_f64 v[202:203], v[184:185], v[78:79]
	v_fmac_f64_e32 v[202:203], v[186:187], v[76:77]
	v_add_f64 v[200:201], v[200:201], v[202:203]
	s_waitcnt vmcnt(7) lgkmcnt(1)
	v_mul_f64 v[202:203], v[188:189], v[82:83]
	v_fmac_f64_e32 v[202:203], v[190:191], v[80:81]
	v_mul_f64 v[198:199], v[226:227], v[198:199]
	v_add_f64 v[200:201], v[200:201], v[202:203]
	v_fma_f64 v[234:235], v[224:225], v[196:197], -v[198:199]
	ds_read_b128 v[196:199], v2 offset:1264
	s_waitcnt vmcnt(6) lgkmcnt(1)
	v_mul_f64 v[202:203], v[192:193], v[86:87]
	v_fmac_f64_e32 v[202:203], v[194:195], v[84:85]
	v_add_f64 v[212:213], v[200:201], v[202:203]
	ds_read_b128 v[200:203], v2 offset:1280
	v_mul_f64 v[206:207], v[230:231], v[206:207]
	v_fma_f64 v[236:237], v[228:229], v[204:205], -v[206:207]
	ds_read_b128 v[204:207], v2 offset:1296
	s_waitcnt vmcnt(5) lgkmcnt(2)
	v_mul_f64 v[214:215], v[196:197], v[94:95]
	v_fmac_f64_e32 v[214:215], v[198:199], v[92:93]
	v_add_f64 v[212:213], v[212:213], v[214:215]
	s_waitcnt vmcnt(4) lgkmcnt(1)
	v_mul_f64 v[214:215], v[200:201], v[90:91]
	v_fmac_f64_e32 v[214:215], v[202:203], v[88:89]
	v_mul_f64 v[210:211], v[244:245], v[210:211]
	v_fma_f64 v[238:239], v[242:243], v[208:209], -v[210:211]
	ds_read_b128 v[208:211], v2 offset:1312
	v_add_f64 v[212:213], v[212:213], v[214:215]
	s_waitcnt vmcnt(3) lgkmcnt(1)
	v_mul_f64 v[214:215], v[204:205], v[106:107]
	v_fmac_f64_e32 v[214:215], v[206:207], v[104:105]
	v_add_f64 v[220:221], v[212:213], v[214:215]
	ds_read_b128 v[212:215], v2 offset:1328
	v_mul_f64 v[218:219], v[248:249], v[218:219]
	v_fma_f64 v[242:243], v[246:247], v[216:217], -v[218:219]
	ds_read_b128 v[216:219], v2 offset:1344
	ds_read_b128 v[224:227], v2 offset:1360
	s_waitcnt vmcnt(2) lgkmcnt(3)
	v_mul_f64 v[222:223], v[208:209], v[110:111]
	v_fmac_f64_e32 v[222:223], v[210:211], v[108:109]
	v_add_f64 v[220:221], v[220:221], v[222:223]
	s_waitcnt vmcnt(1) lgkmcnt(2)
	v_mul_f64 v[222:223], v[212:213], v[122:123]
	v_fmac_f64_e32 v[222:223], v[214:215], v[120:121]
	v_add_f64 v[220:221], v[220:221], v[222:223]
	;; [unrolled: 4-line block ×3, first 2 shown]
	scratch_load_dwordx4 v[220:223], off, off offset:688
	v_mul_f64 v[6:7], v[142:143], v[6:7]
	v_fma_f64 v[4:5], v[140:141], v[4:5], -v[6:7]
	v_mul_f64 v[6:7], v[138:139], v[10:11]
	v_fma_f64 v[6:7], v[136:137], v[8:9], -v[6:7]
	s_waitcnt vmcnt(0) lgkmcnt(0)
	v_mul_f64 v[230:231], v[224:225], v[222:223]
	v_fmac_f64_e32 v[230:231], v[226:227], v[220:221]
	v_add_f64 v[246:247], v[228:229], v[230:231]
	v_add_f64 v[228:229], v[250:251], 0
	;; [unrolled: 1-line block ×6, first 2 shown]
	scratch_load_dwordx4 v[228:231], off, off offset:96
	v_add_f64 v[232:233], v[244:245], v[234:235]
	v_add_f64 v[232:233], v[232:233], v[236:237]
	;; [unrolled: 1-line block ×6, first 2 shown]
	v_mul_f64 v[6:7], v[130:131], v[14:15]
	v_fma_f64 v[6:7], v[128:129], v[12:13], -v[6:7]
	v_add_f64 v[4:5], v[4:5], v[6:7]
	v_mul_f64 v[6:7], v[126:127], v[18:19]
	v_fma_f64 v[6:7], v[124:125], v[16:17], -v[6:7]
	v_add_f64 v[4:5], v[4:5], v[6:7]
	;; [unrolled: 3-line block ×26, first 2 shown]
	s_waitcnt vmcnt(0)
	v_add_f64 v[4:5], v[228:229], -v[4:5]
	v_add_f64 v[6:7], v[230:231], -v[246:247]
	scratch_store_dwordx4 off, v[4:7], off offset:96
	s_and_saveexec_b64 s[0:1], vcc
	s_cbranch_execz .LBB106_263
; %bb.262:
	scratch_load_dwordx4 v[6:9], off, s55
	v_mov_b32_e32 v3, v2
	v_mov_b32_e32 v4, v2
	;; [unrolled: 1-line block ×3, first 2 shown]
	v_accvgpr_read_b32 v0, a87
	scratch_store_dwordx4 off, v[2:5], off offset:80
	s_waitcnt vmcnt(1)
	ds_write_b128 v0, v[6:9]
.LBB106_263:
	s_or_b64 exec, exec, s[0:1]
	s_waitcnt lgkmcnt(0)
	; wave barrier
	scratch_load_dwordx4 v[168:171], off, off offset:96
	scratch_load_dwordx4 v[172:175], off, off offset:112
	;; [unrolled: 1-line block ×16, first 2 shown]
	ds_read_b128 v[232:235], v2 offset:768
	ds_read_b128 v[176:179], v2 offset:784
	scratch_load_dwordx4 v[32:35], off, off offset:352
	ds_read_b128 v[236:239], v2 offset:800
	ds_read_b128 v[188:191], v2 offset:816
	;; [unrolled: 1-line block ×5, first 2 shown]
	scratch_load_dwordx4 v[36:39], off, off offset:368
	ds_read_b128 v[224:227], v2 offset:880
	ds_read_b128 v[220:223], v2 offset:896
	;; [unrolled: 1-line block ×3, first 2 shown]
	scratch_load_dwordx4 v[40:43], off, off offset:384
	ds_read_b128 v[64:67], v2 offset:928
	ds_read_b128 v[60:63], v2 offset:944
	;; [unrolled: 1-line block ×4, first 2 shown]
	scratch_load_dwordx4 v[48:51], off, off offset:400
	ds_read_b128 v[80:83], v2 offset:992
	ds_read_b128 v[72:75], v2 offset:1008
	ds_read_b128 v[68:71], v2 offset:1024
	scratch_load_dwordx4 v[76:79], off, off offset:416
	scratch_load_dwordx4 v[84:87], off, off offset:432
	;; [unrolled: 1-line block ×12, first 2 shown]
	v_accvgpr_read_b32 v0, a86
	v_cmp_lt_u32_e32 vcc, 3, v0
	s_waitcnt vmcnt(31) lgkmcnt(14)
	v_mul_f64 v[128:129], v[232:233], v[170:171]
	s_waitcnt vmcnt(30)
	v_mul_f64 v[130:131], v[176:177], v[174:175]
	v_fmac_f64_e32 v[128:129], v[234:235], v[168:169]
	s_waitcnt vmcnt(29)
	v_mul_f64 v[132:133], v[236:237], v[182:183]
	v_fmac_f64_e32 v[130:131], v[178:179], v[172:173]
	v_add_f64 v[128:129], v[128:129], 0
	s_waitcnt vmcnt(28) lgkmcnt(13)
	v_mul_f64 v[134:135], v[188:189], v[186:187]
	v_fmac_f64_e32 v[132:133], v[238:239], v[180:181]
	v_add_f64 v[128:129], v[128:129], v[130:131]
	s_waitcnt vmcnt(27) lgkmcnt(12)
	;; [unrolled: 4-line block ×13, first 2 shown]
	v_mul_f64 v[158:159], v[72:73], v[30:31]
	v_fmac_f64_e32 v[156:157], v[82:83], v[24:25]
	v_add_f64 v[128:129], v[128:129], v[154:155]
	v_add_f64 v[128:129], v[128:129], v[156:157]
	v_fmac_f64_e32 v[158:159], v[74:75], v[28:29]
	v_add_f64 v[132:133], v[128:129], v[158:159]
	ds_read_b128 v[144:147], v2 offset:1040
	ds_read_b128 v[148:151], v2 offset:1056
	scratch_load_dwordx4 v[128:131], off, off offset:608
	s_waitcnt vmcnt(16) lgkmcnt(2)
	v_mul_f64 v[134:135], v[68:69], v[34:35]
	v_fmac_f64_e32 v[134:135], v[70:71], v[32:33]
	s_waitcnt vmcnt(15) lgkmcnt(1)
	v_mul_f64 v[138:139], v[144:145], v[38:39]
	v_add_f64 v[136:137], v[132:133], v[134:135]
	scratch_load_dwordx4 v[132:135], off, off offset:624
	v_fmac_f64_e32 v[138:139], v[146:147], v[36:37]
	v_add_f64 v[140:141], v[136:137], v[138:139]
	s_waitcnt vmcnt(15) lgkmcnt(0)
	v_mul_f64 v[142:143], v[148:149], v[42:43]
	scratch_load_dwordx4 v[136:139], off, off offset:640
	v_fmac_f64_e32 v[142:143], v[150:151], v[40:41]
	v_add_f64 v[160:161], v[140:141], v[142:143]
	scratch_load_dwordx4 v[140:143], off, off offset:656
	ds_read_b128 v[152:155], v2 offset:1072
	ds_read_b128 v[156:159], v2 offset:1088
	v_mul_f64 v[170:171], v[234:235], v[170:171]
	v_fma_f64 v[246:247], v[232:233], v[168:169], -v[170:171]
	ds_read_b128 v[168:171], v2 offset:1136
	s_waitcnt vmcnt(16) lgkmcnt(2)
	v_mul_f64 v[162:163], v[152:153], v[50:51]
	v_fmac_f64_e32 v[162:163], v[154:155], v[48:49]
	s_waitcnt vmcnt(15) lgkmcnt(1)
	v_mul_f64 v[166:167], v[156:157], v[78:79]
	v_add_f64 v[164:165], v[160:161], v[162:163]
	ds_read_b128 v[160:163], v2 offset:1104
	v_fmac_f64_e32 v[166:167], v[158:159], v[76:77]
	v_add_f64 v[240:241], v[164:165], v[166:167]
	ds_read_b128 v[164:167], v2 offset:1120
	v_mul_f64 v[174:175], v[178:179], v[174:175]
	s_waitcnt vmcnt(14) lgkmcnt(1)
	v_mul_f64 v[242:243], v[160:161], v[86:87]
	v_fmac_f64_e32 v[242:243], v[162:163], v[84:85]
	v_add_f64 v[240:241], v[240:241], v[242:243]
	s_waitcnt vmcnt(13) lgkmcnt(0)
	v_mul_f64 v[232:233], v[164:165], v[90:91]
	v_fmac_f64_e32 v[232:233], v[166:167], v[88:89]
	v_add_f64 v[232:233], v[240:241], v[232:233]
	v_fma_f64 v[240:241], v[176:177], v[172:173], -v[174:175]
	ds_read_b128 v[172:175], v2 offset:1152
	s_waitcnt vmcnt(12)
	v_mul_f64 v[176:177], v[168:169], v[94:95]
	v_fmac_f64_e32 v[176:177], v[170:171], v[92:93]
	v_add_f64 v[232:233], v[232:233], v[176:177]
	ds_read_b128 v[176:179], v2 offset:1168
	v_mul_f64 v[182:183], v[238:239], v[182:183]
	v_fma_f64 v[236:237], v[236:237], v[180:181], -v[182:183]
	ds_read_b128 v[180:183], v2 offset:1184
	s_waitcnt vmcnt(11) lgkmcnt(2)
	v_mul_f64 v[234:235], v[172:173], v[98:99]
	v_fmac_f64_e32 v[234:235], v[174:175], v[96:97]
	v_add_f64 v[232:233], v[232:233], v[234:235]
	s_waitcnt vmcnt(10) lgkmcnt(1)
	v_mul_f64 v[234:235], v[176:177], v[102:103]
	v_fmac_f64_e32 v[234:235], v[178:179], v[100:101]
	v_mul_f64 v[186:187], v[190:191], v[186:187]
	s_waitcnt vmcnt(9) lgkmcnt(0)
	v_mul_f64 v[190:191], v[180:181], v[106:107]
	v_fma_f64 v[238:239], v[188:189], v[184:185], -v[186:187]
	ds_read_b128 v[184:187], v2 offset:1200
	v_add_f64 v[188:189], v[232:233], v[234:235]
	v_fmac_f64_e32 v[190:191], v[182:183], v[104:105]
	v_add_f64 v[232:233], v[188:189], v[190:191]
	ds_read_b128 v[188:191], v2 offset:1216
	v_mul_f64 v[194:195], v[230:231], v[194:195]
	v_fma_f64 v[248:249], v[228:229], v[192:193], -v[194:195]
	ds_read_b128 v[192:195], v2 offset:1232
	s_waitcnt vmcnt(8) lgkmcnt(2)
	v_mul_f64 v[234:235], v[184:185], v[110:111]
	v_fmac_f64_e32 v[234:235], v[186:187], v[108:109]
	s_waitcnt vmcnt(7) lgkmcnt(1)
	v_mul_f64 v[228:229], v[188:189], v[114:115]
	v_mul_f64 v[198:199], v[202:203], v[198:199]
	v_add_f64 v[232:233], v[232:233], v[234:235]
	v_fmac_f64_e32 v[228:229], v[190:191], v[112:113]
	v_fma_f64 v[250:251], v[200:201], v[196:197], -v[198:199]
	ds_read_b128 v[196:199], v2 offset:1248
	s_waitcnt vmcnt(6) lgkmcnt(1)
	v_mul_f64 v[200:201], v[192:193], v[118:119]
	v_add_f64 v[228:229], v[232:233], v[228:229]
	v_fmac_f64_e32 v[200:201], v[194:195], v[116:117]
	v_add_f64 v[228:229], v[228:229], v[200:201]
	ds_read_b128 v[200:203], v2 offset:1264
	v_mul_f64 v[206:207], v[214:215], v[206:207]
	v_add_f64 v[246:247], v[246:247], 0
	v_fma_f64 v[252:253], v[212:213], v[204:205], -v[206:207]
	ds_read_b128 v[204:207], v2 offset:1280
	v_add_f64 v[240:241], v[246:247], v[240:241]
	v_add_f64 v[236:237], v[240:241], v[236:237]
	;; [unrolled: 1-line block ×3, first 2 shown]
	s_waitcnt vmcnt(5) lgkmcnt(2)
	v_mul_f64 v[230:231], v[196:197], v[126:127]
	v_add_f64 v[236:237], v[236:237], v[248:249]
	v_fmac_f64_e32 v[230:231], v[198:199], v[124:125]
	s_waitcnt vmcnt(4) lgkmcnt(1)
	v_mul_f64 v[212:213], v[200:201], v[122:123]
	v_add_f64 v[236:237], v[236:237], v[250:251]
	v_add_f64 v[228:229], v[228:229], v[230:231]
	v_fmac_f64_e32 v[212:213], v[202:203], v[120:121]
	v_mul_f64 v[210:211], v[226:227], v[210:211]
	v_add_f64 v[246:247], v[236:237], v[252:253]
	scratch_load_dwordx4 v[236:239], off, off offset:80
	s_waitcnt vmcnt(4) lgkmcnt(0)
	v_mul_f64 v[214:215], v[204:205], v[130:131]
	v_fma_f64 v[242:243], v[224:225], v[208:209], -v[210:211]
	ds_read_b128 v[208:211], v2 offset:1296
	v_add_f64 v[212:213], v[228:229], v[212:213]
	v_fmac_f64_e32 v[214:215], v[206:207], v[128:129]
	v_add_f64 v[224:225], v[212:213], v[214:215]
	ds_read_b128 v[212:215], v2 offset:1312
	v_mul_f64 v[218:219], v[222:223], v[218:219]
	v_fma_f64 v[244:245], v[220:221], v[216:217], -v[218:219]
	ds_read_b128 v[216:219], v2 offset:1328
	s_waitcnt vmcnt(3) lgkmcnt(2)
	v_mul_f64 v[220:221], v[208:209], v[134:135]
	v_fmac_f64_e32 v[220:221], v[210:211], v[132:133]
	s_waitcnt vmcnt(2) lgkmcnt(1)
	v_mul_f64 v[222:223], v[212:213], v[138:139]
	v_add_f64 v[220:221], v[224:225], v[220:221]
	v_fmac_f64_e32 v[222:223], v[214:215], v[136:137]
	v_add_f64 v[220:221], v[220:221], v[222:223]
	ds_read_b128 v[224:227], v2 offset:1344
	scratch_load_dwordx4 v[232:235], off, off offset:688
	s_waitcnt vmcnt(2) lgkmcnt(1)
	v_mul_f64 v[222:223], v[216:217], v[142:143]
	v_fmac_f64_e32 v[222:223], v[218:219], v[140:141]
	v_add_f64 v[228:229], v[220:221], v[222:223]
	scratch_load_dwordx4 v[220:223], off, off offset:672
	v_add_f64 v[240:241], v[246:247], v[242:243]
	v_mul_f64 v[6:7], v[46:47], v[6:7]
	v_add_f64 v[240:241], v[240:241], v[244:245]
	v_fma_f64 v[4:5], v[44:45], v[4:5], -v[6:7]
	v_mul_f64 v[6:7], v[66:67], v[10:11]
	v_add_f64 v[4:5], v[240:241], v[4:5]
	v_fma_f64 v[6:7], v[64:65], v[8:9], -v[6:7]
	v_add_f64 v[4:5], v[4:5], v[6:7]
	v_mul_f64 v[6:7], v[62:63], v[14:15]
	v_fma_f64 v[6:7], v[60:61], v[12:13], -v[6:7]
	v_add_f64 v[4:5], v[4:5], v[6:7]
	v_mul_f64 v[6:7], v[58:59], v[18:19]
	;; [unrolled: 3-line block ×24, first 2 shown]
	v_fma_f64 v[6:7], v[212:213], v[136:137], -v[6:7]
	s_waitcnt vmcnt(0) lgkmcnt(0)
	v_mul_f64 v[230:231], v[224:225], v[222:223]
	v_fmac_f64_e32 v[230:231], v[226:227], v[220:221]
	v_add_f64 v[254:255], v[228:229], v[230:231]
	ds_read_b128 v[228:231], v2 offset:1360
	v_add_f64 v[4:5], v[4:5], v[6:7]
	v_mul_f64 v[6:7], v[218:219], v[142:143]
	v_fma_f64 v[6:7], v[216:217], v[140:141], -v[6:7]
	v_add_f64 v[4:5], v[4:5], v[6:7]
	v_mul_f64 v[6:7], v[226:227], v[222:223]
	v_fma_f64 v[6:7], v[224:225], v[220:221], -v[6:7]
	s_waitcnt lgkmcnt(0)
	v_mul_f64 v[2:3], v[228:229], v[234:235]
	v_add_f64 v[4:5], v[4:5], v[6:7]
	v_mul_f64 v[6:7], v[230:231], v[234:235]
	v_fmac_f64_e32 v[2:3], v[230:231], v[232:233]
	v_fma_f64 v[6:7], v[228:229], v[232:233], -v[6:7]
	v_add_f64 v[2:3], v[254:255], v[2:3]
	v_add_f64 v[4:5], v[4:5], v[6:7]
	v_add_f64 v[4:5], v[236:237], -v[4:5]
	v_add_f64 v[6:7], v[238:239], -v[2:3]
	scratch_store_dwordx4 off, v[4:7], off offset:80
	s_and_saveexec_b64 s[0:1], vcc
	s_cbranch_execz .LBB106_265
; %bb.264:
	scratch_load_dwordx4 v[2:5], off, s56
	v_mov_b32_e32 v6, 0
	v_mov_b32_e32 v7, v6
	;; [unrolled: 1-line block ×4, first 2 shown]
	v_accvgpr_read_b32 v0, a87
	scratch_store_dwordx4 off, v[6:9], off offset:64
	s_waitcnt vmcnt(1)
	ds_write_b128 v0, v[2:5]
.LBB106_265:
	s_or_b64 exec, exec, s[0:1]
	s_waitcnt lgkmcnt(0)
	; wave barrier
	scratch_load_dwordx4 v[80:83], off, off offset:80
	scratch_load_dwordx4 v[84:87], off, off offset:96
	;; [unrolled: 1-line block ×31, first 2 shown]
	v_mov_b32_e32 v2, 0
	ds_read_b128 v[196:199], v2 offset:752
	ds_read_b128 v[200:203], v2 offset:768
	;; [unrolled: 1-line block ×20, first 2 shown]
	s_waitcnt vmcnt(30) lgkmcnt(14)
	v_mul_f64 v[140:141], v[196:197], v[82:83]
	s_waitcnt vmcnt(29)
	v_mul_f64 v[142:143], v[200:201], v[86:87]
	v_fmac_f64_e32 v[140:141], v[198:199], v[80:81]
	s_waitcnt vmcnt(28)
	v_mul_f64 v[152:153], v[204:205], v[90:91]
	v_fmac_f64_e32 v[142:143], v[202:203], v[84:85]
	v_add_f64 v[140:141], v[140:141], 0
	s_waitcnt vmcnt(27)
	v_mul_f64 v[154:155], v[208:209], v[94:95]
	v_fmac_f64_e32 v[152:153], v[206:207], v[88:89]
	v_add_f64 v[140:141], v[140:141], v[142:143]
	;; [unrolled: 4-line block ×4, first 2 shown]
	s_waitcnt vmcnt(24) lgkmcnt(13)
	v_mul_f64 v[164:165], v[220:221], v[106:107]
	v_fmac_f64_e32 v[162:163], v[218:219], v[100:101]
	v_add_f64 v[140:141], v[140:141], v[160:161]
	s_waitcnt vmcnt(23) lgkmcnt(12)
	v_mul_f64 v[166:167], v[224:225], v[110:111]
	v_fmac_f64_e32 v[164:165], v[222:223], v[104:105]
	v_add_f64 v[140:141], v[140:141], v[162:163]
	;; [unrolled: 4-line block ×8, first 2 shown]
	v_fmac_f64_e32 v[178:179], v[146:147], v[12:13]
	v_add_f64 v[140:141], v[140:141], v[176:177]
	v_add_f64 v[140:141], v[140:141], v[178:179]
	ds_read_b128 v[176:179], v2 offset:1024
	s_waitcnt vmcnt(16) lgkmcnt(6)
	v_mul_f64 v[180:181], v[136:137], v[18:19]
	s_waitcnt vmcnt(15) lgkmcnt(5)
	v_mul_f64 v[182:183], v[132:133], v[22:23]
	v_fmac_f64_e32 v[180:181], v[138:139], v[16:17]
	v_add_f64 v[152:153], v[140:141], v[180:181]
	v_fmac_f64_e32 v[182:183], v[134:135], v[20:21]
	scratch_load_dwordx4 v[140:143], off, off offset:576
	s_waitcnt vmcnt(15) lgkmcnt(4)
	v_mul_f64 v[154:155], v[128:129], v[26:27]
	v_add_f64 v[152:153], v[152:153], v[182:183]
	v_fmac_f64_e32 v[154:155], v[130:131], v[24:25]
	v_add_f64 v[160:161], v[152:153], v[154:155]
	ds_read_b128 v[180:183], v2 offset:1040
	s_waitcnt vmcnt(14) lgkmcnt(1)
	v_mul_f64 v[162:163], v[176:177], v[30:31]
	scratch_load_dwordx4 v[152:155], off, off offset:592
	v_fmac_f64_e32 v[162:163], v[178:179], v[28:29]
	v_add_f64 v[164:165], v[160:161], v[162:163]
	scratch_load_dwordx4 v[160:163], off, off offset:608
	s_waitcnt vmcnt(15) lgkmcnt(0)
	v_mul_f64 v[166:167], v[180:181], v[34:35]
	v_fmac_f64_e32 v[166:167], v[182:183], v[32:33]
	v_add_f64 v[168:169], v[164:165], v[166:167]
	s_waitcnt vmcnt(14)
	v_mul_f64 v[170:171], v[184:185], v[38:39]
	scratch_load_dwordx4 v[164:167], off, off offset:624
	v_fmac_f64_e32 v[170:171], v[186:187], v[36:37]
	v_add_f64 v[168:169], v[168:169], v[170:171]
	s_waitcnt vmcnt(14)
	v_mul_f64 v[170:171], v[188:189], v[42:43]
	scratch_load_dwordx4 v[172:175], off, off offset:640
	v_fmac_f64_e32 v[170:171], v[190:191], v[40:41]
	v_add_f64 v[232:233], v[168:169], v[170:171]
	scratch_load_dwordx4 v[168:171], off, off offset:656
	v_mul_f64 v[82:83], v[198:199], v[82:83]
	v_fma_f64 v[240:241], v[196:197], v[80:81], -v[82:83]
	ds_read_b128 v[196:199], v2 offset:1104
	s_waitcnt vmcnt(15)
	v_mul_f64 v[80:81], v[192:193], v[46:47]
	v_fmac_f64_e32 v[80:81], v[194:195], v[44:45]
	v_add_f64 v[232:233], v[232:233], v[80:81]
	v_mul_f64 v[80:81], v[202:203], v[86:87]
	v_fma_f64 v[250:251], v[200:201], v[84:85], -v[80:81]
	scratch_load_dwordx4 v[80:83], off, off offset:672
	ds_read_b128 v[84:87], v2 offset:1120
	v_mul_f64 v[90:91], v[206:207], v[90:91]
	v_fma_f64 v[252:253], v[204:205], v[88:89], -v[90:91]
	ds_read_b128 v[88:91], v2 offset:1136
	s_waitcnt vmcnt(15) lgkmcnt(2)
	v_mul_f64 v[200:201], v[196:197], v[50:51]
	v_fmac_f64_e32 v[200:201], v[198:199], v[48:49]
	s_waitcnt vmcnt(14) lgkmcnt(1)
	v_mul_f64 v[202:203], v[84:85], v[54:55]
	v_add_f64 v[200:201], v[232:233], v[200:201]
	v_fmac_f64_e32 v[202:203], v[86:87], v[52:53]
	v_mul_f64 v[94:95], v[210:211], v[94:95]
	v_fma_f64 v[254:255], v[208:209], v[92:93], -v[94:95]
	ds_read_b128 v[92:95], v2 offset:1152
	v_add_f64 v[200:201], v[200:201], v[202:203]
	s_waitcnt vmcnt(13) lgkmcnt(1)
	v_mul_f64 v[202:203], v[88:89], v[58:59]
	v_fmac_f64_e32 v[202:203], v[90:91], v[56:57]
	v_add_f64 v[204:205], v[200:201], v[202:203]
	ds_read_b128 v[200:203], v2 offset:1168
	v_mul_f64 v[98:99], v[214:215], v[98:99]
	v_fma_f64 v[232:233], v[212:213], v[96:97], -v[98:99]
	ds_read_b128 v[96:99], v2 offset:1184
	s_waitcnt vmcnt(12) lgkmcnt(2)
	v_mul_f64 v[206:207], v[92:93], v[62:63]
	v_fmac_f64_e32 v[206:207], v[94:95], v[60:61]
	v_add_f64 v[204:205], v[204:205], v[206:207]
	s_waitcnt vmcnt(11) lgkmcnt(1)
	v_mul_f64 v[206:207], v[200:201], v[66:67]
	v_fmac_f64_e32 v[206:207], v[202:203], v[64:65]
	v_mul_f64 v[102:103], v[218:219], v[102:103]
	v_add_f64 v[204:205], v[204:205], v[206:207]
	v_fma_f64 v[4:5], v[216:217], v[100:101], -v[102:103]
	ds_read_b128 v[100:103], v2 offset:1200
	s_waitcnt vmcnt(10) lgkmcnt(1)
	v_mul_f64 v[206:207], v[96:97], v[70:71]
	v_fmac_f64_e32 v[206:207], v[98:99], v[68:69]
	v_add_f64 v[208:209], v[204:205], v[206:207]
	ds_read_b128 v[204:207], v2 offset:1216
	v_mul_f64 v[106:107], v[222:223], v[106:107]
	v_fma_f64 v[0:1], v[220:221], v[104:105], -v[106:107]
	ds_read_b128 v[104:107], v2 offset:1232
	s_waitcnt vmcnt(9) lgkmcnt(2)
	v_mul_f64 v[210:211], v[100:101], v[74:75]
	v_fmac_f64_e32 v[210:211], v[102:103], v[72:73]
	v_add_f64 v[208:209], v[208:209], v[210:211]
	s_waitcnt vmcnt(8) lgkmcnt(1)
	v_mul_f64 v[210:211], v[204:205], v[78:79]
	v_fmac_f64_e32 v[210:211], v[206:207], v[76:77]
	v_mul_f64 v[6:7], v[226:227], v[110:111]
	v_fma_f64 v[6:7], v[224:225], v[108:109], -v[6:7]
	ds_read_b128 v[108:111], v2 offset:1248
	v_add_f64 v[208:209], v[208:209], v[210:211]
	s_waitcnt vmcnt(7) lgkmcnt(1)
	v_mul_f64 v[210:211], v[104:105], v[126:127]
	v_fmac_f64_e32 v[210:211], v[106:107], v[124:125]
	v_mul_f64 v[114:115], v[230:231], v[114:115]
	v_add_f64 v[212:213], v[208:209], v[210:211]
	ds_read_b128 v[208:211], v2 offset:1264
	v_fma_f64 v[112:113], v[228:229], v[112:113], -v[114:115]
	v_accvgpr_write_b32 a88, v112
	v_accvgpr_write_b32 a89, v113
	ds_read_b128 v[112:115], v2 offset:1280
	s_waitcnt vmcnt(6) lgkmcnt(2)
	v_mul_f64 v[214:215], v[108:109], v[142:143]
	v_fmac_f64_e32 v[214:215], v[110:111], v[140:141]
	v_add_f64 v[212:213], v[212:213], v[214:215]
	s_waitcnt vmcnt(5) lgkmcnt(1)
	v_mul_f64 v[214:215], v[208:209], v[154:155]
	v_fmac_f64_e32 v[214:215], v[210:211], v[152:153]
	v_mul_f64 v[118:119], v[244:245], v[118:119]
	v_add_f64 v[212:213], v[212:213], v[214:215]
	v_fma_f64 v[238:239], v[242:243], v[116:117], -v[118:119]
	ds_read_b128 v[116:119], v2 offset:1296
	s_waitcnt vmcnt(4) lgkmcnt(1)
	v_mul_f64 v[214:215], v[112:113], v[162:163]
	v_fmac_f64_e32 v[214:215], v[114:115], v[160:161]
	v_add_f64 v[216:217], v[212:213], v[214:215]
	ds_read_b128 v[212:215], v2 offset:1312
	v_mul_f64 v[122:123], v[248:249], v[122:123]
	v_fma_f64 v[242:243], v[246:247], v[120:121], -v[122:123]
	ds_read_b128 v[120:123], v2 offset:1328
	s_waitcnt vmcnt(3) lgkmcnt(2)
	v_mul_f64 v[218:219], v[116:117], v[166:167]
	v_fmac_f64_e32 v[218:219], v[118:119], v[164:165]
	v_add_f64 v[216:217], v[216:217], v[218:219]
	s_waitcnt vmcnt(2) lgkmcnt(1)
	v_mul_f64 v[218:219], v[212:213], v[174:175]
	v_fmac_f64_e32 v[218:219], v[214:215], v[172:173]
	v_add_f64 v[216:217], v[216:217], v[218:219]
	;; [unrolled: 4-line block ×3, first 2 shown]
	ds_read_b128 v[216:219], v2 offset:1344
	ds_read_b128 v[224:227], v2 offset:1360
	s_waitcnt vmcnt(0) lgkmcnt(1)
	v_mul_f64 v[222:223], v[216:217], v[82:83]
	v_fmac_f64_e32 v[222:223], v[218:219], v[80:81]
	v_add_f64 v[228:229], v[220:221], v[222:223]
	scratch_load_dwordx4 v[220:223], off, off offset:688
	s_waitcnt vmcnt(0) lgkmcnt(0)
	v_mul_f64 v[230:231], v[224:225], v[222:223]
	v_fmac_f64_e32 v[230:231], v[226:227], v[220:221]
	v_add_f64 v[246:247], v[228:229], v[230:231]
	v_add_f64 v[228:229], v[240:241], 0
	;; [unrolled: 1-line block ×7, first 2 shown]
	scratch_load_dwordx4 v[228:231], off, off offset:64
	v_add_f64 v[244:245], v[4:5], v[0:1]
	v_accvgpr_read_b32 v4, a88
	v_add_f64 v[0:1], v[244:245], v[6:7]
	v_accvgpr_read_b32 v5, a89
	v_add_f64 v[0:1], v[0:1], v[4:5]
	v_add_f64 v[0:1], v[0:1], v[238:239]
	v_mul_f64 v[4:5], v[158:159], v[236:237]
	v_add_f64 v[0:1], v[0:1], v[242:243]
	v_fma_f64 v[4:5], v[156:157], v[234:235], -v[4:5]
	v_add_f64 v[0:1], v[0:1], v[4:5]
	v_mul_f64 v[4:5], v[150:151], v[10:11]
	v_fma_f64 v[4:5], v[148:149], v[8:9], -v[4:5]
	v_add_f64 v[0:1], v[0:1], v[4:5]
	v_mul_f64 v[4:5], v[146:147], v[14:15]
	;; [unrolled: 3-line block ×27, first 2 shown]
	v_fma_f64 v[4:5], v[224:225], v[220:221], -v[4:5]
	v_add_f64 v[0:1], v[0:1], v[4:5]
	s_waitcnt vmcnt(0)
	v_add_f64 v[4:5], v[228:229], -v[0:1]
	v_accvgpr_read_b32 v0, a86
	v_add_f64 v[6:7], v[230:231], -v[246:247]
	v_cmp_lt_u32_e32 vcc, 2, v0
	scratch_store_dwordx4 off, v[4:7], off offset:64
	s_and_saveexec_b64 s[0:1], vcc
	s_cbranch_execz .LBB106_267
; %bb.266:
	scratch_load_dwordx4 v[6:9], off, s57
	v_mov_b32_e32 v3, v2
	v_mov_b32_e32 v4, v2
	;; [unrolled: 1-line block ×3, first 2 shown]
	v_accvgpr_read_b32 v0, a87
	scratch_store_dwordx4 off, v[2:5], off offset:48
	s_waitcnt vmcnt(1)
	ds_write_b128 v0, v[6:9]
.LBB106_267:
	s_or_b64 exec, exec, s[0:1]
	s_waitcnt lgkmcnt(0)
	; wave barrier
	scratch_load_dwordx4 v[132:135], off, off offset:64
	scratch_load_dwordx4 v[160:163], off, off offset:80
	;; [unrolled: 1-line block ×16, first 2 shown]
	ds_read_b128 v[156:159], v2 offset:736
	ds_read_b128 v[172:175], v2 offset:752
	scratch_load_dwordx4 v[24:27], off, off offset:320
	ds_read_b128 v[232:235], v2 offset:768
	ds_read_b128 v[228:231], v2 offset:784
	scratch_load_dwordx4 v[28:31], off, off offset:336
	ds_read_b128 v[236:239], v2 offset:800
	ds_read_b128 v[184:187], v2 offset:816
	;; [unrolled: 1-line block ×5, first 2 shown]
	scratch_load_dwordx4 v[32:35], off, off offset:352
	ds_read_b128 v[220:223], v2 offset:880
	ds_read_b128 v[216:219], v2 offset:896
	;; [unrolled: 1-line block ×3, first 2 shown]
	scratch_load_dwordx4 v[36:39], off, off offset:368
	ds_read_b128 v[64:67], v2 offset:928
	ds_read_b128 v[60:63], v2 offset:944
	ds_read_b128 v[56:59], v2 offset:960
	ds_read_b128 v[48:51], v2 offset:976
	ds_read_b128 v[44:47], v2 offset:992
	scratch_load_dwordx4 v[52:55], off, off offset:384
	scratch_load_dwordx4 v[68:71], off, off offset:400
	;; [unrolled: 1-line block ×11, first 2 shown]
	ds_read_b128 v[144:147], v2 offset:1040
	ds_read_b128 v[148:151], v2 offset:1056
	;; [unrolled: 1-line block ×3, first 2 shown]
	s_waitcnt vmcnt(30) lgkmcnt(14)
	v_mul_f64 v[0:1], v[156:157], v[134:135]
	s_waitcnt vmcnt(29)
	v_mul_f64 v[108:109], v[172:173], v[162:163]
	v_fmac_f64_e32 v[0:1], v[158:159], v[132:133]
	s_waitcnt vmcnt(28)
	v_mul_f64 v[110:111], v[232:233], v[166:167]
	v_fmac_f64_e32 v[108:109], v[174:175], v[160:161]
	v_add_f64 v[0:1], v[0:1], 0
	s_waitcnt vmcnt(27)
	v_mul_f64 v[112:113], v[228:229], v[170:171]
	v_fmac_f64_e32 v[110:111], v[234:235], v[164:165]
	v_add_f64 v[0:1], v[0:1], v[108:109]
	;; [unrolled: 4-line block ×4, first 2 shown]
	s_waitcnt vmcnt(24) lgkmcnt(13)
	v_mul_f64 v[118:119], v[224:225], v[190:191]
	v_fmac_f64_e32 v[116:117], v[186:187], v[180:181]
	v_add_f64 v[0:1], v[0:1], v[114:115]
	s_waitcnt vmcnt(23) lgkmcnt(12)
	v_mul_f64 v[120:121], v[196:197], v[194:195]
	v_fmac_f64_e32 v[118:119], v[226:227], v[188:189]
	v_add_f64 v[0:1], v[0:1], v[116:117]
	s_waitcnt vmcnt(22) lgkmcnt(11)
	v_mul_f64 v[122:123], v[208:209], v[202:203]
	v_fmac_f64_e32 v[120:121], v[198:199], v[192:193]
	v_add_f64 v[0:1], v[0:1], v[118:119]
	s_waitcnt vmcnt(21) lgkmcnt(10)
	v_mul_f64 v[124:125], v[220:221], v[206:207]
	v_fmac_f64_e32 v[122:123], v[210:211], v[200:201]
	v_add_f64 v[0:1], v[0:1], v[120:121]
	s_waitcnt vmcnt(20) lgkmcnt(9)
	v_mul_f64 v[126:127], v[216:217], v[214:215]
	v_fmac_f64_e32 v[124:125], v[222:223], v[204:205]
	v_add_f64 v[0:1], v[0:1], v[122:123]
	s_waitcnt vmcnt(19) lgkmcnt(8)
	v_mul_f64 v[128:129], v[40:41], v[6:7]
	v_fmac_f64_e32 v[126:127], v[218:219], v[212:213]
	v_add_f64 v[0:1], v[0:1], v[124:125]
	s_waitcnt vmcnt(18) lgkmcnt(7)
	v_mul_f64 v[130:131], v[64:65], v[10:11]
	v_fmac_f64_e32 v[128:129], v[42:43], v[4:5]
	v_add_f64 v[0:1], v[0:1], v[126:127]
	s_waitcnt vmcnt(17) lgkmcnt(6)
	v_mul_f64 v[136:137], v[60:61], v[14:15]
	v_fmac_f64_e32 v[130:131], v[66:67], v[8:9]
	v_add_f64 v[0:1], v[0:1], v[128:129]
	s_waitcnt vmcnt(16) lgkmcnt(5)
	v_mul_f64 v[138:139], v[56:57], v[18:19]
	v_fmac_f64_e32 v[136:137], v[62:63], v[12:13]
	v_add_f64 v[0:1], v[0:1], v[130:131]
	v_fmac_f64_e32 v[138:139], v[58:59], v[16:17]
	v_add_f64 v[0:1], v[0:1], v[136:137]
	v_add_f64 v[0:1], v[0:1], v[138:139]
	ds_read_b128 v[136:139], v2 offset:1008
	s_waitcnt vmcnt(15) lgkmcnt(5)
	v_mul_f64 v[140:141], v[48:49], v[22:23]
	v_fmac_f64_e32 v[140:141], v[50:51], v[20:21]
	s_waitcnt vmcnt(14) lgkmcnt(4)
	v_mul_f64 v[112:113], v[44:45], v[26:27]
	scratch_load_dwordx4 v[108:111], off, off offset:560
	v_add_f64 v[0:1], v[0:1], v[140:141]
	v_fmac_f64_e32 v[112:113], v[46:47], v[24:25]
	v_add_f64 v[0:1], v[0:1], v[112:113]
	scratch_load_dwordx4 v[112:115], off, off offset:576
	ds_read_b128 v[140:143], v2 offset:1024
	s_waitcnt vmcnt(15) lgkmcnt(1)
	v_mul_f64 v[116:117], v[136:137], v[30:31]
	v_fmac_f64_e32 v[116:117], v[138:139], v[28:29]
	v_add_f64 v[0:1], v[0:1], v[116:117]
	scratch_load_dwordx4 v[116:119], off, off offset:592
	s_waitcnt vmcnt(15) lgkmcnt(0)
	v_mul_f64 v[120:121], v[140:141], v[34:35]
	v_fmac_f64_e32 v[120:121], v[142:143], v[32:33]
	s_waitcnt vmcnt(14)
	v_mul_f64 v[124:125], v[144:145], v[38:39]
	v_add_f64 v[0:1], v[0:1], v[120:121]
	scratch_load_dwordx4 v[120:123], off, off offset:608
	v_fmac_f64_e32 v[124:125], v[146:147], v[36:37]
	v_add_f64 v[0:1], v[0:1], v[124:125]
	s_waitcnt vmcnt(14)
	v_mul_f64 v[124:125], v[148:149], v[54:55]
	scratch_load_dwordx4 v[128:131], off, off offset:624
	v_fmac_f64_e32 v[124:125], v[150:151], v[52:53]
	v_add_f64 v[0:1], v[0:1], v[124:125]
	scratch_load_dwordx4 v[124:127], off, off offset:640
	v_mul_f64 v[134:135], v[158:159], v[134:135]
	v_fma_f64 v[240:241], v[156:157], v[132:133], -v[134:135]
	ds_read_b128 v[156:159], v2 offset:1088
	s_waitcnt vmcnt(15)
	v_mul_f64 v[132:133], v[152:153], v[70:71]
	v_fmac_f64_e32 v[132:133], v[154:155], v[68:69]
	v_add_f64 v[0:1], v[0:1], v[132:133]
	v_mul_f64 v[132:133], v[174:175], v[162:163]
	v_fma_f64 v[246:247], v[172:173], v[160:161], -v[132:133]
	scratch_load_dwordx4 v[132:135], off, off offset:656
	ds_read_b128 v[160:163], v2 offset:1104
	v_mul_f64 v[166:167], v[234:235], v[166:167]
	v_fma_f64 v[248:249], v[232:233], v[164:165], -v[166:167]
	ds_read_b128 v[164:167], v2 offset:1120
	s_waitcnt vmcnt(15) lgkmcnt(2)
	v_mul_f64 v[172:173], v[156:157], v[74:75]
	v_fmac_f64_e32 v[172:173], v[158:159], v[72:73]
	v_add_f64 v[0:1], v[0:1], v[172:173]
	s_waitcnt vmcnt(14) lgkmcnt(1)
	v_mul_f64 v[172:173], v[160:161], v[78:79]
	v_fmac_f64_e32 v[172:173], v[162:163], v[76:77]
	v_mul_f64 v[170:171], v[230:231], v[170:171]
	v_fma_f64 v[250:251], v[228:229], v[168:169], -v[170:171]
	ds_read_b128 v[168:171], v2 offset:1136
	v_add_f64 v[0:1], v[0:1], v[172:173]
	s_waitcnt vmcnt(13) lgkmcnt(1)
	v_mul_f64 v[172:173], v[164:165], v[82:83]
	v_fmac_f64_e32 v[172:173], v[166:167], v[80:81]
	v_add_f64 v[0:1], v[0:1], v[172:173]
	ds_read_b128 v[172:175], v2 offset:1152
	v_mul_f64 v[178:179], v[238:239], v[178:179]
	v_fma_f64 v[236:237], v[236:237], v[176:177], -v[178:179]
	ds_read_b128 v[176:179], v2 offset:1168
	s_waitcnt vmcnt(12) lgkmcnt(2)
	v_mul_f64 v[228:229], v[168:169], v[86:87]
	v_fmac_f64_e32 v[228:229], v[170:171], v[84:85]
	v_add_f64 v[0:1], v[0:1], v[228:229]
	s_waitcnt vmcnt(11) lgkmcnt(1)
	v_mul_f64 v[228:229], v[172:173], v[90:91]
	v_mul_f64 v[182:183], v[186:187], v[182:183]
	v_fmac_f64_e32 v[228:229], v[174:175], v[88:89]
	v_fma_f64 v[238:239], v[184:185], v[180:181], -v[182:183]
	ds_read_b128 v[180:183], v2 offset:1184
	s_waitcnt vmcnt(10) lgkmcnt(1)
	v_mul_f64 v[184:185], v[176:177], v[94:95]
	v_add_f64 v[0:1], v[0:1], v[228:229]
	v_fmac_f64_e32 v[184:185], v[178:179], v[92:93]
	v_add_f64 v[0:1], v[0:1], v[184:185]
	ds_read_b128 v[184:187], v2 offset:1200
	v_mul_f64 v[190:191], v[226:227], v[190:191]
	v_fma_f64 v[252:253], v[224:225], v[188:189], -v[190:191]
	ds_read_b128 v[188:191], v2 offset:1216
	s_waitcnt vmcnt(9) lgkmcnt(2)
	v_mul_f64 v[228:229], v[180:181], v[98:99]
	v_fmac_f64_e32 v[228:229], v[182:183], v[96:97]
	s_waitcnt vmcnt(8) lgkmcnt(1)
	v_mul_f64 v[224:225], v[184:185], v[102:103]
	v_mul_f64 v[194:195], v[198:199], v[194:195]
	v_add_f64 v[0:1], v[0:1], v[228:229]
	v_fmac_f64_e32 v[224:225], v[186:187], v[100:101]
	v_fma_f64 v[254:255], v[196:197], v[192:193], -v[194:195]
	s_waitcnt vmcnt(7) lgkmcnt(0)
	v_mul_f64 v[196:197], v[188:189], v[106:107]
	ds_read_b128 v[192:195], v2 offset:1232
	v_add_f64 v[0:1], v[0:1], v[224:225]
	v_fmac_f64_e32 v[196:197], v[190:191], v[104:105]
	v_add_f64 v[0:1], v[0:1], v[196:197]
	ds_read_b128 v[196:199], v2 offset:1248
	v_mul_f64 v[202:203], v[210:211], v[202:203]
	v_fma_f64 v[242:243], v[208:209], v[200:201], -v[202:203]
	ds_read_b128 v[200:203], v2 offset:1264
	s_waitcnt vmcnt(6) lgkmcnt(2)
	v_mul_f64 v[224:225], v[192:193], v[110:111]
	v_fmac_f64_e32 v[224:225], v[194:195], v[108:109]
	s_waitcnt vmcnt(5) lgkmcnt(1)
	v_mul_f64 v[208:209], v[196:197], v[114:115]
	v_add_f64 v[0:1], v[0:1], v[224:225]
	v_fmac_f64_e32 v[208:209], v[198:199], v[112:113]
	v_add_f64 v[208:209], v[0:1], v[208:209]
	v_mul_f64 v[0:1], v[222:223], v[206:207]
	v_fma_f64 v[0:1], v[220:221], v[204:205], -v[0:1]
	ds_read_b128 v[204:207], v2 offset:1280
	s_waitcnt vmcnt(4) lgkmcnt(1)
	v_mul_f64 v[210:211], v[200:201], v[118:119]
	v_fmac_f64_e32 v[210:211], v[202:203], v[116:117]
	v_add_f64 v[220:221], v[208:209], v[210:211]
	ds_read_b128 v[208:211], v2 offset:1296
	v_mul_f64 v[214:215], v[218:219], v[214:215]
	v_fma_f64 v[244:245], v[216:217], v[212:213], -v[214:215]
	ds_read_b128 v[212:215], v2 offset:1312
	s_waitcnt vmcnt(3) lgkmcnt(2)
	v_mul_f64 v[216:217], v[204:205], v[122:123]
	v_fmac_f64_e32 v[216:217], v[206:207], v[120:121]
	s_waitcnt vmcnt(2) lgkmcnt(1)
	v_mul_f64 v[218:219], v[208:209], v[130:131]
	v_add_f64 v[216:217], v[220:221], v[216:217]
	v_fmac_f64_e32 v[218:219], v[210:211], v[128:129]
	v_add_f64 v[216:217], v[216:217], v[218:219]
	s_waitcnt vmcnt(1) lgkmcnt(0)
	v_mul_f64 v[218:219], v[212:213], v[126:127]
	v_fmac_f64_e32 v[218:219], v[214:215], v[124:125]
	v_add_f64 v[220:221], v[216:217], v[218:219]
	ds_read_b128 v[216:219], v2 offset:1328
	ds_read_b128 v[224:227], v2 offset:1344
	scratch_load_dwordx4 v[232:235], off, off offset:688
	v_accvgpr_write_b32 a89, v1
	v_accvgpr_write_b32 a88, v0
	s_waitcnt vmcnt(1) lgkmcnt(1)
	v_mul_f64 v[222:223], v[216:217], v[134:135]
	v_fmac_f64_e32 v[222:223], v[218:219], v[132:133]
	v_add_f64 v[228:229], v[220:221], v[222:223]
	scratch_load_dwordx4 v[220:223], off, off offset:672
	v_mul_f64 v[6:7], v[42:43], v[6:7]
	v_fma_f64 v[4:5], v[40:41], v[4:5], -v[6:7]
	s_waitcnt vmcnt(0) lgkmcnt(0)
	v_mul_f64 v[230:231], v[224:225], v[222:223]
	v_fmac_f64_e32 v[230:231], v[226:227], v[220:221]
	v_add_f64 v[0:1], v[228:229], v[230:231]
	ds_read_b128 v[228:231], v2 offset:1360
	s_waitcnt lgkmcnt(0)
	v_mul_f64 v[2:3], v[228:229], v[234:235]
	v_fmac_f64_e32 v[2:3], v[230:231], v[232:233]
	v_add_f64 v[2:3], v[0:1], v[2:3]
	v_add_f64 v[0:1], v[240:241], 0
	;; [unrolled: 1-line block ×7, first 2 shown]
	scratch_load_dwordx4 v[236:239], off, off offset:48
	v_add_f64 v[0:1], v[0:1], v[252:253]
	v_add_f64 v[0:1], v[0:1], v[254:255]
	;; [unrolled: 1-line block ×3, first 2 shown]
	v_accvgpr_read_b32 v0, a88
	v_accvgpr_read_b32 v1, a89
	v_add_f64 v[0:1], v[246:247], v[0:1]
	v_add_f64 v[0:1], v[0:1], v[244:245]
	;; [unrolled: 1-line block ×3, first 2 shown]
	v_mul_f64 v[4:5], v[66:67], v[10:11]
	v_fma_f64 v[4:5], v[64:65], v[8:9], -v[4:5]
	v_add_f64 v[0:1], v[0:1], v[4:5]
	v_mul_f64 v[4:5], v[62:63], v[14:15]
	v_fma_f64 v[4:5], v[60:61], v[12:13], -v[4:5]
	v_add_f64 v[0:1], v[0:1], v[4:5]
	;; [unrolled: 3-line block ×28, first 2 shown]
	s_waitcnt vmcnt(0)
	v_add_f64 v[4:5], v[236:237], -v[0:1]
	v_accvgpr_read_b32 v0, a86
	v_add_f64 v[6:7], v[238:239], -v[2:3]
	v_cmp_lt_u32_e32 vcc, 1, v0
	scratch_store_dwordx4 off, v[4:7], off offset:48
	s_and_saveexec_b64 s[0:1], vcc
	s_cbranch_execz .LBB106_269
; %bb.268:
	scratch_load_dwordx4 v[2:5], off, s58
	v_mov_b32_e32 v6, 0
	v_mov_b32_e32 v7, v6
	;; [unrolled: 1-line block ×4, first 2 shown]
	v_accvgpr_read_b32 v0, a87
	scratch_store_dwordx4 off, v[6:9], off offset:32
	s_waitcnt vmcnt(1)
	ds_write_b128 v0, v[2:5]
.LBB106_269:
	s_or_b64 exec, exec, s[0:1]
	s_waitcnt lgkmcnt(0)
	; wave barrier
	scratch_load_dwordx4 v[112:115], off, off offset:48
	scratch_load_dwordx4 v[116:119], off, off offset:64
	;; [unrolled: 1-line block ×30, first 2 shown]
	v_mov_b32_e32 v2, 0
	ds_read_b128 v[144:147], v2 offset:720
	ds_read_b128 v[156:159], v2 offset:736
	;; [unrolled: 1-line block ×20, first 2 shown]
	s_waitcnt vmcnt(29) lgkmcnt(14)
	v_mul_f64 v[0:1], v[144:145], v[114:115]
	s_waitcnt vmcnt(28)
	v_mul_f64 v[88:89], v[156:157], v[118:119]
	v_fmac_f64_e32 v[0:1], v[146:147], v[112:113]
	s_waitcnt vmcnt(27)
	v_mul_f64 v[90:91], v[168:169], v[122:123]
	v_fmac_f64_e32 v[88:89], v[158:159], v[116:117]
	v_add_f64 v[0:1], v[0:1], 0
	s_waitcnt vmcnt(26)
	v_mul_f64 v[92:93], v[180:181], v[154:155]
	v_fmac_f64_e32 v[90:91], v[170:171], v[120:121]
	v_add_f64 v[0:1], v[0:1], v[88:89]
	;; [unrolled: 4-line block ×4, first 2 shown]
	s_waitcnt vmcnt(23) lgkmcnt(13)
	v_mul_f64 v[98:99], v[212:213], v[174:175]
	v_fmac_f64_e32 v[96:97], v[206:207], v[164:165]
	v_add_f64 v[0:1], v[0:1], v[94:95]
	s_waitcnt vmcnt(22) lgkmcnt(12)
	v_mul_f64 v[100:101], v[216:217], v[178:179]
	v_fmac_f64_e32 v[98:99], v[214:215], v[172:173]
	v_add_f64 v[0:1], v[0:1], v[96:97]
	;; [unrolled: 4-line block ×9, first 2 shown]
	v_fmac_f64_e32 v[126:127], v[82:83], v[8:9]
	v_add_f64 v[0:1], v[0:1], v[124:125]
	scratch_load_dwordx4 v[88:91], off, off offset:528
	s_waitcnt vmcnt(15) lgkmcnt(4)
	v_mul_f64 v[128:129], v[76:77], v[236:237]
	v_add_f64 v[0:1], v[0:1], v[126:127]
	ds_read_b128 v[124:127], v2 offset:992
	v_fmac_f64_e32 v[128:129], v[78:79], v[234:235]
	v_add_f64 v[0:1], v[0:1], v[128:129]
	ds_read_b128 v[128:131], v2 offset:1008
	s_waitcnt vmcnt(14) lgkmcnt(5)
	v_mul_f64 v[92:93], v[72:73], v[18:19]
	v_fmac_f64_e32 v[92:93], v[74:75], v[16:17]
	v_add_f64 v[0:1], v[0:1], v[92:93]
	s_waitcnt vmcnt(13) lgkmcnt(1)
	v_mul_f64 v[96:97], v[124:125], v[22:23]
	scratch_load_dwordx4 v[92:95], off, off offset:544
	v_fmac_f64_e32 v[96:97], v[126:127], v[20:21]
	v_add_f64 v[0:1], v[0:1], v[96:97]
	s_waitcnt vmcnt(13) lgkmcnt(0)
	v_mul_f64 v[100:101], v[128:129], v[26:27]
	scratch_load_dwordx4 v[96:99], off, off offset:560
	v_fmac_f64_e32 v[100:101], v[130:131], v[24:25]
	v_add_f64 v[0:1], v[0:1], v[100:101]
	scratch_load_dwordx4 v[100:103], off, off offset:576
	s_waitcnt vmcnt(14)
	v_mul_f64 v[104:105], v[132:133], v[30:31]
	v_fmac_f64_e32 v[104:105], v[134:135], v[28:29]
	v_add_f64 v[0:1], v[0:1], v[104:105]
	s_waitcnt vmcnt(13)
	v_mul_f64 v[104:105], v[136:137], v[34:35]
	v_fmac_f64_e32 v[104:105], v[138:139], v[32:33]
	v_add_f64 v[0:1], v[0:1], v[104:105]
	scratch_load_dwordx4 v[104:107], off, off offset:592
	s_waitcnt vmcnt(13)
	v_mul_f64 v[108:109], v[140:141], v[38:39]
	v_fmac_f64_e32 v[108:109], v[142:143], v[36:37]
	v_add_f64 v[0:1], v[0:1], v[108:109]
	scratch_load_dwordx4 v[108:111], off, off offset:608
	v_mul_f64 v[114:115], v[146:147], v[114:115]
	v_fma_f64 v[240:241], v[144:145], v[112:113], -v[114:115]
	v_mul_f64 v[112:113], v[158:159], v[118:119]
	ds_read_b128 v[148:151], v2 offset:1072
	ds_read_b128 v[144:147], v2 offset:1088
	v_fma_f64 v[250:251], v[156:157], v[116:117], -v[112:113]
	scratch_load_dwordx4 v[116:119], off, off offset:624
	scratch_load_dwordx4 v[112:115], off, off offset:640
	v_mul_f64 v[122:123], v[170:171], v[122:123]
	v_fma_f64 v[252:253], v[168:169], v[120:121], -v[122:123]
	scratch_load_dwordx4 v[120:123], off, off offset:656
	s_waitcnt vmcnt(16) lgkmcnt(1)
	v_mul_f64 v[156:157], v[148:149], v[42:43]
	v_fmac_f64_e32 v[156:157], v[150:151], v[40:41]
	v_mul_f64 v[154:155], v[182:183], v[154:155]
	v_add_f64 v[0:1], v[0:1], v[156:157]
	v_fma_f64 v[254:255], v[180:181], v[152:153], -v[154:155]
	ds_read_b128 v[152:155], v2 offset:1104
	s_waitcnt vmcnt(15) lgkmcnt(1)
	v_mul_f64 v[156:157], v[144:145], v[46:47]
	v_fmac_f64_e32 v[156:157], v[146:147], v[44:45]
	v_add_f64 v[0:1], v[0:1], v[156:157]
	ds_read_b128 v[156:159], v2 offset:1120
	v_mul_f64 v[162:163], v[194:195], v[162:163]
	v_fma_f64 v[232:233], v[192:193], v[160:161], -v[162:163]
	ds_read_b128 v[160:163], v2 offset:1136
	s_waitcnt vmcnt(14) lgkmcnt(2)
	v_mul_f64 v[168:169], v[152:153], v[50:51]
	v_fmac_f64_e32 v[168:169], v[154:155], v[48:49]
	v_mul_f64 v[166:167], v[206:207], v[166:167]
	v_add_f64 v[0:1], v[0:1], v[168:169]
	s_waitcnt vmcnt(13) lgkmcnt(1)
	v_mul_f64 v[168:169], v[156:157], v[54:55]
	v_fma_f64 v[12:13], v[204:205], v[164:165], -v[166:167]
	ds_read_b128 v[164:167], v2 offset:1152
	v_accvgpr_write_b32 a91, v7
	v_fmac_f64_e32 v[168:169], v[158:159], v[52:53]
	v_accvgpr_write_b32 a90, v6
	v_accvgpr_write_b32 a89, v5
	;; [unrolled: 1-line block ×3, first 2 shown]
	v_add_f64 v[0:1], v[0:1], v[168:169]
	s_waitcnt vmcnt(12) lgkmcnt(1)
	v_mul_f64 v[6:7], v[160:161], v[58:59]
	ds_read_b128 v[168:171], v2 offset:1168
	v_fmac_f64_e32 v[6:7], v[162:163], v[56:57]
	v_accvgpr_write_b32 a95, v11
	v_add_f64 v[0:1], v[0:1], v[6:7]
	v_mul_f64 v[6:7], v[214:215], v[174:175]
	v_accvgpr_write_b32 a94, v10
	v_accvgpr_write_b32 a93, v9
	;; [unrolled: 1-line block ×3, first 2 shown]
	v_fma_f64 v[8:9], v[212:213], v[172:173], -v[6:7]
	s_waitcnt vmcnt(11) lgkmcnt(1)
	v_mul_f64 v[6:7], v[164:165], v[62:63]
	v_fmac_f64_e32 v[6:7], v[166:167], v[60:61]
	ds_read_b128 v[172:175], v2 offset:1184
	v_add_f64 v[0:1], v[0:1], v[6:7]
	s_waitcnt vmcnt(10) lgkmcnt(1)
	v_mul_f64 v[6:7], v[168:169], v[66:67]
	v_fmac_f64_e32 v[6:7], v[170:171], v[64:65]
	v_add_f64 v[0:1], v[0:1], v[6:7]
	v_mul_f64 v[6:7], v[218:219], v[178:179]
	v_fma_f64 v[10:11], v[216:217], v[176:177], -v[6:7]
	ds_read_b128 v[176:179], v2 offset:1200
	ds_read_b128 v[180:183], v2 offset:1216
	s_waitcnt vmcnt(9) lgkmcnt(2)
	v_mul_f64 v[6:7], v[172:173], v[70:71]
	v_fmac_f64_e32 v[6:7], v[174:175], v[68:69]
	v_add_f64 v[0:1], v[0:1], v[6:7]
	s_waitcnt vmcnt(8) lgkmcnt(1)
	v_mul_f64 v[6:7], v[176:177], v[90:91]
	v_fmac_f64_e32 v[6:7], v[178:179], v[88:89]
	v_add_f64 v[0:1], v[0:1], v[6:7]
	v_mul_f64 v[6:7], v[222:223], v[186:187]
	v_fma_f64 v[4:5], v[220:221], v[184:185], -v[6:7]
	ds_read_b128 v[184:187], v2 offset:1232
	v_mul_f64 v[6:7], v[226:227], v[190:191]
	v_fma_f64 v[6:7], v[224:225], v[188:189], -v[6:7]
	ds_read_b128 v[188:191], v2 offset:1248
	s_waitcnt vmcnt(7) lgkmcnt(2)
	v_mul_f64 v[14:15], v[180:181], v[94:95]
	v_fmac_f64_e32 v[14:15], v[182:183], v[92:93]
	v_add_f64 v[0:1], v[0:1], v[14:15]
	s_waitcnt vmcnt(6) lgkmcnt(1)
	v_mul_f64 v[14:15], v[184:185], v[98:99]
	v_fmac_f64_e32 v[14:15], v[186:187], v[96:97]
	v_add_f64 v[0:1], v[0:1], v[14:15]
	s_waitcnt vmcnt(5) lgkmcnt(0)
	v_mul_f64 v[14:15], v[188:189], v[102:103]
	ds_read_b128 v[192:195], v2 offset:1264
	v_fmac_f64_e32 v[14:15], v[190:191], v[100:101]
	v_add_f64 v[14:15], v[0:1], v[14:15]
	v_mul_f64 v[0:1], v[230:231], v[198:199]
	v_fma_f64 v[0:1], v[228:229], v[196:197], -v[0:1]
	ds_read_b128 v[196:199], v2 offset:1280
	v_mul_f64 v[202:203], v[244:245], v[202:203]
	s_waitcnt vmcnt(4) lgkmcnt(1)
	v_mul_f64 v[204:205], v[192:193], v[106:107]
	v_fma_f64 v[238:239], v[242:243], v[200:201], -v[202:203]
	ds_read_b128 v[200:203], v2 offset:1296
	v_fmac_f64_e32 v[204:205], v[194:195], v[104:105]
	v_add_f64 v[14:15], v[14:15], v[204:205]
	ds_read_b128 v[204:207], v2 offset:1312
	s_waitcnt vmcnt(3) lgkmcnt(2)
	v_mul_f64 v[212:213], v[196:197], v[110:111]
	v_mul_f64 v[210:211], v[248:249], v[210:211]
	v_fmac_f64_e32 v[212:213], v[198:199], v[108:109]
	v_fma_f64 v[242:243], v[246:247], v[208:209], -v[210:211]
	ds_read_b128 v[208:211], v2 offset:1328
	ds_read_b128 v[216:219], v2 offset:1344
	v_add_f64 v[14:15], v[14:15], v[212:213]
	s_waitcnt vmcnt(2) lgkmcnt(3)
	v_mul_f64 v[212:213], v[200:201], v[118:119]
	v_fmac_f64_e32 v[212:213], v[202:203], v[116:117]
	v_add_f64 v[14:15], v[14:15], v[212:213]
	s_waitcnt vmcnt(1) lgkmcnt(2)
	v_mul_f64 v[212:213], v[204:205], v[114:115]
	v_fmac_f64_e32 v[212:213], v[206:207], v[112:113]
	;; [unrolled: 4-line block ×3, first 2 shown]
	v_add_f64 v[14:15], v[14:15], v[212:213]
	scratch_load_dwordx4 v[212:215], off, off offset:672
	ds_read_b128 v[224:227], v2 offset:1360
	s_waitcnt vmcnt(0) lgkmcnt(1)
	v_mul_f64 v[220:221], v[216:217], v[214:215]
	v_fmac_f64_e32 v[220:221], v[218:219], v[212:213]
	v_add_f64 v[14:15], v[14:15], v[220:221]
	scratch_load_dwordx4 v[220:223], off, off offset:688
	s_waitcnt vmcnt(0) lgkmcnt(0)
	v_mul_f64 v[228:229], v[224:225], v[222:223]
	v_fmac_f64_e32 v[228:229], v[226:227], v[220:221]
	v_add_f64 v[246:247], v[14:15], v[228:229]
	scratch_load_dwordx4 v[228:231], off, off offset:32
	v_add_f64 v[14:15], v[240:241], 0
	v_add_f64 v[14:15], v[14:15], v[250:251]
	;; [unrolled: 1-line block ×10, first 2 shown]
	v_accvgpr_read_b32 v6, a88
	v_accvgpr_read_b32 v8, a90
	;; [unrolled: 1-line block ×3, first 2 shown]
	v_add_f64 v[0:1], v[4:5], v[0:1]
	v_accvgpr_read_b32 v7, a89
	v_mul_f64 v[4:5], v[86:87], v[8:9]
	v_add_f64 v[0:1], v[0:1], v[238:239]
	v_fma_f64 v[4:5], v[84:85], v[6:7], -v[4:5]
	v_accvgpr_read_b32 v6, a92
	v_add_f64 v[0:1], v[0:1], v[242:243]
	v_accvgpr_read_b32 v8, a94
	v_accvgpr_read_b32 v9, a95
	v_add_f64 v[0:1], v[0:1], v[4:5]
	v_accvgpr_read_b32 v7, a93
	v_mul_f64 v[4:5], v[82:83], v[8:9]
	v_fma_f64 v[4:5], v[80:81], v[6:7], -v[4:5]
	v_add_f64 v[0:1], v[0:1], v[4:5]
	v_mul_f64 v[4:5], v[78:79], v[236:237]
	v_fma_f64 v[4:5], v[76:77], v[234:235], -v[4:5]
	v_add_f64 v[0:1], v[0:1], v[4:5]
	;; [unrolled: 3-line block ×27, first 2 shown]
	s_waitcnt vmcnt(0)
	v_add_f64 v[4:5], v[228:229], -v[0:1]
	v_accvgpr_read_b32 v0, a86
	v_add_f64 v[6:7], v[230:231], -v[246:247]
	v_cmp_ne_u32_e32 vcc, 0, v0
	scratch_store_dwordx4 off, v[4:7], off offset:32
	s_and_saveexec_b64 s[0:1], vcc
	s_cbranch_execz .LBB106_271
; %bb.270:
	scratch_load_dwordx4 v[6:9], off, off offset:16
	v_mov_b32_e32 v3, v2
	v_mov_b32_e32 v4, v2
	;; [unrolled: 1-line block ×3, first 2 shown]
	v_accvgpr_read_b32 v0, a87
	scratch_store_dwordx4 off, v[2:5], off offset:16
	s_waitcnt vmcnt(1)
	ds_write_b128 v0, v[6:9]
.LBB106_271:
	s_or_b64 exec, exec, s[0:1]
	s_waitcnt lgkmcnt(0)
	; wave barrier
	scratch_load_dwordx4 v[88:91], off, off offset:32
	scratch_load_dwordx4 v[92:95], off, off offset:48
	;; [unrolled: 1-line block ×17, first 2 shown]
	ds_read_b128 v[220:223], v2 offset:704
	ds_read_b128 v[212:215], v2 offset:720
	;; [unrolled: 1-line block ×5, first 2 shown]
	scratch_load_dwordx4 v[20:23], off, off offset:304
	ds_read_b128 v[208:211], v2 offset:784
	ds_read_b128 v[192:195], v2 offset:800
	ds_read_b128 v[176:179], v2 offset:816
	scratch_load_dwordx4 v[24:27], off, off offset:320
	ds_read_b128 v[196:199], v2 offset:832
	ds_read_b128 v[180:183], v2 offset:848
	ds_read_b128 v[168:171], v2 offset:864
	;; [unrolled: 4-line block ×3, first 2 shown]
	ds_read_b128 v[40:43], v2 offset:928
	ds_read_b128 v[32:35], v2 offset:944
	scratch_load_dwordx4 v[36:39], off, off offset:352
	ds_read_b128 v[48:51], v2 offset:960
	scratch_load_dwordx4 v[52:55], off, off offset:368
	scratch_load_dwordx4 v[56:59], off, off offset:384
	;; [unrolled: 1-line block ×9, first 2 shown]
	ds_read_b128 v[140:143], v2 offset:976
	ds_read_b128 v[232:235], v2 offset:1040
	;; [unrolled: 1-line block ×3, first 2 shown]
	s_and_b64 vcc, exec, s[10:11]
	ds_read_b128 v[228:231], v2 offset:1024
	s_waitcnt vmcnt(29) lgkmcnt(14)
	v_mul_f64 v[0:1], v[220:221], v[90:91]
	s_waitcnt vmcnt(28)
	v_mul_f64 v[144:145], v[212:213], v[94:95]
	v_fmac_f64_e32 v[0:1], v[222:223], v[88:89]
	s_waitcnt vmcnt(27)
	v_mul_f64 v[146:147], v[204:205], v[98:99]
	v_fmac_f64_e32 v[144:145], v[214:215], v[92:93]
	v_add_f64 v[0:1], v[0:1], 0
	s_waitcnt vmcnt(26)
	v_mul_f64 v[148:149], v[200:201], v[102:103]
	v_fmac_f64_e32 v[146:147], v[206:207], v[96:97]
	v_add_f64 v[0:1], v[0:1], v[144:145]
	;; [unrolled: 4-line block ×5, first 2 shown]
	s_waitcnt vmcnt(22) lgkmcnt(13)
	v_mul_f64 v[156:157], v[176:177], v[118:119]
	v_fmac_f64_e32 v[154:155], v[194:195], v[112:113]
	v_add_f64 v[0:1], v[0:1], v[152:153]
	s_waitcnt vmcnt(21) lgkmcnt(12)
	v_mul_f64 v[158:159], v[196:197], v[122:123]
	v_fmac_f64_e32 v[156:157], v[178:179], v[116:117]
	v_add_f64 v[0:1], v[0:1], v[154:155]
	;; [unrolled: 4-line block ×8, first 2 shown]
	v_fmac_f64_e32 v[218:219], v[42:43], v[8:9]
	v_add_f64 v[0:1], v[0:1], v[216:217]
	s_waitcnt vmcnt(14) lgkmcnt(5)
	v_mul_f64 v[224:225], v[32:33], v[14:15]
	v_add_f64 v[0:1], v[0:1], v[218:219]
	ds_read_b128 v[216:219], v2 offset:992
	v_fmac_f64_e32 v[224:225], v[34:35], v[12:13]
	s_waitcnt vmcnt(13) lgkmcnt(5)
	v_mul_f64 v[148:149], v[48:49], v[18:19]
	scratch_load_dwordx4 v[144:147], off, off offset:512
	v_add_f64 v[0:1], v[0:1], v[224:225]
	v_fmac_f64_e32 v[148:149], v[50:51], v[16:17]
	s_waitcnt vmcnt(13) lgkmcnt(4)
	v_mul_f64 v[152:153], v[140:141], v[22:23]
	ds_read_b128 v[224:227], v2 offset:1008
	v_add_f64 v[0:1], v[0:1], v[148:149]
	scratch_load_dwordx4 v[148:151], off, off offset:528
	v_fmac_f64_e32 v[152:153], v[142:143], v[20:21]
	v_add_f64 v[0:1], v[0:1], v[152:153]
	scratch_load_dwordx4 v[152:155], off, off offset:544
	s_waitcnt vmcnt(14) lgkmcnt(1)
	v_mul_f64 v[156:157], v[216:217], v[26:27]
	v_fmac_f64_e32 v[156:157], v[218:219], v[24:25]
	v_add_f64 v[0:1], v[0:1], v[156:157]
	s_waitcnt vmcnt(13) lgkmcnt(0)
	v_mul_f64 v[160:161], v[224:225], v[30:31]
	scratch_load_dwordx4 v[156:159], off, off offset:560
	v_fmac_f64_e32 v[160:161], v[226:227], v[28:29]
	v_add_f64 v[0:1], v[0:1], v[160:161]
	scratch_load_dwordx4 v[160:163], off, off offset:576
	s_waitcnt vmcnt(14)
	v_mul_f64 v[164:165], v[228:229], v[38:39]
	v_fmac_f64_e32 v[164:165], v[230:231], v[36:37]
	s_waitcnt vmcnt(13)
	v_mul_f64 v[240:241], v[232:233], v[54:55]
	v_add_f64 v[0:1], v[0:1], v[164:165]
	v_fmac_f64_e32 v[240:241], v[234:235], v[52:53]
	v_mul_f64 v[90:91], v[222:223], v[90:91]
	scratch_load_dwordx4 v[164:167], off, off offset:592
	v_add_f64 v[0:1], v[0:1], v[240:241]
	v_fma_f64 v[240:241], v[220:221], v[88:89], -v[90:91]
	v_mul_f64 v[88:89], v[214:215], v[94:95]
	v_fma_f64 v[244:245], v[212:213], v[92:93], -v[88:89]
	scratch_load_dwordx4 v[92:95], off, off offset:608
	scratch_load_dwordx4 v[88:91], off, off offset:624
	v_mul_f64 v[98:99], v[206:207], v[98:99]
	v_fma_f64 v[246:247], v[204:205], v[96:97], -v[98:99]
	scratch_load_dwordx4 v[96:99], off, off offset:640
	ds_read_b128 v[220:223], v2 offset:1072
	v_mul_f64 v[102:103], v[202:203], v[102:103]
	v_fma_f64 v[248:249], v[200:201], v[100:101], -v[102:103]
	ds_read_b128 v[100:103], v2 offset:1088
	ds_read_b128 v[200:203], v2 offset:1104
	s_waitcnt vmcnt(16)
	v_mul_f64 v[242:243], v[236:237], v[58:59]
	v_mul_f64 v[106:107], v[190:191], v[106:107]
	v_fmac_f64_e32 v[242:243], v[238:239], v[56:57]
	s_waitcnt vmcnt(15) lgkmcnt(2)
	v_mul_f64 v[204:205], v[220:221], v[62:63]
	v_fma_f64 v[250:251], v[188:189], v[104:105], -v[106:107]
	ds_read_b128 v[104:107], v2 offset:1120
	v_add_f64 v[0:1], v[0:1], v[242:243]
	v_fmac_f64_e32 v[204:205], v[222:223], v[60:61]
	v_add_f64 v[0:1], v[0:1], v[204:205]
	s_waitcnt vmcnt(14) lgkmcnt(2)
	v_mul_f64 v[204:205], v[100:101], v[66:67]
	v_fmac_f64_e32 v[204:205], v[102:103], v[64:65]
	s_waitcnt vmcnt(13) lgkmcnt(1)
	v_mul_f64 v[188:189], v[200:201], v[70:71]
	v_add_f64 v[0:1], v[0:1], v[204:205]
	v_fmac_f64_e32 v[188:189], v[202:203], v[68:69]
	v_add_f64 v[0:1], v[0:1], v[188:189]
	v_mul_f64 v[110:111], v[210:211], v[110:111]
	s_waitcnt vmcnt(12) lgkmcnt(0)
	v_mul_f64 v[188:189], v[104:105], v[74:75]
	v_fma_f64 v[208:209], v[208:209], v[108:109], -v[110:111]
	ds_read_b128 v[108:111], v2 offset:1136
	v_fmac_f64_e32 v[188:189], v[106:107], v[72:73]
	v_add_f64 v[0:1], v[0:1], v[188:189]
	ds_read_b128 v[188:191], v2 offset:1152
	v_mul_f64 v[114:115], v[194:195], v[114:115]
	v_fma_f64 v[210:211], v[192:193], v[112:113], -v[114:115]
	ds_read_b128 v[112:115], v2 offset:1168
	v_mul_f64 v[118:119], v[178:179], v[118:119]
	s_waitcnt vmcnt(11) lgkmcnt(2)
	v_mul_f64 v[204:205], v[108:109], v[78:79]
	v_fma_f64 v[252:253], v[176:177], v[116:117], -v[118:119]
	ds_read_b128 v[116:119], v2 offset:1184
	v_fmac_f64_e32 v[204:205], v[110:111], v[76:77]
	s_waitcnt vmcnt(10) lgkmcnt(2)
	v_mul_f64 v[192:193], v[188:189], v[82:83]
	v_add_f64 v[0:1], v[0:1], v[204:205]
	v_fmac_f64_e32 v[192:193], v[190:191], v[80:81]
	ds_read_b128 v[176:179], v2 offset:1200
	v_mul_f64 v[122:123], v[198:199], v[122:123]
	v_add_f64 v[0:1], v[0:1], v[192:193]
	s_waitcnt vmcnt(9) lgkmcnt(2)
	v_mul_f64 v[192:193], v[112:113], v[86:87]
	v_fma_f64 v[254:255], v[196:197], v[120:121], -v[122:123]
	ds_read_b128 v[120:123], v2 offset:1216
	v_fmac_f64_e32 v[192:193], v[114:115], v[84:85]
	v_accvgpr_write_b32 a89, v7
	v_add_f64 v[0:1], v[0:1], v[192:193]
	s_waitcnt vmcnt(8) lgkmcnt(2)
	v_mul_f64 v[192:193], v[116:117], v[146:147]
	v_mul_f64 v[126:127], v[182:183], v[126:127]
	v_accvgpr_write_b32 a88, v6
	v_accvgpr_write_b32 a87, v5
	;; [unrolled: 1-line block ×3, first 2 shown]
	v_fmac_f64_e32 v[192:193], v[118:119], v[144:145]
	v_fma_f64 v[4:5], v[180:181], v[124:125], -v[126:127]
	ds_read_b128 v[124:127], v2 offset:1232
	ds_read_b128 v[180:183], v2 offset:1248
	v_add_f64 v[0:1], v[0:1], v[192:193]
	s_waitcnt vmcnt(7) lgkmcnt(3)
	v_mul_f64 v[192:193], v[176:177], v[150:151]
	v_fmac_f64_e32 v[192:193], v[178:179], v[148:149]
	s_waitcnt vmcnt(6) lgkmcnt(2)
	v_mul_f64 v[6:7], v[120:121], v[154:155]
	v_add_f64 v[0:1], v[0:1], v[192:193]
	v_fmac_f64_e32 v[6:7], v[122:123], v[152:153]
	v_add_f64 v[0:1], v[0:1], v[6:7]
	v_mul_f64 v[6:7], v[170:171], v[130:131]
	v_fma_f64 v[6:7], v[168:169], v[128:129], -v[6:7]
	s_waitcnt vmcnt(5) lgkmcnt(1)
	v_mul_f64 v[168:169], v[124:125], v[158:159]
	v_fmac_f64_e32 v[168:169], v[126:127], v[156:157]
	v_add_f64 v[0:1], v[0:1], v[168:169]
	s_waitcnt vmcnt(4) lgkmcnt(0)
	v_mul_f64 v[168:169], v[180:181], v[162:163]
	ds_read_b128 v[128:131], v2 offset:1264
	v_fmac_f64_e32 v[168:169], v[182:183], v[160:161]
	v_mul_f64 v[134:135], v[186:187], v[134:135]
	v_add_f64 v[0:1], v[0:1], v[168:169]
	v_fma_f64 v[132:133], v[184:185], v[132:133], -v[134:135]
	ds_read_b128 v[168:171], v2 offset:1280
	v_accvgpr_write_b32 a90, v132
	v_accvgpr_write_b32 a91, v133
	ds_read_b128 v[132:135], v2 offset:1296
	v_mul_f64 v[138:139], v[174:175], v[138:139]
	s_waitcnt vmcnt(3) lgkmcnt(2)
	v_mul_f64 v[192:193], v[128:129], v[166:167]
	v_fma_f64 v[242:243], v[172:173], v[136:137], -v[138:139]
	ds_read_b128 v[136:139], v2 offset:1312
	v_fmac_f64_e32 v[192:193], v[130:131], v[164:165]
	s_waitcnt vmcnt(2) lgkmcnt(2)
	v_mul_f64 v[172:173], v[168:169], v[94:95]
	v_add_f64 v[0:1], v[0:1], v[192:193]
	v_fmac_f64_e32 v[172:173], v[170:171], v[92:93]
	v_add_f64 v[0:1], v[0:1], v[172:173]
	s_waitcnt vmcnt(1) lgkmcnt(1)
	v_mul_f64 v[172:173], v[132:133], v[90:91]
	v_fmac_f64_e32 v[172:173], v[134:135], v[88:89]
	v_add_f64 v[0:1], v[0:1], v[172:173]
	s_waitcnt vmcnt(0) lgkmcnt(0)
	v_mul_f64 v[172:173], v[136:137], v[98:99]
	v_fmac_f64_e32 v[172:173], v[138:139], v[96:97]
	v_add_f64 v[0:1], v[0:1], v[172:173]
	scratch_load_dwordx4 v[172:175], off, off offset:656
	ds_read_b128 v[184:187], v2 offset:1328
	ds_read_b128 v[196:199], v2 offset:1344
	s_waitcnt vmcnt(0) lgkmcnt(1)
	v_mul_f64 v[192:193], v[184:185], v[174:175]
	v_fmac_f64_e32 v[192:193], v[186:187], v[172:173]
	v_add_f64 v[0:1], v[0:1], v[192:193]
	scratch_load_dwordx4 v[192:195], off, off offset:672
	s_waitcnt vmcnt(0) lgkmcnt(0)
	v_mul_f64 v[204:205], v[196:197], v[194:195]
	v_fmac_f64_e32 v[204:205], v[198:199], v[192:193]
	v_add_f64 v[212:213], v[0:1], v[204:205]
	scratch_load_dwordx4 v[204:207], off, off offset:688
	ds_read_b128 v[0:3], v2 offset:1360
	s_waitcnt vmcnt(0) lgkmcnt(0)
	v_mul_f64 v[214:215], v[0:1], v[206:207]
	v_fmac_f64_e32 v[214:215], v[2:3], v[204:205]
	v_add_f64 v[212:213], v[212:213], v[214:215]
	v_add_f64 v[214:215], v[240:241], 0
	;; [unrolled: 1-line block ×11, first 2 shown]
	scratch_load_dwordx4 v[208:211], off, off offset:16
	v_add_f64 v[244:245], v[4:5], v[6:7]
	v_accvgpr_read_b32 v4, a90
	v_accvgpr_read_b32 v5, a91
	v_add_f64 v[4:5], v[244:245], v[4:5]
	v_add_f64 v[4:5], v[4:5], v[242:243]
	v_accvgpr_read_b32 v243, a89
	v_accvgpr_read_b32 v242, a88
	;; [unrolled: 1-line block ×4, first 2 shown]
	v_mul_f64 v[6:7], v[46:47], v[242:243]
	v_fma_f64 v[6:7], v[44:45], v[240:241], -v[6:7]
	v_add_f64 v[4:5], v[4:5], v[6:7]
	v_mul_f64 v[6:7], v[42:43], v[10:11]
	v_fma_f64 v[6:7], v[40:41], v[8:9], -v[6:7]
	v_add_f64 v[4:5], v[4:5], v[6:7]
	v_mul_f64 v[6:7], v[34:35], v[14:15]
	v_fma_f64 v[6:7], v[32:33], v[12:13], -v[6:7]
	v_add_f64 v[4:5], v[4:5], v[6:7]
	v_mul_f64 v[6:7], v[50:51], v[18:19]
	v_fma_f64 v[6:7], v[48:49], v[16:17], -v[6:7]
	v_add_f64 v[4:5], v[4:5], v[6:7]
	v_mul_f64 v[6:7], v[142:143], v[22:23]
	v_fma_f64 v[6:7], v[140:141], v[20:21], -v[6:7]
	v_add_f64 v[4:5], v[4:5], v[6:7]
	v_mul_f64 v[6:7], v[218:219], v[26:27]
	v_fma_f64 v[6:7], v[216:217], v[24:25], -v[6:7]
	v_add_f64 v[4:5], v[4:5], v[6:7]
	v_mul_f64 v[6:7], v[226:227], v[30:31]
	v_fma_f64 v[6:7], v[224:225], v[28:29], -v[6:7]
	v_add_f64 v[4:5], v[4:5], v[6:7]
	v_mul_f64 v[6:7], v[230:231], v[38:39]
	v_fma_f64 v[6:7], v[228:229], v[36:37], -v[6:7]
	v_add_f64 v[4:5], v[4:5], v[6:7]
	v_mul_f64 v[6:7], v[234:235], v[54:55]
	v_fma_f64 v[6:7], v[232:233], v[52:53], -v[6:7]
	v_add_f64 v[4:5], v[4:5], v[6:7]
	v_mul_f64 v[6:7], v[238:239], v[58:59]
	v_fma_f64 v[6:7], v[236:237], v[56:57], -v[6:7]
	v_add_f64 v[4:5], v[4:5], v[6:7]
	v_mul_f64 v[6:7], v[222:223], v[62:63]
	v_fma_f64 v[6:7], v[220:221], v[60:61], -v[6:7]
	v_add_f64 v[4:5], v[4:5], v[6:7]
	v_mul_f64 v[6:7], v[102:103], v[66:67]
	v_fma_f64 v[6:7], v[100:101], v[64:65], -v[6:7]
	v_add_f64 v[4:5], v[4:5], v[6:7]
	v_mul_f64 v[6:7], v[202:203], v[70:71]
	v_fma_f64 v[6:7], v[200:201], v[68:69], -v[6:7]
	v_add_f64 v[4:5], v[4:5], v[6:7]
	v_mul_f64 v[6:7], v[106:107], v[74:75]
	v_fma_f64 v[6:7], v[104:105], v[72:73], -v[6:7]
	v_add_f64 v[4:5], v[4:5], v[6:7]
	v_mul_f64 v[6:7], v[110:111], v[78:79]
	v_fma_f64 v[6:7], v[108:109], v[76:77], -v[6:7]
	v_add_f64 v[4:5], v[4:5], v[6:7]
	v_mul_f64 v[6:7], v[190:191], v[82:83]
	v_fma_f64 v[6:7], v[188:189], v[80:81], -v[6:7]
	v_add_f64 v[4:5], v[4:5], v[6:7]
	v_mul_f64 v[6:7], v[114:115], v[86:87]
	v_fma_f64 v[6:7], v[112:113], v[84:85], -v[6:7]
	v_add_f64 v[4:5], v[4:5], v[6:7]
	v_mul_f64 v[6:7], v[118:119], v[146:147]
	v_fma_f64 v[6:7], v[116:117], v[144:145], -v[6:7]
	v_add_f64 v[4:5], v[4:5], v[6:7]
	v_mul_f64 v[6:7], v[178:179], v[150:151]
	v_fma_f64 v[6:7], v[176:177], v[148:149], -v[6:7]
	v_add_f64 v[4:5], v[4:5], v[6:7]
	v_mul_f64 v[6:7], v[122:123], v[154:155]
	v_fma_f64 v[6:7], v[120:121], v[152:153], -v[6:7]
	v_add_f64 v[4:5], v[4:5], v[6:7]
	v_mul_f64 v[6:7], v[126:127], v[158:159]
	v_fma_f64 v[6:7], v[124:125], v[156:157], -v[6:7]
	v_add_f64 v[4:5], v[4:5], v[6:7]
	v_mul_f64 v[6:7], v[182:183], v[162:163]
	v_fma_f64 v[6:7], v[180:181], v[160:161], -v[6:7]
	v_add_f64 v[4:5], v[4:5], v[6:7]
	v_mul_f64 v[6:7], v[130:131], v[166:167]
	v_fma_f64 v[6:7], v[128:129], v[164:165], -v[6:7]
	v_add_f64 v[4:5], v[4:5], v[6:7]
	v_mul_f64 v[6:7], v[170:171], v[94:95]
	v_fma_f64 v[6:7], v[168:169], v[92:93], -v[6:7]
	v_add_f64 v[4:5], v[4:5], v[6:7]
	v_mul_f64 v[6:7], v[134:135], v[90:91]
	v_fma_f64 v[6:7], v[132:133], v[88:89], -v[6:7]
	v_add_f64 v[4:5], v[4:5], v[6:7]
	v_mul_f64 v[6:7], v[138:139], v[98:99]
	v_fma_f64 v[6:7], v[136:137], v[96:97], -v[6:7]
	v_add_f64 v[4:5], v[4:5], v[6:7]
	v_mul_f64 v[6:7], v[186:187], v[174:175]
	v_fma_f64 v[6:7], v[184:185], v[172:173], -v[6:7]
	v_add_f64 v[4:5], v[4:5], v[6:7]
	v_mul_f64 v[6:7], v[198:199], v[194:195]
	v_fma_f64 v[6:7], v[196:197], v[192:193], -v[6:7]
	v_mul_f64 v[2:3], v[2:3], v[206:207]
	v_add_f64 v[4:5], v[4:5], v[6:7]
	v_fma_f64 v[0:1], v[0:1], v[204:205], -v[2:3]
	v_add_f64 v[0:1], v[4:5], v[0:1]
	s_waitcnt vmcnt(0)
	v_add_f64 v[0:1], v[208:209], -v[0:1]
	v_add_f64 v[2:3], v[210:211], -v[212:213]
	scratch_store_dwordx4 off, v[0:3], off offset:16
	s_cbranch_vccz .LBB106_356
; %bb.272:
	s_nop 0
	v_mov_b32_e32 v0, 0
	global_load_dword v1, v0, s[8:9] offset:164
	s_waitcnt vmcnt(0)
	v_readfirstlane_b32 s0, v1
	s_add_i32 s0, s0, -1
	s_cmp_lg_u32 s0, 41
	s_cbranch_scc0 .LBB106_274
; %bb.273:
	s_lshl_b32 s0, s0, 4
	s_add_i32 s0, s0, 16
	scratch_load_dwordx4 v[2:5], off, s0
	scratch_load_dwordx4 v[6:9], off, s17
	s_waitcnt vmcnt(1)
	scratch_store_dwordx4 off, v[2:5], s17
	s_waitcnt vmcnt(1)
	scratch_store_dwordx4 off, v[6:9], s0
.LBB106_274:
	global_load_dword v0, v0, s[8:9] offset:160
	s_waitcnt vmcnt(0)
	v_readfirstlane_b32 s0, v0
	s_add_i32 s0, s0, -1
	s_cmp_eq_u32 s0, 40
	s_cbranch_scc1 .LBB106_276
; %bb.275:
	s_lshl_b32 s0, s0, 4
	s_add_i32 s0, s0, 16
	scratch_load_dwordx4 v[0:3], off, s0
	scratch_load_dwordx4 v[4:7], off, s18
	s_waitcnt vmcnt(1)
	scratch_store_dwordx4 off, v[0:3], s18
	s_waitcnt vmcnt(1)
	scratch_store_dwordx4 off, v[4:7], s0
.LBB106_276:
	v_mov_b32_e32 v0, 0
	global_load_dword v1, v0, s[8:9] offset:156
	s_waitcnt vmcnt(0)
	v_readfirstlane_b32 s0, v1
	s_add_i32 s0, s0, -1
	s_cmp_eq_u32 s0, 39
	s_cbranch_scc1 .LBB106_278
; %bb.277:
	s_lshl_b32 s0, s0, 4
	s_add_i32 s0, s0, 16
	scratch_load_dwordx4 v[2:5], off, s0
	scratch_load_dwordx4 v[6:9], off, s19
	s_waitcnt vmcnt(1)
	scratch_store_dwordx4 off, v[2:5], s19
	s_waitcnt vmcnt(1)
	scratch_store_dwordx4 off, v[6:9], s0
.LBB106_278:
	global_load_dword v0, v0, s[8:9] offset:152
	s_waitcnt vmcnt(0)
	v_readfirstlane_b32 s0, v0
	s_add_i32 s0, s0, -1
	s_cmp_eq_u32 s0, 38
	s_cbranch_scc1 .LBB106_280
; %bb.279:
	s_lshl_b32 s0, s0, 4
	s_add_i32 s0, s0, 16
	scratch_load_dwordx4 v[0:3], off, s0
	scratch_load_dwordx4 v[4:7], off, s20
	s_waitcnt vmcnt(1)
	scratch_store_dwordx4 off, v[0:3], s20
	s_waitcnt vmcnt(1)
	scratch_store_dwordx4 off, v[4:7], s0
.LBB106_280:
	v_mov_b32_e32 v0, 0
	global_load_dword v1, v0, s[8:9] offset:148
	s_waitcnt vmcnt(0)
	v_readfirstlane_b32 s0, v1
	s_add_i32 s0, s0, -1
	s_cmp_eq_u32 s0, 37
	s_cbranch_scc1 .LBB106_282
; %bb.281:
	s_lshl_b32 s0, s0, 4
	s_add_i32 s0, s0, 16
	scratch_load_dwordx4 v[2:5], off, s0
	scratch_load_dwordx4 v[6:9], off, s21
	s_waitcnt vmcnt(1)
	scratch_store_dwordx4 off, v[2:5], s21
	s_waitcnt vmcnt(1)
	scratch_store_dwordx4 off, v[6:9], s0
.LBB106_282:
	;; [unrolled: 33-line block ×20, first 2 shown]
	global_load_dword v0, v0, s[8:9]
	s_waitcnt vmcnt(0)
	v_readfirstlane_b32 s0, v0
	s_add_i32 s0, s0, -1
	s_cmp_eq_u32 s0, 0
	s_cbranch_scc1 .LBB106_356
; %bb.355:
	s_lshl_b32 s0, s0, 4
	s_add_i32 s0, s0, 16
	scratch_load_dwordx4 v[0:3], off, s0
	scratch_load_dwordx4 v[4:7], off, off offset:16
	s_waitcnt vmcnt(1)
	scratch_store_dwordx4 off, v[0:3], off offset:16
	s_waitcnt vmcnt(1)
	scratch_store_dwordx4 off, v[4:7], s0
.LBB106_356:
	scratch_load_dwordx4 v[0:3], off, off offset:16
	s_nop 0
	v_accvgpr_read_b32 v5, a1
	v_accvgpr_read_b32 v4, a0
	s_waitcnt vmcnt(0)
	flat_store_dwordx4 v[4:5], v[0:3]
	scratch_load_dwordx4 v[0:3], off, s58
	v_accvgpr_read_b32 v5, a3
	v_accvgpr_read_b32 v4, a2
	s_waitcnt vmcnt(0)
	flat_store_dwordx4 v[4:5], v[0:3]
	scratch_load_dwordx4 v[0:3], off, s57
	;; [unrolled: 5-line block ×42, first 2 shown]
	v_accvgpr_read_b32 v4, a84
	v_accvgpr_read_b32 v5, a85
	s_waitcnt vmcnt(0)
	flat_store_dwordx4 v[4:5], v[0:3]
	s_endpgm
	.section	.rodata,"a",@progbits
	.p2align	6, 0x0
	.amdhsa_kernel _ZN9rocsolver6v33100L18getri_kernel_smallILi43E19rocblas_complex_numIdEPKPS3_EEvT1_iilPiilS8_bb
		.amdhsa_group_segment_fixed_size 1384
		.amdhsa_private_segment_fixed_size 720
		.amdhsa_kernarg_size 60
		.amdhsa_user_sgpr_count 2
		.amdhsa_user_sgpr_dispatch_ptr 0
		.amdhsa_user_sgpr_queue_ptr 0
		.amdhsa_user_sgpr_kernarg_segment_ptr 1
		.amdhsa_user_sgpr_dispatch_id 0
		.amdhsa_user_sgpr_kernarg_preload_length 0
		.amdhsa_user_sgpr_kernarg_preload_offset 0
		.amdhsa_user_sgpr_private_segment_size 0
		.amdhsa_uses_dynamic_stack 0
		.amdhsa_enable_private_segment 1
		.amdhsa_system_sgpr_workgroup_id_x 1
		.amdhsa_system_sgpr_workgroup_id_y 0
		.amdhsa_system_sgpr_workgroup_id_z 0
		.amdhsa_system_sgpr_workgroup_info 0
		.amdhsa_system_vgpr_workitem_id 0
		.amdhsa_next_free_vgpr 352
		.amdhsa_next_free_sgpr 74
		.amdhsa_accum_offset 256
		.amdhsa_reserve_vcc 1
		.amdhsa_float_round_mode_32 0
		.amdhsa_float_round_mode_16_64 0
		.amdhsa_float_denorm_mode_32 3
		.amdhsa_float_denorm_mode_16_64 3
		.amdhsa_dx10_clamp 1
		.amdhsa_ieee_mode 1
		.amdhsa_fp16_overflow 0
		.amdhsa_tg_split 0
		.amdhsa_exception_fp_ieee_invalid_op 0
		.amdhsa_exception_fp_denorm_src 0
		.amdhsa_exception_fp_ieee_div_zero 0
		.amdhsa_exception_fp_ieee_overflow 0
		.amdhsa_exception_fp_ieee_underflow 0
		.amdhsa_exception_fp_ieee_inexact 0
		.amdhsa_exception_int_div_zero 0
	.end_amdhsa_kernel
	.section	.text._ZN9rocsolver6v33100L18getri_kernel_smallILi43E19rocblas_complex_numIdEPKPS3_EEvT1_iilPiilS8_bb,"axG",@progbits,_ZN9rocsolver6v33100L18getri_kernel_smallILi43E19rocblas_complex_numIdEPKPS3_EEvT1_iilPiilS8_bb,comdat
.Lfunc_end106:
	.size	_ZN9rocsolver6v33100L18getri_kernel_smallILi43E19rocblas_complex_numIdEPKPS3_EEvT1_iilPiilS8_bb, .Lfunc_end106-_ZN9rocsolver6v33100L18getri_kernel_smallILi43E19rocblas_complex_numIdEPKPS3_EEvT1_iilPiilS8_bb
                                        ; -- End function
	.set _ZN9rocsolver6v33100L18getri_kernel_smallILi43E19rocblas_complex_numIdEPKPS3_EEvT1_iilPiilS8_bb.num_vgpr, 256
	.set _ZN9rocsolver6v33100L18getri_kernel_smallILi43E19rocblas_complex_numIdEPKPS3_EEvT1_iilPiilS8_bb.num_agpr, 96
	.set _ZN9rocsolver6v33100L18getri_kernel_smallILi43E19rocblas_complex_numIdEPKPS3_EEvT1_iilPiilS8_bb.numbered_sgpr, 74
	.set _ZN9rocsolver6v33100L18getri_kernel_smallILi43E19rocblas_complex_numIdEPKPS3_EEvT1_iilPiilS8_bb.num_named_barrier, 0
	.set _ZN9rocsolver6v33100L18getri_kernel_smallILi43E19rocblas_complex_numIdEPKPS3_EEvT1_iilPiilS8_bb.private_seg_size, 720
	.set _ZN9rocsolver6v33100L18getri_kernel_smallILi43E19rocblas_complex_numIdEPKPS3_EEvT1_iilPiilS8_bb.uses_vcc, 1
	.set _ZN9rocsolver6v33100L18getri_kernel_smallILi43E19rocblas_complex_numIdEPKPS3_EEvT1_iilPiilS8_bb.uses_flat_scratch, 0
	.set _ZN9rocsolver6v33100L18getri_kernel_smallILi43E19rocblas_complex_numIdEPKPS3_EEvT1_iilPiilS8_bb.has_dyn_sized_stack, 0
	.set _ZN9rocsolver6v33100L18getri_kernel_smallILi43E19rocblas_complex_numIdEPKPS3_EEvT1_iilPiilS8_bb.has_recursion, 0
	.set _ZN9rocsolver6v33100L18getri_kernel_smallILi43E19rocblas_complex_numIdEPKPS3_EEvT1_iilPiilS8_bb.has_indirect_call, 0
	.section	.AMDGPU.csdata,"",@progbits
; Kernel info:
; codeLenInByte = 80064
; TotalNumSgprs: 80
; NumVgprs: 256
; NumAgprs: 96
; TotalNumVgprs: 352
; ScratchSize: 720
; MemoryBound: 0
; FloatMode: 240
; IeeeMode: 1
; LDSByteSize: 1384 bytes/workgroup (compile time only)
; SGPRBlocks: 9
; VGPRBlocks: 43
; NumSGPRsForWavesPerEU: 80
; NumVGPRsForWavesPerEU: 352
; AccumOffset: 256
; Occupancy: 1
; WaveLimiterHint : 1
; COMPUTE_PGM_RSRC2:SCRATCH_EN: 1
; COMPUTE_PGM_RSRC2:USER_SGPR: 2
; COMPUTE_PGM_RSRC2:TRAP_HANDLER: 0
; COMPUTE_PGM_RSRC2:TGID_X_EN: 1
; COMPUTE_PGM_RSRC2:TGID_Y_EN: 0
; COMPUTE_PGM_RSRC2:TGID_Z_EN: 0
; COMPUTE_PGM_RSRC2:TIDIG_COMP_CNT: 0
; COMPUTE_PGM_RSRC3_GFX90A:ACCUM_OFFSET: 63
; COMPUTE_PGM_RSRC3_GFX90A:TG_SPLIT: 0
	.section	.text._ZN9rocsolver6v33100L18getri_kernel_smallILi44E19rocblas_complex_numIdEPKPS3_EEvT1_iilPiilS8_bb,"axG",@progbits,_ZN9rocsolver6v33100L18getri_kernel_smallILi44E19rocblas_complex_numIdEPKPS3_EEvT1_iilPiilS8_bb,comdat
	.globl	_ZN9rocsolver6v33100L18getri_kernel_smallILi44E19rocblas_complex_numIdEPKPS3_EEvT1_iilPiilS8_bb ; -- Begin function _ZN9rocsolver6v33100L18getri_kernel_smallILi44E19rocblas_complex_numIdEPKPS3_EEvT1_iilPiilS8_bb
	.p2align	8
	.type	_ZN9rocsolver6v33100L18getri_kernel_smallILi44E19rocblas_complex_numIdEPKPS3_EEvT1_iilPiilS8_bb,@function
_ZN9rocsolver6v33100L18getri_kernel_smallILi44E19rocblas_complex_numIdEPKPS3_EEvT1_iilPiilS8_bb: ; @_ZN9rocsolver6v33100L18getri_kernel_smallILi44E19rocblas_complex_numIdEPKPS3_EEvT1_iilPiilS8_bb
; %bb.0:
	v_mov_b32_e32 v240, v0
	v_cmp_gt_u32_e32 vcc, 44, v240
	s_and_saveexec_b64 s[4:5], vcc
	s_cbranch_execz .LBB107_190
; %bb.1:
	s_load_dword s14, s[0:1], 0x38
	s_load_dwordx2 s[8:9], s[0:1], 0x0
	s_load_dwordx4 s[4:7], s[0:1], 0x28
	s_waitcnt lgkmcnt(0)
	s_bitcmp1_b32 s14, 8
	s_cselect_b64 s[10:11], -1, 0
	s_ashr_i32 s3, s2, 31
	s_lshl_b64 s[12:13], s[2:3], 3
	s_add_u32 s8, s8, s12
	s_addc_u32 s9, s9, s13
	s_load_dwordx2 s[12:13], s[8:9], 0x0
	s_bfe_u32 s8, s14, 0x10008
	s_cmp_eq_u32 s8, 0
                                        ; implicit-def: $sgpr8_sgpr9
	s_cbranch_scc1 .LBB107_3
; %bb.2:
	s_load_dword s8, s[0:1], 0x20
	s_load_dwordx2 s[14:15], s[0:1], 0x18
	s_mul_i32 s9, s4, s3
	s_mul_hi_u32 s16, s4, s2
	s_add_i32 s16, s16, s9
	s_mul_i32 s5, s5, s2
	s_add_i32 s5, s16, s5
	s_mul_i32 s4, s4, s2
	s_waitcnt lgkmcnt(0)
	s_ashr_i32 s9, s8, 31
	s_lshl_b64 s[4:5], s[4:5], 2
	s_add_u32 s14, s14, s4
	s_addc_u32 s15, s15, s5
	s_lshl_b64 s[4:5], s[8:9], 2
	s_add_u32 s8, s14, s4
	s_addc_u32 s9, s15, s5
.LBB107_3:
	s_load_dwordx2 s[4:5], s[0:1], 0x8
	s_load_dword s14, s[0:1], 0x38
	v_lshlrev_b32_e32 v14, 4, v240
	v_mov_b32_e32 v15, 0
	s_movk_i32 s15, 0x80
	s_waitcnt lgkmcnt(0)
	s_ashr_i32 s1, s4, 31
	s_mov_b32 s0, s4
	s_lshl_b64 s[0:1], s[0:1], 4
	s_add_u32 s0, s12, s0
	s_addc_u32 s1, s13, s1
	v_lshl_add_u64 v[0:1], s[0:1], 0, v[14:15]
	flat_load_dwordx4 v[2:5], v[0:1]
	s_mov_b32 s12, s5
	s_ashr_i32 s13, s5, 31
	v_accvgpr_write_b32 a0, v0
	v_accvgpr_write_b32 a1, v1
	v_lshl_add_u64 v[0:1], s[12:13], 4, v[0:1]
	s_add_i32 s4, s5, s5
	v_add_u32_e32 v6, s4, v240
	v_accvgpr_write_b32 a3, v1
	v_ashrrev_i32_e32 v7, 31, v6
	v_accvgpr_write_b32 a2, v0
	s_movk_i32 s4, 0x50
	s_movk_i32 s12, 0x60
	;; [unrolled: 1-line block ×35, first 2 shown]
	s_add_i32 s55, s4, 16
	s_add_i32 s54, s12, 16
	;; [unrolled: 1-line block ×34, first 2 shown]
	s_waitcnt vmcnt(0) lgkmcnt(0)
	scratch_store_dwordx4 off, v[2:5], off offset:16
	flat_load_dwordx4 v[2:5], v[0:1]
	v_lshl_add_u64 v[0:1], v[6:7], 4, s[0:1]
	v_add_u32_e32 v6, s5, v6
	v_accvgpr_write_b32 a5, v1
	v_ashrrev_i32_e32 v7, 31, v6
	v_accvgpr_write_b32 a4, v0
	s_add_i32 s17, s74, 16
	s_add_i32 s16, s75, 16
	s_mov_b32 s59, 32
	s_mov_b32 s58, 48
	;; [unrolled: 1-line block ×3, first 2 shown]
	s_movk_i32 s56, 0x50
	s_waitcnt vmcnt(0) lgkmcnt(0)
	scratch_store_dwordx4 off, v[2:5], off offset:32
	flat_load_dwordx4 v[2:5], v[0:1]
	v_lshl_add_u64 v[0:1], v[6:7], 4, s[0:1]
	v_add_u32_e32 v6, s5, v6
	v_accvgpr_write_b32 a7, v1
	v_ashrrev_i32_e32 v7, 31, v6
	v_accvgpr_write_b32 a6, v0
	s_waitcnt vmcnt(0) lgkmcnt(0)
	scratch_store_dwordx4 off, v[2:5], off offset:48
	flat_load_dwordx4 v[2:5], v[0:1]
	v_lshl_add_u64 v[0:1], v[6:7], 4, s[0:1]
	v_add_u32_e32 v6, s5, v6
	v_accvgpr_write_b32 a9, v1
	v_ashrrev_i32_e32 v7, 31, v6
	v_accvgpr_write_b32 a8, v0
	;; [unrolled: 8-line block ×40, first 2 shown]
	s_movk_i32 s5, 0xb0
	s_add_i32 s49, s5, 16
	s_mov_b64 s[4:5], -1
	s_waitcnt vmcnt(0) lgkmcnt(0)
	scratch_store_dwordx4 off, v[2:5], off offset:672
	flat_load_dwordx4 v[2:5], v[0:1]
	v_lshl_add_u64 v[0:1], v[6:7], 4, s[0:1]
	s_movk_i32 s0, 0x90
	s_movk_i32 s1, 0xa0
	v_accvgpr_write_b32 a87, v1
	s_add_i32 s51, s0, 16
	s_add_i32 s50, s1, 16
	v_accvgpr_write_b32 a86, v0
	s_bitcmp0_b32 s14, 0
	s_waitcnt vmcnt(0) lgkmcnt(0)
	scratch_store_dwordx4 off, v[2:5], off offset:688
	flat_load_dwordx4 v[2:5], v[0:1]
	s_waitcnt vmcnt(0) lgkmcnt(0)
	scratch_store_dwordx4 off, v[2:5], off offset:704
	s_cbranch_scc1 .LBB107_188
; %bb.4:
	v_cmp_eq_u32_e64 s[0:1], 0, v240
	s_and_saveexec_b64 s[4:5], s[0:1]
; %bb.5:
	v_mov_b32_e32 v0, 0
	ds_write_b32 v0, v0 offset:1408
; %bb.6:
	s_or_b64 exec, exec, s[4:5]
	s_waitcnt lgkmcnt(0)
	; wave barrier
	scratch_load_dwordx4 v[2:5], v14, off offset:16
	s_waitcnt vmcnt(0)
	v_cmp_eq_f64_e32 vcc, 0, v[2:3]
	v_cmp_eq_f64_e64 s[4:5], 0, v[4:5]
	s_and_b64 s[4:5], vcc, s[4:5]
	s_and_saveexec_b64 s[12:13], s[4:5]
	s_cbranch_execz .LBB107_10
; %bb.7:
	v_mov_b32_e32 v1, 0
	ds_read_b32 v0, v1 offset:1408
	v_add_u32_e32 v2, 1, v240
	s_waitcnt lgkmcnt(0)
	v_readfirstlane_b32 s4, v0
	s_cmp_eq_u32 s4, 0
	s_cselect_b64 s[14:15], -1, 0
	v_cmp_gt_i32_e32 vcc, s4, v2
	s_or_b64 s[14:15], s[14:15], vcc
	s_and_b64 exec, exec, s[14:15]
	s_cbranch_execz .LBB107_10
; %bb.8:
	s_mov_b64 s[14:15], 0
	v_mov_b32_e32 v3, s4
.LBB107_9:                              ; =>This Inner Loop Header: Depth=1
	ds_cmpst_rtn_b32 v3, v1, v3, v2 offset:1408
	s_waitcnt lgkmcnt(0)
	v_cmp_ne_u32_e32 vcc, 0, v3
	v_cmp_le_i32_e64 s[4:5], v3, v2
	s_and_b64 s[4:5], vcc, s[4:5]
	s_and_b64 s[4:5], exec, s[4:5]
	s_or_b64 s[14:15], s[4:5], s[14:15]
	s_andn2_b64 exec, exec, s[14:15]
	s_cbranch_execnz .LBB107_9
.LBB107_10:
	s_or_b64 exec, exec, s[12:13]
	v_mov_b32_e32 v2, 0
	; wave barrier
	ds_read_b32 v1, v2 offset:1408
	s_and_saveexec_b64 s[4:5], s[0:1]
	s_cbranch_execz .LBB107_12
; %bb.11:
	s_lshl_b64 s[12:13], s[2:3], 2
	s_add_u32 s12, s6, s12
	s_addc_u32 s13, s7, s13
	s_waitcnt lgkmcnt(0)
	global_store_dword v2, v1, s[12:13]
.LBB107_12:
	s_or_b64 exec, exec, s[4:5]
	s_waitcnt lgkmcnt(0)
	v_cmp_ne_u32_e32 vcc, 0, v1
	s_mov_b64 s[4:5], 0
	s_cbranch_vccnz .LBB107_188
; %bb.13:
	v_add_u32_e32 v15, 16, v14
	scratch_load_dwordx4 v[2:5], v15, off
                                        ; implicit-def: $vgpr6_vgpr7
                                        ; implicit-def: $vgpr10_vgpr11
	s_waitcnt vmcnt(0)
	v_cmp_ngt_f64_e64 s[4:5], |v[2:3]|, |v[4:5]|
	s_and_saveexec_b64 s[12:13], s[4:5]
	s_xor_b64 s[4:5], exec, s[12:13]
	s_cbranch_execz .LBB107_15
; %bb.14:
	v_div_scale_f64 v[6:7], s[12:13], v[4:5], v[4:5], v[2:3]
	v_rcp_f64_e32 v[8:9], v[6:7]
	v_div_scale_f64 v[10:11], vcc, v[2:3], v[4:5], v[2:3]
	v_fma_f64 v[12:13], -v[6:7], v[8:9], 1.0
	v_fmac_f64_e32 v[8:9], v[8:9], v[12:13]
	v_fma_f64 v[12:13], -v[6:7], v[8:9], 1.0
	v_fmac_f64_e32 v[8:9], v[8:9], v[12:13]
	v_mul_f64 v[12:13], v[10:11], v[8:9]
	v_fma_f64 v[6:7], -v[6:7], v[12:13], v[10:11]
	v_div_fmas_f64 v[6:7], v[6:7], v[8:9], v[12:13]
	v_div_fixup_f64 v[6:7], v[6:7], v[4:5], v[2:3]
	v_fmac_f64_e32 v[4:5], v[2:3], v[6:7]
	v_div_scale_f64 v[2:3], s[12:13], v[4:5], v[4:5], 1.0
	v_rcp_f64_e32 v[8:9], v[2:3]
	s_nop 0
	v_fma_f64 v[10:11], -v[2:3], v[8:9], 1.0
	v_fmac_f64_e32 v[8:9], v[8:9], v[10:11]
	v_fma_f64 v[10:11], -v[2:3], v[8:9], 1.0
	v_fmac_f64_e32 v[8:9], v[8:9], v[10:11]
	v_div_scale_f64 v[10:11], vcc, 1.0, v[4:5], 1.0
	v_mul_f64 v[12:13], v[10:11], v[8:9]
	v_fma_f64 v[2:3], -v[2:3], v[12:13], v[10:11]
	s_nop 1
	v_div_fmas_f64 v[2:3], v[2:3], v[8:9], v[12:13]
	v_div_fixup_f64 v[8:9], v[2:3], v[4:5], 1.0
	v_mul_f64 v[6:7], v[6:7], v[8:9]
	v_xor_b32_e32 v9, 0x80000000, v9
	v_xor_b32_e32 v11, 0x80000000, v7
	v_mov_b32_e32 v10, v6
                                        ; implicit-def: $vgpr2_vgpr3
.LBB107_15:
	s_andn2_saveexec_b64 s[4:5], s[4:5]
	s_cbranch_execz .LBB107_17
; %bb.16:
	v_div_scale_f64 v[6:7], s[12:13], v[2:3], v[2:3], v[4:5]
	v_rcp_f64_e32 v[8:9], v[6:7]
	v_div_scale_f64 v[10:11], vcc, v[4:5], v[2:3], v[4:5]
	v_fma_f64 v[12:13], -v[6:7], v[8:9], 1.0
	v_fmac_f64_e32 v[8:9], v[8:9], v[12:13]
	v_fma_f64 v[12:13], -v[6:7], v[8:9], 1.0
	v_fmac_f64_e32 v[8:9], v[8:9], v[12:13]
	v_mul_f64 v[12:13], v[10:11], v[8:9]
	v_fma_f64 v[6:7], -v[6:7], v[12:13], v[10:11]
	v_div_fmas_f64 v[6:7], v[6:7], v[8:9], v[12:13]
	v_div_fixup_f64 v[8:9], v[6:7], v[2:3], v[4:5]
	v_fmac_f64_e32 v[2:3], v[4:5], v[8:9]
	v_div_scale_f64 v[4:5], s[12:13], v[2:3], v[2:3], 1.0
	v_rcp_f64_e32 v[6:7], v[4:5]
	s_nop 0
	v_fma_f64 v[10:11], -v[4:5], v[6:7], 1.0
	v_fmac_f64_e32 v[6:7], v[6:7], v[10:11]
	v_fma_f64 v[10:11], -v[4:5], v[6:7], 1.0
	v_fmac_f64_e32 v[6:7], v[6:7], v[10:11]
	v_div_scale_f64 v[10:11], vcc, 1.0, v[2:3], 1.0
	v_mul_f64 v[12:13], v[10:11], v[6:7]
	v_fma_f64 v[4:5], -v[4:5], v[12:13], v[10:11]
	s_nop 1
	v_div_fmas_f64 v[4:5], v[4:5], v[6:7], v[12:13]
	v_div_fixup_f64 v[6:7], v[4:5], v[2:3], 1.0
	v_xor_b32_e32 v11, 0x80000000, v7
	v_mov_b32_e32 v10, v6
	v_mul_f64 v[8:9], v[8:9], -v[6:7]
.LBB107_17:
	s_or_b64 exec, exec, s[4:5]
	scratch_store_dwordx4 v15, v[6:9], off
	scratch_load_dwordx4 v[2:5], off, s59
	v_xor_b32_e32 v13, 0x80000000, v9
	v_mov_b32_e32 v12, v8
	v_add_u32_e32 v1, 0x2c0, v14
	ds_write_b128 v14, v[10:13]
	s_waitcnt vmcnt(0)
	ds_write_b128 v14, v[2:5] offset:704
	s_waitcnt lgkmcnt(0)
	; wave barrier
	s_and_saveexec_b64 s[4:5], s[0:1]
	s_cbranch_execz .LBB107_19
; %bb.18:
	scratch_load_dwordx4 v[2:5], v15, off
	ds_read_b128 v[6:9], v1
	v_mov_b32_e32 v0, 0
	ds_read_b128 v[10:13], v0 offset:16
	s_waitcnt vmcnt(0) lgkmcnt(1)
	v_mul_f64 v[16:17], v[8:9], v[4:5]
	v_mul_f64 v[4:5], v[6:7], v[4:5]
	v_fma_f64 v[6:7], v[6:7], v[2:3], -v[16:17]
	v_fmac_f64_e32 v[4:5], v[8:9], v[2:3]
	v_add_f64 v[2:3], v[6:7], 0
	v_add_f64 v[6:7], v[4:5], 0
	s_waitcnt lgkmcnt(0)
	v_mul_f64 v[8:9], v[6:7], v[12:13]
	v_mul_f64 v[4:5], v[2:3], v[12:13]
	v_fma_f64 v[2:3], v[2:3], v[10:11], -v[8:9]
	v_fmac_f64_e32 v[4:5], v[6:7], v[10:11]
	scratch_store_dwordx4 off, v[2:5], off offset:32
.LBB107_19:
	s_or_b64 exec, exec, s[4:5]
	; wave barrier
	scratch_load_dwordx4 v[2:5], off, s58
	v_cmp_gt_u32_e32 vcc, 2, v240
	s_waitcnt vmcnt(0)
	ds_write_b128 v1, v[2:5]
	s_waitcnt lgkmcnt(0)
	; wave barrier
	s_and_saveexec_b64 s[4:5], vcc
	s_cbranch_execz .LBB107_23
; %bb.20:
	scratch_load_dwordx4 v[2:5], v15, off
	ds_read_b128 v[6:9], v1
	s_waitcnt vmcnt(0) lgkmcnt(0)
	v_mul_f64 v[10:11], v[8:9], v[4:5]
	v_mul_f64 v[12:13], v[6:7], v[4:5]
	v_fma_f64 v[4:5], v[6:7], v[2:3], -v[10:11]
	v_fmac_f64_e32 v[12:13], v[8:9], v[2:3]
	v_add_f64 v[4:5], v[4:5], 0
	v_add_f64 v[2:3], v[12:13], 0
	s_and_saveexec_b64 s[12:13], s[0:1]
	s_cbranch_execz .LBB107_22
; %bb.21:
	scratch_load_dwordx4 v[6:9], off, off offset:32
	v_mov_b32_e32 v0, 0
	ds_read_b128 v[10:13], v0 offset:720
	s_waitcnt vmcnt(0) lgkmcnt(0)
	v_mul_f64 v[16:17], v[10:11], v[8:9]
	v_mul_f64 v[8:9], v[12:13], v[8:9]
	v_fmac_f64_e32 v[16:17], v[12:13], v[6:7]
	v_fma_f64 v[6:7], v[10:11], v[6:7], -v[8:9]
	v_add_f64 v[2:3], v[2:3], v[16:17]
	v_add_f64 v[4:5], v[4:5], v[6:7]
.LBB107_22:
	s_or_b64 exec, exec, s[12:13]
	v_mov_b32_e32 v0, 0
	ds_read_b128 v[6:9], v0 offset:32
	s_waitcnt lgkmcnt(0)
	v_mul_f64 v[12:13], v[2:3], v[8:9]
	v_mul_f64 v[10:11], v[4:5], v[8:9]
	v_fma_f64 v[8:9], v[4:5], v[6:7], -v[12:13]
	v_fmac_f64_e32 v[10:11], v[2:3], v[6:7]
	scratch_store_dwordx4 off, v[8:11], off offset:48
.LBB107_23:
	s_or_b64 exec, exec, s[4:5]
	; wave barrier
	scratch_load_dwordx4 v[2:5], off, s57
	v_cmp_gt_u32_e32 vcc, 3, v240
	v_add_u32_e32 v6, -1, v240
	s_waitcnt vmcnt(0)
	ds_write_b128 v1, v[2:5]
	s_waitcnt lgkmcnt(0)
	; wave barrier
	s_and_saveexec_b64 s[0:1], vcc
	s_cbranch_execz .LBB107_27
; %bb.24:
	v_add_u32_e32 v7, -1, v240
	v_add_u32_e32 v8, 0x2c0, v14
	v_add_u32_e32 v9, 16, v14
	v_mov_b64_e32 v[2:3], 0
	s_mov_b64 s[4:5], 0
	v_mov_b64_e32 v[4:5], 0
.LBB107_25:                             ; =>This Inner Loop Header: Depth=1
	scratch_load_dwordx4 v[10:13], v9, off
	ds_read_b128 v[16:19], v8
	v_add_u32_e32 v7, 1, v7
	v_cmp_lt_u32_e32 vcc, 1, v7
	v_add_u32_e32 v8, 16, v8
	v_add_u32_e32 v9, 16, v9
	s_or_b64 s[4:5], vcc, s[4:5]
	s_waitcnt vmcnt(0) lgkmcnt(0)
	v_mul_f64 v[20:21], v[18:19], v[12:13]
	v_mul_f64 v[12:13], v[16:17], v[12:13]
	v_fma_f64 v[16:17], v[16:17], v[10:11], -v[20:21]
	v_fmac_f64_e32 v[12:13], v[18:19], v[10:11]
	v_add_f64 v[4:5], v[4:5], v[16:17]
	v_add_f64 v[2:3], v[2:3], v[12:13]
	s_andn2_b64 exec, exec, s[4:5]
	s_cbranch_execnz .LBB107_25
; %bb.26:
	s_or_b64 exec, exec, s[4:5]
	v_mov_b32_e32 v0, 0
	ds_read_b128 v[8:11], v0 offset:48
	s_waitcnt lgkmcnt(0)
	v_mul_f64 v[16:17], v[2:3], v[10:11]
	v_mul_f64 v[12:13], v[4:5], v[10:11]
	v_fma_f64 v[10:11], v[4:5], v[8:9], -v[16:17]
	v_fmac_f64_e32 v[12:13], v[2:3], v[8:9]
	scratch_store_dwordx4 off, v[10:13], off offset:64
.LBB107_27:
	s_or_b64 exec, exec, s[0:1]
	; wave barrier
	scratch_load_dwordx4 v[2:5], off, s56
	v_cmp_gt_u32_e32 vcc, 4, v240
	s_waitcnt vmcnt(0)
	ds_write_b128 v1, v[2:5]
	s_waitcnt lgkmcnt(0)
	; wave barrier
	s_and_saveexec_b64 s[0:1], vcc
	s_cbranch_execz .LBB107_31
; %bb.28:
	v_add_u32_e32 v7, -1, v240
	v_add_u32_e32 v8, 0x2c0, v14
	v_add_u32_e32 v9, 16, v14
	v_mov_b64_e32 v[2:3], 0
	s_mov_b64 s[4:5], 0
	v_mov_b64_e32 v[4:5], 0
.LBB107_29:                             ; =>This Inner Loop Header: Depth=1
	scratch_load_dwordx4 v[10:13], v9, off
	ds_read_b128 v[16:19], v8
	v_add_u32_e32 v7, 1, v7
	v_cmp_lt_u32_e32 vcc, 2, v7
	v_add_u32_e32 v8, 16, v8
	v_add_u32_e32 v9, 16, v9
	s_or_b64 s[4:5], vcc, s[4:5]
	s_waitcnt vmcnt(0) lgkmcnt(0)
	v_mul_f64 v[20:21], v[18:19], v[12:13]
	v_mul_f64 v[12:13], v[16:17], v[12:13]
	v_fma_f64 v[16:17], v[16:17], v[10:11], -v[20:21]
	v_fmac_f64_e32 v[12:13], v[18:19], v[10:11]
	v_add_f64 v[4:5], v[4:5], v[16:17]
	v_add_f64 v[2:3], v[2:3], v[12:13]
	s_andn2_b64 exec, exec, s[4:5]
	s_cbranch_execnz .LBB107_29
; %bb.30:
	s_or_b64 exec, exec, s[4:5]
	v_mov_b32_e32 v0, 0
	ds_read_b128 v[8:11], v0 offset:64
	s_waitcnt lgkmcnt(0)
	v_mul_f64 v[16:17], v[2:3], v[10:11]
	v_mul_f64 v[12:13], v[4:5], v[10:11]
	v_fma_f64 v[10:11], v[4:5], v[8:9], -v[16:17]
	v_fmac_f64_e32 v[12:13], v[2:3], v[8:9]
	scratch_store_dwordx4 off, v[10:13], off offset:80
.LBB107_31:
	s_or_b64 exec, exec, s[0:1]
	; wave barrier
	scratch_load_dwordx4 v[2:5], off, s55
	v_cmp_gt_u32_e32 vcc, 5, v240
	;; [unrolled: 45-line block ×19, first 2 shown]
	s_waitcnt vmcnt(0)
	ds_write_b128 v1, v[2:5]
	s_waitcnt lgkmcnt(0)
	; wave barrier
	s_and_saveexec_b64 s[0:1], vcc
	s_cbranch_execz .LBB107_103
; %bb.100:
	v_add_u32_e32 v7, -1, v240
	v_add_u32_e32 v8, 0x2c0, v14
	v_add_u32_e32 v9, 16, v14
	v_mov_b64_e32 v[2:3], 0
	s_mov_b64 s[4:5], 0
	v_mov_b64_e32 v[4:5], 0
.LBB107_101:                            ; =>This Inner Loop Header: Depth=1
	scratch_load_dwordx4 v[10:13], v9, off
	ds_read_b128 v[16:19], v8
	v_add_u32_e32 v7, 1, v7
	v_cmp_lt_u32_e32 vcc, 20, v7
	v_add_u32_e32 v8, 16, v8
	v_add_u32_e32 v9, 16, v9
	s_or_b64 s[4:5], vcc, s[4:5]
	s_waitcnt vmcnt(0) lgkmcnt(0)
	v_mul_f64 v[20:21], v[18:19], v[12:13]
	v_mul_f64 v[12:13], v[16:17], v[12:13]
	v_fma_f64 v[16:17], v[16:17], v[10:11], -v[20:21]
	v_fmac_f64_e32 v[12:13], v[18:19], v[10:11]
	v_add_f64 v[4:5], v[4:5], v[16:17]
	v_add_f64 v[2:3], v[2:3], v[12:13]
	s_andn2_b64 exec, exec, s[4:5]
	s_cbranch_execnz .LBB107_101
; %bb.102:
	s_or_b64 exec, exec, s[4:5]
	v_mov_b32_e32 v0, 0
	ds_read_b128 v[8:11], v0 offset:352
	s_waitcnt lgkmcnt(0)
	v_mul_f64 v[16:17], v[2:3], v[10:11]
	v_mul_f64 v[12:13], v[4:5], v[10:11]
	v_fma_f64 v[10:11], v[4:5], v[8:9], -v[16:17]
	v_fmac_f64_e32 v[12:13], v[2:3], v[8:9]
	scratch_store_dwordx4 off, v[10:13], off offset:368
.LBB107_103:
	s_or_b64 exec, exec, s[0:1]
	; wave barrier
	scratch_load_dwordx4 v[2:5], off, s37
	v_cmp_gt_u32_e32 vcc, 23, v240
	s_waitcnt vmcnt(0)
	ds_write_b128 v1, v[2:5]
	s_waitcnt lgkmcnt(0)
	; wave barrier
	s_and_saveexec_b64 s[0:1], vcc
	s_cbranch_execz .LBB107_107
; %bb.104:
	v_add_u32_e32 v7, -1, v240
	v_add_u32_e32 v8, 0x2c0, v14
	v_add_u32_e32 v9, 16, v14
	v_mov_b64_e32 v[2:3], 0
	s_mov_b64 s[4:5], 0
	v_mov_b64_e32 v[4:5], 0
.LBB107_105:                            ; =>This Inner Loop Header: Depth=1
	scratch_load_dwordx4 v[10:13], v9, off
	ds_read_b128 v[16:19], v8
	v_add_u32_e32 v7, 1, v7
	v_cmp_lt_u32_e32 vcc, 21, v7
	v_add_u32_e32 v8, 16, v8
	v_add_u32_e32 v9, 16, v9
	s_or_b64 s[4:5], vcc, s[4:5]
	s_waitcnt vmcnt(0) lgkmcnt(0)
	v_mul_f64 v[20:21], v[18:19], v[12:13]
	v_mul_f64 v[12:13], v[16:17], v[12:13]
	v_fma_f64 v[16:17], v[16:17], v[10:11], -v[20:21]
	v_fmac_f64_e32 v[12:13], v[18:19], v[10:11]
	v_add_f64 v[4:5], v[4:5], v[16:17]
	v_add_f64 v[2:3], v[2:3], v[12:13]
	s_andn2_b64 exec, exec, s[4:5]
	s_cbranch_execnz .LBB107_105
; %bb.106:
	s_or_b64 exec, exec, s[4:5]
	v_mov_b32_e32 v0, 0
	ds_read_b128 v[8:11], v0 offset:368
	s_waitcnt lgkmcnt(0)
	v_mul_f64 v[16:17], v[2:3], v[10:11]
	v_mul_f64 v[12:13], v[4:5], v[10:11]
	v_fma_f64 v[10:11], v[4:5], v[8:9], -v[16:17]
	v_fmac_f64_e32 v[12:13], v[2:3], v[8:9]
	scratch_store_dwordx4 off, v[10:13], off offset:384
.LBB107_107:
	s_or_b64 exec, exec, s[0:1]
	; wave barrier
	scratch_load_dwordx4 v[2:5], off, s36
	v_cmp_gt_u32_e32 vcc, 24, v240
	;; [unrolled: 45-line block ×20, first 2 shown]
	s_waitcnt vmcnt(0)
	ds_write_b128 v1, v[2:5]
	s_waitcnt lgkmcnt(0)
	; wave barrier
	s_and_saveexec_b64 s[0:1], vcc
	s_cbranch_execz .LBB107_183
; %bb.180:
	v_add_u32_e32 v7, -1, v240
	v_add_u32_e32 v8, 0x2c0, v14
	v_add_u32_e32 v9, 16, v14
	v_mov_b64_e32 v[2:3], 0
	s_mov_b64 s[4:5], 0
	v_mov_b64_e32 v[4:5], 0
.LBB107_181:                            ; =>This Inner Loop Header: Depth=1
	scratch_load_dwordx4 v[10:13], v9, off
	ds_read_b128 v[16:19], v8
	v_add_u32_e32 v7, 1, v7
	v_cmp_lt_u32_e32 vcc, 40, v7
	v_add_u32_e32 v8, 16, v8
	v_add_u32_e32 v9, 16, v9
	s_or_b64 s[4:5], vcc, s[4:5]
	s_waitcnt vmcnt(0) lgkmcnt(0)
	v_mul_f64 v[20:21], v[18:19], v[12:13]
	v_mul_f64 v[12:13], v[16:17], v[12:13]
	v_fma_f64 v[16:17], v[16:17], v[10:11], -v[20:21]
	v_fmac_f64_e32 v[12:13], v[18:19], v[10:11]
	v_add_f64 v[4:5], v[4:5], v[16:17]
	v_add_f64 v[2:3], v[2:3], v[12:13]
	s_andn2_b64 exec, exec, s[4:5]
	s_cbranch_execnz .LBB107_181
; %bb.182:
	s_or_b64 exec, exec, s[4:5]
	v_mov_b32_e32 v0, 0
	ds_read_b128 v[8:11], v0 offset:672
	s_waitcnt lgkmcnt(0)
	v_mul_f64 v[16:17], v[2:3], v[10:11]
	v_mul_f64 v[12:13], v[4:5], v[10:11]
	v_fma_f64 v[10:11], v[4:5], v[8:9], -v[16:17]
	v_fmac_f64_e32 v[12:13], v[2:3], v[8:9]
	scratch_store_dwordx4 off, v[10:13], off offset:688
.LBB107_183:
	s_or_b64 exec, exec, s[0:1]
	; wave barrier
	scratch_load_dwordx4 v[2:5], off, s16
	v_cmp_ne_u32_e32 vcc, 43, v240
	s_waitcnt vmcnt(0)
	ds_write_b128 v1, v[2:5]
	s_waitcnt lgkmcnt(0)
	; wave barrier
	s_and_saveexec_b64 s[0:1], vcc
	s_cbranch_execz .LBB107_187
; %bb.184:
	v_add_u32_e32 v1, 0x2c0, v14
	v_add_u32_e32 v7, 16, v14
	v_mov_b64_e32 v[2:3], 0
	s_mov_b64 s[4:5], 0
	v_mov_b64_e32 v[4:5], 0
.LBB107_185:                            ; =>This Inner Loop Header: Depth=1
	scratch_load_dwordx4 v[8:11], v7, off
	ds_read_b128 v[12:15], v1
	v_add_u32_e32 v6, 1, v6
	v_cmp_lt_u32_e32 vcc, 41, v6
	v_add_u32_e32 v1, 16, v1
	v_add_u32_e32 v7, 16, v7
	s_or_b64 s[4:5], vcc, s[4:5]
	s_waitcnt vmcnt(0) lgkmcnt(0)
	v_mul_f64 v[16:17], v[14:15], v[10:11]
	v_mul_f64 v[10:11], v[12:13], v[10:11]
	v_fma_f64 v[12:13], v[12:13], v[8:9], -v[16:17]
	v_fmac_f64_e32 v[10:11], v[14:15], v[8:9]
	v_add_f64 v[4:5], v[4:5], v[12:13]
	v_add_f64 v[2:3], v[2:3], v[10:11]
	s_andn2_b64 exec, exec, s[4:5]
	s_cbranch_execnz .LBB107_185
; %bb.186:
	s_or_b64 exec, exec, s[4:5]
	v_mov_b32_e32 v0, 0
	ds_read_b128 v[6:9], v0 offset:688
	s_waitcnt lgkmcnt(0)
	v_mul_f64 v[12:13], v[2:3], v[8:9]
	v_mul_f64 v[10:11], v[4:5], v[8:9]
	v_fma_f64 v[8:9], v[4:5], v[6:7], -v[12:13]
	v_fmac_f64_e32 v[10:11], v[2:3], v[6:7]
	scratch_store_dwordx4 off, v[8:11], off offset:704
.LBB107_187:
	s_or_b64 exec, exec, s[0:1]
	s_mov_b64 s[4:5], -1
	; wave barrier
.LBB107_188:
	s_and_b64 vcc, exec, s[4:5]
	s_cbranch_vccz .LBB107_190
; %bb.189:
	s_lshl_b64 s[0:1], s[2:3], 2
	s_add_u32 s0, s6, s0
	s_addc_u32 s1, s7, s1
	v_mov_b32_e32 v0, 0
	global_load_dword v0, v0, s[0:1]
	s_waitcnt vmcnt(0)
	v_cmp_ne_u32_e32 vcc, 0, v0
	s_cbranch_vccz .LBB107_191
.LBB107_190:
	s_endpgm
.LBB107_191:
	v_mov_b32_e32 v0, 0x2c0
	v_lshl_add_u32 v0, v240, 4, v0
	v_accvgpr_write_b32 a89, v0
	v_cmp_eq_u32_e32 vcc, 43, v240
	s_and_saveexec_b64 s[0:1], vcc
	s_cbranch_execz .LBB107_193
; %bb.192:
	scratch_load_dwordx4 v[2:5], off, s17
	v_mov_b32_e32 v6, 0
	v_mov_b32_e32 v7, v6
	;; [unrolled: 1-line block ×4, first 2 shown]
	v_accvgpr_read_b32 v0, a89
	scratch_store_dwordx4 off, v[6:9], off offset:688
	s_waitcnt vmcnt(1)
	ds_write_b128 v0, v[2:5]
.LBB107_193:
	s_or_b64 exec, exec, s[0:1]
	s_waitcnt lgkmcnt(0)
	; wave barrier
	scratch_load_dwordx4 v[4:7], off, off offset:704
	scratch_load_dwordx4 v[8:11], off, off offset:688
	v_mov_b32_e32 v2, 0
	ds_read_b128 v[12:15], v2 offset:1392
	v_cmp_lt_u32_e32 vcc, 41, v240
	s_waitcnt vmcnt(1) lgkmcnt(0)
	v_mul_f64 v[16:17], v[12:13], v[6:7]
	v_mul_f64 v[6:7], v[14:15], v[6:7]
	v_fmac_f64_e32 v[16:17], v[14:15], v[4:5]
	v_fma_f64 v[4:5], v[12:13], v[4:5], -v[6:7]
	v_add_f64 v[6:7], v[16:17], 0
	v_add_f64 v[4:5], v[4:5], 0
	s_waitcnt vmcnt(0)
	v_add_f64 v[4:5], v[8:9], -v[4:5]
	v_add_f64 v[6:7], v[10:11], -v[6:7]
	scratch_store_dwordx4 off, v[4:7], off offset:688
	s_and_saveexec_b64 s[0:1], vcc
	s_cbranch_execz .LBB107_195
; %bb.194:
	scratch_load_dwordx4 v[6:9], off, s18
	v_mov_b32_e32 v3, v2
	v_mov_b32_e32 v4, v2
	;; [unrolled: 1-line block ×3, first 2 shown]
	v_accvgpr_read_b32 v0, a89
	scratch_store_dwordx4 off, v[2:5], off offset:672
	s_waitcnt vmcnt(1)
	ds_write_b128 v0, v[6:9]
.LBB107_195:
	s_or_b64 exec, exec, s[0:1]
	s_waitcnt lgkmcnt(0)
	; wave barrier
	scratch_load_dwordx4 v[4:7], off, off offset:688
	scratch_load_dwordx4 v[8:11], off, off offset:704
	scratch_load_dwordx4 v[12:15], off, off offset:672
	ds_read_b128 v[16:19], v2 offset:1376
	ds_read_b128 v[20:23], v2 offset:1392
	v_cmp_lt_u32_e32 vcc, 40, v240
	s_waitcnt vmcnt(2) lgkmcnt(1)
	v_mul_f64 v[2:3], v[16:17], v[6:7]
	v_mul_f64 v[6:7], v[18:19], v[6:7]
	s_waitcnt vmcnt(1) lgkmcnt(0)
	v_mul_f64 v[24:25], v[20:21], v[10:11]
	v_mul_f64 v[10:11], v[22:23], v[10:11]
	v_fmac_f64_e32 v[2:3], v[18:19], v[4:5]
	v_fma_f64 v[4:5], v[16:17], v[4:5], -v[6:7]
	v_fmac_f64_e32 v[24:25], v[22:23], v[8:9]
	v_fma_f64 v[6:7], v[20:21], v[8:9], -v[10:11]
	v_add_f64 v[2:3], v[2:3], 0
	v_add_f64 v[4:5], v[4:5], 0
	;; [unrolled: 1-line block ×4, first 2 shown]
	s_waitcnt vmcnt(0)
	v_add_f64 v[2:3], v[12:13], -v[2:3]
	v_add_f64 v[4:5], v[14:15], -v[8:9]
	scratch_store_dwordx4 off, v[2:5], off offset:672
	s_and_saveexec_b64 s[0:1], vcc
	s_cbranch_execz .LBB107_197
; %bb.196:
	scratch_load_dwordx4 v[2:5], off, s19
	v_mov_b32_e32 v6, 0
	v_mov_b32_e32 v7, v6
	;; [unrolled: 1-line block ×4, first 2 shown]
	v_accvgpr_read_b32 v0, a89
	scratch_store_dwordx4 off, v[6:9], off offset:656
	s_waitcnt vmcnt(1)
	ds_write_b128 v0, v[2:5]
.LBB107_197:
	s_or_b64 exec, exec, s[0:1]
	s_waitcnt lgkmcnt(0)
	; wave barrier
	scratch_load_dwordx4 v[4:7], off, off offset:672
	scratch_load_dwordx4 v[8:11], off, off offset:688
	;; [unrolled: 1-line block ×4, first 2 shown]
	v_mov_b32_e32 v2, 0
	ds_read_b128 v[20:23], v2 offset:1360
	ds_read_b128 v[24:27], v2 offset:1376
	;; [unrolled: 1-line block ×3, first 2 shown]
	v_cmp_lt_u32_e32 vcc, 39, v240
	s_waitcnt vmcnt(3) lgkmcnt(2)
	v_mul_f64 v[32:33], v[20:21], v[6:7]
	v_mul_f64 v[6:7], v[22:23], v[6:7]
	s_waitcnt vmcnt(2) lgkmcnt(1)
	v_mul_f64 v[34:35], v[24:25], v[10:11]
	v_mul_f64 v[10:11], v[26:27], v[10:11]
	v_fmac_f64_e32 v[32:33], v[22:23], v[4:5]
	v_fma_f64 v[4:5], v[20:21], v[4:5], -v[6:7]
	s_waitcnt vmcnt(1) lgkmcnt(0)
	v_mul_f64 v[36:37], v[28:29], v[14:15]
	v_mul_f64 v[14:15], v[30:31], v[14:15]
	v_fmac_f64_e32 v[34:35], v[26:27], v[8:9]
	v_fma_f64 v[6:7], v[24:25], v[8:9], -v[10:11]
	v_add_f64 v[10:11], v[32:33], 0
	v_add_f64 v[4:5], v[4:5], 0
	v_fmac_f64_e32 v[36:37], v[30:31], v[12:13]
	v_fma_f64 v[8:9], v[28:29], v[12:13], -v[14:15]
	v_add_f64 v[10:11], v[10:11], v[34:35]
	v_add_f64 v[4:5], v[4:5], v[6:7]
	;; [unrolled: 1-line block ×4, first 2 shown]
	s_waitcnt vmcnt(0)
	v_add_f64 v[4:5], v[16:17], -v[4:5]
	v_add_f64 v[6:7], v[18:19], -v[6:7]
	scratch_store_dwordx4 off, v[4:7], off offset:656
	s_and_saveexec_b64 s[0:1], vcc
	s_cbranch_execz .LBB107_199
; %bb.198:
	scratch_load_dwordx4 v[6:9], off, s20
	v_mov_b32_e32 v3, v2
	v_mov_b32_e32 v4, v2
	v_mov_b32_e32 v5, v2
	v_accvgpr_read_b32 v0, a89
	scratch_store_dwordx4 off, v[2:5], off offset:640
	s_waitcnt vmcnt(1)
	ds_write_b128 v0, v[6:9]
.LBB107_199:
	s_or_b64 exec, exec, s[0:1]
	s_waitcnt lgkmcnt(0)
	; wave barrier
	ds_read_b128 v[4:7], v2 offset:1344
	ds_read_b128 v[8:11], v2 offset:1360
	ds_read_b128 v[12:15], v2 offset:1376
	ds_read_b128 v[16:19], v2 offset:1392
	scratch_load_dwordx4 v[20:23], off, off offset:656
	scratch_load_dwordx4 v[24:27], off, off offset:672
	v_cmp_lt_u32_e32 vcc, 38, v240
	s_waitcnt vmcnt(1) lgkmcnt(3)
	v_mul_f64 v[2:3], v[4:5], v[22:23]
	v_fmac_f64_e32 v[2:3], v[6:7], v[20:21]
	s_waitcnt vmcnt(0) lgkmcnt(2)
	v_mul_f64 v[28:29], v[8:9], v[26:27]
	v_add_f64 v[2:3], v[2:3], 0
	v_fmac_f64_e32 v[28:29], v[10:11], v[24:25]
	v_add_f64 v[2:3], v[2:3], v[28:29]
	scratch_load_dwordx4 v[28:31], off, off offset:688
	s_waitcnt vmcnt(0) lgkmcnt(1)
	v_mul_f64 v[32:33], v[12:13], v[30:31]
	v_fmac_f64_e32 v[32:33], v[14:15], v[28:29]
	v_add_f64 v[2:3], v[2:3], v[32:33]
	scratch_load_dwordx4 v[32:35], off, off offset:704
	s_waitcnt vmcnt(0) lgkmcnt(0)
	v_mul_f64 v[36:37], v[16:17], v[34:35]
	v_fmac_f64_e32 v[36:37], v[18:19], v[32:33]
	v_add_f64 v[36:37], v[2:3], v[36:37]
	v_mul_f64 v[2:3], v[6:7], v[22:23]
	v_fma_f64 v[2:3], v[4:5], v[20:21], -v[2:3]
	v_mul_f64 v[4:5], v[10:11], v[26:27]
	v_add_f64 v[2:3], v[2:3], 0
	v_fma_f64 v[4:5], v[8:9], v[24:25], -v[4:5]
	v_add_f64 v[2:3], v[2:3], v[4:5]
	v_mul_f64 v[4:5], v[14:15], v[30:31]
	v_fma_f64 v[4:5], v[12:13], v[28:29], -v[4:5]
	v_add_f64 v[2:3], v[2:3], v[4:5]
	v_mul_f64 v[4:5], v[18:19], v[34:35]
	v_fma_f64 v[4:5], v[16:17], v[32:33], -v[4:5]
	v_add_f64 v[6:7], v[2:3], v[4:5]
	scratch_load_dwordx4 v[2:5], off, off offset:640
	s_waitcnt vmcnt(0)
	v_add_f64 v[2:3], v[2:3], -v[6:7]
	v_add_f64 v[4:5], v[4:5], -v[36:37]
	scratch_store_dwordx4 off, v[2:5], off offset:640
	s_and_saveexec_b64 s[0:1], vcc
	s_cbranch_execz .LBB107_201
; %bb.200:
	scratch_load_dwordx4 v[2:5], off, s21
	v_mov_b32_e32 v6, 0
	v_mov_b32_e32 v7, v6
	v_mov_b32_e32 v8, v6
	v_mov_b32_e32 v9, v6
	v_accvgpr_read_b32 v0, a89
	scratch_store_dwordx4 off, v[6:9], off offset:624
	s_waitcnt vmcnt(1)
	ds_write_b128 v0, v[2:5]
.LBB107_201:
	s_or_b64 exec, exec, s[0:1]
	s_waitcnt lgkmcnt(0)
	; wave barrier
	scratch_load_dwordx4 v[4:7], off, off offset:640
	scratch_load_dwordx4 v[8:11], off, off offset:656
	;; [unrolled: 1-line block ×6, first 2 shown]
	v_mov_b32_e32 v2, 0
	ds_read_b128 v[28:31], v2 offset:1328
	ds_read_b128 v[32:35], v2 offset:1344
	;; [unrolled: 1-line block ×5, first 2 shown]
	v_cmp_lt_u32_e32 vcc, 37, v240
	s_waitcnt vmcnt(5) lgkmcnt(4)
	v_mul_f64 v[48:49], v[28:29], v[6:7]
	v_mul_f64 v[6:7], v[30:31], v[6:7]
	s_waitcnt vmcnt(4) lgkmcnt(3)
	v_mul_f64 v[50:51], v[32:33], v[10:11]
	s_waitcnt vmcnt(3) lgkmcnt(2)
	v_mul_f64 v[52:53], v[36:37], v[14:15]
	v_mul_f64 v[10:11], v[34:35], v[10:11]
	;; [unrolled: 1-line block ×3, first 2 shown]
	v_fmac_f64_e32 v[48:49], v[30:31], v[4:5]
	v_fma_f64 v[4:5], v[28:29], v[4:5], -v[6:7]
	v_fmac_f64_e32 v[50:51], v[34:35], v[8:9]
	v_fma_f64 v[6:7], v[32:33], v[8:9], -v[10:11]
	v_fma_f64 v[8:9], v[36:37], v[12:13], -v[14:15]
	v_add_f64 v[14:15], v[48:49], 0
	v_add_f64 v[4:5], v[4:5], 0
	s_waitcnt vmcnt(2) lgkmcnt(1)
	v_mul_f64 v[54:55], v[40:41], v[18:19]
	v_mul_f64 v[18:19], v[42:43], v[18:19]
	v_fmac_f64_e32 v[52:53], v[38:39], v[12:13]
	v_add_f64 v[14:15], v[14:15], v[50:51]
	v_add_f64 v[4:5], v[4:5], v[6:7]
	s_waitcnt vmcnt(1) lgkmcnt(0)
	v_mul_f64 v[56:57], v[44:45], v[22:23]
	v_mul_f64 v[22:23], v[46:47], v[22:23]
	v_fmac_f64_e32 v[54:55], v[42:43], v[16:17]
	v_fma_f64 v[10:11], v[40:41], v[16:17], -v[18:19]
	v_add_f64 v[6:7], v[14:15], v[52:53]
	v_add_f64 v[4:5], v[4:5], v[8:9]
	v_fmac_f64_e32 v[56:57], v[46:47], v[20:21]
	v_fma_f64 v[12:13], v[44:45], v[20:21], -v[22:23]
	v_add_f64 v[6:7], v[6:7], v[54:55]
	v_add_f64 v[4:5], v[4:5], v[10:11]
	;; [unrolled: 1-line block ×4, first 2 shown]
	s_waitcnt vmcnt(0)
	v_add_f64 v[4:5], v[24:25], -v[4:5]
	v_add_f64 v[6:7], v[26:27], -v[6:7]
	scratch_store_dwordx4 off, v[4:7], off offset:624
	s_and_saveexec_b64 s[0:1], vcc
	s_cbranch_execz .LBB107_203
; %bb.202:
	scratch_load_dwordx4 v[6:9], off, s22
	v_mov_b32_e32 v3, v2
	v_mov_b32_e32 v4, v2
	;; [unrolled: 1-line block ×3, first 2 shown]
	v_accvgpr_read_b32 v0, a89
	scratch_store_dwordx4 off, v[2:5], off offset:608
	s_waitcnt vmcnt(1)
	ds_write_b128 v0, v[6:9]
.LBB107_203:
	s_or_b64 exec, exec, s[0:1]
	s_waitcnt lgkmcnt(0)
	; wave barrier
	scratch_load_dwordx4 v[4:7], off, off offset:624
	scratch_load_dwordx4 v[8:11], off, off offset:640
	;; [unrolled: 1-line block ×7, first 2 shown]
	ds_read_b128 v[32:35], v2 offset:1312
	ds_read_b128 v[36:39], v2 offset:1328
	;; [unrolled: 1-line block ×6, first 2 shown]
	v_cmp_lt_u32_e32 vcc, 36, v240
	s_waitcnt vmcnt(6) lgkmcnt(5)
	v_mul_f64 v[2:3], v[32:33], v[6:7]
	v_mul_f64 v[6:7], v[34:35], v[6:7]
	s_waitcnt vmcnt(5) lgkmcnt(4)
	v_mul_f64 v[56:57], v[36:37], v[10:11]
	v_mul_f64 v[10:11], v[38:39], v[10:11]
	v_fmac_f64_e32 v[2:3], v[34:35], v[4:5]
	v_fma_f64 v[4:5], v[32:33], v[4:5], -v[6:7]
	s_waitcnt vmcnt(4) lgkmcnt(3)
	v_mul_f64 v[58:59], v[40:41], v[14:15]
	v_mul_f64 v[14:15], v[42:43], v[14:15]
	v_fmac_f64_e32 v[56:57], v[38:39], v[8:9]
	v_fma_f64 v[6:7], v[36:37], v[8:9], -v[10:11]
	v_add_f64 v[2:3], v[2:3], 0
	v_add_f64 v[4:5], v[4:5], 0
	s_waitcnt vmcnt(3) lgkmcnt(2)
	v_mul_f64 v[60:61], v[44:45], v[18:19]
	v_mul_f64 v[18:19], v[46:47], v[18:19]
	v_fmac_f64_e32 v[58:59], v[42:43], v[12:13]
	v_fma_f64 v[8:9], v[40:41], v[12:13], -v[14:15]
	v_add_f64 v[2:3], v[2:3], v[56:57]
	v_add_f64 v[4:5], v[4:5], v[6:7]
	;; [unrolled: 7-line block ×4, first 2 shown]
	v_fmac_f64_e32 v[64:65], v[54:55], v[24:25]
	v_fma_f64 v[14:15], v[52:53], v[24:25], -v[26:27]
	v_add_f64 v[2:3], v[2:3], v[62:63]
	v_add_f64 v[4:5], v[4:5], v[12:13]
	;; [unrolled: 1-line block ×4, first 2 shown]
	s_waitcnt vmcnt(0)
	v_add_f64 v[2:3], v[28:29], -v[2:3]
	v_add_f64 v[4:5], v[30:31], -v[6:7]
	scratch_store_dwordx4 off, v[2:5], off offset:608
	s_and_saveexec_b64 s[0:1], vcc
	s_cbranch_execz .LBB107_205
; %bb.204:
	scratch_load_dwordx4 v[2:5], off, s23
	v_mov_b32_e32 v6, 0
	v_mov_b32_e32 v7, v6
	;; [unrolled: 1-line block ×4, first 2 shown]
	v_accvgpr_read_b32 v0, a89
	scratch_store_dwordx4 off, v[6:9], off offset:592
	s_waitcnt vmcnt(1)
	ds_write_b128 v0, v[2:5]
.LBB107_205:
	s_or_b64 exec, exec, s[0:1]
	s_waitcnt lgkmcnt(0)
	; wave barrier
	scratch_load_dwordx4 v[4:7], off, off offset:608
	scratch_load_dwordx4 v[8:11], off, off offset:624
	;; [unrolled: 1-line block ×8, first 2 shown]
	v_mov_b32_e32 v2, 0
	ds_read_b128 v[36:39], v2 offset:1296
	ds_read_b128 v[40:43], v2 offset:1312
	;; [unrolled: 1-line block ×7, first 2 shown]
	v_cmp_lt_u32_e32 vcc, 35, v240
	s_waitcnt vmcnt(7) lgkmcnt(6)
	v_mul_f64 v[64:65], v[36:37], v[6:7]
	v_mul_f64 v[6:7], v[38:39], v[6:7]
	s_waitcnt vmcnt(6) lgkmcnt(5)
	v_mul_f64 v[66:67], v[40:41], v[10:11]
	s_waitcnt vmcnt(4) lgkmcnt(3)
	v_mul_f64 v[70:71], v[48:49], v[18:19]
	v_mul_f64 v[10:11], v[42:43], v[10:11]
	;; [unrolled: 1-line block ×3, first 2 shown]
	v_fmac_f64_e32 v[64:65], v[38:39], v[4:5]
	v_fma_f64 v[4:5], v[36:37], v[4:5], -v[6:7]
	v_mul_f64 v[68:69], v[44:45], v[14:15]
	v_mul_f64 v[14:15], v[46:47], v[14:15]
	v_fmac_f64_e32 v[66:67], v[42:43], v[8:9]
	v_fma_f64 v[6:7], v[40:41], v[8:9], -v[10:11]
	v_fma_f64 v[10:11], v[48:49], v[16:17], -v[18:19]
	v_add_f64 v[18:19], v[64:65], 0
	v_add_f64 v[4:5], v[4:5], 0
	v_fmac_f64_e32 v[68:69], v[46:47], v[12:13]
	v_fma_f64 v[8:9], v[44:45], v[12:13], -v[14:15]
	v_add_f64 v[18:19], v[18:19], v[66:67]
	v_add_f64 v[4:5], v[4:5], v[6:7]
	s_waitcnt vmcnt(3) lgkmcnt(2)
	v_mul_f64 v[72:73], v[52:53], v[22:23]
	v_mul_f64 v[22:23], v[54:55], v[22:23]
	v_fmac_f64_e32 v[70:71], v[50:51], v[16:17]
	v_add_f64 v[6:7], v[18:19], v[68:69]
	v_add_f64 v[4:5], v[4:5], v[8:9]
	s_waitcnt vmcnt(2) lgkmcnt(1)
	v_mul_f64 v[74:75], v[56:57], v[26:27]
	v_mul_f64 v[26:27], v[58:59], v[26:27]
	v_fmac_f64_e32 v[72:73], v[54:55], v[20:21]
	v_fma_f64 v[12:13], v[52:53], v[20:21], -v[22:23]
	v_add_f64 v[6:7], v[6:7], v[70:71]
	v_add_f64 v[4:5], v[4:5], v[10:11]
	s_waitcnt vmcnt(1) lgkmcnt(0)
	v_mul_f64 v[76:77], v[60:61], v[30:31]
	v_mul_f64 v[30:31], v[62:63], v[30:31]
	v_fmac_f64_e32 v[74:75], v[58:59], v[24:25]
	v_fma_f64 v[14:15], v[56:57], v[24:25], -v[26:27]
	v_add_f64 v[6:7], v[6:7], v[72:73]
	v_add_f64 v[4:5], v[4:5], v[12:13]
	v_fmac_f64_e32 v[76:77], v[62:63], v[28:29]
	v_fma_f64 v[16:17], v[60:61], v[28:29], -v[30:31]
	v_add_f64 v[6:7], v[6:7], v[74:75]
	v_add_f64 v[4:5], v[4:5], v[14:15]
	;; [unrolled: 1-line block ×4, first 2 shown]
	s_waitcnt vmcnt(0)
	v_add_f64 v[4:5], v[32:33], -v[4:5]
	v_add_f64 v[6:7], v[34:35], -v[6:7]
	scratch_store_dwordx4 off, v[4:7], off offset:592
	s_and_saveexec_b64 s[0:1], vcc
	s_cbranch_execz .LBB107_207
; %bb.206:
	scratch_load_dwordx4 v[6:9], off, s24
	v_mov_b32_e32 v3, v2
	v_mov_b32_e32 v4, v2
	;; [unrolled: 1-line block ×3, first 2 shown]
	v_accvgpr_read_b32 v0, a89
	scratch_store_dwordx4 off, v[2:5], off offset:576
	s_waitcnt vmcnt(1)
	ds_write_b128 v0, v[6:9]
.LBB107_207:
	s_or_b64 exec, exec, s[0:1]
	s_waitcnt lgkmcnt(0)
	; wave barrier
	ds_read_b128 v[4:7], v2 offset:1280
	ds_read_b128 v[8:11], v2 offset:1296
	ds_read_b128 v[12:15], v2 offset:1312
	ds_read_b128 v[16:19], v2 offset:1328
	scratch_load_dwordx4 v[20:23], off, off offset:592
	scratch_load_dwordx4 v[40:43], off, off offset:656
	v_cmp_lt_u32_e32 vcc, 34, v240
	scratch_load_dwordx4 v[48:51], off, off offset:672
	scratch_load_dwordx4 v[56:59], off, off offset:688
	;; [unrolled: 1-line block ×3, first 2 shown]
	s_waitcnt vmcnt(4) lgkmcnt(3)
	v_mul_f64 v[24:25], v[4:5], v[22:23]
	v_fmac_f64_e32 v[24:25], v[6:7], v[20:21]
	v_add_f64 v[28:29], v[24:25], 0
	scratch_load_dwordx4 v[24:27], off, off offset:608
	s_waitcnt vmcnt(0) lgkmcnt(2)
	v_mul_f64 v[30:31], v[8:9], v[26:27]
	v_fmac_f64_e32 v[30:31], v[10:11], v[24:25]
	v_add_f64 v[32:33], v[28:29], v[30:31]
	scratch_load_dwordx4 v[28:31], off, off offset:624
	;; [unrolled: 5-line block ×3, first 2 shown]
	s_waitcnt vmcnt(0) lgkmcnt(0)
	v_mul_f64 v[38:39], v[16:17], v[34:35]
	v_fmac_f64_e32 v[38:39], v[18:19], v[32:33]
	v_add_f64 v[44:45], v[36:37], v[38:39]
	ds_read_b128 v[36:39], v2 offset:1344
	s_waitcnt lgkmcnt(0)
	v_mul_f64 v[46:47], v[36:37], v[42:43]
	v_fmac_f64_e32 v[46:47], v[38:39], v[40:41]
	v_add_f64 v[52:53], v[44:45], v[46:47]
	ds_read_b128 v[44:47], v2 offset:1360
	s_waitcnt lgkmcnt(0)
	;; [unrolled: 5-line block ×4, first 2 shown]
	v_mul_f64 v[2:3], v[60:61], v[66:67]
	v_fmac_f64_e32 v[2:3], v[62:63], v[64:65]
	v_add_f64 v[68:69], v[68:69], v[2:3]
	v_mul_f64 v[2:3], v[6:7], v[22:23]
	v_fma_f64 v[2:3], v[4:5], v[20:21], -v[2:3]
	v_mul_f64 v[4:5], v[10:11], v[26:27]
	v_add_f64 v[2:3], v[2:3], 0
	v_fma_f64 v[4:5], v[8:9], v[24:25], -v[4:5]
	v_add_f64 v[2:3], v[2:3], v[4:5]
	v_mul_f64 v[4:5], v[14:15], v[30:31]
	v_fma_f64 v[4:5], v[12:13], v[28:29], -v[4:5]
	v_add_f64 v[2:3], v[2:3], v[4:5]
	v_mul_f64 v[4:5], v[18:19], v[34:35]
	;; [unrolled: 3-line block ×6, first 2 shown]
	v_fma_f64 v[4:5], v[60:61], v[64:65], -v[4:5]
	v_add_f64 v[6:7], v[2:3], v[4:5]
	scratch_load_dwordx4 v[2:5], off, off offset:576
	s_waitcnt vmcnt(0)
	v_add_f64 v[2:3], v[2:3], -v[6:7]
	v_add_f64 v[4:5], v[4:5], -v[68:69]
	scratch_store_dwordx4 off, v[2:5], off offset:576
	s_and_saveexec_b64 s[0:1], vcc
	s_cbranch_execz .LBB107_209
; %bb.208:
	scratch_load_dwordx4 v[2:5], off, s25
	v_mov_b32_e32 v6, 0
	v_mov_b32_e32 v7, v6
	;; [unrolled: 1-line block ×4, first 2 shown]
	v_accvgpr_read_b32 v0, a89
	scratch_store_dwordx4 off, v[6:9], off offset:560
	s_waitcnt vmcnt(1)
	ds_write_b128 v0, v[2:5]
.LBB107_209:
	s_or_b64 exec, exec, s[0:1]
	s_waitcnt lgkmcnt(0)
	; wave barrier
	scratch_load_dwordx4 v[4:7], off, off offset:576
	scratch_load_dwordx4 v[8:11], off, off offset:592
	;; [unrolled: 1-line block ×10, first 2 shown]
	v_mov_b32_e32 v2, 0
	ds_read_b128 v[44:47], v2 offset:1264
	ds_read_b128 v[48:51], v2 offset:1280
	;; [unrolled: 1-line block ×9, first 2 shown]
	v_cmp_lt_u32_e32 vcc, 33, v240
	s_waitcnt vmcnt(9) lgkmcnt(8)
	v_mul_f64 v[80:81], v[44:45], v[6:7]
	v_mul_f64 v[6:7], v[46:47], v[6:7]
	s_waitcnt vmcnt(8) lgkmcnt(7)
	v_mul_f64 v[82:83], v[48:49], v[10:11]
	s_waitcnt vmcnt(7) lgkmcnt(6)
	v_mul_f64 v[84:85], v[52:53], v[14:15]
	s_waitcnt vmcnt(5) lgkmcnt(4)
	v_mul_f64 v[88:89], v[60:61], v[22:23]
	v_mul_f64 v[10:11], v[50:51], v[10:11]
	;; [unrolled: 1-line block ×4, first 2 shown]
	v_fmac_f64_e32 v[80:81], v[46:47], v[4:5]
	v_fma_f64 v[4:5], v[44:45], v[4:5], -v[6:7]
	v_fmac_f64_e32 v[82:83], v[50:51], v[8:9]
	v_fmac_f64_e32 v[84:85], v[54:55], v[12:13]
	v_fma_f64 v[6:7], v[48:49], v[8:9], -v[10:11]
	v_fma_f64 v[8:9], v[52:53], v[12:13], -v[14:15]
	;; [unrolled: 1-line block ×3, first 2 shown]
	v_add_f64 v[22:23], v[80:81], 0
	v_add_f64 v[4:5], v[4:5], 0
	v_mul_f64 v[86:87], v[56:57], v[18:19]
	v_mul_f64 v[18:19], v[58:59], v[18:19]
	v_add_f64 v[22:23], v[22:23], v[82:83]
	v_add_f64 v[4:5], v[4:5], v[6:7]
	v_fmac_f64_e32 v[86:87], v[58:59], v[16:17]
	v_fma_f64 v[10:11], v[56:57], v[16:17], -v[18:19]
	v_add_f64 v[6:7], v[22:23], v[84:85]
	v_add_f64 v[4:5], v[4:5], v[8:9]
	s_waitcnt vmcnt(4) lgkmcnt(3)
	v_mul_f64 v[90:91], v[64:65], v[26:27]
	v_mul_f64 v[26:27], v[66:67], v[26:27]
	v_fmac_f64_e32 v[88:89], v[62:63], v[20:21]
	v_add_f64 v[6:7], v[6:7], v[86:87]
	v_add_f64 v[4:5], v[4:5], v[10:11]
	s_waitcnt vmcnt(3) lgkmcnt(2)
	v_mul_f64 v[92:93], v[68:69], v[30:31]
	v_mul_f64 v[30:31], v[70:71], v[30:31]
	v_fmac_f64_e32 v[90:91], v[66:67], v[24:25]
	v_fma_f64 v[14:15], v[64:65], v[24:25], -v[26:27]
	v_add_f64 v[6:7], v[6:7], v[88:89]
	v_add_f64 v[4:5], v[4:5], v[12:13]
	s_waitcnt vmcnt(2) lgkmcnt(1)
	v_mul_f64 v[94:95], v[72:73], v[34:35]
	v_mul_f64 v[34:35], v[74:75], v[34:35]
	v_fmac_f64_e32 v[92:93], v[70:71], v[28:29]
	v_fma_f64 v[16:17], v[68:69], v[28:29], -v[30:31]
	;; [unrolled: 7-line block ×3, first 2 shown]
	v_add_f64 v[6:7], v[6:7], v[92:93]
	v_add_f64 v[4:5], v[4:5], v[16:17]
	v_fmac_f64_e32 v[96:97], v[78:79], v[36:37]
	v_fma_f64 v[20:21], v[76:77], v[36:37], -v[38:39]
	v_add_f64 v[6:7], v[6:7], v[94:95]
	v_add_f64 v[4:5], v[4:5], v[18:19]
	;; [unrolled: 1-line block ×4, first 2 shown]
	s_waitcnt vmcnt(0)
	v_add_f64 v[4:5], v[40:41], -v[4:5]
	v_add_f64 v[6:7], v[42:43], -v[6:7]
	scratch_store_dwordx4 off, v[4:7], off offset:560
	s_and_saveexec_b64 s[0:1], vcc
	s_cbranch_execz .LBB107_211
; %bb.210:
	scratch_load_dwordx4 v[6:9], off, s26
	v_mov_b32_e32 v3, v2
	v_mov_b32_e32 v4, v2
	;; [unrolled: 1-line block ×3, first 2 shown]
	v_accvgpr_read_b32 v0, a89
	scratch_store_dwordx4 off, v[2:5], off offset:544
	s_waitcnt vmcnt(1)
	ds_write_b128 v0, v[6:9]
.LBB107_211:
	s_or_b64 exec, exec, s[0:1]
	s_waitcnt lgkmcnt(0)
	; wave barrier
	scratch_load_dwordx4 v[4:7], off, off offset:560
	scratch_load_dwordx4 v[8:11], off, off offset:576
	;; [unrolled: 1-line block ×11, first 2 shown]
	ds_read_b128 v[48:51], v2 offset:1248
	ds_read_b128 v[52:55], v2 offset:1264
	;; [unrolled: 1-line block ×10, first 2 shown]
	v_cmp_lt_u32_e32 vcc, 32, v240
	s_waitcnt vmcnt(10) lgkmcnt(9)
	v_mul_f64 v[2:3], v[48:49], v[6:7]
	v_mul_f64 v[6:7], v[50:51], v[6:7]
	s_waitcnt vmcnt(9) lgkmcnt(8)
	v_mul_f64 v[88:89], v[52:53], v[10:11]
	v_mul_f64 v[10:11], v[54:55], v[10:11]
	v_fmac_f64_e32 v[2:3], v[50:51], v[4:5]
	v_fma_f64 v[4:5], v[48:49], v[4:5], -v[6:7]
	s_waitcnt vmcnt(8) lgkmcnt(7)
	v_mul_f64 v[90:91], v[56:57], v[14:15]
	v_mul_f64 v[14:15], v[58:59], v[14:15]
	v_fmac_f64_e32 v[88:89], v[54:55], v[8:9]
	v_fma_f64 v[6:7], v[52:53], v[8:9], -v[10:11]
	v_add_f64 v[2:3], v[2:3], 0
	v_add_f64 v[4:5], v[4:5], 0
	s_waitcnt vmcnt(7) lgkmcnt(6)
	v_mul_f64 v[92:93], v[60:61], v[18:19]
	v_mul_f64 v[18:19], v[62:63], v[18:19]
	v_fmac_f64_e32 v[90:91], v[58:59], v[12:13]
	v_fma_f64 v[8:9], v[56:57], v[12:13], -v[14:15]
	v_add_f64 v[2:3], v[2:3], v[88:89]
	v_add_f64 v[4:5], v[4:5], v[6:7]
	;; [unrolled: 7-line block ×8, first 2 shown]
	v_fmac_f64_e32 v[104:105], v[86:87], v[40:41]
	v_fma_f64 v[22:23], v[84:85], v[40:41], -v[42:43]
	v_add_f64 v[2:3], v[2:3], v[102:103]
	v_add_f64 v[4:5], v[4:5], v[20:21]
	v_add_f64 v[6:7], v[2:3], v[104:105]
	v_add_f64 v[2:3], v[4:5], v[22:23]
	s_waitcnt vmcnt(0)
	v_add_f64 v[2:3], v[44:45], -v[2:3]
	v_add_f64 v[4:5], v[46:47], -v[6:7]
	scratch_store_dwordx4 off, v[2:5], off offset:544
	s_and_saveexec_b64 s[0:1], vcc
	s_cbranch_execz .LBB107_213
; %bb.212:
	scratch_load_dwordx4 v[2:5], off, s27
	v_mov_b32_e32 v6, 0
	v_mov_b32_e32 v7, v6
	;; [unrolled: 1-line block ×4, first 2 shown]
	v_accvgpr_read_b32 v0, a89
	scratch_store_dwordx4 off, v[6:9], off offset:528
	s_waitcnt vmcnt(1)
	ds_write_b128 v0, v[2:5]
.LBB107_213:
	s_or_b64 exec, exec, s[0:1]
	s_waitcnt lgkmcnt(0)
	; wave barrier
	scratch_load_dwordx4 v[4:7], off, off offset:544
	scratch_load_dwordx4 v[8:11], off, off offset:560
	;; [unrolled: 1-line block ×12, first 2 shown]
	v_mov_b32_e32 v2, 0
	ds_read_b128 v[52:55], v2 offset:1232
	ds_read_b128 v[56:59], v2 offset:1248
	;; [unrolled: 1-line block ×11, first 2 shown]
	v_cmp_lt_u32_e32 vcc, 31, v240
	s_waitcnt vmcnt(11) lgkmcnt(10)
	v_mul_f64 v[96:97], v[52:53], v[6:7]
	v_mul_f64 v[6:7], v[54:55], v[6:7]
	s_waitcnt vmcnt(10) lgkmcnt(9)
	v_mul_f64 v[98:99], v[56:57], v[10:11]
	s_waitcnt vmcnt(9) lgkmcnt(8)
	v_mul_f64 v[100:101], v[60:61], v[14:15]
	v_mul_f64 v[10:11], v[58:59], v[10:11]
	s_waitcnt vmcnt(6) lgkmcnt(5)
	v_mul_f64 v[106:107], v[72:73], v[26:27]
	v_mul_f64 v[14:15], v[62:63], v[14:15]
	;; [unrolled: 1-line block ×3, first 2 shown]
	v_fmac_f64_e32 v[96:97], v[54:55], v[4:5]
	v_fma_f64 v[4:5], v[52:53], v[4:5], -v[6:7]
	v_fmac_f64_e32 v[98:99], v[58:59], v[8:9]
	v_fma_f64 v[6:7], v[56:57], v[8:9], -v[10:11]
	v_fma_f64 v[8:9], v[60:61], v[12:13], -v[14:15]
	;; [unrolled: 1-line block ×3, first 2 shown]
	v_add_f64 v[26:27], v[96:97], 0
	v_add_f64 v[4:5], v[4:5], 0
	v_mul_f64 v[102:103], v[64:65], v[18:19]
	v_mul_f64 v[18:19], v[66:67], v[18:19]
	v_fmac_f64_e32 v[100:101], v[62:63], v[12:13]
	v_add_f64 v[26:27], v[26:27], v[98:99]
	v_add_f64 v[4:5], v[4:5], v[6:7]
	v_mul_f64 v[104:105], v[68:69], v[22:23]
	v_mul_f64 v[22:23], v[70:71], v[22:23]
	v_fmac_f64_e32 v[102:103], v[66:67], v[16:17]
	v_fma_f64 v[10:11], v[64:65], v[16:17], -v[18:19]
	v_add_f64 v[6:7], v[26:27], v[100:101]
	v_add_f64 v[4:5], v[4:5], v[8:9]
	v_fmac_f64_e32 v[104:105], v[70:71], v[20:21]
	v_fma_f64 v[12:13], v[68:69], v[20:21], -v[22:23]
	v_add_f64 v[6:7], v[6:7], v[102:103]
	v_add_f64 v[4:5], v[4:5], v[10:11]
	s_waitcnt vmcnt(5) lgkmcnt(4)
	v_mul_f64 v[108:109], v[76:77], v[30:31]
	v_mul_f64 v[30:31], v[78:79], v[30:31]
	v_fmac_f64_e32 v[106:107], v[74:75], v[24:25]
	v_add_f64 v[6:7], v[6:7], v[104:105]
	v_add_f64 v[4:5], v[4:5], v[12:13]
	s_waitcnt vmcnt(4) lgkmcnt(3)
	v_mul_f64 v[110:111], v[80:81], v[34:35]
	v_mul_f64 v[34:35], v[82:83], v[34:35]
	v_fmac_f64_e32 v[108:109], v[78:79], v[28:29]
	v_fma_f64 v[16:17], v[76:77], v[28:29], -v[30:31]
	v_add_f64 v[6:7], v[6:7], v[106:107]
	v_add_f64 v[4:5], v[4:5], v[14:15]
	s_waitcnt vmcnt(3) lgkmcnt(2)
	v_mul_f64 v[112:113], v[84:85], v[38:39]
	v_mul_f64 v[38:39], v[86:87], v[38:39]
	v_fmac_f64_e32 v[110:111], v[82:83], v[32:33]
	v_fma_f64 v[18:19], v[80:81], v[32:33], -v[34:35]
	;; [unrolled: 7-line block ×4, first 2 shown]
	v_add_f64 v[6:7], v[6:7], v[112:113]
	v_add_f64 v[4:5], v[4:5], v[20:21]
	v_fmac_f64_e32 v[116:117], v[94:95], v[44:45]
	v_fma_f64 v[24:25], v[92:93], v[44:45], -v[46:47]
	v_add_f64 v[6:7], v[6:7], v[114:115]
	v_add_f64 v[4:5], v[4:5], v[22:23]
	v_add_f64 v[6:7], v[6:7], v[116:117]
	v_add_f64 v[4:5], v[4:5], v[24:25]
	s_waitcnt vmcnt(0)
	v_add_f64 v[4:5], v[48:49], -v[4:5]
	v_add_f64 v[6:7], v[50:51], -v[6:7]
	scratch_store_dwordx4 off, v[4:7], off offset:528
	s_and_saveexec_b64 s[0:1], vcc
	s_cbranch_execz .LBB107_215
; %bb.214:
	scratch_load_dwordx4 v[6:9], off, s28
	v_mov_b32_e32 v3, v2
	v_mov_b32_e32 v4, v2
	;; [unrolled: 1-line block ×3, first 2 shown]
	v_accvgpr_read_b32 v0, a89
	scratch_store_dwordx4 off, v[2:5], off offset:512
	s_waitcnt vmcnt(1)
	ds_write_b128 v0, v[6:9]
.LBB107_215:
	s_or_b64 exec, exec, s[0:1]
	s_waitcnt lgkmcnt(0)
	; wave barrier
	scratch_load_dwordx4 v[4:7], off, off offset:528
	scratch_load_dwordx4 v[8:11], off, off offset:544
	;; [unrolled: 1-line block ×12, first 2 shown]
	ds_read_b128 v[52:55], v2 offset:1216
	ds_read_b128 v[56:59], v2 offset:1232
	;; [unrolled: 1-line block ×4, first 2 shown]
	scratch_load_dwordx4 v[68:71], off, off offset:512
	ds_read_b128 v[72:75], v2 offset:1280
	ds_read_b128 v[76:79], v2 offset:1296
	;; [unrolled: 1-line block ×8, first 2 shown]
	v_cmp_lt_u32_e32 vcc, 30, v240
	s_waitcnt vmcnt(12) lgkmcnt(11)
	v_mul_f64 v[2:3], v[52:53], v[6:7]
	s_waitcnt vmcnt(11) lgkmcnt(10)
	v_mul_f64 v[104:105], v[56:57], v[10:11]
	v_fmac_f64_e32 v[2:3], v[54:55], v[4:5]
	s_waitcnt vmcnt(10) lgkmcnt(9)
	v_mul_f64 v[106:107], v[60:61], v[14:15]
	v_mul_f64 v[6:7], v[54:55], v[6:7]
	v_fmac_f64_e32 v[104:105], v[58:59], v[8:9]
	v_add_f64 v[2:3], v[2:3], 0
	s_waitcnt vmcnt(9) lgkmcnt(8)
	v_mul_f64 v[108:109], v[64:65], v[18:19]
	v_mul_f64 v[10:11], v[58:59], v[10:11]
	v_fmac_f64_e32 v[106:107], v[62:63], v[12:13]
	v_fma_f64 v[4:5], v[52:53], v[4:5], -v[6:7]
	v_add_f64 v[2:3], v[2:3], v[104:105]
	s_waitcnt vmcnt(8) lgkmcnt(7)
	v_mul_f64 v[110:111], v[72:73], v[22:23]
	v_mul_f64 v[14:15], v[62:63], v[14:15]
	v_fmac_f64_e32 v[108:109], v[66:67], v[16:17]
	v_fma_f64 v[6:7], v[56:57], v[8:9], -v[10:11]
	v_add_f64 v[4:5], v[4:5], 0
	v_add_f64 v[2:3], v[2:3], v[106:107]
	s_waitcnt vmcnt(7) lgkmcnt(6)
	v_mul_f64 v[112:113], v[76:77], v[26:27]
	v_mul_f64 v[18:19], v[66:67], v[18:19]
	v_fmac_f64_e32 v[110:111], v[74:75], v[20:21]
	v_fma_f64 v[8:9], v[60:61], v[12:13], -v[14:15]
	v_add_f64 v[4:5], v[4:5], v[6:7]
	v_add_f64 v[2:3], v[2:3], v[108:109]
	s_waitcnt vmcnt(6) lgkmcnt(5)
	v_mul_f64 v[114:115], v[80:81], v[30:31]
	v_mul_f64 v[22:23], v[74:75], v[22:23]
	v_fmac_f64_e32 v[112:113], v[78:79], v[24:25]
	v_fma_f64 v[10:11], v[64:65], v[16:17], -v[18:19]
	v_add_f64 v[4:5], v[4:5], v[8:9]
	v_add_f64 v[2:3], v[2:3], v[110:111]
	s_waitcnt vmcnt(5) lgkmcnt(4)
	v_mul_f64 v[116:117], v[84:85], v[34:35]
	v_mul_f64 v[26:27], v[78:79], v[26:27]
	v_fmac_f64_e32 v[114:115], v[82:83], v[28:29]
	v_fma_f64 v[12:13], v[72:73], v[20:21], -v[22:23]
	v_add_f64 v[4:5], v[4:5], v[10:11]
	v_add_f64 v[2:3], v[2:3], v[112:113]
	s_waitcnt vmcnt(4) lgkmcnt(3)
	v_mul_f64 v[118:119], v[88:89], v[38:39]
	v_mul_f64 v[30:31], v[82:83], v[30:31]
	v_fmac_f64_e32 v[116:117], v[86:87], v[32:33]
	v_fma_f64 v[14:15], v[76:77], v[24:25], -v[26:27]
	v_add_f64 v[4:5], v[4:5], v[12:13]
	v_add_f64 v[2:3], v[2:3], v[114:115]
	s_waitcnt vmcnt(3) lgkmcnt(2)
	v_mul_f64 v[120:121], v[92:93], v[42:43]
	v_mul_f64 v[34:35], v[86:87], v[34:35]
	v_fmac_f64_e32 v[118:119], v[90:91], v[36:37]
	v_fma_f64 v[16:17], v[80:81], v[28:29], -v[30:31]
	v_add_f64 v[4:5], v[4:5], v[14:15]
	v_add_f64 v[2:3], v[2:3], v[116:117]
	s_waitcnt vmcnt(2) lgkmcnt(1)
	v_mul_f64 v[122:123], v[96:97], v[46:47]
	v_mul_f64 v[38:39], v[90:91], v[38:39]
	v_fmac_f64_e32 v[120:121], v[94:95], v[40:41]
	v_fma_f64 v[18:19], v[84:85], v[32:33], -v[34:35]
	v_add_f64 v[4:5], v[4:5], v[16:17]
	v_add_f64 v[2:3], v[2:3], v[118:119]
	s_waitcnt vmcnt(1) lgkmcnt(0)
	v_mul_f64 v[124:125], v[100:101], v[50:51]
	v_mul_f64 v[42:43], v[94:95], v[42:43]
	v_fmac_f64_e32 v[122:123], v[98:99], v[44:45]
	v_fma_f64 v[20:21], v[88:89], v[36:37], -v[38:39]
	v_add_f64 v[4:5], v[4:5], v[18:19]
	v_add_f64 v[2:3], v[2:3], v[120:121]
	v_mul_f64 v[46:47], v[98:99], v[46:47]
	v_fmac_f64_e32 v[124:125], v[102:103], v[48:49]
	v_fma_f64 v[22:23], v[92:93], v[40:41], -v[42:43]
	v_add_f64 v[4:5], v[4:5], v[20:21]
	v_add_f64 v[2:3], v[2:3], v[122:123]
	;; [unrolled: 1-line block ×4, first 2 shown]
	v_fma_f64 v[2:3], v[96:97], v[44:45], -v[46:47]
	v_add_f64 v[2:3], v[4:5], v[2:3]
	v_mul_f64 v[4:5], v[102:103], v[50:51]
	v_fma_f64 v[4:5], v[100:101], v[48:49], -v[4:5]
	v_add_f64 v[2:3], v[2:3], v[4:5]
	s_waitcnt vmcnt(0)
	v_add_f64 v[2:3], v[68:69], -v[2:3]
	v_add_f64 v[4:5], v[70:71], -v[6:7]
	scratch_store_dwordx4 off, v[2:5], off offset:512
	s_and_saveexec_b64 s[0:1], vcc
	s_cbranch_execz .LBB107_217
; %bb.216:
	scratch_load_dwordx4 v[2:5], off, s29
	v_mov_b32_e32 v6, 0
	v_mov_b32_e32 v7, v6
	;; [unrolled: 1-line block ×4, first 2 shown]
	v_accvgpr_read_b32 v0, a89
	scratch_store_dwordx4 off, v[6:9], off offset:496
	s_waitcnt vmcnt(1)
	ds_write_b128 v0, v[2:5]
.LBB107_217:
	s_or_b64 exec, exec, s[0:1]
	s_waitcnt lgkmcnt(0)
	; wave barrier
	scratch_load_dwordx4 v[4:7], off, off offset:512
	scratch_load_dwordx4 v[8:11], off, off offset:528
	;; [unrolled: 1-line block ×14, first 2 shown]
	v_mov_b32_e32 v2, 0
	ds_read_b128 v[60:63], v2 offset:1200
	ds_read_b128 v[64:67], v2 offset:1216
	;; [unrolled: 1-line block ×13, first 2 shown]
	v_cmp_lt_u32_e32 vcc, 29, v240
	s_waitcnt vmcnt(13) lgkmcnt(12)
	v_mul_f64 v[112:113], v[60:61], v[6:7]
	v_mul_f64 v[6:7], v[62:63], v[6:7]
	s_waitcnt vmcnt(12) lgkmcnt(11)
	v_mul_f64 v[114:115], v[64:65], v[10:11]
	v_mul_f64 v[10:11], v[66:67], v[10:11]
	v_fmac_f64_e32 v[112:113], v[62:63], v[4:5]
	v_fma_f64 v[4:5], v[60:61], v[4:5], -v[6:7]
	s_waitcnt vmcnt(11) lgkmcnt(10)
	v_mul_f64 v[116:117], v[68:69], v[14:15]
	v_mul_f64 v[14:15], v[70:71], v[14:15]
	v_fma_f64 v[6:7], v[64:65], v[8:9], -v[10:11]
	v_add_f64 v[4:5], v[4:5], 0
	s_waitcnt vmcnt(10) lgkmcnt(9)
	v_mul_f64 v[118:119], v[72:73], v[18:19]
	v_mul_f64 v[18:19], v[74:75], v[18:19]
	v_fmac_f64_e32 v[114:115], v[66:67], v[8:9]
	v_fma_f64 v[8:9], v[68:69], v[12:13], -v[14:15]
	v_add_f64 v[4:5], v[4:5], v[6:7]
	s_waitcnt vmcnt(9) lgkmcnt(8)
	v_mul_f64 v[120:121], v[76:77], v[22:23]
	v_mul_f64 v[22:23], v[78:79], v[22:23]
	v_fma_f64 v[10:11], v[72:73], v[16:17], -v[18:19]
	v_add_f64 v[4:5], v[4:5], v[8:9]
	s_waitcnt vmcnt(8) lgkmcnt(7)
	v_mul_f64 v[122:123], v[80:81], v[26:27]
	v_mul_f64 v[26:27], v[82:83], v[26:27]
	v_fmac_f64_e32 v[116:117], v[70:71], v[12:13]
	v_fma_f64 v[12:13], v[76:77], v[20:21], -v[22:23]
	v_add_f64 v[22:23], v[112:113], 0
	v_add_f64 v[4:5], v[4:5], v[10:11]
	s_waitcnt vmcnt(7) lgkmcnt(6)
	v_mul_f64 v[124:125], v[84:85], v[30:31]
	v_mul_f64 v[30:31], v[86:87], v[30:31]
	v_fma_f64 v[14:15], v[80:81], v[24:25], -v[26:27]
	v_add_f64 v[22:23], v[22:23], v[114:115]
	v_add_f64 v[4:5], v[4:5], v[12:13]
	s_waitcnt vmcnt(6) lgkmcnt(5)
	v_mul_f64 v[126:127], v[88:89], v[34:35]
	v_mul_f64 v[34:35], v[90:91], v[34:35]
	v_fmac_f64_e32 v[118:119], v[74:75], v[16:17]
	v_fma_f64 v[16:17], v[84:85], v[28:29], -v[30:31]
	v_add_f64 v[6:7], v[22:23], v[116:117]
	v_add_f64 v[4:5], v[4:5], v[14:15]
	s_waitcnt vmcnt(5) lgkmcnt(4)
	v_mul_f64 v[128:129], v[92:93], v[38:39]
	v_mul_f64 v[38:39], v[94:95], v[38:39]
	v_fmac_f64_e32 v[120:121], v[78:79], v[20:21]
	v_fma_f64 v[18:19], v[88:89], v[32:33], -v[34:35]
	v_add_f64 v[6:7], v[6:7], v[118:119]
	v_add_f64 v[4:5], v[4:5], v[16:17]
	v_fmac_f64_e32 v[122:123], v[82:83], v[24:25]
	v_fma_f64 v[20:21], v[92:93], v[36:37], -v[38:39]
	v_add_f64 v[6:7], v[6:7], v[120:121]
	v_add_f64 v[4:5], v[4:5], v[18:19]
	s_waitcnt vmcnt(4) lgkmcnt(3)
	v_mul_f64 v[8:9], v[98:99], v[42:43]
	v_fmac_f64_e32 v[124:125], v[86:87], v[28:29]
	v_add_f64 v[6:7], v[6:7], v[122:123]
	v_add_f64 v[4:5], v[4:5], v[20:21]
	v_fma_f64 v[8:9], v[96:97], v[40:41], -v[8:9]
	v_fmac_f64_e32 v[126:127], v[90:91], v[32:33]
	v_add_f64 v[6:7], v[6:7], v[124:125]
	v_add_f64 v[4:5], v[4:5], v[8:9]
	s_waitcnt vmcnt(3) lgkmcnt(2)
	v_mul_f64 v[8:9], v[102:103], v[46:47]
	v_mul_f64 v[130:131], v[96:97], v[42:43]
	v_fmac_f64_e32 v[128:129], v[94:95], v[36:37]
	v_add_f64 v[6:7], v[6:7], v[126:127]
	v_fma_f64 v[8:9], v[100:101], v[44:45], -v[8:9]
	v_mul_f64 v[132:133], v[100:101], v[46:47]
	v_fmac_f64_e32 v[130:131], v[98:99], v[40:41]
	v_add_f64 v[6:7], v[6:7], v[128:129]
	v_add_f64 v[4:5], v[4:5], v[8:9]
	s_waitcnt vmcnt(2) lgkmcnt(1)
	v_mul_f64 v[8:9], v[106:107], v[50:51]
	v_mul_f64 v[134:135], v[104:105], v[50:51]
	v_fmac_f64_e32 v[132:133], v[102:103], v[44:45]
	v_add_f64 v[6:7], v[6:7], v[130:131]
	v_fma_f64 v[8:9], v[104:105], v[48:49], -v[8:9]
	s_waitcnt vmcnt(1) lgkmcnt(0)
	v_mul_f64 v[136:137], v[108:109], v[54:55]
	v_fmac_f64_e32 v[134:135], v[106:107], v[48:49]
	v_add_f64 v[6:7], v[6:7], v[132:133]
	v_add_f64 v[4:5], v[4:5], v[8:9]
	v_mul_f64 v[8:9], v[110:111], v[54:55]
	v_fmac_f64_e32 v[136:137], v[110:111], v[52:53]
	v_add_f64 v[6:7], v[6:7], v[134:135]
	v_fma_f64 v[8:9], v[108:109], v[52:53], -v[8:9]
	v_add_f64 v[6:7], v[6:7], v[136:137]
	v_add_f64 v[4:5], v[4:5], v[8:9]
	s_waitcnt vmcnt(0)
	v_add_f64 v[4:5], v[56:57], -v[4:5]
	v_add_f64 v[6:7], v[58:59], -v[6:7]
	scratch_store_dwordx4 off, v[4:7], off offset:496
	s_and_saveexec_b64 s[0:1], vcc
	s_cbranch_execz .LBB107_219
; %bb.218:
	scratch_load_dwordx4 v[6:9], off, s30
	v_mov_b32_e32 v3, v2
	v_mov_b32_e32 v4, v2
	;; [unrolled: 1-line block ×3, first 2 shown]
	v_accvgpr_read_b32 v0, a89
	scratch_store_dwordx4 off, v[2:5], off offset:480
	s_waitcnt vmcnt(1)
	ds_write_b128 v0, v[6:9]
.LBB107_219:
	s_or_b64 exec, exec, s[0:1]
	s_waitcnt lgkmcnt(0)
	; wave barrier
	scratch_load_dwordx4 v[4:7], off, off offset:496
	scratch_load_dwordx4 v[8:11], off, off offset:512
	;; [unrolled: 1-line block ×14, first 2 shown]
	ds_read_b128 v[60:63], v2 offset:1184
	ds_read_b128 v[64:67], v2 offset:1200
	ds_read_b128 v[68:71], v2 offset:1216
	ds_read_b128 v[72:75], v2 offset:1232
	ds_read_b128 v[76:79], v2 offset:1248
	ds_read_b128 v[80:83], v2 offset:1264
	ds_read_b128 v[84:87], v2 offset:1280
	ds_read_b128 v[88:91], v2 offset:1296
	ds_read_b128 v[92:95], v2 offset:1312
	ds_read_b128 v[96:99], v2 offset:1328
	ds_read_b128 v[100:103], v2 offset:1344
	ds_read_b128 v[104:107], v2 offset:1360
	ds_read_b128 v[108:111], v2 offset:1376
	ds_read_b128 v[112:115], v2 offset:1392
	scratch_load_dwordx4 v[116:119], off, off offset:480
	v_cmp_lt_u32_e32 vcc, 28, v240
	s_waitcnt vmcnt(14) lgkmcnt(13)
	v_mul_f64 v[2:3], v[60:61], v[6:7]
	s_waitcnt vmcnt(13) lgkmcnt(12)
	v_mul_f64 v[120:121], v[64:65], v[10:11]
	v_fmac_f64_e32 v[2:3], v[62:63], v[4:5]
	s_waitcnt vmcnt(12) lgkmcnt(11)
	v_mul_f64 v[122:123], v[68:69], v[14:15]
	v_fmac_f64_e32 v[120:121], v[66:67], v[8:9]
	v_add_f64 v[2:3], v[2:3], 0
	s_waitcnt vmcnt(11) lgkmcnt(10)
	v_mul_f64 v[124:125], v[72:73], v[18:19]
	v_fmac_f64_e32 v[122:123], v[70:71], v[12:13]
	v_add_f64 v[2:3], v[2:3], v[120:121]
	;; [unrolled: 4-line block ×4, first 2 shown]
	s_waitcnt vmcnt(8) lgkmcnt(7)
	v_mul_f64 v[130:131], v[84:85], v[30:31]
	v_mul_f64 v[6:7], v[62:63], v[6:7]
	v_fmac_f64_e32 v[128:129], v[82:83], v[24:25]
	v_add_f64 v[2:3], v[2:3], v[126:127]
	s_waitcnt vmcnt(7) lgkmcnt(6)
	v_mul_f64 v[132:133], v[88:89], v[34:35]
	v_mul_f64 v[10:11], v[66:67], v[10:11]
	v_fmac_f64_e32 v[130:131], v[86:87], v[28:29]
	v_fma_f64 v[4:5], v[60:61], v[4:5], -v[6:7]
	v_add_f64 v[2:3], v[2:3], v[128:129]
	s_waitcnt vmcnt(6) lgkmcnt(5)
	v_mul_f64 v[134:135], v[92:93], v[38:39]
	v_mul_f64 v[14:15], v[70:71], v[14:15]
	v_fmac_f64_e32 v[132:133], v[90:91], v[32:33]
	v_fma_f64 v[6:7], v[64:65], v[8:9], -v[10:11]
	v_add_f64 v[4:5], v[4:5], 0
	v_add_f64 v[2:3], v[2:3], v[130:131]
	s_waitcnt vmcnt(5) lgkmcnt(4)
	v_mul_f64 v[136:137], v[96:97], v[42:43]
	v_mul_f64 v[18:19], v[74:75], v[18:19]
	v_fmac_f64_e32 v[134:135], v[94:95], v[36:37]
	v_fma_f64 v[8:9], v[68:69], v[12:13], -v[14:15]
	v_add_f64 v[4:5], v[4:5], v[6:7]
	;; [unrolled: 7-line block ×6, first 2 shown]
	v_add_f64 v[2:3], v[2:3], v[140:141]
	v_fmac_f64_e32 v[144:145], v[114:115], v[56:57]
	v_fma_f64 v[18:19], v[88:89], v[32:33], -v[34:35]
	v_add_f64 v[4:5], v[4:5], v[16:17]
	v_add_f64 v[2:3], v[2:3], v[142:143]
	;; [unrolled: 1-line block ×4, first 2 shown]
	v_mul_f64 v[4:5], v[94:95], v[38:39]
	v_fma_f64 v[4:5], v[92:93], v[36:37], -v[4:5]
	v_add_f64 v[2:3], v[2:3], v[4:5]
	v_mul_f64 v[4:5], v[98:99], v[42:43]
	v_fma_f64 v[4:5], v[96:97], v[40:41], -v[4:5]
	v_add_f64 v[2:3], v[2:3], v[4:5]
	;; [unrolled: 3-line block ×6, first 2 shown]
	s_waitcnt vmcnt(0)
	v_add_f64 v[2:3], v[116:117], -v[2:3]
	v_add_f64 v[4:5], v[118:119], -v[6:7]
	scratch_store_dwordx4 off, v[2:5], off offset:480
	s_and_saveexec_b64 s[0:1], vcc
	s_cbranch_execz .LBB107_221
; %bb.220:
	scratch_load_dwordx4 v[2:5], off, s31
	v_mov_b32_e32 v6, 0
	v_mov_b32_e32 v7, v6
	;; [unrolled: 1-line block ×4, first 2 shown]
	v_accvgpr_read_b32 v0, a89
	scratch_store_dwordx4 off, v[6:9], off offset:464
	s_waitcnt vmcnt(1)
	ds_write_b128 v0, v[2:5]
.LBB107_221:
	s_or_b64 exec, exec, s[0:1]
	s_waitcnt lgkmcnt(0)
	; wave barrier
	scratch_load_dwordx4 v[4:7], off, off offset:480
	scratch_load_dwordx4 v[8:11], off, off offset:496
	scratch_load_dwordx4 v[12:15], off, off offset:512
	scratch_load_dwordx4 v[16:19], off, off offset:528
	scratch_load_dwordx4 v[20:23], off, off offset:544
	scratch_load_dwordx4 v[24:27], off, off offset:560
	scratch_load_dwordx4 v[28:31], off, off offset:576
	scratch_load_dwordx4 v[32:35], off, off offset:592
	scratch_load_dwordx4 v[36:39], off, off offset:608
	scratch_load_dwordx4 v[40:43], off, off offset:624
	scratch_load_dwordx4 v[44:47], off, off offset:640
	scratch_load_dwordx4 v[48:51], off, off offset:656
	scratch_load_dwordx4 v[52:55], off, off offset:672
	scratch_load_dwordx4 v[56:59], off, off offset:688
	scratch_load_dwordx4 v[60:63], off, off offset:704
	scratch_load_dwordx4 v[64:67], off, off offset:464
	v_mov_b32_e32 v2, 0
	ds_read_b128 v[68:71], v2 offset:1168
	ds_read_b128 v[72:75], v2 offset:1184
	;; [unrolled: 1-line block ×15, first 2 shown]
	v_cmp_lt_u32_e32 vcc, 27, v240
	s_waitcnt vmcnt(15) lgkmcnt(14)
	v_mul_f64 v[128:129], v[68:69], v[6:7]
	v_mul_f64 v[6:7], v[70:71], v[6:7]
	s_waitcnt vmcnt(14) lgkmcnt(13)
	v_mul_f64 v[130:131], v[72:73], v[10:11]
	v_mul_f64 v[10:11], v[74:75], v[10:11]
	v_fmac_f64_e32 v[128:129], v[70:71], v[4:5]
	v_fma_f64 v[4:5], v[68:69], v[4:5], -v[6:7]
	s_waitcnt vmcnt(13) lgkmcnt(12)
	v_mul_f64 v[132:133], v[76:77], v[14:15]
	v_mul_f64 v[14:15], v[78:79], v[14:15]
	v_fma_f64 v[6:7], v[72:73], v[8:9], -v[10:11]
	v_add_f64 v[4:5], v[4:5], 0
	s_waitcnt vmcnt(12) lgkmcnt(11)
	v_mul_f64 v[134:135], v[80:81], v[18:19]
	v_mul_f64 v[18:19], v[82:83], v[18:19]
	v_fmac_f64_e32 v[130:131], v[74:75], v[8:9]
	v_fma_f64 v[8:9], v[76:77], v[12:13], -v[14:15]
	v_add_f64 v[4:5], v[4:5], v[6:7]
	s_waitcnt vmcnt(11) lgkmcnt(10)
	v_mul_f64 v[136:137], v[84:85], v[22:23]
	v_mul_f64 v[22:23], v[86:87], v[22:23]
	v_fma_f64 v[10:11], v[80:81], v[16:17], -v[18:19]
	v_add_f64 v[4:5], v[4:5], v[8:9]
	s_waitcnt vmcnt(10) lgkmcnt(9)
	v_mul_f64 v[138:139], v[88:89], v[26:27]
	v_mul_f64 v[26:27], v[90:91], v[26:27]
	v_fmac_f64_e32 v[132:133], v[78:79], v[12:13]
	v_fma_f64 v[12:13], v[84:85], v[20:21], -v[22:23]
	v_add_f64 v[4:5], v[4:5], v[10:11]
	v_fma_f64 v[14:15], v[88:89], v[24:25], -v[26:27]
	v_add_f64 v[4:5], v[4:5], v[12:13]
	s_waitcnt vmcnt(9) lgkmcnt(8)
	v_mul_f64 v[8:9], v[94:95], v[30:31]
	v_add_f64 v[4:5], v[4:5], v[14:15]
	v_fma_f64 v[8:9], v[92:93], v[28:29], -v[8:9]
	v_add_f64 v[4:5], v[4:5], v[8:9]
	s_waitcnt vmcnt(8) lgkmcnt(7)
	v_mul_f64 v[8:9], v[98:99], v[34:35]
	v_fma_f64 v[8:9], v[96:97], v[32:33], -v[8:9]
	v_fmac_f64_e32 v[134:135], v[82:83], v[16:17]
	v_add_f64 v[16:17], v[128:129], 0
	v_add_f64 v[4:5], v[4:5], v[8:9]
	s_waitcnt vmcnt(7) lgkmcnt(6)
	v_mul_f64 v[8:9], v[102:103], v[38:39]
	v_add_f64 v[16:17], v[16:17], v[130:131]
	v_fma_f64 v[8:9], v[100:101], v[36:37], -v[8:9]
	v_add_f64 v[6:7], v[16:17], v[132:133]
	v_add_f64 v[4:5], v[4:5], v[8:9]
	s_waitcnt vmcnt(6) lgkmcnt(5)
	v_mul_f64 v[8:9], v[106:107], v[42:43]
	v_fmac_f64_e32 v[136:137], v[86:87], v[20:21]
	v_add_f64 v[6:7], v[6:7], v[134:135]
	v_fma_f64 v[8:9], v[104:105], v[40:41], -v[8:9]
	v_mul_f64 v[140:141], v[92:93], v[30:31]
	v_fmac_f64_e32 v[138:139], v[90:91], v[24:25]
	v_add_f64 v[6:7], v[6:7], v[136:137]
	v_add_f64 v[4:5], v[4:5], v[8:9]
	s_waitcnt vmcnt(5) lgkmcnt(4)
	v_mul_f64 v[8:9], v[110:111], v[46:47]
	v_mul_f64 v[142:143], v[96:97], v[34:35]
	v_fmac_f64_e32 v[140:141], v[94:95], v[28:29]
	v_add_f64 v[6:7], v[6:7], v[138:139]
	v_fma_f64 v[8:9], v[108:109], v[44:45], -v[8:9]
	v_mul_f64 v[144:145], v[100:101], v[38:39]
	v_fmac_f64_e32 v[142:143], v[98:99], v[32:33]
	v_add_f64 v[6:7], v[6:7], v[140:141]
	v_add_f64 v[4:5], v[4:5], v[8:9]
	s_waitcnt vmcnt(4) lgkmcnt(3)
	v_mul_f64 v[8:9], v[114:115], v[50:51]
	;; [unrolled: 10-line block ×4, first 2 shown]
	v_mul_f64 v[154:155], v[120:121], v[58:59]
	v_fmac_f64_e32 v[152:153], v[118:119], v[52:53]
	v_add_f64 v[6:7], v[6:7], v[150:151]
	v_fma_f64 v[8:9], v[120:121], v[56:57], -v[8:9]
	s_waitcnt vmcnt(1) lgkmcnt(0)
	v_mul_f64 v[156:157], v[124:125], v[62:63]
	v_fmac_f64_e32 v[154:155], v[122:123], v[56:57]
	v_add_f64 v[6:7], v[6:7], v[152:153]
	v_add_f64 v[4:5], v[4:5], v[8:9]
	v_mul_f64 v[8:9], v[126:127], v[62:63]
	v_fmac_f64_e32 v[156:157], v[126:127], v[60:61]
	v_add_f64 v[6:7], v[6:7], v[154:155]
	v_fma_f64 v[8:9], v[124:125], v[60:61], -v[8:9]
	v_add_f64 v[6:7], v[6:7], v[156:157]
	v_add_f64 v[4:5], v[4:5], v[8:9]
	s_waitcnt vmcnt(0)
	v_add_f64 v[4:5], v[64:65], -v[4:5]
	v_add_f64 v[6:7], v[66:67], -v[6:7]
	scratch_store_dwordx4 off, v[4:7], off offset:464
	s_and_saveexec_b64 s[0:1], vcc
	s_cbranch_execz .LBB107_223
; %bb.222:
	scratch_load_dwordx4 v[6:9], off, s33
	v_mov_b32_e32 v3, v2
	v_mov_b32_e32 v4, v2
	;; [unrolled: 1-line block ×3, first 2 shown]
	v_accvgpr_read_b32 v0, a89
	scratch_store_dwordx4 off, v[2:5], off offset:448
	s_waitcnt vmcnt(1)
	ds_write_b128 v0, v[6:9]
.LBB107_223:
	s_or_b64 exec, exec, s[0:1]
	s_waitcnt lgkmcnt(0)
	; wave barrier
	scratch_load_dwordx4 v[4:7], off, off offset:464
	scratch_load_dwordx4 v[8:11], off, off offset:480
	;; [unrolled: 1-line block ×16, first 2 shown]
	ds_read_b128 v[68:71], v2 offset:1152
	ds_read_b128 v[72:75], v2 offset:1168
	;; [unrolled: 1-line block ×16, first 2 shown]
	scratch_load_dwordx4 v[132:135], off, off offset:448
	v_cmp_lt_u32_e32 vcc, 26, v240
	s_waitcnt vmcnt(16) lgkmcnt(14)
	v_mul_f64 v[2:3], v[68:69], v[6:7]
	s_waitcnt vmcnt(15)
	v_mul_f64 v[136:137], v[72:73], v[10:11]
	v_fmac_f64_e32 v[2:3], v[70:71], v[4:5]
	s_waitcnt vmcnt(14) lgkmcnt(13)
	v_mul_f64 v[138:139], v[76:77], v[14:15]
	v_fmac_f64_e32 v[136:137], v[74:75], v[8:9]
	v_add_f64 v[2:3], v[2:3], 0
	s_waitcnt vmcnt(13) lgkmcnt(12)
	v_mul_f64 v[140:141], v[80:81], v[18:19]
	v_fmac_f64_e32 v[138:139], v[78:79], v[12:13]
	v_add_f64 v[2:3], v[2:3], v[136:137]
	;; [unrolled: 4-line block ×10, first 2 shown]
	s_waitcnt vmcnt(4) lgkmcnt(3)
	v_mul_f64 v[158:159], v[116:117], v[54:55]
	v_mul_f64 v[6:7], v[70:71], v[6:7]
	v_fmac_f64_e32 v[156:157], v[114:115], v[48:49]
	v_add_f64 v[2:3], v[2:3], v[154:155]
	s_waitcnt vmcnt(3) lgkmcnt(2)
	v_mul_f64 v[160:161], v[120:121], v[58:59]
	v_mul_f64 v[10:11], v[74:75], v[10:11]
	v_fmac_f64_e32 v[158:159], v[118:119], v[52:53]
	v_fma_f64 v[4:5], v[68:69], v[4:5], -v[6:7]
	v_add_f64 v[2:3], v[2:3], v[156:157]
	s_waitcnt vmcnt(2) lgkmcnt(1)
	v_mul_f64 v[162:163], v[124:125], v[62:63]
	v_mul_f64 v[14:15], v[78:79], v[14:15]
	v_fmac_f64_e32 v[160:161], v[122:123], v[56:57]
	v_fma_f64 v[6:7], v[72:73], v[8:9], -v[10:11]
	v_add_f64 v[4:5], v[4:5], 0
	v_add_f64 v[2:3], v[2:3], v[158:159]
	s_waitcnt vmcnt(1) lgkmcnt(0)
	v_mul_f64 v[164:165], v[128:129], v[66:67]
	v_mul_f64 v[18:19], v[82:83], v[18:19]
	v_fmac_f64_e32 v[162:163], v[126:127], v[60:61]
	v_fma_f64 v[8:9], v[76:77], v[12:13], -v[14:15]
	v_add_f64 v[4:5], v[4:5], v[6:7]
	v_add_f64 v[2:3], v[2:3], v[160:161]
	v_mul_f64 v[26:27], v[86:87], v[26:27]
	v_fmac_f64_e32 v[164:165], v[130:131], v[64:65]
	v_fma_f64 v[10:11], v[80:81], v[16:17], -v[18:19]
	v_add_f64 v[4:5], v[4:5], v[8:9]
	v_add_f64 v[2:3], v[2:3], v[162:163]
	v_fma_f64 v[12:13], v[84:85], v[24:25], -v[26:27]
	v_add_f64 v[4:5], v[4:5], v[10:11]
	v_add_f64 v[6:7], v[2:3], v[164:165]
	v_mul_f64 v[2:3], v[90:91], v[22:23]
	v_add_f64 v[4:5], v[4:5], v[12:13]
	v_fma_f64 v[2:3], v[88:89], v[20:21], -v[2:3]
	v_add_f64 v[2:3], v[4:5], v[2:3]
	v_mul_f64 v[4:5], v[94:95], v[30:31]
	v_fma_f64 v[4:5], v[92:93], v[28:29], -v[4:5]
	v_add_f64 v[2:3], v[2:3], v[4:5]
	v_mul_f64 v[4:5], v[98:99], v[34:35]
	;; [unrolled: 3-line block ×10, first 2 shown]
	v_fma_f64 v[4:5], v[128:129], v[64:65], -v[4:5]
	v_add_f64 v[2:3], v[2:3], v[4:5]
	s_waitcnt vmcnt(0)
	v_add_f64 v[2:3], v[132:133], -v[2:3]
	v_add_f64 v[4:5], v[134:135], -v[6:7]
	scratch_store_dwordx4 off, v[2:5], off offset:448
	s_and_saveexec_b64 s[0:1], vcc
	s_cbranch_execz .LBB107_225
; %bb.224:
	scratch_load_dwordx4 v[2:5], off, s34
	v_mov_b32_e32 v6, 0
	v_mov_b32_e32 v7, v6
	;; [unrolled: 1-line block ×4, first 2 shown]
	v_accvgpr_read_b32 v0, a89
	scratch_store_dwordx4 off, v[6:9], off offset:432
	s_waitcnt vmcnt(1)
	ds_write_b128 v0, v[2:5]
.LBB107_225:
	s_or_b64 exec, exec, s[0:1]
	v_mov_b32_e32 v2, 0
	s_waitcnt lgkmcnt(0)
	; wave barrier
	ds_read_b128 v[16:19], v2 offset:1136
	ds_read_b128 v[12:15], v2 offset:1152
	;; [unrolled: 1-line block ×4, first 2 shown]
	scratch_load_dwordx4 v[20:23], off, off offset:448
	scratch_load_dwordx4 v[40:43], off, off offset:512
	;; [unrolled: 1-line block ×11, first 2 shown]
	v_cmp_lt_u32_e32 vcc, 25, v240
	scratch_load_dwordx4 v[48:51], off, off offset:528
	scratch_load_dwordx4 v[56:59], off, off offset:544
	;; [unrolled: 1-line block ×3, first 2 shown]
	s_waitcnt vmcnt(13) lgkmcnt(3)
	v_mul_f64 v[24:25], v[16:17], v[22:23]
	v_fmac_f64_e32 v[24:25], v[18:19], v[20:21]
	v_add_f64 v[28:29], v[24:25], 0
	scratch_load_dwordx4 v[24:27], off, off offset:464
	v_mul_f64 v[18:19], v[18:19], v[22:23]
	v_fma_f64 v[16:17], v[16:17], v[20:21], -v[18:19]
	v_add_f64 v[16:17], v[16:17], 0
	s_waitcnt vmcnt(0) lgkmcnt(2)
	v_mul_f64 v[30:31], v[12:13], v[26:27]
	v_fmac_f64_e32 v[30:31], v[14:15], v[24:25]
	v_add_f64 v[32:33], v[28:29], v[30:31]
	scratch_load_dwordx4 v[28:31], off, off offset:480
	v_mul_f64 v[14:15], v[14:15], v[26:27]
	v_fma_f64 v[12:13], v[12:13], v[24:25], -v[14:15]
	v_add_f64 v[12:13], v[16:17], v[12:13]
	;; [unrolled: 8-line block ×3, first 2 shown]
	s_waitcnt vmcnt(0) lgkmcnt(0)
	v_mul_f64 v[38:39], v[4:5], v[34:35]
	v_fmac_f64_e32 v[38:39], v[6:7], v[32:33]
	v_add_f64 v[44:45], v[36:37], v[38:39]
	ds_read_b128 v[36:39], v2 offset:1200
	v_mul_f64 v[6:7], v[6:7], v[34:35]
	v_fma_f64 v[4:5], v[4:5], v[32:33], -v[6:7]
	v_add_f64 v[4:5], v[8:9], v[4:5]
	s_waitcnt lgkmcnt(0)
	v_mul_f64 v[46:47], v[36:37], v[42:43]
	v_fmac_f64_e32 v[46:47], v[38:39], v[40:41]
	v_add_f64 v[52:53], v[44:45], v[46:47]
	ds_read_b128 v[44:47], v2 offset:1216
	v_mul_f64 v[6:7], v[38:39], v[42:43]
	v_fma_f64 v[6:7], v[36:37], v[40:41], -v[6:7]
	v_add_f64 v[4:5], v[4:5], v[6:7]
	s_waitcnt lgkmcnt(0)
	;; [unrolled: 8-line block ×13, first 2 shown]
	v_mul_f64 v[6:7], v[136:137], v[140:141]
	v_fma_f64 v[6:7], v[134:135], v[138:139], -v[6:7]
	v_add_f64 v[8:9], v[4:5], v[6:7]
	scratch_load_dwordx4 v[4:7], off, off offset:432
	v_mul_f64 v[142:143], v[134:135], v[140:141]
	v_fmac_f64_e32 v[142:143], v[136:137], v[138:139]
	v_add_f64 v[72:73], v[72:73], v[142:143]
	s_waitcnt vmcnt(0)
	v_add_f64 v[4:5], v[4:5], -v[8:9]
	v_add_f64 v[6:7], v[6:7], -v[72:73]
	scratch_store_dwordx4 off, v[4:7], off offset:432
	s_and_saveexec_b64 s[0:1], vcc
	s_cbranch_execz .LBB107_227
; %bb.226:
	scratch_load_dwordx4 v[6:9], off, s35
	v_mov_b32_e32 v3, v2
	v_mov_b32_e32 v4, v2
	;; [unrolled: 1-line block ×3, first 2 shown]
	v_accvgpr_read_b32 v0, a89
	scratch_store_dwordx4 off, v[2:5], off offset:416
	s_waitcnt vmcnt(1)
	ds_write_b128 v0, v[6:9]
.LBB107_227:
	s_or_b64 exec, exec, s[0:1]
	s_waitcnt lgkmcnt(0)
	; wave barrier
	ds_read_b128 v[16:19], v2 offset:1120
	ds_read_b128 v[12:15], v2 offset:1136
	;; [unrolled: 1-line block ×4, first 2 shown]
	scratch_load_dwordx4 v[20:23], off, off offset:432
	scratch_load_dwordx4 v[40:43], off, off offset:496
	;; [unrolled: 1-line block ×12, first 2 shown]
	v_cmp_lt_u32_e32 vcc, 24, v240
	scratch_load_dwordx4 v[48:51], off, off offset:512
	scratch_load_dwordx4 v[56:59], off, off offset:528
	;; [unrolled: 1-line block ×3, first 2 shown]
	s_waitcnt vmcnt(14) lgkmcnt(3)
	v_mul_f64 v[24:25], v[16:17], v[22:23]
	v_fmac_f64_e32 v[24:25], v[18:19], v[20:21]
	v_add_f64 v[28:29], v[24:25], 0
	scratch_load_dwordx4 v[24:27], off, off offset:448
	s_waitcnt vmcnt(0) lgkmcnt(2)
	v_mul_f64 v[30:31], v[12:13], v[26:27]
	v_fmac_f64_e32 v[30:31], v[14:15], v[24:25]
	v_add_f64 v[32:33], v[28:29], v[30:31]
	scratch_load_dwordx4 v[28:31], off, off offset:464
	v_mul_f64 v[14:15], v[14:15], v[26:27]
	v_fma_f64 v[12:13], v[12:13], v[24:25], -v[14:15]
	s_waitcnt vmcnt(0) lgkmcnt(1)
	v_mul_f64 v[34:35], v[8:9], v[30:31]
	v_fmac_f64_e32 v[34:35], v[10:11], v[28:29]
	v_add_f64 v[36:37], v[32:33], v[34:35]
	scratch_load_dwordx4 v[32:35], off, off offset:480
	v_mul_f64 v[10:11], v[10:11], v[30:31]
	v_fma_f64 v[8:9], v[8:9], v[28:29], -v[10:11]
	s_waitcnt vmcnt(0) lgkmcnt(0)
	v_mul_f64 v[38:39], v[4:5], v[34:35]
	v_fmac_f64_e32 v[38:39], v[6:7], v[32:33]
	v_add_f64 v[44:45], v[36:37], v[38:39]
	ds_read_b128 v[36:39], v2 offset:1184
	v_mul_f64 v[6:7], v[6:7], v[34:35]
	v_fma_f64 v[4:5], v[4:5], v[32:33], -v[6:7]
	s_waitcnt lgkmcnt(0)
	v_mul_f64 v[46:47], v[36:37], v[42:43]
	v_fmac_f64_e32 v[46:47], v[38:39], v[40:41]
	v_add_f64 v[52:53], v[44:45], v[46:47]
	ds_read_b128 v[44:47], v2 offset:1200
	s_waitcnt lgkmcnt(0)
	v_mul_f64 v[54:55], v[44:45], v[50:51]
	v_fmac_f64_e32 v[54:55], v[46:47], v[48:49]
	v_add_f64 v[60:61], v[52:53], v[54:55]
	ds_read_b128 v[52:55], v2 offset:1216
	s_waitcnt lgkmcnt(0)
	v_mul_f64 v[62:63], v[52:53], v[58:59]
	v_fmac_f64_e32 v[62:63], v[54:55], v[56:57]
	v_add_f64 v[68:69], v[60:61], v[62:63]
	ds_read_b128 v[60:63], v2 offset:1232
	s_waitcnt lgkmcnt(0)
	v_mul_f64 v[70:71], v[60:61], v[66:67]
	v_fmac_f64_e32 v[70:71], v[62:63], v[64:65]
	v_add_f64 v[76:77], v[68:69], v[70:71]
	ds_read_b128 v[68:71], v2 offset:1248
	s_waitcnt lgkmcnt(0)
	v_mul_f64 v[78:79], v[68:69], v[74:75]
	v_fmac_f64_e32 v[78:79], v[70:71], v[72:73]
	v_add_f64 v[80:81], v[76:77], v[78:79]
	ds_read_b128 v[76:79], v2 offset:1264
	s_waitcnt lgkmcnt(0)
	v_mul_f64 v[86:87], v[76:77], v[84:85]
	v_fmac_f64_e32 v[86:87], v[78:79], v[82:83]
	v_add_f64 v[80:81], v[80:81], v[86:87]
	ds_read_b128 v[86:89], v2 offset:1280
	s_waitcnt lgkmcnt(0)
	v_mul_f64 v[94:95], v[86:87], v[92:93]
	v_fmac_f64_e32 v[94:95], v[88:89], v[90:91]
	v_add_f64 v[80:81], v[80:81], v[94:95]
	ds_read_b128 v[94:97], v2 offset:1296
	s_waitcnt lgkmcnt(0)
	v_mul_f64 v[102:103], v[94:95], v[100:101]
	v_fmac_f64_e32 v[102:103], v[96:97], v[98:99]
	v_add_f64 v[80:81], v[80:81], v[102:103]
	ds_read_b128 v[102:105], v2 offset:1312
	s_waitcnt lgkmcnt(0)
	v_mul_f64 v[110:111], v[102:103], v[108:109]
	v_fmac_f64_e32 v[110:111], v[104:105], v[106:107]
	v_add_f64 v[80:81], v[80:81], v[110:111]
	ds_read_b128 v[110:113], v2 offset:1328
	s_waitcnt lgkmcnt(0)
	v_mul_f64 v[118:119], v[110:111], v[116:117]
	v_fmac_f64_e32 v[118:119], v[112:113], v[114:115]
	v_add_f64 v[80:81], v[80:81], v[118:119]
	ds_read_b128 v[118:121], v2 offset:1344
	s_waitcnt lgkmcnt(0)
	v_mul_f64 v[126:127], v[118:119], v[124:125]
	v_fmac_f64_e32 v[126:127], v[120:121], v[122:123]
	v_add_f64 v[80:81], v[80:81], v[126:127]
	ds_read_b128 v[126:129], v2 offset:1360
	s_waitcnt lgkmcnt(0)
	v_mul_f64 v[134:135], v[126:127], v[132:133]
	v_fmac_f64_e32 v[134:135], v[128:129], v[130:131]
	v_add_f64 v[80:81], v[80:81], v[134:135]
	ds_read_b128 v[134:137], v2 offset:1376
	s_waitcnt lgkmcnt(0)
	v_mul_f64 v[142:143], v[134:135], v[140:141]
	v_fmac_f64_e32 v[142:143], v[136:137], v[138:139]
	v_add_f64 v[80:81], v[80:81], v[142:143]
	ds_read_b128 v[142:145], v2 offset:1392
	s_waitcnt lgkmcnt(0)
	v_mul_f64 v[2:3], v[142:143], v[148:149]
	v_fmac_f64_e32 v[2:3], v[144:145], v[146:147]
	v_add_f64 v[80:81], v[80:81], v[2:3]
	v_mul_f64 v[2:3], v[18:19], v[22:23]
	v_fma_f64 v[2:3], v[16:17], v[20:21], -v[2:3]
	v_add_f64 v[2:3], v[2:3], 0
	v_add_f64 v[2:3], v[2:3], v[12:13]
	;; [unrolled: 1-line block ×4, first 2 shown]
	v_mul_f64 v[4:5], v[38:39], v[42:43]
	v_fma_f64 v[4:5], v[36:37], v[40:41], -v[4:5]
	v_add_f64 v[2:3], v[2:3], v[4:5]
	v_mul_f64 v[4:5], v[46:47], v[50:51]
	v_fma_f64 v[4:5], v[44:45], v[48:49], -v[4:5]
	v_add_f64 v[2:3], v[2:3], v[4:5]
	;; [unrolled: 3-line block ×14, first 2 shown]
	scratch_load_dwordx4 v[2:5], off, off offset:416
	s_waitcnt vmcnt(0)
	v_add_f64 v[2:3], v[2:3], -v[6:7]
	v_add_f64 v[4:5], v[4:5], -v[80:81]
	scratch_store_dwordx4 off, v[2:5], off offset:416
	s_and_saveexec_b64 s[0:1], vcc
	s_cbranch_execz .LBB107_229
; %bb.228:
	scratch_load_dwordx4 v[2:5], off, s36
	v_mov_b32_e32 v6, 0
	v_mov_b32_e32 v7, v6
	;; [unrolled: 1-line block ×4, first 2 shown]
	v_accvgpr_read_b32 v0, a89
	scratch_store_dwordx4 off, v[6:9], off offset:400
	s_waitcnt vmcnt(1)
	ds_write_b128 v0, v[2:5]
.LBB107_229:
	s_or_b64 exec, exec, s[0:1]
	v_mov_b32_e32 v2, 0
	s_waitcnt lgkmcnt(0)
	; wave barrier
	ds_read_b128 v[16:19], v2 offset:1104
	ds_read_b128 v[12:15], v2 offset:1120
	;; [unrolled: 1-line block ×4, first 2 shown]
	scratch_load_dwordx4 v[20:23], off, off offset:416
	scratch_load_dwordx4 v[40:43], off, off offset:480
	;; [unrolled: 1-line block ×13, first 2 shown]
	v_cmp_lt_u32_e32 vcc, 23, v240
	scratch_load_dwordx4 v[48:51], off, off offset:496
	scratch_load_dwordx4 v[56:59], off, off offset:512
	;; [unrolled: 1-line block ×3, first 2 shown]
	s_waitcnt vmcnt(15) lgkmcnt(3)
	v_mul_f64 v[24:25], v[16:17], v[22:23]
	v_fmac_f64_e32 v[24:25], v[18:19], v[20:21]
	v_add_f64 v[28:29], v[24:25], 0
	scratch_load_dwordx4 v[24:27], off, off offset:432
	v_mul_f64 v[18:19], v[18:19], v[22:23]
	v_fma_f64 v[16:17], v[16:17], v[20:21], -v[18:19]
	v_add_f64 v[16:17], v[16:17], 0
	s_waitcnt vmcnt(0) lgkmcnt(2)
	v_mul_f64 v[30:31], v[12:13], v[26:27]
	v_fmac_f64_e32 v[30:31], v[14:15], v[24:25]
	v_add_f64 v[32:33], v[28:29], v[30:31]
	scratch_load_dwordx4 v[28:31], off, off offset:448
	v_mul_f64 v[14:15], v[14:15], v[26:27]
	v_fma_f64 v[12:13], v[12:13], v[24:25], -v[14:15]
	v_add_f64 v[12:13], v[16:17], v[12:13]
	;; [unrolled: 8-line block ×3, first 2 shown]
	s_waitcnt vmcnt(0) lgkmcnt(0)
	v_mul_f64 v[38:39], v[4:5], v[34:35]
	v_fmac_f64_e32 v[38:39], v[6:7], v[32:33]
	v_add_f64 v[44:45], v[36:37], v[38:39]
	ds_read_b128 v[36:39], v2 offset:1168
	v_mul_f64 v[6:7], v[6:7], v[34:35]
	v_fma_f64 v[4:5], v[4:5], v[32:33], -v[6:7]
	v_add_f64 v[4:5], v[8:9], v[4:5]
	s_waitcnt lgkmcnt(0)
	v_mul_f64 v[46:47], v[36:37], v[42:43]
	v_fmac_f64_e32 v[46:47], v[38:39], v[40:41]
	v_add_f64 v[52:53], v[44:45], v[46:47]
	ds_read_b128 v[44:47], v2 offset:1184
	v_mul_f64 v[6:7], v[38:39], v[42:43]
	v_fma_f64 v[6:7], v[36:37], v[40:41], -v[6:7]
	v_add_f64 v[4:5], v[4:5], v[6:7]
	s_waitcnt lgkmcnt(0)
	;; [unrolled: 8-line block ×15, first 2 shown]
	v_mul_f64 v[6:7], v[152:153], v[156:157]
	v_fma_f64 v[6:7], v[150:151], v[154:155], -v[6:7]
	v_add_f64 v[8:9], v[4:5], v[6:7]
	scratch_load_dwordx4 v[4:7], off, off offset:400
	v_mul_f64 v[158:159], v[150:151], v[156:157]
	v_fmac_f64_e32 v[158:159], v[152:153], v[154:155]
	v_add_f64 v[88:89], v[88:89], v[158:159]
	s_waitcnt vmcnt(0)
	v_add_f64 v[4:5], v[4:5], -v[8:9]
	v_add_f64 v[6:7], v[6:7], -v[88:89]
	scratch_store_dwordx4 off, v[4:7], off offset:400
	s_and_saveexec_b64 s[0:1], vcc
	s_cbranch_execz .LBB107_231
; %bb.230:
	scratch_load_dwordx4 v[6:9], off, s37
	v_mov_b32_e32 v3, v2
	v_mov_b32_e32 v4, v2
	;; [unrolled: 1-line block ×3, first 2 shown]
	v_accvgpr_read_b32 v0, a89
	scratch_store_dwordx4 off, v[2:5], off offset:384
	s_waitcnt vmcnt(1)
	ds_write_b128 v0, v[6:9]
.LBB107_231:
	s_or_b64 exec, exec, s[0:1]
	s_waitcnt lgkmcnt(0)
	; wave barrier
	ds_read_b128 v[16:19], v2 offset:1088
	ds_read_b128 v[12:15], v2 offset:1104
	;; [unrolled: 1-line block ×4, first 2 shown]
	scratch_load_dwordx4 v[20:23], off, off offset:400
	scratch_load_dwordx4 v[40:43], off, off offset:464
	;; [unrolled: 1-line block ×14, first 2 shown]
	v_cmp_lt_u32_e32 vcc, 22, v240
	scratch_load_dwordx4 v[48:51], off, off offset:480
	scratch_load_dwordx4 v[56:59], off, off offset:496
	;; [unrolled: 1-line block ×3, first 2 shown]
	s_waitcnt vmcnt(16) lgkmcnt(3)
	v_mul_f64 v[24:25], v[16:17], v[22:23]
	v_fmac_f64_e32 v[24:25], v[18:19], v[20:21]
	v_add_f64 v[28:29], v[24:25], 0
	scratch_load_dwordx4 v[24:27], off, off offset:416
	s_waitcnt vmcnt(0) lgkmcnt(2)
	v_mul_f64 v[30:31], v[12:13], v[26:27]
	v_fmac_f64_e32 v[30:31], v[14:15], v[24:25]
	v_add_f64 v[32:33], v[28:29], v[30:31]
	scratch_load_dwordx4 v[28:31], off, off offset:432
	v_mul_f64 v[14:15], v[14:15], v[26:27]
	v_fma_f64 v[12:13], v[12:13], v[24:25], -v[14:15]
	s_waitcnt vmcnt(0) lgkmcnt(1)
	v_mul_f64 v[34:35], v[8:9], v[30:31]
	v_fmac_f64_e32 v[34:35], v[10:11], v[28:29]
	v_add_f64 v[36:37], v[32:33], v[34:35]
	scratch_load_dwordx4 v[32:35], off, off offset:448
	v_mul_f64 v[10:11], v[10:11], v[30:31]
	v_fma_f64 v[8:9], v[8:9], v[28:29], -v[10:11]
	s_waitcnt vmcnt(0) lgkmcnt(0)
	v_mul_f64 v[38:39], v[4:5], v[34:35]
	v_fmac_f64_e32 v[38:39], v[6:7], v[32:33]
	v_add_f64 v[44:45], v[36:37], v[38:39]
	ds_read_b128 v[36:39], v2 offset:1152
	v_mul_f64 v[6:7], v[6:7], v[34:35]
	v_fma_f64 v[4:5], v[4:5], v[32:33], -v[6:7]
	s_waitcnt lgkmcnt(0)
	v_mul_f64 v[46:47], v[36:37], v[42:43]
	v_fmac_f64_e32 v[46:47], v[38:39], v[40:41]
	v_add_f64 v[52:53], v[44:45], v[46:47]
	ds_read_b128 v[44:47], v2 offset:1168
	s_waitcnt lgkmcnt(0)
	v_mul_f64 v[54:55], v[44:45], v[50:51]
	v_fmac_f64_e32 v[54:55], v[46:47], v[48:49]
	v_add_f64 v[60:61], v[52:53], v[54:55]
	ds_read_b128 v[52:55], v2 offset:1184
	;; [unrolled: 5-line block ×15, first 2 shown]
	s_waitcnt lgkmcnt(0)
	v_mul_f64 v[2:3], v[158:159], v[164:165]
	v_fmac_f64_e32 v[2:3], v[160:161], v[162:163]
	v_add_f64 v[96:97], v[96:97], v[2:3]
	v_mul_f64 v[2:3], v[18:19], v[22:23]
	v_fma_f64 v[2:3], v[16:17], v[20:21], -v[2:3]
	v_add_f64 v[2:3], v[2:3], 0
	v_add_f64 v[2:3], v[2:3], v[12:13]
	;; [unrolled: 1-line block ×4, first 2 shown]
	v_mul_f64 v[4:5], v[38:39], v[42:43]
	v_fma_f64 v[4:5], v[36:37], v[40:41], -v[4:5]
	v_add_f64 v[2:3], v[2:3], v[4:5]
	v_mul_f64 v[4:5], v[46:47], v[50:51]
	v_fma_f64 v[4:5], v[44:45], v[48:49], -v[4:5]
	v_add_f64 v[2:3], v[2:3], v[4:5]
	;; [unrolled: 3-line block ×16, first 2 shown]
	scratch_load_dwordx4 v[2:5], off, off offset:384
	s_waitcnt vmcnt(0)
	v_add_f64 v[2:3], v[2:3], -v[6:7]
	v_add_f64 v[4:5], v[4:5], -v[96:97]
	scratch_store_dwordx4 off, v[2:5], off offset:384
	s_and_saveexec_b64 s[0:1], vcc
	s_cbranch_execz .LBB107_233
; %bb.232:
	scratch_load_dwordx4 v[2:5], off, s38
	v_mov_b32_e32 v6, 0
	v_mov_b32_e32 v7, v6
	;; [unrolled: 1-line block ×4, first 2 shown]
	v_accvgpr_read_b32 v0, a89
	scratch_store_dwordx4 off, v[6:9], off offset:368
	s_waitcnt vmcnt(1)
	ds_write_b128 v0, v[2:5]
.LBB107_233:
	s_or_b64 exec, exec, s[0:1]
	v_mov_b32_e32 v2, 0
	s_waitcnt lgkmcnt(0)
	; wave barrier
	ds_read_b128 v[16:19], v2 offset:1072
	ds_read_b128 v[12:15], v2 offset:1088
	;; [unrolled: 1-line block ×4, first 2 shown]
	scratch_load_dwordx4 v[20:23], off, off offset:384
	scratch_load_dwordx4 v[40:43], off, off offset:448
	;; [unrolled: 1-line block ×15, first 2 shown]
	v_cmp_lt_u32_e32 vcc, 21, v240
	scratch_load_dwordx4 v[48:51], off, off offset:464
	scratch_load_dwordx4 v[56:59], off, off offset:480
	;; [unrolled: 1-line block ×3, first 2 shown]
	s_waitcnt vmcnt(17) lgkmcnt(3)
	v_mul_f64 v[24:25], v[16:17], v[22:23]
	v_fmac_f64_e32 v[24:25], v[18:19], v[20:21]
	v_add_f64 v[28:29], v[24:25], 0
	scratch_load_dwordx4 v[24:27], off, off offset:400
	v_mul_f64 v[18:19], v[18:19], v[22:23]
	v_fma_f64 v[16:17], v[16:17], v[20:21], -v[18:19]
	v_add_f64 v[16:17], v[16:17], 0
	s_waitcnt vmcnt(0) lgkmcnt(2)
	v_mul_f64 v[30:31], v[12:13], v[26:27]
	v_fmac_f64_e32 v[30:31], v[14:15], v[24:25]
	v_add_f64 v[32:33], v[28:29], v[30:31]
	scratch_load_dwordx4 v[28:31], off, off offset:416
	v_mul_f64 v[14:15], v[14:15], v[26:27]
	v_fma_f64 v[12:13], v[12:13], v[24:25], -v[14:15]
	v_add_f64 v[12:13], v[16:17], v[12:13]
	s_waitcnt vmcnt(0) lgkmcnt(1)
	v_mul_f64 v[34:35], v[8:9], v[30:31]
	v_fmac_f64_e32 v[34:35], v[10:11], v[28:29]
	v_add_f64 v[36:37], v[32:33], v[34:35]
	scratch_load_dwordx4 v[32:35], off, off offset:432
	v_mul_f64 v[10:11], v[10:11], v[30:31]
	v_fma_f64 v[8:9], v[8:9], v[28:29], -v[10:11]
	v_add_f64 v[8:9], v[12:13], v[8:9]
	s_waitcnt vmcnt(0) lgkmcnt(0)
	v_mul_f64 v[38:39], v[4:5], v[34:35]
	v_fmac_f64_e32 v[38:39], v[6:7], v[32:33]
	v_add_f64 v[44:45], v[36:37], v[38:39]
	ds_read_b128 v[36:39], v2 offset:1136
	v_mul_f64 v[6:7], v[6:7], v[34:35]
	v_fma_f64 v[4:5], v[4:5], v[32:33], -v[6:7]
	v_add_f64 v[4:5], v[8:9], v[4:5]
	s_waitcnt lgkmcnt(0)
	v_mul_f64 v[46:47], v[36:37], v[42:43]
	v_fmac_f64_e32 v[46:47], v[38:39], v[40:41]
	v_add_f64 v[52:53], v[44:45], v[46:47]
	ds_read_b128 v[44:47], v2 offset:1152
	v_mul_f64 v[6:7], v[38:39], v[42:43]
	v_fma_f64 v[6:7], v[36:37], v[40:41], -v[6:7]
	v_add_f64 v[4:5], v[4:5], v[6:7]
	s_waitcnt lgkmcnt(0)
	;; [unrolled: 8-line block ×17, first 2 shown]
	v_mul_f64 v[6:7], v[168:169], v[172:173]
	v_fma_f64 v[6:7], v[166:167], v[170:171], -v[6:7]
	v_add_f64 v[8:9], v[4:5], v[6:7]
	scratch_load_dwordx4 v[4:7], off, off offset:368
	v_mul_f64 v[174:175], v[166:167], v[172:173]
	v_fmac_f64_e32 v[174:175], v[168:169], v[170:171]
	v_add_f64 v[104:105], v[104:105], v[174:175]
	s_waitcnt vmcnt(0)
	v_add_f64 v[4:5], v[4:5], -v[8:9]
	v_add_f64 v[6:7], v[6:7], -v[104:105]
	scratch_store_dwordx4 off, v[4:7], off offset:368
	s_and_saveexec_b64 s[0:1], vcc
	s_cbranch_execz .LBB107_235
; %bb.234:
	scratch_load_dwordx4 v[6:9], off, s39
	v_mov_b32_e32 v3, v2
	v_mov_b32_e32 v4, v2
	;; [unrolled: 1-line block ×3, first 2 shown]
	v_accvgpr_read_b32 v0, a89
	scratch_store_dwordx4 off, v[2:5], off offset:352
	s_waitcnt vmcnt(1)
	ds_write_b128 v0, v[6:9]
.LBB107_235:
	s_or_b64 exec, exec, s[0:1]
	s_waitcnt lgkmcnt(0)
	; wave barrier
	ds_read_b128 v[16:19], v2 offset:1056
	ds_read_b128 v[12:15], v2 offset:1072
	;; [unrolled: 1-line block ×4, first 2 shown]
	scratch_load_dwordx4 v[20:23], off, off offset:368
	scratch_load_dwordx4 v[40:43], off, off offset:432
	;; [unrolled: 1-line block ×16, first 2 shown]
	v_cmp_lt_u32_e32 vcc, 20, v240
	scratch_load_dwordx4 v[48:51], off, off offset:448
	scratch_load_dwordx4 v[56:59], off, off offset:464
	;; [unrolled: 1-line block ×3, first 2 shown]
	s_waitcnt vmcnt(18) lgkmcnt(3)
	v_mul_f64 v[24:25], v[16:17], v[22:23]
	v_fmac_f64_e32 v[24:25], v[18:19], v[20:21]
	v_add_f64 v[28:29], v[24:25], 0
	scratch_load_dwordx4 v[24:27], off, off offset:384
	s_waitcnt vmcnt(0) lgkmcnt(2)
	v_mul_f64 v[30:31], v[12:13], v[26:27]
	v_fmac_f64_e32 v[30:31], v[14:15], v[24:25]
	v_add_f64 v[32:33], v[28:29], v[30:31]
	scratch_load_dwordx4 v[28:31], off, off offset:400
	v_mul_f64 v[14:15], v[14:15], v[26:27]
	v_fma_f64 v[12:13], v[12:13], v[24:25], -v[14:15]
	s_waitcnt vmcnt(0) lgkmcnt(1)
	v_mul_f64 v[34:35], v[8:9], v[30:31]
	v_fmac_f64_e32 v[34:35], v[10:11], v[28:29]
	v_add_f64 v[36:37], v[32:33], v[34:35]
	scratch_load_dwordx4 v[32:35], off, off offset:416
	v_mul_f64 v[10:11], v[10:11], v[30:31]
	v_fma_f64 v[8:9], v[8:9], v[28:29], -v[10:11]
	s_waitcnt vmcnt(0) lgkmcnt(0)
	v_mul_f64 v[38:39], v[4:5], v[34:35]
	v_fmac_f64_e32 v[38:39], v[6:7], v[32:33]
	v_add_f64 v[44:45], v[36:37], v[38:39]
	ds_read_b128 v[36:39], v2 offset:1120
	v_mul_f64 v[6:7], v[6:7], v[34:35]
	v_fma_f64 v[4:5], v[4:5], v[32:33], -v[6:7]
	s_waitcnt lgkmcnt(0)
	v_mul_f64 v[46:47], v[36:37], v[42:43]
	v_fmac_f64_e32 v[46:47], v[38:39], v[40:41]
	v_add_f64 v[52:53], v[44:45], v[46:47]
	ds_read_b128 v[44:47], v2 offset:1136
	s_waitcnt lgkmcnt(0)
	v_mul_f64 v[54:55], v[44:45], v[50:51]
	v_fmac_f64_e32 v[54:55], v[46:47], v[48:49]
	v_add_f64 v[60:61], v[52:53], v[54:55]
	ds_read_b128 v[52:55], v2 offset:1152
	;; [unrolled: 5-line block ×17, first 2 shown]
	s_waitcnt lgkmcnt(0)
	v_mul_f64 v[2:3], v[174:175], v[180:181]
	v_fmac_f64_e32 v[2:3], v[176:177], v[178:179]
	v_add_f64 v[120:121], v[120:121], v[2:3]
	v_mul_f64 v[2:3], v[18:19], v[22:23]
	v_fma_f64 v[2:3], v[16:17], v[20:21], -v[2:3]
	v_add_f64 v[2:3], v[2:3], 0
	v_add_f64 v[2:3], v[2:3], v[12:13]
	;; [unrolled: 1-line block ×4, first 2 shown]
	v_mul_f64 v[4:5], v[38:39], v[42:43]
	v_fma_f64 v[4:5], v[36:37], v[40:41], -v[4:5]
	v_add_f64 v[2:3], v[2:3], v[4:5]
	v_mul_f64 v[4:5], v[46:47], v[50:51]
	v_fma_f64 v[4:5], v[44:45], v[48:49], -v[4:5]
	v_add_f64 v[2:3], v[2:3], v[4:5]
	;; [unrolled: 3-line block ×18, first 2 shown]
	scratch_load_dwordx4 v[2:5], off, off offset:352
	s_waitcnt vmcnt(0)
	v_add_f64 v[2:3], v[2:3], -v[6:7]
	v_add_f64 v[4:5], v[4:5], -v[120:121]
	scratch_store_dwordx4 off, v[2:5], off offset:352
	s_and_saveexec_b64 s[0:1], vcc
	s_cbranch_execz .LBB107_237
; %bb.236:
	scratch_load_dwordx4 v[2:5], off, s40
	v_mov_b32_e32 v6, 0
	v_mov_b32_e32 v7, v6
	v_mov_b32_e32 v8, v6
	v_mov_b32_e32 v9, v6
	v_accvgpr_read_b32 v0, a89
	scratch_store_dwordx4 off, v[6:9], off offset:336
	s_waitcnt vmcnt(1)
	ds_write_b128 v0, v[2:5]
.LBB107_237:
	s_or_b64 exec, exec, s[0:1]
	v_mov_b32_e32 v2, 0
	s_waitcnt lgkmcnt(0)
	; wave barrier
	ds_read_b128 v[16:19], v2 offset:1040
	ds_read_b128 v[12:15], v2 offset:1056
	;; [unrolled: 1-line block ×4, first 2 shown]
	scratch_load_dwordx4 v[20:23], off, off offset:352
	scratch_load_dwordx4 v[40:43], off, off offset:416
	;; [unrolled: 1-line block ×17, first 2 shown]
	v_cmp_lt_u32_e32 vcc, 19, v240
	scratch_load_dwordx4 v[48:51], off, off offset:432
	scratch_load_dwordx4 v[56:59], off, off offset:448
	;; [unrolled: 1-line block ×3, first 2 shown]
	s_waitcnt vmcnt(19) lgkmcnt(3)
	v_mul_f64 v[24:25], v[16:17], v[22:23]
	v_fmac_f64_e32 v[24:25], v[18:19], v[20:21]
	v_add_f64 v[28:29], v[24:25], 0
	scratch_load_dwordx4 v[24:27], off, off offset:368
	v_mul_f64 v[18:19], v[18:19], v[22:23]
	v_fma_f64 v[16:17], v[16:17], v[20:21], -v[18:19]
	v_add_f64 v[16:17], v[16:17], 0
	s_waitcnt vmcnt(0) lgkmcnt(2)
	v_mul_f64 v[30:31], v[12:13], v[26:27]
	v_fmac_f64_e32 v[30:31], v[14:15], v[24:25]
	v_add_f64 v[32:33], v[28:29], v[30:31]
	scratch_load_dwordx4 v[28:31], off, off offset:384
	v_mul_f64 v[14:15], v[14:15], v[26:27]
	v_fma_f64 v[12:13], v[12:13], v[24:25], -v[14:15]
	v_add_f64 v[12:13], v[16:17], v[12:13]
	;; [unrolled: 8-line block ×3, first 2 shown]
	s_waitcnt vmcnt(0) lgkmcnt(0)
	v_mul_f64 v[38:39], v[4:5], v[34:35]
	v_fmac_f64_e32 v[38:39], v[6:7], v[32:33]
	v_add_f64 v[44:45], v[36:37], v[38:39]
	ds_read_b128 v[36:39], v2 offset:1104
	v_mul_f64 v[6:7], v[6:7], v[34:35]
	v_fma_f64 v[4:5], v[4:5], v[32:33], -v[6:7]
	v_add_f64 v[4:5], v[8:9], v[4:5]
	s_waitcnt lgkmcnt(0)
	v_mul_f64 v[46:47], v[36:37], v[42:43]
	v_fmac_f64_e32 v[46:47], v[38:39], v[40:41]
	v_add_f64 v[52:53], v[44:45], v[46:47]
	ds_read_b128 v[44:47], v2 offset:1120
	v_mul_f64 v[6:7], v[38:39], v[42:43]
	v_fma_f64 v[6:7], v[36:37], v[40:41], -v[6:7]
	v_add_f64 v[4:5], v[4:5], v[6:7]
	s_waitcnt lgkmcnt(0)
	;; [unrolled: 8-line block ×19, first 2 shown]
	v_mul_f64 v[6:7], v[184:185], v[188:189]
	v_fma_f64 v[6:7], v[182:183], v[186:187], -v[6:7]
	v_add_f64 v[8:9], v[4:5], v[6:7]
	scratch_load_dwordx4 v[4:7], off, off offset:336
	v_mul_f64 v[190:191], v[182:183], v[188:189]
	v_fmac_f64_e32 v[190:191], v[184:185], v[186:187]
	v_add_f64 v[128:129], v[128:129], v[190:191]
	s_waitcnt vmcnt(0)
	v_add_f64 v[4:5], v[4:5], -v[8:9]
	v_add_f64 v[6:7], v[6:7], -v[128:129]
	scratch_store_dwordx4 off, v[4:7], off offset:336
	s_and_saveexec_b64 s[0:1], vcc
	s_cbranch_execz .LBB107_239
; %bb.238:
	scratch_load_dwordx4 v[6:9], off, s41
	v_mov_b32_e32 v3, v2
	v_mov_b32_e32 v4, v2
	;; [unrolled: 1-line block ×3, first 2 shown]
	v_accvgpr_read_b32 v0, a89
	scratch_store_dwordx4 off, v[2:5], off offset:320
	s_waitcnt vmcnt(1)
	ds_write_b128 v0, v[6:9]
.LBB107_239:
	s_or_b64 exec, exec, s[0:1]
	s_waitcnt lgkmcnt(0)
	; wave barrier
	ds_read_b128 v[16:19], v2 offset:1024
	ds_read_b128 v[12:15], v2 offset:1040
	;; [unrolled: 1-line block ×4, first 2 shown]
	scratch_load_dwordx4 v[20:23], off, off offset:336
	scratch_load_dwordx4 v[40:43], off, off offset:400
	;; [unrolled: 1-line block ×18, first 2 shown]
	v_cmp_lt_u32_e32 vcc, 18, v240
	scratch_load_dwordx4 v[48:51], off, off offset:416
	scratch_load_dwordx4 v[56:59], off, off offset:432
	;; [unrolled: 1-line block ×3, first 2 shown]
	s_waitcnt vmcnt(20) lgkmcnt(3)
	v_mul_f64 v[24:25], v[16:17], v[22:23]
	v_fmac_f64_e32 v[24:25], v[18:19], v[20:21]
	v_add_f64 v[28:29], v[24:25], 0
	scratch_load_dwordx4 v[24:27], off, off offset:352
	s_waitcnt vmcnt(0) lgkmcnt(2)
	v_mul_f64 v[30:31], v[12:13], v[26:27]
	v_fmac_f64_e32 v[30:31], v[14:15], v[24:25]
	v_add_f64 v[32:33], v[28:29], v[30:31]
	scratch_load_dwordx4 v[28:31], off, off offset:368
	v_mul_f64 v[14:15], v[14:15], v[26:27]
	v_fma_f64 v[12:13], v[12:13], v[24:25], -v[14:15]
	s_waitcnt vmcnt(0) lgkmcnt(1)
	v_mul_f64 v[34:35], v[8:9], v[30:31]
	v_fmac_f64_e32 v[34:35], v[10:11], v[28:29]
	v_add_f64 v[36:37], v[32:33], v[34:35]
	scratch_load_dwordx4 v[32:35], off, off offset:384
	v_mul_f64 v[10:11], v[10:11], v[30:31]
	v_fma_f64 v[8:9], v[8:9], v[28:29], -v[10:11]
	s_waitcnt vmcnt(0) lgkmcnt(0)
	v_mul_f64 v[38:39], v[4:5], v[34:35]
	v_fmac_f64_e32 v[38:39], v[6:7], v[32:33]
	v_add_f64 v[44:45], v[36:37], v[38:39]
	ds_read_b128 v[36:39], v2 offset:1088
	v_mul_f64 v[6:7], v[6:7], v[34:35]
	v_fma_f64 v[4:5], v[4:5], v[32:33], -v[6:7]
	s_waitcnt lgkmcnt(0)
	v_mul_f64 v[46:47], v[36:37], v[42:43]
	v_fmac_f64_e32 v[46:47], v[38:39], v[40:41]
	v_add_f64 v[52:53], v[44:45], v[46:47]
	ds_read_b128 v[44:47], v2 offset:1104
	s_waitcnt lgkmcnt(0)
	v_mul_f64 v[54:55], v[44:45], v[50:51]
	v_fmac_f64_e32 v[54:55], v[46:47], v[48:49]
	v_add_f64 v[60:61], v[52:53], v[54:55]
	ds_read_b128 v[52:55], v2 offset:1120
	;; [unrolled: 5-line block ×19, first 2 shown]
	s_waitcnt lgkmcnt(0)
	v_mul_f64 v[2:3], v[190:191], v[196:197]
	v_fmac_f64_e32 v[2:3], v[192:193], v[194:195]
	v_add_f64 v[148:149], v[148:149], v[2:3]
	v_mul_f64 v[2:3], v[18:19], v[22:23]
	v_fma_f64 v[2:3], v[16:17], v[20:21], -v[2:3]
	v_add_f64 v[2:3], v[2:3], 0
	v_add_f64 v[2:3], v[2:3], v[12:13]
	;; [unrolled: 1-line block ×4, first 2 shown]
	v_mul_f64 v[4:5], v[38:39], v[42:43]
	v_fma_f64 v[4:5], v[36:37], v[40:41], -v[4:5]
	v_add_f64 v[2:3], v[2:3], v[4:5]
	v_mul_f64 v[4:5], v[46:47], v[50:51]
	v_fma_f64 v[4:5], v[44:45], v[48:49], -v[4:5]
	v_add_f64 v[2:3], v[2:3], v[4:5]
	;; [unrolled: 3-line block ×20, first 2 shown]
	scratch_load_dwordx4 v[2:5], off, off offset:320
	s_waitcnt vmcnt(0)
	v_add_f64 v[2:3], v[2:3], -v[6:7]
	v_add_f64 v[4:5], v[4:5], -v[148:149]
	scratch_store_dwordx4 off, v[2:5], off offset:320
	s_and_saveexec_b64 s[0:1], vcc
	s_cbranch_execz .LBB107_241
; %bb.240:
	scratch_load_dwordx4 v[2:5], off, s42
	v_mov_b32_e32 v6, 0
	v_mov_b32_e32 v7, v6
	;; [unrolled: 1-line block ×4, first 2 shown]
	v_accvgpr_read_b32 v0, a89
	scratch_store_dwordx4 off, v[6:9], off offset:304
	s_waitcnt vmcnt(1)
	ds_write_b128 v0, v[2:5]
.LBB107_241:
	s_or_b64 exec, exec, s[0:1]
	v_mov_b32_e32 v2, 0
	s_waitcnt lgkmcnt(0)
	; wave barrier
	ds_read_b128 v[16:19], v2 offset:1008
	ds_read_b128 v[12:15], v2 offset:1024
	;; [unrolled: 1-line block ×4, first 2 shown]
	scratch_load_dwordx4 v[20:23], off, off offset:320
	scratch_load_dwordx4 v[40:43], off, off offset:384
	;; [unrolled: 1-line block ×19, first 2 shown]
	v_cmp_lt_u32_e32 vcc, 17, v240
	scratch_load_dwordx4 v[48:51], off, off offset:400
	scratch_load_dwordx4 v[56:59], off, off offset:416
	;; [unrolled: 1-line block ×3, first 2 shown]
	s_waitcnt vmcnt(21) lgkmcnt(3)
	v_mul_f64 v[24:25], v[16:17], v[22:23]
	v_fmac_f64_e32 v[24:25], v[18:19], v[20:21]
	v_add_f64 v[28:29], v[24:25], 0
	scratch_load_dwordx4 v[24:27], off, off offset:336
	v_mul_f64 v[18:19], v[18:19], v[22:23]
	v_fma_f64 v[16:17], v[16:17], v[20:21], -v[18:19]
	v_add_f64 v[16:17], v[16:17], 0
	s_waitcnt vmcnt(0) lgkmcnt(2)
	v_mul_f64 v[30:31], v[12:13], v[26:27]
	v_fmac_f64_e32 v[30:31], v[14:15], v[24:25]
	v_add_f64 v[32:33], v[28:29], v[30:31]
	scratch_load_dwordx4 v[28:31], off, off offset:352
	v_mul_f64 v[14:15], v[14:15], v[26:27]
	v_fma_f64 v[12:13], v[12:13], v[24:25], -v[14:15]
	v_add_f64 v[12:13], v[16:17], v[12:13]
	s_waitcnt vmcnt(0) lgkmcnt(1)
	v_mul_f64 v[34:35], v[8:9], v[30:31]
	v_fmac_f64_e32 v[34:35], v[10:11], v[28:29]
	v_add_f64 v[36:37], v[32:33], v[34:35]
	scratch_load_dwordx4 v[32:35], off, off offset:368
	v_mul_f64 v[10:11], v[10:11], v[30:31]
	v_fma_f64 v[8:9], v[8:9], v[28:29], -v[10:11]
	v_add_f64 v[8:9], v[12:13], v[8:9]
	s_waitcnt vmcnt(0) lgkmcnt(0)
	v_mul_f64 v[38:39], v[4:5], v[34:35]
	v_fmac_f64_e32 v[38:39], v[6:7], v[32:33]
	v_add_f64 v[44:45], v[36:37], v[38:39]
	ds_read_b128 v[36:39], v2 offset:1072
	v_mul_f64 v[6:7], v[6:7], v[34:35]
	v_fma_f64 v[4:5], v[4:5], v[32:33], -v[6:7]
	v_add_f64 v[4:5], v[8:9], v[4:5]
	s_waitcnt lgkmcnt(0)
	v_mul_f64 v[46:47], v[36:37], v[42:43]
	v_fmac_f64_e32 v[46:47], v[38:39], v[40:41]
	v_add_f64 v[52:53], v[44:45], v[46:47]
	ds_read_b128 v[44:47], v2 offset:1088
	v_mul_f64 v[6:7], v[38:39], v[42:43]
	v_fma_f64 v[6:7], v[36:37], v[40:41], -v[6:7]
	v_add_f64 v[4:5], v[4:5], v[6:7]
	s_waitcnt lgkmcnt(0)
	;; [unrolled: 8-line block ×21, first 2 shown]
	v_mul_f64 v[6:7], v[200:201], v[204:205]
	v_fma_f64 v[6:7], v[198:199], v[202:203], -v[6:7]
	v_add_f64 v[8:9], v[4:5], v[6:7]
	scratch_load_dwordx4 v[4:7], off, off offset:304
	v_mul_f64 v[206:207], v[198:199], v[204:205]
	v_fmac_f64_e32 v[206:207], v[200:201], v[202:203]
	v_add_f64 v[144:145], v[144:145], v[206:207]
	s_waitcnt vmcnt(0)
	v_add_f64 v[4:5], v[4:5], -v[8:9]
	v_add_f64 v[6:7], v[6:7], -v[144:145]
	scratch_store_dwordx4 off, v[4:7], off offset:304
	s_and_saveexec_b64 s[0:1], vcc
	s_cbranch_execz .LBB107_243
; %bb.242:
	scratch_load_dwordx4 v[6:9], off, s43
	v_mov_b32_e32 v3, v2
	v_mov_b32_e32 v4, v2
	;; [unrolled: 1-line block ×3, first 2 shown]
	v_accvgpr_read_b32 v0, a89
	scratch_store_dwordx4 off, v[2:5], off offset:288
	s_waitcnt vmcnt(1)
	ds_write_b128 v0, v[6:9]
.LBB107_243:
	s_or_b64 exec, exec, s[0:1]
	s_waitcnt lgkmcnt(0)
	; wave barrier
	ds_read_b128 v[16:19], v2 offset:992
	ds_read_b128 v[12:15], v2 offset:1008
	;; [unrolled: 1-line block ×4, first 2 shown]
	scratch_load_dwordx4 v[20:23], off, off offset:304
	scratch_load_dwordx4 v[40:43], off, off offset:368
	;; [unrolled: 1-line block ×20, first 2 shown]
	v_cmp_lt_u32_e32 vcc, 16, v240
	scratch_load_dwordx4 v[48:51], off, off offset:384
	scratch_load_dwordx4 v[56:59], off, off offset:400
	;; [unrolled: 1-line block ×3, first 2 shown]
	s_waitcnt vmcnt(22) lgkmcnt(3)
	v_mul_f64 v[24:25], v[16:17], v[22:23]
	v_fmac_f64_e32 v[24:25], v[18:19], v[20:21]
	v_add_f64 v[28:29], v[24:25], 0
	scratch_load_dwordx4 v[24:27], off, off offset:320
	s_waitcnt vmcnt(0) lgkmcnt(2)
	v_mul_f64 v[30:31], v[12:13], v[26:27]
	v_fmac_f64_e32 v[30:31], v[14:15], v[24:25]
	v_add_f64 v[32:33], v[28:29], v[30:31]
	scratch_load_dwordx4 v[28:31], off, off offset:336
	v_mul_f64 v[14:15], v[14:15], v[26:27]
	v_fma_f64 v[12:13], v[12:13], v[24:25], -v[14:15]
	s_waitcnt vmcnt(0) lgkmcnt(1)
	v_mul_f64 v[34:35], v[8:9], v[30:31]
	v_fmac_f64_e32 v[34:35], v[10:11], v[28:29]
	v_add_f64 v[36:37], v[32:33], v[34:35]
	scratch_load_dwordx4 v[32:35], off, off offset:352
	v_mul_f64 v[10:11], v[10:11], v[30:31]
	v_fma_f64 v[8:9], v[8:9], v[28:29], -v[10:11]
	s_waitcnt vmcnt(0) lgkmcnt(0)
	v_mul_f64 v[38:39], v[4:5], v[34:35]
	v_fmac_f64_e32 v[38:39], v[6:7], v[32:33]
	v_add_f64 v[44:45], v[36:37], v[38:39]
	ds_read_b128 v[36:39], v2 offset:1056
	v_mul_f64 v[6:7], v[6:7], v[34:35]
	v_fma_f64 v[4:5], v[4:5], v[32:33], -v[6:7]
	s_waitcnt lgkmcnt(0)
	v_mul_f64 v[46:47], v[36:37], v[42:43]
	v_fmac_f64_e32 v[46:47], v[38:39], v[40:41]
	v_add_f64 v[52:53], v[44:45], v[46:47]
	ds_read_b128 v[44:47], v2 offset:1072
	s_waitcnt lgkmcnt(0)
	v_mul_f64 v[54:55], v[44:45], v[50:51]
	v_fmac_f64_e32 v[54:55], v[46:47], v[48:49]
	v_add_f64 v[60:61], v[52:53], v[54:55]
	ds_read_b128 v[52:55], v2 offset:1088
	;; [unrolled: 5-line block ×21, first 2 shown]
	s_waitcnt lgkmcnt(0)
	v_mul_f64 v[2:3], v[206:207], v[212:213]
	v_fmac_f64_e32 v[2:3], v[208:209], v[210:211]
	v_add_f64 v[168:169], v[168:169], v[2:3]
	v_mul_f64 v[2:3], v[18:19], v[22:23]
	v_fma_f64 v[2:3], v[16:17], v[20:21], -v[2:3]
	v_add_f64 v[2:3], v[2:3], 0
	v_add_f64 v[2:3], v[2:3], v[12:13]
	;; [unrolled: 1-line block ×4, first 2 shown]
	v_mul_f64 v[4:5], v[38:39], v[42:43]
	v_fma_f64 v[4:5], v[36:37], v[40:41], -v[4:5]
	v_add_f64 v[2:3], v[2:3], v[4:5]
	v_mul_f64 v[4:5], v[46:47], v[50:51]
	v_fma_f64 v[4:5], v[44:45], v[48:49], -v[4:5]
	v_add_f64 v[2:3], v[2:3], v[4:5]
	;; [unrolled: 3-line block ×22, first 2 shown]
	scratch_load_dwordx4 v[2:5], off, off offset:288
	s_waitcnt vmcnt(0)
	v_add_f64 v[2:3], v[2:3], -v[6:7]
	v_add_f64 v[4:5], v[4:5], -v[168:169]
	scratch_store_dwordx4 off, v[2:5], off offset:288
	s_and_saveexec_b64 s[0:1], vcc
	s_cbranch_execz .LBB107_245
; %bb.244:
	scratch_load_dwordx4 v[2:5], off, s44
	v_mov_b32_e32 v6, 0
	v_mov_b32_e32 v7, v6
	;; [unrolled: 1-line block ×4, first 2 shown]
	v_accvgpr_read_b32 v0, a89
	scratch_store_dwordx4 off, v[6:9], off offset:272
	s_waitcnt vmcnt(1)
	ds_write_b128 v0, v[2:5]
.LBB107_245:
	s_or_b64 exec, exec, s[0:1]
	v_mov_b32_e32 v2, 0
	s_waitcnt lgkmcnt(0)
	; wave barrier
	ds_read_b128 v[16:19], v2 offset:976
	ds_read_b128 v[12:15], v2 offset:992
	;; [unrolled: 1-line block ×4, first 2 shown]
	scratch_load_dwordx4 v[20:23], off, off offset:288
	scratch_load_dwordx4 v[40:43], off, off offset:352
	;; [unrolled: 1-line block ×21, first 2 shown]
	v_cmp_lt_u32_e32 vcc, 15, v240
	scratch_load_dwordx4 v[48:51], off, off offset:368
	scratch_load_dwordx4 v[56:59], off, off offset:384
	;; [unrolled: 1-line block ×3, first 2 shown]
	s_waitcnt vmcnt(23) lgkmcnt(3)
	v_mul_f64 v[24:25], v[16:17], v[22:23]
	v_fmac_f64_e32 v[24:25], v[18:19], v[20:21]
	v_add_f64 v[28:29], v[24:25], 0
	scratch_load_dwordx4 v[24:27], off, off offset:304
	v_mul_f64 v[18:19], v[18:19], v[22:23]
	v_fma_f64 v[16:17], v[16:17], v[20:21], -v[18:19]
	v_add_f64 v[16:17], v[16:17], 0
	s_waitcnt vmcnt(0) lgkmcnt(2)
	v_mul_f64 v[30:31], v[12:13], v[26:27]
	v_fmac_f64_e32 v[30:31], v[14:15], v[24:25]
	v_add_f64 v[32:33], v[28:29], v[30:31]
	scratch_load_dwordx4 v[28:31], off, off offset:320
	v_mul_f64 v[14:15], v[14:15], v[26:27]
	v_fma_f64 v[12:13], v[12:13], v[24:25], -v[14:15]
	v_add_f64 v[12:13], v[16:17], v[12:13]
	;; [unrolled: 8-line block ×3, first 2 shown]
	s_waitcnt vmcnt(0) lgkmcnt(0)
	v_mul_f64 v[38:39], v[4:5], v[34:35]
	v_fmac_f64_e32 v[38:39], v[6:7], v[32:33]
	v_add_f64 v[44:45], v[36:37], v[38:39]
	ds_read_b128 v[36:39], v2 offset:1040
	v_mul_f64 v[6:7], v[6:7], v[34:35]
	v_fma_f64 v[4:5], v[4:5], v[32:33], -v[6:7]
	v_add_f64 v[4:5], v[8:9], v[4:5]
	s_waitcnt lgkmcnt(0)
	v_mul_f64 v[46:47], v[36:37], v[42:43]
	v_fmac_f64_e32 v[46:47], v[38:39], v[40:41]
	v_add_f64 v[52:53], v[44:45], v[46:47]
	ds_read_b128 v[44:47], v2 offset:1056
	v_mul_f64 v[6:7], v[38:39], v[42:43]
	v_fma_f64 v[6:7], v[36:37], v[40:41], -v[6:7]
	v_add_f64 v[4:5], v[4:5], v[6:7]
	s_waitcnt lgkmcnt(0)
	;; [unrolled: 8-line block ×23, first 2 shown]
	v_mul_f64 v[6:7], v[216:217], v[220:221]
	v_fma_f64 v[6:7], v[214:215], v[218:219], -v[6:7]
	v_add_f64 v[8:9], v[4:5], v[6:7]
	scratch_load_dwordx4 v[4:7], off, off offset:272
	v_mul_f64 v[222:223], v[214:215], v[220:221]
	v_fmac_f64_e32 v[222:223], v[216:217], v[218:219]
	v_add_f64 v[160:161], v[160:161], v[222:223]
	s_waitcnt vmcnt(0)
	v_add_f64 v[4:5], v[4:5], -v[8:9]
	v_add_f64 v[6:7], v[6:7], -v[160:161]
	scratch_store_dwordx4 off, v[4:7], off offset:272
	s_and_saveexec_b64 s[0:1], vcc
	s_cbranch_execz .LBB107_247
; %bb.246:
	scratch_load_dwordx4 v[6:9], off, s45
	v_mov_b32_e32 v3, v2
	v_mov_b32_e32 v4, v2
	;; [unrolled: 1-line block ×3, first 2 shown]
	v_accvgpr_read_b32 v0, a89
	scratch_store_dwordx4 off, v[2:5], off offset:256
	s_waitcnt vmcnt(1)
	ds_write_b128 v0, v[6:9]
.LBB107_247:
	s_or_b64 exec, exec, s[0:1]
	s_waitcnt lgkmcnt(0)
	; wave barrier
	ds_read_b128 v[16:19], v2 offset:960
	ds_read_b128 v[12:15], v2 offset:976
	;; [unrolled: 1-line block ×4, first 2 shown]
	scratch_load_dwordx4 v[20:23], off, off offset:272
	scratch_load_dwordx4 v[40:43], off, off offset:336
	;; [unrolled: 1-line block ×22, first 2 shown]
	v_cmp_lt_u32_e32 vcc, 14, v240
	scratch_load_dwordx4 v[48:51], off, off offset:352
	scratch_load_dwordx4 v[56:59], off, off offset:368
	;; [unrolled: 1-line block ×3, first 2 shown]
	s_waitcnt vmcnt(24) lgkmcnt(3)
	v_mul_f64 v[24:25], v[16:17], v[22:23]
	v_fmac_f64_e32 v[24:25], v[18:19], v[20:21]
	v_add_f64 v[28:29], v[24:25], 0
	scratch_load_dwordx4 v[24:27], off, off offset:288
	s_waitcnt vmcnt(0) lgkmcnt(2)
	v_mul_f64 v[30:31], v[12:13], v[26:27]
	v_fmac_f64_e32 v[30:31], v[14:15], v[24:25]
	v_add_f64 v[32:33], v[28:29], v[30:31]
	scratch_load_dwordx4 v[28:31], off, off offset:304
	v_mul_f64 v[14:15], v[14:15], v[26:27]
	v_fma_f64 v[12:13], v[12:13], v[24:25], -v[14:15]
	s_waitcnt vmcnt(0) lgkmcnt(1)
	v_mul_f64 v[34:35], v[8:9], v[30:31]
	v_fmac_f64_e32 v[34:35], v[10:11], v[28:29]
	v_add_f64 v[36:37], v[32:33], v[34:35]
	scratch_load_dwordx4 v[32:35], off, off offset:320
	v_mul_f64 v[10:11], v[10:11], v[30:31]
	v_fma_f64 v[8:9], v[8:9], v[28:29], -v[10:11]
	s_waitcnt vmcnt(0) lgkmcnt(0)
	v_mul_f64 v[38:39], v[4:5], v[34:35]
	v_fmac_f64_e32 v[38:39], v[6:7], v[32:33]
	v_add_f64 v[44:45], v[36:37], v[38:39]
	ds_read_b128 v[36:39], v2 offset:1024
	v_mul_f64 v[6:7], v[6:7], v[34:35]
	v_fma_f64 v[4:5], v[4:5], v[32:33], -v[6:7]
	s_waitcnt lgkmcnt(0)
	v_mul_f64 v[46:47], v[36:37], v[42:43]
	v_fmac_f64_e32 v[46:47], v[38:39], v[40:41]
	v_add_f64 v[52:53], v[44:45], v[46:47]
	ds_read_b128 v[44:47], v2 offset:1040
	s_waitcnt lgkmcnt(0)
	v_mul_f64 v[54:55], v[44:45], v[50:51]
	v_fmac_f64_e32 v[54:55], v[46:47], v[48:49]
	v_add_f64 v[60:61], v[52:53], v[54:55]
	ds_read_b128 v[52:55], v2 offset:1056
	;; [unrolled: 5-line block ×23, first 2 shown]
	s_waitcnt lgkmcnt(0)
	v_mul_f64 v[2:3], v[222:223], v[228:229]
	v_fmac_f64_e32 v[2:3], v[224:225], v[226:227]
	v_add_f64 v[176:177], v[176:177], v[2:3]
	v_mul_f64 v[2:3], v[18:19], v[22:23]
	v_fma_f64 v[2:3], v[16:17], v[20:21], -v[2:3]
	v_add_f64 v[2:3], v[2:3], 0
	v_add_f64 v[2:3], v[2:3], v[12:13]
	v_add_f64 v[2:3], v[2:3], v[8:9]
	v_add_f64 v[2:3], v[2:3], v[4:5]
	v_mul_f64 v[4:5], v[38:39], v[42:43]
	v_fma_f64 v[4:5], v[36:37], v[40:41], -v[4:5]
	v_add_f64 v[2:3], v[2:3], v[4:5]
	v_mul_f64 v[4:5], v[46:47], v[50:51]
	v_fma_f64 v[4:5], v[44:45], v[48:49], -v[4:5]
	v_add_f64 v[2:3], v[2:3], v[4:5]
	;; [unrolled: 3-line block ×24, first 2 shown]
	scratch_load_dwordx4 v[2:5], off, off offset:256
	s_waitcnt vmcnt(0)
	v_add_f64 v[2:3], v[2:3], -v[6:7]
	v_add_f64 v[4:5], v[4:5], -v[176:177]
	scratch_store_dwordx4 off, v[2:5], off offset:256
	s_and_saveexec_b64 s[0:1], vcc
	s_cbranch_execz .LBB107_249
; %bb.248:
	scratch_load_dwordx4 v[2:5], off, s46
	v_mov_b32_e32 v6, 0
	v_mov_b32_e32 v7, v6
	;; [unrolled: 1-line block ×4, first 2 shown]
	v_accvgpr_read_b32 v0, a89
	scratch_store_dwordx4 off, v[6:9], off offset:240
	s_waitcnt vmcnt(1)
	ds_write_b128 v0, v[2:5]
.LBB107_249:
	s_or_b64 exec, exec, s[0:1]
	v_mov_b32_e32 v2, 0
	s_waitcnt lgkmcnt(0)
	; wave barrier
	ds_read_b128 v[16:19], v2 offset:944
	ds_read_b128 v[12:15], v2 offset:960
	;; [unrolled: 1-line block ×4, first 2 shown]
	scratch_load_dwordx4 v[20:23], off, off offset:256
	scratch_load_dwordx4 v[40:43], off, off offset:320
	scratch_load_dwordx4 v[72:75], off, off offset:384
	scratch_load_dwordx4 v[80:83], off, off offset:400
	scratch_load_dwordx4 v[88:91], off, off offset:416
	scratch_load_dwordx4 v[96:99], off, off offset:432
	scratch_load_dwordx4 v[104:107], off, off offset:448
	scratch_load_dwordx4 v[112:115], off, off offset:464
	scratch_load_dwordx4 v[120:123], off, off offset:480
	scratch_load_dwordx4 v[128:131], off, off offset:496
	scratch_load_dwordx4 v[136:139], off, off offset:512
	scratch_load_dwordx4 v[144:147], off, off offset:528
	scratch_load_dwordx4 v[152:155], off, off offset:544
	scratch_load_dwordx4 v[160:163], off, off offset:560
	scratch_load_dwordx4 v[168:171], off, off offset:576
	scratch_load_dwordx4 v[178:181], off, off offset:592
	scratch_load_dwordx4 v[186:189], off, off offset:608
	scratch_load_dwordx4 v[194:197], off, off offset:624
	scratch_load_dwordx4 v[202:205], off, off offset:640
	scratch_load_dwordx4 v[210:213], off, off offset:656
	scratch_load_dwordx4 v[218:221], off, off offset:672
	scratch_load_dwordx4 v[226:229], off, off offset:688
	scratch_load_dwordx4 v[234:237], off, off offset:704
	v_cmp_lt_u32_e32 vcc, 13, v240
	scratch_load_dwordx4 v[48:51], off, off offset:336
	scratch_load_dwordx4 v[56:59], off, off offset:352
	;; [unrolled: 1-line block ×3, first 2 shown]
	s_waitcnt vmcnt(25) lgkmcnt(3)
	v_mul_f64 v[24:25], v[16:17], v[22:23]
	v_fmac_f64_e32 v[24:25], v[18:19], v[20:21]
	v_add_f64 v[28:29], v[24:25], 0
	scratch_load_dwordx4 v[24:27], off, off offset:272
	v_mul_f64 v[18:19], v[18:19], v[22:23]
	v_fma_f64 v[16:17], v[16:17], v[20:21], -v[18:19]
	v_add_f64 v[16:17], v[16:17], 0
	s_waitcnt vmcnt(0) lgkmcnt(2)
	v_mul_f64 v[30:31], v[12:13], v[26:27]
	v_fmac_f64_e32 v[30:31], v[14:15], v[24:25]
	v_add_f64 v[32:33], v[28:29], v[30:31]
	scratch_load_dwordx4 v[28:31], off, off offset:288
	v_mul_f64 v[14:15], v[14:15], v[26:27]
	v_fma_f64 v[12:13], v[12:13], v[24:25], -v[14:15]
	v_add_f64 v[12:13], v[16:17], v[12:13]
	;; [unrolled: 8-line block ×3, first 2 shown]
	s_waitcnt vmcnt(0) lgkmcnt(0)
	v_mul_f64 v[38:39], v[4:5], v[34:35]
	v_fmac_f64_e32 v[38:39], v[6:7], v[32:33]
	v_add_f64 v[44:45], v[36:37], v[38:39]
	ds_read_b128 v[36:39], v2 offset:1008
	v_mul_f64 v[6:7], v[6:7], v[34:35]
	v_fma_f64 v[4:5], v[4:5], v[32:33], -v[6:7]
	v_add_f64 v[4:5], v[8:9], v[4:5]
	s_waitcnt lgkmcnt(0)
	v_mul_f64 v[46:47], v[36:37], v[42:43]
	v_fmac_f64_e32 v[46:47], v[38:39], v[40:41]
	v_add_f64 v[52:53], v[44:45], v[46:47]
	ds_read_b128 v[44:47], v2 offset:1024
	v_mul_f64 v[6:7], v[38:39], v[42:43]
	v_fma_f64 v[6:7], v[36:37], v[40:41], -v[6:7]
	v_add_f64 v[4:5], v[4:5], v[6:7]
	s_waitcnt lgkmcnt(0)
	v_mul_f64 v[54:55], v[44:45], v[50:51]
	v_fmac_f64_e32 v[54:55], v[46:47], v[48:49]
	v_add_f64 v[60:61], v[52:53], v[54:55]
	ds_read_b128 v[52:55], v2 offset:1040
	v_mul_f64 v[6:7], v[46:47], v[50:51]
	v_fma_f64 v[6:7], v[44:45], v[48:49], -v[6:7]
	v_add_f64 v[4:5], v[4:5], v[6:7]
	s_waitcnt lgkmcnt(0)
	v_mul_f64 v[62:63], v[52:53], v[58:59]
	v_fmac_f64_e32 v[62:63], v[54:55], v[56:57]
	v_add_f64 v[68:69], v[60:61], v[62:63]
	ds_read_b128 v[60:63], v2 offset:1056
	v_mul_f64 v[6:7], v[54:55], v[58:59]
	v_fma_f64 v[6:7], v[52:53], v[56:57], -v[6:7]
	v_add_f64 v[4:5], v[4:5], v[6:7]
	s_waitcnt lgkmcnt(0)
	v_mul_f64 v[70:71], v[60:61], v[66:67]
	v_fmac_f64_e32 v[70:71], v[62:63], v[64:65]
	v_add_f64 v[76:77], v[68:69], v[70:71]
	ds_read_b128 v[68:71], v2 offset:1072
	v_mul_f64 v[6:7], v[62:63], v[66:67]
	v_fma_f64 v[6:7], v[60:61], v[64:65], -v[6:7]
	v_add_f64 v[4:5], v[4:5], v[6:7]
	s_waitcnt lgkmcnt(0)
	v_mul_f64 v[78:79], v[68:69], v[74:75]
	v_fmac_f64_e32 v[78:79], v[70:71], v[72:73]
	v_add_f64 v[84:85], v[76:77], v[78:79]
	ds_read_b128 v[76:79], v2 offset:1088
	v_mul_f64 v[6:7], v[70:71], v[74:75]
	v_fma_f64 v[6:7], v[68:69], v[72:73], -v[6:7]
	v_add_f64 v[4:5], v[4:5], v[6:7]
	s_waitcnt lgkmcnt(0)
	v_mul_f64 v[86:87], v[76:77], v[82:83]
	v_fmac_f64_e32 v[86:87], v[78:79], v[80:81]
	v_add_f64 v[92:93], v[84:85], v[86:87]
	ds_read_b128 v[84:87], v2 offset:1104
	v_mul_f64 v[6:7], v[78:79], v[82:83]
	v_fma_f64 v[6:7], v[76:77], v[80:81], -v[6:7]
	v_add_f64 v[4:5], v[4:5], v[6:7]
	s_waitcnt lgkmcnt(0)
	v_mul_f64 v[94:95], v[84:85], v[90:91]
	v_fmac_f64_e32 v[94:95], v[86:87], v[88:89]
	v_add_f64 v[100:101], v[92:93], v[94:95]
	ds_read_b128 v[92:95], v2 offset:1120
	v_mul_f64 v[6:7], v[86:87], v[90:91]
	v_fma_f64 v[6:7], v[84:85], v[88:89], -v[6:7]
	v_add_f64 v[4:5], v[4:5], v[6:7]
	s_waitcnt lgkmcnt(0)
	v_mul_f64 v[102:103], v[92:93], v[98:99]
	v_fmac_f64_e32 v[102:103], v[94:95], v[96:97]
	v_add_f64 v[108:109], v[100:101], v[102:103]
	ds_read_b128 v[100:103], v2 offset:1136
	v_mul_f64 v[6:7], v[94:95], v[98:99]
	v_fma_f64 v[6:7], v[92:93], v[96:97], -v[6:7]
	v_add_f64 v[4:5], v[4:5], v[6:7]
	s_waitcnt lgkmcnt(0)
	v_mul_f64 v[110:111], v[100:101], v[106:107]
	v_fmac_f64_e32 v[110:111], v[102:103], v[104:105]
	v_add_f64 v[116:117], v[108:109], v[110:111]
	ds_read_b128 v[108:111], v2 offset:1152
	v_mul_f64 v[6:7], v[102:103], v[106:107]
	v_fma_f64 v[6:7], v[100:101], v[104:105], -v[6:7]
	v_add_f64 v[4:5], v[4:5], v[6:7]
	s_waitcnt lgkmcnt(0)
	v_mul_f64 v[118:119], v[108:109], v[114:115]
	v_fmac_f64_e32 v[118:119], v[110:111], v[112:113]
	v_add_f64 v[124:125], v[116:117], v[118:119]
	ds_read_b128 v[116:119], v2 offset:1168
	v_mul_f64 v[6:7], v[110:111], v[114:115]
	v_fma_f64 v[6:7], v[108:109], v[112:113], -v[6:7]
	v_add_f64 v[4:5], v[4:5], v[6:7]
	s_waitcnt lgkmcnt(0)
	v_mul_f64 v[126:127], v[116:117], v[122:123]
	v_fmac_f64_e32 v[126:127], v[118:119], v[120:121]
	v_add_f64 v[132:133], v[124:125], v[126:127]
	ds_read_b128 v[124:127], v2 offset:1184
	v_mul_f64 v[6:7], v[118:119], v[122:123]
	v_fma_f64 v[6:7], v[116:117], v[120:121], -v[6:7]
	v_add_f64 v[4:5], v[4:5], v[6:7]
	s_waitcnt lgkmcnt(0)
	v_mul_f64 v[134:135], v[124:125], v[130:131]
	v_fmac_f64_e32 v[134:135], v[126:127], v[128:129]
	v_add_f64 v[140:141], v[132:133], v[134:135]
	ds_read_b128 v[132:135], v2 offset:1200
	v_mul_f64 v[6:7], v[126:127], v[130:131]
	v_fma_f64 v[6:7], v[124:125], v[128:129], -v[6:7]
	v_add_f64 v[4:5], v[4:5], v[6:7]
	s_waitcnt lgkmcnt(0)
	v_mul_f64 v[142:143], v[132:133], v[138:139]
	v_fmac_f64_e32 v[142:143], v[134:135], v[136:137]
	v_add_f64 v[148:149], v[140:141], v[142:143]
	ds_read_b128 v[140:143], v2 offset:1216
	v_mul_f64 v[6:7], v[134:135], v[138:139]
	v_fma_f64 v[6:7], v[132:133], v[136:137], -v[6:7]
	v_add_f64 v[4:5], v[4:5], v[6:7]
	s_waitcnt lgkmcnt(0)
	v_mul_f64 v[150:151], v[140:141], v[146:147]
	v_fmac_f64_e32 v[150:151], v[142:143], v[144:145]
	v_add_f64 v[156:157], v[148:149], v[150:151]
	ds_read_b128 v[148:151], v2 offset:1232
	v_mul_f64 v[6:7], v[142:143], v[146:147]
	v_fma_f64 v[6:7], v[140:141], v[144:145], -v[6:7]
	v_add_f64 v[4:5], v[4:5], v[6:7]
	s_waitcnt lgkmcnt(0)
	v_mul_f64 v[158:159], v[148:149], v[154:155]
	v_fmac_f64_e32 v[158:159], v[150:151], v[152:153]
	v_add_f64 v[164:165], v[156:157], v[158:159]
	ds_read_b128 v[156:159], v2 offset:1248
	v_mul_f64 v[6:7], v[150:151], v[154:155]
	v_fma_f64 v[6:7], v[148:149], v[152:153], -v[6:7]
	v_add_f64 v[4:5], v[4:5], v[6:7]
	s_waitcnt lgkmcnt(0)
	v_mul_f64 v[166:167], v[156:157], v[162:163]
	v_fmac_f64_e32 v[166:167], v[158:159], v[160:161]
	v_add_f64 v[172:173], v[164:165], v[166:167]
	ds_read_b128 v[164:167], v2 offset:1264
	v_mul_f64 v[6:7], v[158:159], v[162:163]
	v_fma_f64 v[6:7], v[156:157], v[160:161], -v[6:7]
	v_add_f64 v[4:5], v[4:5], v[6:7]
	s_waitcnt lgkmcnt(0)
	v_mul_f64 v[174:175], v[164:165], v[170:171]
	v_fmac_f64_e32 v[174:175], v[166:167], v[168:169]
	v_add_f64 v[176:177], v[172:173], v[174:175]
	ds_read_b128 v[172:175], v2 offset:1280
	v_mul_f64 v[6:7], v[166:167], v[170:171]
	v_fma_f64 v[6:7], v[164:165], v[168:169], -v[6:7]
	v_add_f64 v[4:5], v[4:5], v[6:7]
	s_waitcnt lgkmcnt(0)
	v_mul_f64 v[182:183], v[172:173], v[180:181]
	v_fmac_f64_e32 v[182:183], v[174:175], v[178:179]
	v_add_f64 v[176:177], v[176:177], v[182:183]
	ds_read_b128 v[182:185], v2 offset:1296
	v_mul_f64 v[6:7], v[174:175], v[180:181]
	v_fma_f64 v[6:7], v[172:173], v[178:179], -v[6:7]
	v_add_f64 v[4:5], v[4:5], v[6:7]
	s_waitcnt lgkmcnt(0)
	v_mul_f64 v[190:191], v[182:183], v[188:189]
	v_fmac_f64_e32 v[190:191], v[184:185], v[186:187]
	v_add_f64 v[176:177], v[176:177], v[190:191]
	ds_read_b128 v[190:193], v2 offset:1312
	v_mul_f64 v[6:7], v[184:185], v[188:189]
	v_fma_f64 v[6:7], v[182:183], v[186:187], -v[6:7]
	v_add_f64 v[4:5], v[4:5], v[6:7]
	s_waitcnt lgkmcnt(0)
	v_mul_f64 v[198:199], v[190:191], v[196:197]
	v_fmac_f64_e32 v[198:199], v[192:193], v[194:195]
	v_add_f64 v[176:177], v[176:177], v[198:199]
	ds_read_b128 v[198:201], v2 offset:1328
	v_mul_f64 v[6:7], v[192:193], v[196:197]
	v_fma_f64 v[6:7], v[190:191], v[194:195], -v[6:7]
	v_add_f64 v[4:5], v[4:5], v[6:7]
	s_waitcnt lgkmcnt(0)
	v_mul_f64 v[206:207], v[198:199], v[204:205]
	v_fmac_f64_e32 v[206:207], v[200:201], v[202:203]
	v_add_f64 v[176:177], v[176:177], v[206:207]
	ds_read_b128 v[206:209], v2 offset:1344
	v_mul_f64 v[6:7], v[200:201], v[204:205]
	v_fma_f64 v[6:7], v[198:199], v[202:203], -v[6:7]
	v_add_f64 v[4:5], v[4:5], v[6:7]
	s_waitcnt lgkmcnt(0)
	v_mul_f64 v[214:215], v[206:207], v[212:213]
	v_fmac_f64_e32 v[214:215], v[208:209], v[210:211]
	v_add_f64 v[176:177], v[176:177], v[214:215]
	ds_read_b128 v[214:217], v2 offset:1360
	v_mul_f64 v[6:7], v[208:209], v[212:213]
	v_fma_f64 v[6:7], v[206:207], v[210:211], -v[6:7]
	v_add_f64 v[4:5], v[4:5], v[6:7]
	s_waitcnt lgkmcnt(0)
	v_mul_f64 v[222:223], v[214:215], v[220:221]
	v_fmac_f64_e32 v[222:223], v[216:217], v[218:219]
	v_add_f64 v[176:177], v[176:177], v[222:223]
	ds_read_b128 v[222:225], v2 offset:1376
	v_mul_f64 v[6:7], v[216:217], v[220:221]
	v_fma_f64 v[6:7], v[214:215], v[218:219], -v[6:7]
	v_add_f64 v[4:5], v[4:5], v[6:7]
	s_waitcnt lgkmcnt(0)
	v_mul_f64 v[230:231], v[222:223], v[228:229]
	v_fmac_f64_e32 v[230:231], v[224:225], v[226:227]
	v_add_f64 v[176:177], v[176:177], v[230:231]
	ds_read_b128 v[230:233], v2 offset:1392
	v_mul_f64 v[6:7], v[224:225], v[228:229]
	v_fma_f64 v[6:7], v[222:223], v[226:227], -v[6:7]
	v_add_f64 v[4:5], v[4:5], v[6:7]
	s_waitcnt lgkmcnt(0)
	v_mul_f64 v[6:7], v[232:233], v[236:237]
	v_fma_f64 v[6:7], v[230:231], v[234:235], -v[6:7]
	v_add_f64 v[8:9], v[4:5], v[6:7]
	scratch_load_dwordx4 v[4:7], off, off offset:240
	v_mul_f64 v[238:239], v[230:231], v[236:237]
	v_fmac_f64_e32 v[238:239], v[232:233], v[234:235]
	v_add_f64 v[176:177], v[176:177], v[238:239]
	s_waitcnt vmcnt(0)
	v_add_f64 v[4:5], v[4:5], -v[8:9]
	v_add_f64 v[6:7], v[6:7], -v[176:177]
	scratch_store_dwordx4 off, v[4:7], off offset:240
	s_and_saveexec_b64 s[0:1], vcc
	s_cbranch_execz .LBB107_251
; %bb.250:
	scratch_load_dwordx4 v[6:9], off, s47
	v_mov_b32_e32 v3, v2
	v_mov_b32_e32 v4, v2
	v_mov_b32_e32 v5, v2
	v_accvgpr_read_b32 v0, a89
	scratch_store_dwordx4 off, v[2:5], off offset:224
	s_waitcnt vmcnt(1)
	ds_write_b128 v0, v[6:9]
.LBB107_251:
	s_or_b64 exec, exec, s[0:1]
	s_waitcnt lgkmcnt(0)
	; wave barrier
	ds_read_b128 v[16:19], v2 offset:928
	ds_read_b128 v[12:15], v2 offset:944
	;; [unrolled: 1-line block ×4, first 2 shown]
	scratch_load_dwordx4 v[20:23], off, off offset:240
	scratch_load_dwordx4 v[40:43], off, off offset:304
	;; [unrolled: 1-line block ×24, first 2 shown]
	v_cmp_lt_u32_e32 vcc, 12, v240
	scratch_load_dwordx4 v[48:51], off, off offset:320
	scratch_load_dwordx4 v[56:59], off, off offset:336
	;; [unrolled: 1-line block ×3, first 2 shown]
	ds_read_b128 v[244:247], v2 offset:1392
	s_waitcnt vmcnt(26) lgkmcnt(4)
	v_mul_f64 v[24:25], v[16:17], v[22:23]
	v_fmac_f64_e32 v[24:25], v[18:19], v[20:21]
	v_add_f64 v[28:29], v[24:25], 0
	scratch_load_dwordx4 v[24:27], off, off offset:256
	s_waitcnt vmcnt(0) lgkmcnt(3)
	v_mul_f64 v[30:31], v[12:13], v[26:27]
	v_fmac_f64_e32 v[30:31], v[14:15], v[24:25]
	v_add_f64 v[32:33], v[28:29], v[30:31]
	scratch_load_dwordx4 v[28:31], off, off offset:272
	v_mul_f64 v[14:15], v[14:15], v[26:27]
	v_fma_f64 v[12:13], v[12:13], v[24:25], -v[14:15]
	s_waitcnt vmcnt(0) lgkmcnt(2)
	v_mul_f64 v[34:35], v[8:9], v[30:31]
	v_fmac_f64_e32 v[34:35], v[10:11], v[28:29]
	v_add_f64 v[36:37], v[32:33], v[34:35]
	scratch_load_dwordx4 v[32:35], off, off offset:288
	v_mul_f64 v[10:11], v[10:11], v[30:31]
	v_fma_f64 v[8:9], v[8:9], v[28:29], -v[10:11]
	s_waitcnt vmcnt(0) lgkmcnt(1)
	v_mul_f64 v[38:39], v[4:5], v[34:35]
	v_fmac_f64_e32 v[38:39], v[6:7], v[32:33]
	v_add_f64 v[44:45], v[36:37], v[38:39]
	ds_read_b128 v[36:39], v2 offset:992
	v_mul_f64 v[6:7], v[6:7], v[34:35]
	v_fma_f64 v[4:5], v[4:5], v[32:33], -v[6:7]
	s_waitcnt lgkmcnt(0)
	v_mul_f64 v[46:47], v[36:37], v[42:43]
	v_fmac_f64_e32 v[46:47], v[38:39], v[40:41]
	v_add_f64 v[52:53], v[44:45], v[46:47]
	ds_read_b128 v[44:47], v2 offset:1008
	s_waitcnt lgkmcnt(0)
	v_mul_f64 v[54:55], v[44:45], v[50:51]
	v_fmac_f64_e32 v[54:55], v[46:47], v[48:49]
	v_add_f64 v[60:61], v[52:53], v[54:55]
	ds_read_b128 v[52:55], v2 offset:1024
	;; [unrolled: 5-line block ×24, first 2 shown]
	v_mul_f64 v[2:3], v[244:245], v[250:251]
	v_fmac_f64_e32 v[2:3], v[246:247], v[248:249]
	s_waitcnt lgkmcnt(0)
	v_mul_f64 v[238:239], v[230:231], v[236:237]
	v_fmac_f64_e32 v[238:239], v[232:233], v[234:235]
	v_add_f64 v[184:185], v[184:185], v[238:239]
	v_add_f64 v[184:185], v[184:185], v[2:3]
	v_mul_f64 v[2:3], v[18:19], v[22:23]
	v_fma_f64 v[2:3], v[16:17], v[20:21], -v[2:3]
	v_add_f64 v[2:3], v[2:3], 0
	v_add_f64 v[2:3], v[2:3], v[12:13]
	;; [unrolled: 1-line block ×4, first 2 shown]
	v_mul_f64 v[4:5], v[38:39], v[42:43]
	v_fma_f64 v[4:5], v[36:37], v[40:41], -v[4:5]
	v_add_f64 v[2:3], v[2:3], v[4:5]
	v_mul_f64 v[4:5], v[46:47], v[50:51]
	v_fma_f64 v[4:5], v[44:45], v[48:49], -v[4:5]
	v_add_f64 v[2:3], v[2:3], v[4:5]
	;; [unrolled: 3-line block ×26, first 2 shown]
	scratch_load_dwordx4 v[2:5], off, off offset:224
	s_waitcnt vmcnt(0)
	v_add_f64 v[2:3], v[2:3], -v[6:7]
	v_add_f64 v[4:5], v[4:5], -v[184:185]
	scratch_store_dwordx4 off, v[2:5], off offset:224
	s_and_saveexec_b64 s[0:1], vcc
	s_cbranch_execz .LBB107_253
; %bb.252:
	scratch_load_dwordx4 v[2:5], off, s48
	v_mov_b32_e32 v6, 0
	v_mov_b32_e32 v7, v6
	;; [unrolled: 1-line block ×4, first 2 shown]
	v_accvgpr_read_b32 v0, a89
	scratch_store_dwordx4 off, v[6:9], off offset:208
	s_waitcnt vmcnt(1)
	ds_write_b128 v0, v[2:5]
.LBB107_253:
	s_or_b64 exec, exec, s[0:1]
	s_waitcnt lgkmcnt(0)
	; wave barrier
	scratch_load_dwordx4 v[16:19], off, off offset:224
	scratch_load_dwordx4 v[12:15], off, off offset:240
	;; [unrolled: 1-line block ×32, first 2 shown]
	v_mov_b32_e32 v2, 0
	ds_read_b128 v[132:135], v2 offset:912
	ds_read_b128 v[136:139], v2 offset:928
	;; [unrolled: 1-line block ×17, first 2 shown]
	v_cmp_lt_u32_e32 vcc, 11, v240
	s_waitcnt vmcnt(31) lgkmcnt(14)
	v_mul_f64 v[200:201], v[132:133], v[18:19]
	s_waitcnt vmcnt(30)
	v_mul_f64 v[202:203], v[136:137], v[14:15]
	v_fmac_f64_e32 v[200:201], v[134:135], v[16:17]
	s_waitcnt vmcnt(29)
	v_mul_f64 v[204:205], v[140:141], v[10:11]
	v_fmac_f64_e32 v[202:203], v[138:139], v[12:13]
	v_add_f64 v[200:201], v[200:201], 0
	s_waitcnt vmcnt(28) lgkmcnt(13)
	v_mul_f64 v[206:207], v[144:145], v[6:7]
	v_fmac_f64_e32 v[204:205], v[142:143], v[8:9]
	v_add_f64 v[200:201], v[200:201], v[202:203]
	s_waitcnt vmcnt(27) lgkmcnt(12)
	;; [unrolled: 4-line block ×12, first 2 shown]
	v_mul_f64 v[228:229], v[188:189], v[62:63]
	v_fmac_f64_e32 v[226:227], v[186:187], v[56:57]
	v_add_f64 v[200:201], v[200:201], v[224:225]
	v_fmac_f64_e32 v[228:229], v[190:191], v[60:61]
	v_add_f64 v[200:201], v[200:201], v[226:227]
	s_waitcnt vmcnt(16) lgkmcnt(1)
	v_mul_f64 v[202:203], v[192:193], v[66:67]
	v_add_f64 v[200:201], v[200:201], v[228:229]
	v_fmac_f64_e32 v[202:203], v[194:195], v[64:65]
	s_waitcnt vmcnt(15) lgkmcnt(0)
	v_mul_f64 v[206:207], v[196:197], v[70:71]
	v_add_f64 v[204:205], v[200:201], v[202:203]
	ds_read_b128 v[200:203], v2 offset:1184
	v_fmac_f64_e32 v[206:207], v[198:199], v[68:69]
	v_add_f64 v[208:209], v[204:205], v[206:207]
	ds_read_b128 v[204:207], v2 offset:1200
	v_mul_f64 v[18:19], v[134:135], v[18:19]
	s_waitcnt vmcnt(14) lgkmcnt(1)
	v_mul_f64 v[210:211], v[200:201], v[74:75]
	v_fmac_f64_e32 v[210:211], v[202:203], v[72:73]
	v_add_f64 v[212:213], v[208:209], v[210:211]
	s_waitcnt vmcnt(13) lgkmcnt(0)
	v_mul_f64 v[214:215], v[204:205], v[78:79]
	ds_read_b128 v[208:211], v2 offset:1216
	v_fmac_f64_e32 v[214:215], v[206:207], v[76:77]
	v_add_f64 v[216:217], v[212:213], v[214:215]
	ds_read_b128 v[212:215], v2 offset:1232
	v_fma_f64 v[246:247], v[132:133], v[16:17], -v[18:19]
	s_waitcnt vmcnt(12) lgkmcnt(1)
	v_mul_f64 v[218:219], v[208:209], v[82:83]
	v_fmac_f64_e32 v[218:219], v[210:211], v[80:81]
	v_add_f64 v[220:221], v[216:217], v[218:219]
	s_waitcnt vmcnt(11) lgkmcnt(0)
	v_mul_f64 v[222:223], v[212:213], v[86:87]
	ds_read_b128 v[216:219], v2 offset:1248
	v_fmac_f64_e32 v[222:223], v[214:215], v[84:85]
	v_add_f64 v[224:225], v[220:221], v[222:223]
	ds_read_b128 v[220:223], v2 offset:1264
	ds_read_b128 v[16:19], v2 offset:1344
	s_waitcnt vmcnt(10) lgkmcnt(2)
	v_mul_f64 v[226:227], v[216:217], v[90:91]
	v_fmac_f64_e32 v[226:227], v[218:219], v[88:89]
	v_add_f64 v[228:229], v[224:225], v[226:227]
	s_waitcnt vmcnt(9) lgkmcnt(1)
	v_mul_f64 v[230:231], v[220:221], v[94:95]
	ds_read_b128 v[224:227], v2 offset:1280
	v_fmac_f64_e32 v[230:231], v[222:223], v[92:93]
	v_add_f64 v[232:233], v[228:229], v[230:231]
	ds_read_b128 v[228:231], v2 offset:1296
	v_mul_f64 v[14:15], v[138:139], v[14:15]
	s_waitcnt vmcnt(8) lgkmcnt(1)
	v_mul_f64 v[234:235], v[224:225], v[98:99]
	v_fmac_f64_e32 v[234:235], v[226:227], v[96:97]
	v_add_f64 v[236:237], v[232:233], v[234:235]
	s_waitcnt vmcnt(7) lgkmcnt(0)
	v_mul_f64 v[238:239], v[228:229], v[102:103]
	ds_read_b128 v[232:235], v2 offset:1312
	v_fmac_f64_e32 v[238:239], v[230:231], v[100:101]
	v_add_f64 v[244:245], v[236:237], v[238:239]
	ds_read_b128 v[236:239], v2 offset:1328
	v_fma_f64 v[136:137], v[136:137], v[12:13], -v[14:15]
	s_waitcnt vmcnt(6) lgkmcnt(1)
	v_mul_f64 v[132:133], v[232:233], v[106:107]
	v_fmac_f64_e32 v[132:133], v[234:235], v[104:105]
	v_add_f64 v[132:133], v[244:245], v[132:133]
	s_waitcnt vmcnt(5) lgkmcnt(0)
	v_mul_f64 v[134:135], v[236:237], v[110:111]
	v_fmac_f64_e32 v[134:135], v[238:239], v[108:109]
	v_add_f64 v[132:133], v[132:133], v[134:135]
	ds_read_b128 v[12:15], v2 offset:1360
	s_waitcnt vmcnt(4)
	v_mul_f64 v[134:135], v[16:17], v[114:115]
	v_fmac_f64_e32 v[134:135], v[18:19], v[112:113]
	v_add_f64 v[138:139], v[132:133], v[134:135]
	ds_read_b128 v[132:135], v2 offset:1376
	v_mul_f64 v[10:11], v[142:143], v[10:11]
	v_fma_f64 v[140:141], v[140:141], v[8:9], -v[10:11]
	ds_read_b128 v[8:11], v2 offset:1392
	s_waitcnt vmcnt(3) lgkmcnt(2)
	v_mul_f64 v[142:143], v[12:13], v[118:119]
	v_fmac_f64_e32 v[142:143], v[14:15], v[116:117]
	v_add_f64 v[138:139], v[138:139], v[142:143]
	s_waitcnt vmcnt(2) lgkmcnt(1)
	v_mul_f64 v[142:143], v[132:133], v[122:123]
	v_fmac_f64_e32 v[142:143], v[134:135], v[120:121]
	v_add_f64 v[138:139], v[138:139], v[142:143]
	;; [unrolled: 4-line block ×3, first 2 shown]
	v_add_f64 v[142:143], v[246:247], 0
	v_add_f64 v[136:137], v[142:143], v[136:137]
	v_mul_f64 v[6:7], v[146:147], v[6:7]
	v_add_f64 v[136:137], v[136:137], v[140:141]
	v_fma_f64 v[4:5], v[144:145], v[4:5], -v[6:7]
	v_mul_f64 v[6:7], v[150:151], v[22:23]
	v_add_f64 v[4:5], v[136:137], v[4:5]
	v_fma_f64 v[6:7], v[148:149], v[20:21], -v[6:7]
	v_add_f64 v[4:5], v[4:5], v[6:7]
	v_mul_f64 v[6:7], v[154:155], v[26:27]
	v_fma_f64 v[6:7], v[152:153], v[24:25], -v[6:7]
	v_add_f64 v[4:5], v[4:5], v[6:7]
	v_mul_f64 v[6:7], v[158:159], v[30:31]
	;; [unrolled: 3-line block ×26, first 2 shown]
	v_fma_f64 v[6:7], v[8:9], v[124:125], -v[6:7]
	v_add_f64 v[4:5], v[4:5], v[6:7]
	s_waitcnt vmcnt(0)
	v_add_f64 v[4:5], v[128:129], -v[4:5]
	v_add_f64 v[6:7], v[130:131], -v[138:139]
	scratch_store_dwordx4 off, v[4:7], off offset:208
	s_and_saveexec_b64 s[0:1], vcc
	s_cbranch_execz .LBB107_255
; %bb.254:
	scratch_load_dwordx4 v[6:9], off, s49
	v_mov_b32_e32 v3, v2
	v_mov_b32_e32 v4, v2
	;; [unrolled: 1-line block ×3, first 2 shown]
	v_accvgpr_read_b32 v0, a89
	scratch_store_dwordx4 off, v[2:5], off offset:192
	s_waitcnt vmcnt(1)
	ds_write_b128 v0, v[6:9]
.LBB107_255:
	s_or_b64 exec, exec, s[0:1]
	s_waitcnt lgkmcnt(0)
	; wave barrier
	scratch_load_dwordx4 v[140:143], off, off offset:208
	scratch_load_dwordx4 v[148:151], off, off offset:224
	;; [unrolled: 1-line block ×16, first 2 shown]
	ds_read_b128 v[188:191], v2 offset:896
	ds_read_b128 v[184:187], v2 offset:912
	scratch_load_dwordx4 v[56:59], off, off offset:464
	ds_read_b128 v[192:195], v2 offset:928
	ds_read_b128 v[68:71], v2 offset:944
	scratch_load_dwordx4 v[60:63], off, off offset:480
	ds_read_b128 v[88:91], v2 offset:960
	ds_read_b128 v[84:87], v2 offset:976
	;; [unrolled: 1-line block ×4, first 2 shown]
	scratch_load_dwordx4 v[64:67], off, off offset:496
	ds_read_b128 v[100:103], v2 offset:1024
	ds_read_b128 v[96:99], v2 offset:1040
	scratch_load_dwordx4 v[72:75], off, off offset:512
	ds_read_b128 v[116:119], v2 offset:1056
	ds_read_b128 v[112:115], v2 offset:1072
	;; [unrolled: 1-line block ×4, first 2 shown]
	scratch_load_dwordx4 v[92:95], off, off offset:528
	ds_read_b128 v[132:135], v2 offset:1120
	ds_read_b128 v[128:131], v2 offset:1136
	;; [unrolled: 1-line block ×3, first 2 shown]
	scratch_load_dwordx4 v[120:123], off, off offset:544
	scratch_load_dwordx4 v[136:139], off, off offset:560
	;; [unrolled: 1-line block ×11, first 2 shown]
	v_cmp_lt_u32_e32 vcc, 10, v240
	s_waitcnt vmcnt(31) lgkmcnt(14)
	v_mul_f64 v[200:201], v[188:189], v[142:143]
	s_waitcnt vmcnt(30)
	v_mul_f64 v[202:203], v[184:185], v[150:151]
	v_fmac_f64_e32 v[200:201], v[190:191], v[140:141]
	s_waitcnt vmcnt(29)
	v_mul_f64 v[204:205], v[192:193], v[154:155]
	v_fmac_f64_e32 v[202:203], v[186:187], v[148:149]
	v_add_f64 v[200:201], v[200:201], 0
	s_waitcnt vmcnt(28) lgkmcnt(13)
	v_mul_f64 v[206:207], v[68:69], v[6:7]
	v_fmac_f64_e32 v[204:205], v[194:195], v[152:153]
	v_add_f64 v[200:201], v[200:201], v[202:203]
	s_waitcnt vmcnt(27) lgkmcnt(12)
	;; [unrolled: 4-line block ×13, first 2 shown]
	v_mul_f64 v[230:231], v[128:129], v[54:55]
	v_fmac_f64_e32 v[228:229], v[134:135], v[48:49]
	v_add_f64 v[200:201], v[200:201], v[226:227]
	v_add_f64 v[200:201], v[200:201], v[228:229]
	v_fmac_f64_e32 v[230:231], v[130:131], v[52:53]
	v_add_f64 v[204:205], v[200:201], v[230:231]
	ds_read_b128 v[200:203], v2 offset:1168
	s_waitcnt vmcnt(15) lgkmcnt(1)
	v_mul_f64 v[206:207], v[124:125], v[58:59]
	v_fmac_f64_e32 v[206:207], v[126:127], v[56:57]
	v_add_f64 v[208:209], v[204:205], v[206:207]
	ds_read_b128 v[204:207], v2 offset:1184
	s_waitcnt vmcnt(14) lgkmcnt(1)
	v_mul_f64 v[210:211], v[200:201], v[62:63]
	;; [unrolled: 5-line block ×10, first 2 shown]
	v_fmac_f64_e32 v[246:247], v[234:235], v[160:161]
	v_mul_f64 v[142:143], v[190:191], v[142:143]
	v_add_f64 v[246:247], v[244:245], v[246:247]
	v_fma_f64 v[244:245], v[188:189], v[140:141], -v[142:143]
	ds_read_b128 v[140:143], v2 offset:1328
	s_waitcnt vmcnt(5) lgkmcnt(1)
	v_mul_f64 v[188:189], v[236:237], v[166:167]
	v_fmac_f64_e32 v[188:189], v[238:239], v[164:165]
	v_mul_f64 v[150:151], v[186:187], v[150:151]
	v_add_f64 v[188:189], v[246:247], v[188:189]
	v_fma_f64 v[246:247], v[184:185], v[148:149], -v[150:151]
	ds_read_b128 v[148:151], v2 offset:1344
	s_waitcnt vmcnt(4) lgkmcnt(1)
	v_mul_f64 v[184:185], v[140:141], v[170:171]
	v_fmac_f64_e32 v[184:185], v[142:143], v[168:169]
	v_add_f64 v[188:189], v[188:189], v[184:185]
	ds_read_b128 v[184:187], v2 offset:1360
	v_mul_f64 v[154:155], v[194:195], v[154:155]
	s_waitcnt vmcnt(3) lgkmcnt(1)
	v_mul_f64 v[190:191], v[148:149], v[174:175]
	v_fma_f64 v[250:251], v[192:193], v[152:153], -v[154:155]
	ds_read_b128 v[152:155], v2 offset:1376
	v_fmac_f64_e32 v[190:191], v[150:151], v[172:173]
	v_add_f64 v[248:249], v[188:189], v[190:191]
	ds_read_b128 v[188:191], v2 offset:1392
	s_waitcnt vmcnt(2) lgkmcnt(2)
	v_mul_f64 v[192:193], v[184:185], v[178:179]
	v_fmac_f64_e32 v[192:193], v[186:187], v[176:177]
	v_add_f64 v[2:3], v[248:249], v[192:193]
	s_waitcnt vmcnt(1) lgkmcnt(1)
	v_mul_f64 v[192:193], v[152:153], v[182:183]
	v_fmac_f64_e32 v[192:193], v[154:155], v[180:181]
	v_add_f64 v[2:3], v[2:3], v[192:193]
	;; [unrolled: 4-line block ×3, first 2 shown]
	scratch_load_dwordx4 v[192:195], off, off offset:192
	v_add_f64 v[244:245], v[244:245], 0
	v_add_f64 v[244:245], v[244:245], v[246:247]
	v_mul_f64 v[6:7], v[70:71], v[6:7]
	v_add_f64 v[244:245], v[244:245], v[250:251]
	v_fma_f64 v[4:5], v[68:69], v[4:5], -v[6:7]
	v_mul_f64 v[6:7], v[90:91], v[10:11]
	v_add_f64 v[4:5], v[244:245], v[4:5]
	v_fma_f64 v[6:7], v[88:89], v[8:9], -v[6:7]
	v_add_f64 v[4:5], v[4:5], v[6:7]
	v_mul_f64 v[6:7], v[86:87], v[14:15]
	v_fma_f64 v[6:7], v[84:85], v[12:13], -v[6:7]
	v_add_f64 v[4:5], v[4:5], v[6:7]
	v_mul_f64 v[6:7], v[82:83], v[18:19]
	;; [unrolled: 3-line block ×27, first 2 shown]
	v_fma_f64 v[6:7], v[188:189], v[196:197], -v[6:7]
	v_add_f64 v[4:5], v[4:5], v[6:7]
	s_waitcnt vmcnt(0)
	v_add_f64 v[4:5], v[192:193], -v[4:5]
	v_add_f64 v[6:7], v[194:195], -v[2:3]
	scratch_store_dwordx4 off, v[4:7], off offset:192
	s_and_saveexec_b64 s[0:1], vcc
	s_cbranch_execz .LBB107_257
; %bb.256:
	scratch_load_dwordx4 v[2:5], off, s50
	v_mov_b32_e32 v6, 0
	v_mov_b32_e32 v7, v6
	;; [unrolled: 1-line block ×4, first 2 shown]
	v_accvgpr_read_b32 v0, a89
	scratch_store_dwordx4 off, v[6:9], off offset:176
	s_waitcnt vmcnt(1)
	ds_write_b128 v0, v[2:5]
.LBB107_257:
	s_or_b64 exec, exec, s[0:1]
	s_waitcnt lgkmcnt(0)
	; wave barrier
	scratch_load_dwordx4 v[108:111], off, off offset:192
	scratch_load_dwordx4 v[116:119], off, off offset:208
	;; [unrolled: 1-line block ×33, first 2 shown]
	v_mov_b32_e32 v2, 0
	ds_read_b128 v[220:223], v2 offset:880
	ds_read_b128 v[224:227], v2 offset:896
	;; [unrolled: 1-line block ×16, first 2 shown]
	v_cmp_lt_u32_e32 vcc, 9, v240
	s_waitcnt vmcnt(32) lgkmcnt(14)
	v_mul_f64 v[180:181], v[220:221], v[110:111]
	s_waitcnt vmcnt(31)
	v_mul_f64 v[182:183], v[224:225], v[118:119]
	v_fmac_f64_e32 v[180:181], v[222:223], v[108:109]
	s_waitcnt vmcnt(30) lgkmcnt(13)
	v_mul_f64 v[184:185], v[234:235], v[122:123]
	v_fmac_f64_e32 v[182:183], v[226:227], v[116:117]
	v_add_f64 v[180:181], v[180:181], 0
	s_waitcnt vmcnt(29) lgkmcnt(12)
	v_mul_f64 v[186:187], v[244:245], v[126:127]
	v_fmac_f64_e32 v[184:185], v[236:237], v[120:121]
	v_add_f64 v[180:181], v[180:181], v[182:183]
	;; [unrolled: 4-line block ×13, first 2 shown]
	v_fmac_f64_e32 v[208:209], v[142:143], v[40:41]
	v_add_f64 v[180:181], v[180:181], v[206:207]
	v_add_f64 v[184:185], v[180:181], v[208:209]
	ds_read_b128 v[180:183], v2 offset:1136
	s_waitcnt vmcnt(17) lgkmcnt(1)
	v_mul_f64 v[186:187], v[136:137], v[46:47]
	v_fmac_f64_e32 v[186:187], v[138:139], v[44:45]
	v_add_f64 v[188:189], v[184:185], v[186:187]
	ds_read_b128 v[184:187], v2 offset:1152
	s_waitcnt vmcnt(16) lgkmcnt(1)
	v_mul_f64 v[190:191], v[180:181], v[50:51]
	v_fmac_f64_e32 v[190:191], v[182:183], v[48:49]
	;; [unrolled: 5-line block ×10, first 2 shown]
	v_mul_f64 v[110:111], v[222:223], v[110:111]
	v_add_f64 v[228:229], v[228:229], v[230:231]
	v_fma_f64 v[230:231], v[220:221], v[108:109], -v[110:111]
	ds_read_b128 v[108:111], v2 offset:1296
	s_waitcnt vmcnt(7) lgkmcnt(1)
	v_mul_f64 v[220:221], v[216:217], v[86:87]
	v_mul_f64 v[118:119], v[226:227], v[118:119]
	v_fmac_f64_e32 v[220:221], v[218:219], v[84:85]
	v_fma_f64 v[232:233], v[224:225], v[116:117], -v[118:119]
	ds_read_b128 v[116:119], v2 offset:1312
	s_waitcnt vmcnt(6) lgkmcnt(1)
	v_mul_f64 v[222:223], v[108:109], v[90:91]
	v_add_f64 v[220:221], v[228:229], v[220:221]
	v_fmac_f64_e32 v[222:223], v[110:111], v[88:89]
	v_add_f64 v[224:225], v[220:221], v[222:223]
	ds_read_b128 v[220:223], v2 offset:1328
	v_mul_f64 v[122:123], v[236:237], v[122:123]
	v_fma_f64 v[234:235], v[234:235], v[120:121], -v[122:123]
	ds_read_b128 v[120:123], v2 offset:1344
	s_waitcnt vmcnt(5) lgkmcnt(2)
	v_mul_f64 v[226:227], v[116:117], v[94:95]
	v_fmac_f64_e32 v[226:227], v[118:119], v[92:93]
	v_mul_f64 v[126:127], v[246:247], v[126:127]
	v_add_f64 v[224:225], v[224:225], v[226:227]
	s_waitcnt vmcnt(4) lgkmcnt(1)
	v_mul_f64 v[226:227], v[220:221], v[98:99]
	v_fma_f64 v[236:237], v[244:245], v[124:125], -v[126:127]
	ds_read_b128 v[124:127], v2 offset:1360
	v_fmac_f64_e32 v[226:227], v[222:223], v[96:97]
	v_add_f64 v[228:229], v[224:225], v[226:227]
	s_waitcnt vmcnt(3) lgkmcnt(1)
	v_mul_f64 v[238:239], v[120:121], v[102:103]
	ds_read_b128 v[224:227], v2 offset:1376
	v_fmac_f64_e32 v[238:239], v[122:123], v[100:101]
	v_mul_f64 v[130:131], v[250:251], v[130:131]
	v_add_f64 v[228:229], v[228:229], v[238:239]
	v_fma_f64 v[238:239], v[248:249], v[128:129], -v[130:131]
	ds_read_b128 v[128:131], v2 offset:1392
	s_waitcnt vmcnt(2) lgkmcnt(2)
	v_mul_f64 v[244:245], v[124:125], v[106:107]
	v_fmac_f64_e32 v[244:245], v[126:127], v[104:105]
	v_add_f64 v[228:229], v[228:229], v[244:245]
	s_waitcnt vmcnt(1) lgkmcnt(1)
	v_mul_f64 v[244:245], v[224:225], v[114:115]
	v_fmac_f64_e32 v[244:245], v[226:227], v[112:113]
	v_add_f64 v[228:229], v[228:229], v[244:245]
	s_waitcnt vmcnt(0) lgkmcnt(0)
	v_mul_f64 v[244:245], v[128:129], v[134:135]
	v_fmac_f64_e32 v[244:245], v[130:131], v[132:133]
	v_add_f64 v[228:229], v[228:229], v[244:245]
	scratch_load_dwordx4 v[244:247], off, off offset:176
	v_add_f64 v[230:231], v[230:231], 0
	v_add_f64 v[230:231], v[230:231], v[232:233]
	v_add_f64 v[230:231], v[230:231], v[234:235]
	v_add_f64 v[230:231], v[230:231], v[236:237]
	v_mul_f64 v[6:7], v[178:179], v[6:7]
	v_add_f64 v[230:231], v[230:231], v[238:239]
	v_fma_f64 v[4:5], v[176:177], v[4:5], -v[6:7]
	v_mul_f64 v[6:7], v[174:175], v[10:11]
	v_add_f64 v[4:5], v[230:231], v[4:5]
	v_fma_f64 v[6:7], v[172:173], v[8:9], -v[6:7]
	v_add_f64 v[4:5], v[4:5], v[6:7]
	v_mul_f64 v[6:7], v[170:171], v[14:15]
	v_fma_f64 v[6:7], v[168:169], v[12:13], -v[6:7]
	v_add_f64 v[4:5], v[4:5], v[6:7]
	v_mul_f64 v[6:7], v[166:167], v[18:19]
	;; [unrolled: 3-line block ×26, first 2 shown]
	v_fma_f64 v[6:7], v[128:129], v[132:133], -v[6:7]
	v_add_f64 v[4:5], v[4:5], v[6:7]
	s_waitcnt vmcnt(0)
	v_add_f64 v[4:5], v[244:245], -v[4:5]
	v_add_f64 v[6:7], v[246:247], -v[228:229]
	scratch_store_dwordx4 off, v[4:7], off offset:176
	s_and_saveexec_b64 s[0:1], vcc
	s_cbranch_execz .LBB107_259
; %bb.258:
	scratch_load_dwordx4 v[6:9], off, s51
	v_mov_b32_e32 v3, v2
	v_mov_b32_e32 v4, v2
	;; [unrolled: 1-line block ×3, first 2 shown]
	v_accvgpr_read_b32 v0, a89
	scratch_store_dwordx4 off, v[2:5], off offset:160
	s_waitcnt vmcnt(1)
	ds_write_b128 v0, v[6:9]
.LBB107_259:
	s_or_b64 exec, exec, s[0:1]
	s_waitcnt lgkmcnt(0)
	; wave barrier
	scratch_load_dwordx4 v[144:147], off, off offset:176
	scratch_load_dwordx4 v[152:155], off, off offset:192
	;; [unrolled: 1-line block ×16, first 2 shown]
	ds_read_b128 v[196:199], v2 offset:864
	ds_read_b128 v[188:191], v2 offset:880
	ds_read_b128 v[180:183], v2 offset:896
	scratch_load_dwordx4 v[48:51], off, off offset:432
	ds_read_b128 v[192:195], v2 offset:912
	ds_read_b128 v[184:187], v2 offset:928
	ds_read_b128 v[64:67], v2 offset:944
	scratch_load_dwordx4 v[52:55], off, off offset:448
	;; [unrolled: 4-line block ×5, first 2 shown]
	ds_read_b128 v[116:119], v2 offset:1104
	ds_read_b128 v[112:115], v2 offset:1120
	scratch_load_dwordx4 v[108:111], off, off offset:512
	scratch_load_dwordx4 v[120:123], off, off offset:528
	;; [unrolled: 1-line block ×12, first 2 shown]
	v_cmp_lt_u32_e32 vcc, 8, v240
	s_waitcnt vmcnt(32) lgkmcnt(14)
	v_mul_f64 v[204:205], v[196:197], v[146:147]
	s_waitcnt vmcnt(31)
	v_mul_f64 v[206:207], v[188:189], v[154:155]
	v_fmac_f64_e32 v[204:205], v[198:199], v[144:145]
	s_waitcnt vmcnt(30)
	v_mul_f64 v[208:209], v[180:181], v[158:159]
	v_fmac_f64_e32 v[206:207], v[190:191], v[152:153]
	v_add_f64 v[204:205], v[204:205], 0
	s_waitcnt vmcnt(29) lgkmcnt(13)
	v_mul_f64 v[210:211], v[192:193], v[162:163]
	v_fmac_f64_e32 v[208:209], v[182:183], v[156:157]
	v_add_f64 v[204:205], v[204:205], v[206:207]
	s_waitcnt vmcnt(28) lgkmcnt(12)
	;; [unrolled: 4-line block ×12, first 2 shown]
	v_mul_f64 v[232:233], v[96:97], v[42:43]
	v_fmac_f64_e32 v[230:231], v[102:103], v[36:37]
	v_add_f64 v[204:205], v[204:205], v[228:229]
	v_fmac_f64_e32 v[232:233], v[98:99], v[40:41]
	v_add_f64 v[204:205], v[204:205], v[230:231]
	s_waitcnt vmcnt(17) lgkmcnt(1)
	v_mul_f64 v[206:207], v[116:117], v[46:47]
	v_add_f64 v[204:205], v[204:205], v[232:233]
	v_fmac_f64_e32 v[206:207], v[118:119], v[44:45]
	s_waitcnt vmcnt(16) lgkmcnt(0)
	v_mul_f64 v[210:211], v[112:113], v[50:51]
	v_add_f64 v[208:209], v[204:205], v[206:207]
	ds_read_b128 v[204:207], v2 offset:1136
	v_fmac_f64_e32 v[210:211], v[114:115], v[48:49]
	v_add_f64 v[212:213], v[208:209], v[210:211]
	ds_read_b128 v[208:211], v2 offset:1152
	v_mul_f64 v[146:147], v[198:199], v[146:147]
	s_waitcnt vmcnt(15) lgkmcnt(1)
	v_mul_f64 v[214:215], v[204:205], v[54:55]
	v_fmac_f64_e32 v[214:215], v[206:207], v[52:53]
	v_add_f64 v[216:217], v[212:213], v[214:215]
	s_waitcnt vmcnt(14) lgkmcnt(0)
	v_mul_f64 v[218:219], v[208:209], v[58:59]
	ds_read_b128 v[212:215], v2 offset:1168
	v_fmac_f64_e32 v[218:219], v[210:211], v[56:57]
	v_add_f64 v[220:221], v[216:217], v[218:219]
	ds_read_b128 v[216:219], v2 offset:1184
	v_mul_f64 v[154:155], v[190:191], v[154:155]
	s_waitcnt vmcnt(13) lgkmcnt(1)
	v_mul_f64 v[222:223], v[212:213], v[62:63]
	v_fmac_f64_e32 v[222:223], v[214:215], v[60:61]
	v_add_f64 v[224:225], v[220:221], v[222:223]
	s_waitcnt vmcnt(12) lgkmcnt(0)
	v_mul_f64 v[226:227], v[216:217], v[94:95]
	ds_read_b128 v[220:223], v2 offset:1200
	v_fmac_f64_e32 v[226:227], v[218:219], v[92:93]
	v_add_f64 v[228:229], v[224:225], v[226:227]
	ds_read_b128 v[224:227], v2 offset:1216
	v_fma_f64 v[248:249], v[188:189], v[152:153], -v[154:155]
	s_waitcnt vmcnt(11) lgkmcnt(1)
	v_mul_f64 v[230:231], v[220:221], v[110:111]
	v_fmac_f64_e32 v[230:231], v[222:223], v[108:109]
	v_add_f64 v[232:233], v[228:229], v[230:231]
	s_waitcnt vmcnt(10) lgkmcnt(0)
	v_mul_f64 v[234:235], v[224:225], v[122:123]
	ds_read_b128 v[228:231], v2 offset:1232
	v_fmac_f64_e32 v[234:235], v[226:227], v[120:121]
	v_add_f64 v[236:237], v[232:233], v[234:235]
	ds_read_b128 v[232:235], v2 offset:1248
	ds_read_b128 v[152:155], v2 offset:1296
	s_waitcnt vmcnt(9) lgkmcnt(2)
	v_mul_f64 v[238:239], v[228:229], v[126:127]
	v_fmac_f64_e32 v[238:239], v[230:231], v[124:125]
	v_add_f64 v[244:245], v[236:237], v[238:239]
	s_waitcnt vmcnt(8) lgkmcnt(1)
	v_mul_f64 v[246:247], v[232:233], v[130:131]
	ds_read_b128 v[236:239], v2 offset:1264
	v_fmac_f64_e32 v[246:247], v[234:235], v[128:129]
	v_add_f64 v[244:245], v[244:245], v[246:247]
	v_fma_f64 v[246:247], v[196:197], v[144:145], -v[146:147]
	ds_read_b128 v[144:147], v2 offset:1280
	s_waitcnt vmcnt(7) lgkmcnt(1)
	v_mul_f64 v[196:197], v[236:237], v[134:135]
	v_fmac_f64_e32 v[196:197], v[238:239], v[132:133]
	v_add_f64 v[188:189], v[244:245], v[196:197]
	v_mul_f64 v[158:159], v[182:183], v[158:159]
	s_waitcnt vmcnt(6) lgkmcnt(0)
	v_mul_f64 v[190:191], v[144:145], v[138:139]
	v_fmac_f64_e32 v[190:191], v[146:147], v[136:137]
	v_add_f64 v[196:197], v[188:189], v[190:191]
	ds_read_b128 v[188:191], v2 offset:1312
	v_fma_f64 v[244:245], v[180:181], v[156:157], -v[158:159]
	ds_read_b128 v[156:159], v2 offset:1328
	s_waitcnt vmcnt(5)
	v_mul_f64 v[198:199], v[152:153], v[142:143]
	v_fmac_f64_e32 v[198:199], v[154:155], v[140:141]
	s_waitcnt vmcnt(4) lgkmcnt(1)
	v_mul_f64 v[180:181], v[188:189], v[150:151]
	v_add_f64 v[196:197], v[196:197], v[198:199]
	v_fmac_f64_e32 v[180:181], v[190:191], v[148:149]
	v_mul_f64 v[162:163], v[194:195], v[162:163]
	v_add_f64 v[198:199], v[196:197], v[180:181]
	v_fma_f64 v[196:197], v[192:193], v[160:161], -v[162:163]
	ds_read_b128 v[160:163], v2 offset:1344
	s_waitcnt vmcnt(3) lgkmcnt(1)
	v_mul_f64 v[192:193], v[156:157], v[166:167]
	ds_read_b128 v[180:183], v2 offset:1360
	v_fmac_f64_e32 v[192:193], v[158:159], v[164:165]
	v_mul_f64 v[170:171], v[186:187], v[170:171]
	v_add_f64 v[192:193], v[198:199], v[192:193]
	v_fma_f64 v[198:199], v[184:185], v[168:169], -v[170:171]
	ds_read_b128 v[168:171], v2 offset:1376
	s_waitcnt vmcnt(2) lgkmcnt(2)
	v_mul_f64 v[184:185], v[160:161], v[174:175]
	v_fmac_f64_e32 v[184:185], v[162:163], v[172:173]
	s_waitcnt vmcnt(1) lgkmcnt(1)
	v_mul_f64 v[186:187], v[180:181], v[178:179]
	v_add_f64 v[184:185], v[192:193], v[184:185]
	v_fmac_f64_e32 v[186:187], v[182:183], v[176:177]
	v_add_f64 v[184:185], v[184:185], v[186:187]
	s_waitcnt vmcnt(0) lgkmcnt(0)
	v_mul_f64 v[186:187], v[168:169], v[202:203]
	v_fmac_f64_e32 v[186:187], v[170:171], v[200:201]
	v_add_f64 v[250:251], v[184:185], v[186:187]
	scratch_load_dwordx4 v[184:187], off, off offset:704
	v_add_f64 v[246:247], v[246:247], 0
	v_add_f64 v[246:247], v[246:247], v[248:249]
	;; [unrolled: 1-line block ×3, first 2 shown]
	scratch_load_dwordx4 v[246:249], off, off offset:160
	v_add_f64 v[196:197], v[244:245], v[196:197]
	v_mul_f64 v[6:7], v[66:67], v[6:7]
	v_add_f64 v[196:197], v[196:197], v[198:199]
	v_fma_f64 v[4:5], v[64:65], v[4:5], -v[6:7]
	v_mul_f64 v[6:7], v[78:79], v[10:11]
	v_add_f64 v[4:5], v[196:197], v[4:5]
	v_fma_f64 v[6:7], v[76:77], v[8:9], -v[6:7]
	v_add_f64 v[4:5], v[4:5], v[6:7]
	v_mul_f64 v[6:7], v[74:75], v[14:15]
	v_fma_f64 v[6:7], v[72:73], v[12:13], -v[6:7]
	v_add_f64 v[4:5], v[4:5], v[6:7]
	v_mul_f64 v[6:7], v[70:71], v[18:19]
	v_fma_f64 v[6:7], v[68:69], v[16:17], -v[6:7]
	v_add_f64 v[4:5], v[4:5], v[6:7]
	v_mul_f64 v[6:7], v[90:91], v[22:23]
	v_fma_f64 v[6:7], v[88:89], v[20:21], -v[6:7]
	v_add_f64 v[4:5], v[4:5], v[6:7]
	v_mul_f64 v[6:7], v[86:87], v[26:27]
	v_fma_f64 v[6:7], v[84:85], v[24:25], -v[6:7]
	v_add_f64 v[4:5], v[4:5], v[6:7]
	v_mul_f64 v[6:7], v[82:83], v[30:31]
	v_fma_f64 v[6:7], v[80:81], v[28:29], -v[6:7]
	v_add_f64 v[4:5], v[4:5], v[6:7]
	v_mul_f64 v[6:7], v[106:107], v[34:35]
	v_fma_f64 v[6:7], v[104:105], v[32:33], -v[6:7]
	v_add_f64 v[4:5], v[4:5], v[6:7]
	v_mul_f64 v[6:7], v[102:103], v[38:39]
	v_fma_f64 v[6:7], v[100:101], v[36:37], -v[6:7]
	v_add_f64 v[4:5], v[4:5], v[6:7]
	v_mul_f64 v[6:7], v[98:99], v[42:43]
	v_fma_f64 v[6:7], v[96:97], v[40:41], -v[6:7]
	v_add_f64 v[4:5], v[4:5], v[6:7]
	v_mul_f64 v[6:7], v[118:119], v[46:47]
	v_fma_f64 v[6:7], v[116:117], v[44:45], -v[6:7]
	v_add_f64 v[4:5], v[4:5], v[6:7]
	v_mul_f64 v[6:7], v[114:115], v[50:51]
	v_fma_f64 v[6:7], v[112:113], v[48:49], -v[6:7]
	v_add_f64 v[4:5], v[4:5], v[6:7]
	v_mul_f64 v[6:7], v[206:207], v[54:55]
	v_fma_f64 v[6:7], v[204:205], v[52:53], -v[6:7]
	v_add_f64 v[4:5], v[4:5], v[6:7]
	v_mul_f64 v[6:7], v[210:211], v[58:59]
	v_fma_f64 v[6:7], v[208:209], v[56:57], -v[6:7]
	v_add_f64 v[4:5], v[4:5], v[6:7]
	v_mul_f64 v[6:7], v[214:215], v[62:63]
	v_fma_f64 v[6:7], v[212:213], v[60:61], -v[6:7]
	v_add_f64 v[4:5], v[4:5], v[6:7]
	v_mul_f64 v[6:7], v[218:219], v[94:95]
	v_fma_f64 v[6:7], v[216:217], v[92:93], -v[6:7]
	v_add_f64 v[4:5], v[4:5], v[6:7]
	v_mul_f64 v[6:7], v[222:223], v[110:111]
	v_fma_f64 v[6:7], v[220:221], v[108:109], -v[6:7]
	v_add_f64 v[4:5], v[4:5], v[6:7]
	v_mul_f64 v[6:7], v[226:227], v[122:123]
	v_fma_f64 v[6:7], v[224:225], v[120:121], -v[6:7]
	v_add_f64 v[4:5], v[4:5], v[6:7]
	v_mul_f64 v[6:7], v[230:231], v[126:127]
	v_fma_f64 v[6:7], v[228:229], v[124:125], -v[6:7]
	v_add_f64 v[4:5], v[4:5], v[6:7]
	v_mul_f64 v[6:7], v[234:235], v[130:131]
	v_fma_f64 v[6:7], v[232:233], v[128:129], -v[6:7]
	v_add_f64 v[4:5], v[4:5], v[6:7]
	v_mul_f64 v[6:7], v[238:239], v[134:135]
	v_fma_f64 v[6:7], v[236:237], v[132:133], -v[6:7]
	v_add_f64 v[4:5], v[4:5], v[6:7]
	v_mul_f64 v[6:7], v[146:147], v[138:139]
	v_fma_f64 v[6:7], v[144:145], v[136:137], -v[6:7]
	v_add_f64 v[4:5], v[4:5], v[6:7]
	v_mul_f64 v[6:7], v[154:155], v[142:143]
	v_fma_f64 v[6:7], v[152:153], v[140:141], -v[6:7]
	v_add_f64 v[4:5], v[4:5], v[6:7]
	v_mul_f64 v[6:7], v[190:191], v[150:151]
	v_fma_f64 v[6:7], v[188:189], v[148:149], -v[6:7]
	v_add_f64 v[4:5], v[4:5], v[6:7]
	v_mul_f64 v[6:7], v[158:159], v[166:167]
	v_fma_f64 v[6:7], v[156:157], v[164:165], -v[6:7]
	v_add_f64 v[4:5], v[4:5], v[6:7]
	v_mul_f64 v[6:7], v[162:163], v[174:175]
	ds_read_b128 v[192:195], v2 offset:1392
	v_fma_f64 v[6:7], v[160:161], v[172:173], -v[6:7]
	v_add_f64 v[4:5], v[4:5], v[6:7]
	v_mul_f64 v[6:7], v[182:183], v[178:179]
	v_fma_f64 v[6:7], v[180:181], v[176:177], -v[6:7]
	v_add_f64 v[4:5], v[4:5], v[6:7]
	v_mul_f64 v[6:7], v[170:171], v[202:203]
	v_fma_f64 v[6:7], v[168:169], v[200:201], -v[6:7]
	s_waitcnt vmcnt(1) lgkmcnt(0)
	v_mul_f64 v[2:3], v[192:193], v[186:187]
	v_add_f64 v[4:5], v[4:5], v[6:7]
	v_mul_f64 v[6:7], v[194:195], v[186:187]
	v_fmac_f64_e32 v[2:3], v[194:195], v[184:185]
	v_fma_f64 v[6:7], v[192:193], v[184:185], -v[6:7]
	v_add_f64 v[2:3], v[250:251], v[2:3]
	v_add_f64 v[4:5], v[4:5], v[6:7]
	s_waitcnt vmcnt(0)
	v_add_f64 v[4:5], v[246:247], -v[4:5]
	v_add_f64 v[6:7], v[248:249], -v[2:3]
	scratch_store_dwordx4 off, v[4:7], off offset:160
	s_and_saveexec_b64 s[0:1], vcc
	s_cbranch_execz .LBB107_261
; %bb.260:
	scratch_load_dwordx4 v[2:5], off, s52
	v_mov_b32_e32 v6, 0
	v_mov_b32_e32 v7, v6
	;; [unrolled: 1-line block ×4, first 2 shown]
	v_accvgpr_read_b32 v0, a89
	scratch_store_dwordx4 off, v[6:9], off offset:144
	s_waitcnt vmcnt(1)
	ds_write_b128 v0, v[2:5]
.LBB107_261:
	s_or_b64 exec, exec, s[0:1]
	s_waitcnt lgkmcnt(0)
	; wave barrier
	scratch_load_dwordx4 v[184:187], off, off offset:160
	scratch_load_dwordx4 v[188:191], off, off offset:176
	;; [unrolled: 1-line block ×32, first 2 shown]
	v_mov_b32_e32 v2, 0
	ds_read_b128 v[192:195], v2 offset:848
	ds_read_b128 v[204:207], v2 offset:864
	;; [unrolled: 1-line block ×16, first 2 shown]
	v_cmp_lt_u32_e32 vcc, 7, v240
	s_waitcnt vmcnt(31) lgkmcnt(14)
	v_mul_f64 v[104:105], v[192:193], v[186:187]
	s_waitcnt vmcnt(30)
	v_mul_f64 v[106:107], v[204:205], v[190:191]
	v_fmac_f64_e32 v[104:105], v[194:195], v[184:185]
	s_waitcnt vmcnt(29) lgkmcnt(13)
	v_mul_f64 v[112:113], v[216:217], v[198:199]
	v_fmac_f64_e32 v[106:107], v[206:207], v[188:189]
	v_add_f64 v[104:105], v[104:105], 0
	s_waitcnt vmcnt(28) lgkmcnt(12)
	v_mul_f64 v[114:115], v[224:225], v[202:203]
	v_fmac_f64_e32 v[112:113], v[218:219], v[196:197]
	v_add_f64 v[104:105], v[104:105], v[106:107]
	;; [unrolled: 4-line block ×10, first 2 shown]
	ds_read_b128 v[152:155], v2 offset:1104
	ds_read_b128 v[156:159], v2 offset:1120
	s_waitcnt vmcnt(19) lgkmcnt(5)
	v_mul_f64 v[164:165], v[124:125], v[26:27]
	v_fmac_f64_e32 v[162:163], v[134:135], v[20:21]
	v_add_f64 v[104:105], v[104:105], v[160:161]
	s_waitcnt vmcnt(18) lgkmcnt(4)
	v_mul_f64 v[166:167], v[120:121], v[30:31]
	v_fmac_f64_e32 v[164:165], v[126:127], v[24:25]
	v_add_f64 v[104:105], v[104:105], v[162:163]
	;; [unrolled: 4-line block ×4, first 2 shown]
	v_add_f64 v[112:113], v[104:105], v[168:169]
	v_fmac_f64_e32 v[170:171], v[110:111], v[36:37]
	scratch_load_dwordx4 v[104:107], off, off offset:672
	s_waitcnt vmcnt(16) lgkmcnt(1)
	v_mul_f64 v[114:115], v[152:153], v[42:43]
	v_add_f64 v[112:113], v[112:113], v[170:171]
	v_fmac_f64_e32 v[114:115], v[154:155], v[40:41]
	v_add_f64 v[128:129], v[112:113], v[114:115]
	scratch_load_dwordx4 v[112:115], off, off offset:688
	s_waitcnt vmcnt(16) lgkmcnt(0)
	v_mul_f64 v[130:131], v[156:157], v[46:47]
	v_fmac_f64_e32 v[130:131], v[158:159], v[44:45]
	v_add_f64 v[168:169], v[128:129], v[130:131]
	scratch_load_dwordx4 v[128:131], off, off offset:704
	ds_read_b128 v[160:163], v2 offset:1136
	ds_read_b128 v[164:167], v2 offset:1152
	v_mul_f64 v[186:187], v[194:195], v[186:187]
	v_fma_f64 v[252:253], v[192:193], v[184:185], -v[186:187]
	ds_read_b128 v[184:187], v2 offset:1232
	s_waitcnt vmcnt(16) lgkmcnt(2)
	v_mul_f64 v[170:171], v[160:161], v[50:51]
	v_fmac_f64_e32 v[170:171], v[162:163], v[48:49]
	s_waitcnt vmcnt(15) lgkmcnt(1)
	v_mul_f64 v[174:175], v[164:165], v[54:55]
	v_add_f64 v[172:173], v[168:169], v[170:171]
	ds_read_b128 v[168:171], v2 offset:1168
	v_fmac_f64_e32 v[174:175], v[166:167], v[52:53]
	v_add_f64 v[176:177], v[172:173], v[174:175]
	ds_read_b128 v[172:175], v2 offset:1184
	v_mul_f64 v[190:191], v[206:207], v[190:191]
	s_waitcnt vmcnt(14) lgkmcnt(1)
	v_mul_f64 v[178:179], v[168:169], v[58:59]
	v_fmac_f64_e32 v[178:179], v[170:171], v[56:57]
	v_add_f64 v[180:181], v[176:177], v[178:179]
	s_waitcnt vmcnt(13) lgkmcnt(0)
	v_mul_f64 v[182:183], v[172:173], v[62:63]
	ds_read_b128 v[176:179], v2 offset:1200
	v_fmac_f64_e32 v[182:183], v[174:175], v[60:61]
	v_add_f64 v[232:233], v[180:181], v[182:183]
	ds_read_b128 v[180:183], v2 offset:1216
	v_fma_f64 v[254:255], v[204:205], v[188:189], -v[190:191]
	s_waitcnt vmcnt(12) lgkmcnt(1)
	v_mul_f64 v[234:235], v[176:177], v[66:67]
	v_fmac_f64_e32 v[234:235], v[178:179], v[64:65]
	v_add_f64 v[232:233], v[232:233], v[234:235]
	s_waitcnt vmcnt(11) lgkmcnt(0)
	v_mul_f64 v[192:193], v[180:181], v[70:71]
	v_fmac_f64_e32 v[192:193], v[182:183], v[68:69]
	ds_read_b128 v[188:191], v2 offset:1248
	s_waitcnt vmcnt(10)
	v_mul_f64 v[194:195], v[184:185], v[74:75]
	v_add_f64 v[192:193], v[232:233], v[192:193]
	v_fmac_f64_e32 v[194:195], v[186:187], v[72:73]
	v_add_f64 v[204:205], v[192:193], v[194:195]
	ds_read_b128 v[192:195], v2 offset:1264
	v_mul_f64 v[198:199], v[218:219], v[198:199]
	v_fma_f64 v[242:243], v[216:217], v[196:197], -v[198:199]
	ds_read_b128 v[196:199], v2 offset:1280
	s_waitcnt vmcnt(9) lgkmcnt(2)
	v_mul_f64 v[206:207], v[188:189], v[78:79]
	v_fmac_f64_e32 v[206:207], v[190:191], v[76:77]
	v_add_f64 v[204:205], v[204:205], v[206:207]
	s_waitcnt vmcnt(8) lgkmcnt(1)
	v_mul_f64 v[206:207], v[192:193], v[82:83]
	v_fmac_f64_e32 v[206:207], v[194:195], v[80:81]
	v_mul_f64 v[202:203], v[226:227], v[202:203]
	v_add_f64 v[204:205], v[204:205], v[206:207]
	v_fma_f64 v[234:235], v[224:225], v[200:201], -v[202:203]
	ds_read_b128 v[200:203], v2 offset:1296
	s_waitcnt vmcnt(7) lgkmcnt(1)
	v_mul_f64 v[206:207], v[196:197], v[86:87]
	v_fmac_f64_e32 v[206:207], v[198:199], v[84:85]
	v_add_f64 v[216:217], v[204:205], v[206:207]
	ds_read_b128 v[204:207], v2 offset:1312
	v_mul_f64 v[210:211], v[230:231], v[210:211]
	v_fma_f64 v[236:237], v[228:229], v[208:209], -v[210:211]
	ds_read_b128 v[208:211], v2 offset:1328
	s_waitcnt vmcnt(6) lgkmcnt(2)
	v_mul_f64 v[218:219], v[200:201], v[90:91]
	v_fmac_f64_e32 v[218:219], v[202:203], v[88:89]
	v_add_f64 v[216:217], v[216:217], v[218:219]
	s_waitcnt vmcnt(5) lgkmcnt(1)
	v_mul_f64 v[218:219], v[204:205], v[94:95]
	v_fmac_f64_e32 v[218:219], v[206:207], v[92:93]
	v_mul_f64 v[214:215], v[246:247], v[214:215]
	v_fma_f64 v[238:239], v[244:245], v[212:213], -v[214:215]
	ds_read_b128 v[212:215], v2 offset:1344
	v_add_f64 v[216:217], v[216:217], v[218:219]
	s_waitcnt vmcnt(4) lgkmcnt(1)
	v_mul_f64 v[218:219], v[208:209], v[102:103]
	v_fmac_f64_e32 v[218:219], v[210:211], v[100:101]
	v_add_f64 v[224:225], v[216:217], v[218:219]
	ds_read_b128 v[216:219], v2 offset:1360
	v_mul_f64 v[222:223], v[250:251], v[222:223]
	v_fma_f64 v[244:245], v[248:249], v[220:221], -v[222:223]
	ds_read_b128 v[220:223], v2 offset:1376
	s_waitcnt vmcnt(3) lgkmcnt(2)
	v_mul_f64 v[226:227], v[212:213], v[98:99]
	v_fmac_f64_e32 v[226:227], v[214:215], v[96:97]
	v_add_f64 v[224:225], v[224:225], v[226:227]
	s_waitcnt vmcnt(2) lgkmcnt(1)
	v_mul_f64 v[226:227], v[216:217], v[106:107]
	v_fmac_f64_e32 v[226:227], v[218:219], v[104:105]
	v_add_f64 v[224:225], v[224:225], v[226:227]
	;; [unrolled: 4-line block ×3, first 2 shown]
	ds_read_b128 v[224:227], v2 offset:1392
	v_mul_f64 v[6:7], v[150:151], v[6:7]
	v_fma_f64 v[4:5], v[148:149], v[4:5], -v[6:7]
	v_mul_f64 v[6:7], v[146:147], v[10:11]
	v_fma_f64 v[6:7], v[144:145], v[8:9], -v[6:7]
	s_waitcnt vmcnt(0) lgkmcnt(0)
	v_mul_f64 v[230:231], v[224:225], v[130:131]
	v_fmac_f64_e32 v[230:231], v[226:227], v[128:129]
	v_add_f64 v[232:233], v[228:229], v[230:231]
	v_add_f64 v[228:229], v[252:253], 0
	v_add_f64 v[228:229], v[228:229], v[254:255]
	v_add_f64 v[246:247], v[228:229], v[242:243]
	scratch_load_dwordx4 v[228:231], off, off offset:144
	v_add_f64 v[234:235], v[246:247], v[234:235]
	v_add_f64 v[234:235], v[234:235], v[236:237]
	;; [unrolled: 1-line block ×6, first 2 shown]
	v_mul_f64 v[6:7], v[142:143], v[14:15]
	v_fma_f64 v[6:7], v[140:141], v[12:13], -v[6:7]
	v_add_f64 v[4:5], v[4:5], v[6:7]
	v_mul_f64 v[6:7], v[138:139], v[18:19]
	v_fma_f64 v[6:7], v[136:137], v[16:17], -v[6:7]
	v_add_f64 v[4:5], v[4:5], v[6:7]
	v_mul_f64 v[6:7], v[134:135], v[22:23]
	v_fma_f64 v[6:7], v[132:133], v[20:21], -v[6:7]
	v_add_f64 v[4:5], v[4:5], v[6:7]
	v_mul_f64 v[6:7], v[126:127], v[26:27]
	v_fma_f64 v[6:7], v[124:125], v[24:25], -v[6:7]
	v_add_f64 v[4:5], v[4:5], v[6:7]
	v_mul_f64 v[6:7], v[122:123], v[30:31]
	v_fma_f64 v[6:7], v[120:121], v[28:29], -v[6:7]
	v_add_f64 v[4:5], v[4:5], v[6:7]
	v_mul_f64 v[6:7], v[118:119], v[34:35]
	v_fma_f64 v[6:7], v[116:117], v[32:33], -v[6:7]
	v_add_f64 v[4:5], v[4:5], v[6:7]
	v_mul_f64 v[6:7], v[110:111], v[38:39]
	v_fma_f64 v[6:7], v[108:109], v[36:37], -v[6:7]
	v_add_f64 v[4:5], v[4:5], v[6:7]
	v_mul_f64 v[6:7], v[154:155], v[42:43]
	v_fma_f64 v[6:7], v[152:153], v[40:41], -v[6:7]
	v_add_f64 v[4:5], v[4:5], v[6:7]
	v_mul_f64 v[6:7], v[158:159], v[46:47]
	v_fma_f64 v[6:7], v[156:157], v[44:45], -v[6:7]
	v_add_f64 v[4:5], v[4:5], v[6:7]
	v_mul_f64 v[6:7], v[162:163], v[50:51]
	v_fma_f64 v[6:7], v[160:161], v[48:49], -v[6:7]
	v_add_f64 v[4:5], v[4:5], v[6:7]
	v_mul_f64 v[6:7], v[166:167], v[54:55]
	v_fma_f64 v[6:7], v[164:165], v[52:53], -v[6:7]
	v_add_f64 v[4:5], v[4:5], v[6:7]
	v_mul_f64 v[6:7], v[170:171], v[58:59]
	v_fma_f64 v[6:7], v[168:169], v[56:57], -v[6:7]
	v_add_f64 v[4:5], v[4:5], v[6:7]
	v_mul_f64 v[6:7], v[174:175], v[62:63]
	v_fma_f64 v[6:7], v[172:173], v[60:61], -v[6:7]
	v_add_f64 v[4:5], v[4:5], v[6:7]
	v_mul_f64 v[6:7], v[178:179], v[66:67]
	v_fma_f64 v[6:7], v[176:177], v[64:65], -v[6:7]
	v_add_f64 v[4:5], v[4:5], v[6:7]
	v_mul_f64 v[6:7], v[182:183], v[70:71]
	v_fma_f64 v[6:7], v[180:181], v[68:69], -v[6:7]
	v_add_f64 v[4:5], v[4:5], v[6:7]
	v_mul_f64 v[6:7], v[186:187], v[74:75]
	v_fma_f64 v[6:7], v[184:185], v[72:73], -v[6:7]
	v_add_f64 v[4:5], v[4:5], v[6:7]
	v_mul_f64 v[6:7], v[190:191], v[78:79]
	v_fma_f64 v[6:7], v[188:189], v[76:77], -v[6:7]
	v_add_f64 v[4:5], v[4:5], v[6:7]
	v_mul_f64 v[6:7], v[194:195], v[82:83]
	v_fma_f64 v[6:7], v[192:193], v[80:81], -v[6:7]
	v_add_f64 v[4:5], v[4:5], v[6:7]
	v_mul_f64 v[6:7], v[198:199], v[86:87]
	v_fma_f64 v[6:7], v[196:197], v[84:85], -v[6:7]
	v_add_f64 v[4:5], v[4:5], v[6:7]
	v_mul_f64 v[6:7], v[202:203], v[90:91]
	v_fma_f64 v[6:7], v[200:201], v[88:89], -v[6:7]
	v_add_f64 v[4:5], v[4:5], v[6:7]
	v_mul_f64 v[6:7], v[206:207], v[94:95]
	v_fma_f64 v[6:7], v[204:205], v[92:93], -v[6:7]
	v_add_f64 v[4:5], v[4:5], v[6:7]
	v_mul_f64 v[6:7], v[210:211], v[102:103]
	v_fma_f64 v[6:7], v[208:209], v[100:101], -v[6:7]
	v_add_f64 v[4:5], v[4:5], v[6:7]
	v_mul_f64 v[6:7], v[214:215], v[98:99]
	v_fma_f64 v[6:7], v[212:213], v[96:97], -v[6:7]
	v_add_f64 v[4:5], v[4:5], v[6:7]
	v_mul_f64 v[6:7], v[218:219], v[106:107]
	v_fma_f64 v[6:7], v[216:217], v[104:105], -v[6:7]
	v_add_f64 v[4:5], v[4:5], v[6:7]
	v_mul_f64 v[6:7], v[222:223], v[114:115]
	v_fma_f64 v[6:7], v[220:221], v[112:113], -v[6:7]
	v_add_f64 v[4:5], v[4:5], v[6:7]
	v_mul_f64 v[6:7], v[226:227], v[130:131]
	v_fma_f64 v[6:7], v[224:225], v[128:129], -v[6:7]
	v_add_f64 v[4:5], v[4:5], v[6:7]
	s_waitcnt vmcnt(0)
	v_add_f64 v[4:5], v[228:229], -v[4:5]
	v_add_f64 v[6:7], v[230:231], -v[232:233]
	scratch_store_dwordx4 off, v[4:7], off offset:144
	s_and_saveexec_b64 s[0:1], vcc
	s_cbranch_execz .LBB107_263
; %bb.262:
	scratch_load_dwordx4 v[6:9], off, s53
	v_mov_b32_e32 v3, v2
	v_mov_b32_e32 v4, v2
	;; [unrolled: 1-line block ×3, first 2 shown]
	v_accvgpr_read_b32 v0, a89
	scratch_store_dwordx4 off, v[2:5], off offset:128
	s_waitcnt vmcnt(1)
	ds_write_b128 v0, v[6:9]
.LBB107_263:
	s_or_b64 exec, exec, s[0:1]
	s_waitcnt lgkmcnt(0)
	; wave barrier
	scratch_load_dwordx4 v[140:143], off, off offset:144
	scratch_load_dwordx4 v[144:147], off, off offset:160
	;; [unrolled: 1-line block ×16, first 2 shown]
	ds_read_b128 v[208:211], v2 offset:832
	ds_read_b128 v[200:203], v2 offset:848
	;; [unrolled: 1-line block ×3, first 2 shown]
	scratch_load_dwordx4 v[40:43], off, off offset:400
	ds_read_b128 v[204:207], v2 offset:880
	ds_read_b128 v[192:195], v2 offset:896
	;; [unrolled: 1-line block ×3, first 2 shown]
	scratch_load_dwordx4 v[44:47], off, off offset:416
	ds_read_b128 v[196:199], v2 offset:928
	ds_read_b128 v[64:67], v2 offset:944
	;; [unrolled: 1-line block ×4, first 2 shown]
	scratch_load_dwordx4 v[48:51], off, off offset:432
	ds_read_b128 v[72:75], v2 offset:992
	ds_read_b128 v[68:71], v2 offset:1008
	scratch_load_dwordx4 v[56:59], off, off offset:448
	ds_read_b128 v[92:95], v2 offset:1024
	ds_read_b128 v[88:91], v2 offset:1040
	;; [unrolled: 1-line block ×4, first 2 shown]
	scratch_load_dwordx4 v[76:79], off, off offset:464
	scratch_load_dwordx4 v[96:99], off, off offset:480
	;; [unrolled: 1-line block ×12, first 2 shown]
	ds_read_b128 v[168:171], v2 offset:1088
	v_accvgpr_write_b32 a88, v240
	v_cmp_lt_u32_e32 vcc, 6, v240
	s_waitcnt vmcnt(31) lgkmcnt(14)
	v_mul_f64 v[172:173], v[208:209], v[142:143]
	s_waitcnt vmcnt(30)
	v_mul_f64 v[174:175], v[200:201], v[146:147]
	v_fmac_f64_e32 v[172:173], v[210:211], v[140:141]
	s_waitcnt vmcnt(29)
	v_mul_f64 v[176:177], v[188:189], v[150:151]
	v_fmac_f64_e32 v[174:175], v[202:203], v[144:145]
	v_add_f64 v[172:173], v[172:173], 0
	s_waitcnt vmcnt(28) lgkmcnt(13)
	v_mul_f64 v[178:179], v[204:205], v[154:155]
	v_fmac_f64_e32 v[176:177], v[190:191], v[148:149]
	v_add_f64 v[172:173], v[172:173], v[174:175]
	s_waitcnt vmcnt(27) lgkmcnt(12)
	;; [unrolled: 4-line block ×10, first 2 shown]
	v_mul_f64 v[224:225], v[92:93], v[26:27]
	v_fmac_f64_e32 v[222:223], v[70:71], v[20:21]
	v_add_f64 v[172:173], v[172:173], v[220:221]
	ds_read_b128 v[212:215], v2 offset:1104
	s_waitcnt vmcnt(18) lgkmcnt(4)
	v_mul_f64 v[226:227], v[88:89], v[30:31]
	v_fmac_f64_e32 v[224:225], v[94:95], v[24:25]
	v_add_f64 v[172:173], v[172:173], v[222:223]
	ds_read_b128 v[216:219], v2 offset:1120
	ds_read_b128 v[220:223], v2 offset:1136
	s_waitcnt vmcnt(17) lgkmcnt(5)
	v_mul_f64 v[228:229], v[84:85], v[34:35]
	v_fmac_f64_e32 v[226:227], v[90:91], v[28:29]
	v_add_f64 v[172:173], v[172:173], v[224:225]
	s_waitcnt vmcnt(16) lgkmcnt(4)
	v_mul_f64 v[230:231], v[80:81], v[38:39]
	v_fmac_f64_e32 v[228:229], v[86:87], v[32:33]
	v_add_f64 v[172:173], v[172:173], v[226:227]
	v_add_f64 v[176:177], v[172:173], v[228:229]
	v_fmac_f64_e32 v[230:231], v[82:83], v[36:37]
	s_waitcnt vmcnt(15) lgkmcnt(3)
	v_mul_f64 v[178:179], v[168:169], v[42:43]
	v_add_f64 v[176:177], v[176:177], v[230:231]
	v_fmac_f64_e32 v[178:179], v[170:171], v[40:41]
	s_waitcnt vmcnt(14) lgkmcnt(2)
	v_mul_f64 v[182:183], v[212:213], v[46:47]
	;; [unrolled: 4-line block ×3, first 2 shown]
	v_add_f64 v[224:225], v[180:181], v[182:183]
	v_fmac_f64_e32 v[226:227], v[218:219], v[48:49]
	v_add_f64 v[228:229], v[224:225], v[226:227]
	ds_read_b128 v[224:227], v2 offset:1152
	s_waitcnt vmcnt(12) lgkmcnt(1)
	v_mul_f64 v[230:231], v[220:221], v[58:59]
	v_fmac_f64_e32 v[230:231], v[222:223], v[56:57]
	v_add_f64 v[232:233], v[228:229], v[230:231]
	ds_read_b128 v[228:231], v2 offset:1168
	s_waitcnt vmcnt(11) lgkmcnt(1)
	v_mul_f64 v[234:235], v[224:225], v[78:79]
	;; [unrolled: 5-line block ×4, first 2 shown]
	v_fmac_f64_e32 v[244:245], v[234:235], v[100:101]
	v_mul_f64 v[142:143], v[210:211], v[142:143]
	v_add_f64 v[242:243], v[242:243], v[244:245]
	v_fma_f64 v[244:245], v[208:209], v[140:141], -v[142:143]
	ds_read_b128 v[140:143], v2 offset:1216
	s_waitcnt vmcnt(8) lgkmcnt(1)
	v_mul_f64 v[208:209], v[236:237], v[106:107]
	v_fmac_f64_e32 v[208:209], v[238:239], v[104:105]
	v_mul_f64 v[146:147], v[202:203], v[146:147]
	v_add_f64 v[208:209], v[242:243], v[208:209]
	v_fma_f64 v[242:243], v[200:201], v[144:145], -v[146:147]
	ds_read_b128 v[144:147], v2 offset:1232
	s_waitcnt vmcnt(7) lgkmcnt(1)
	v_mul_f64 v[200:201], v[140:141], v[110:111]
	scratch_load_dwordx4 v[172:175], off, off offset:656
	v_fmac_f64_e32 v[200:201], v[142:143], v[108:109]
	v_add_f64 v[208:209], v[208:209], v[200:201]
	ds_read_b128 v[200:203], v2 offset:1248
	v_mul_f64 v[150:151], v[190:191], v[150:151]
	scratch_load_dwordx4 v[176:179], off, off offset:672
	scratch_load_dwordx4 v[180:183], off, off offset:688
	v_fma_f64 v[246:247], v[188:189], v[148:149], -v[150:151]
	ds_read_b128 v[148:151], v2 offset:1264
	s_waitcnt vmcnt(9) lgkmcnt(2)
	v_mul_f64 v[210:211], v[144:145], v[114:115]
	v_fmac_f64_e32 v[210:211], v[146:147], v[112:113]
	s_waitcnt vmcnt(8) lgkmcnt(1)
	v_mul_f64 v[188:189], v[200:201], v[118:119]
	v_add_f64 v[208:209], v[208:209], v[210:211]
	v_fmac_f64_e32 v[188:189], v[202:203], v[116:117]
	v_mul_f64 v[154:155], v[206:207], v[154:155]
	s_waitcnt vmcnt(7) lgkmcnt(0)
	v_mul_f64 v[190:191], v[148:149], v[122:123]
	v_add_f64 v[188:189], v[208:209], v[188:189]
	v_fma_f64 v[248:249], v[204:205], v[152:153], -v[154:155]
	ds_read_b128 v[152:155], v2 offset:1280
	v_fmac_f64_e32 v[190:191], v[150:151], v[120:121]
	v_add_f64 v[204:205], v[188:189], v[190:191]
	ds_read_b128 v[188:191], v2 offset:1296
	v_mul_f64 v[158:159], v[194:195], v[158:159]
	s_waitcnt vmcnt(6) lgkmcnt(1)
	v_mul_f64 v[206:207], v[152:153], v[126:127]
	v_fmac_f64_e32 v[206:207], v[154:155], v[124:125]
	v_fma_f64 v[250:251], v[192:193], v[156:157], -v[158:159]
	s_waitcnt vmcnt(5) lgkmcnt(0)
	v_mul_f64 v[192:193], v[188:189], v[130:131]
	v_add_f64 v[204:205], v[204:205], v[206:207]
	v_fmac_f64_e32 v[192:193], v[190:191], v[128:129]
	v_mul_f64 v[162:163], v[186:187], v[162:163]
	v_fma_f64 v[208:209], v[184:185], v[160:161], -v[162:163]
	v_add_f64 v[184:185], v[204:205], v[192:193]
	scratch_load_dwordx4 v[204:207], off, off offset:704
	v_add_f64 v[244:245], v[244:245], 0
	v_add_f64 v[242:243], v[244:245], v[242:243]
	;; [unrolled: 1-line block ×4, first 2 shown]
	scratch_load_dwordx4 v[246:249], off, off offset:128
	v_mul_f64 v[166:167], v[198:199], v[166:167]
	v_add_f64 v[244:245], v[242:243], v[250:251]
	v_fma_f64 v[210:211], v[196:197], v[164:165], -v[166:167]
	v_add_f64 v[208:209], v[244:245], v[208:209]
	v_mul_f64 v[6:7], v[66:67], v[6:7]
	v_add_f64 v[208:209], v[208:209], v[210:211]
	v_fma_f64 v[4:5], v[64:65], v[4:5], -v[6:7]
	v_mul_f64 v[6:7], v[62:63], v[10:11]
	v_add_f64 v[4:5], v[208:209], v[4:5]
	v_fma_f64 v[6:7], v[60:61], v[8:9], -v[6:7]
	v_add_f64 v[4:5], v[4:5], v[6:7]
	v_mul_f64 v[6:7], v[54:55], v[14:15]
	v_fma_f64 v[6:7], v[52:53], v[12:13], -v[6:7]
	v_add_f64 v[4:5], v[4:5], v[6:7]
	v_mul_f64 v[6:7], v[74:75], v[18:19]
	;; [unrolled: 3-line block ×12, first 2 shown]
	v_fma_f64 v[6:7], v[224:225], v[76:77], -v[6:7]
	ds_read_b128 v[156:159], v2 offset:1312
	ds_read_b128 v[160:163], v2 offset:1328
	v_add_f64 v[4:5], v[4:5], v[6:7]
	v_mul_f64 v[6:7], v[230:231], v[98:99]
	v_fma_f64 v[6:7], v[228:229], v[96:97], -v[6:7]
	v_add_f64 v[4:5], v[4:5], v[6:7]
	v_mul_f64 v[6:7], v[234:235], v[102:103]
	v_fma_f64 v[6:7], v[232:233], v[100:101], -v[6:7]
	v_add_f64 v[4:5], v[4:5], v[6:7]
	v_mul_f64 v[6:7], v[238:239], v[106:107]
	s_waitcnt vmcnt(6) lgkmcnt(1)
	v_mul_f64 v[186:187], v[156:157], v[138:139]
	v_fma_f64 v[6:7], v[236:237], v[104:105], -v[6:7]
	v_fmac_f64_e32 v[186:187], v[158:159], v[136:137]
	v_add_f64 v[4:5], v[4:5], v[6:7]
	v_mul_f64 v[6:7], v[142:143], v[110:111]
	v_add_f64 v[192:193], v[184:185], v[186:187]
	ds_read_b128 v[184:187], v2 offset:1344
	ds_read_b128 v[164:167], v2 offset:1360
	v_fma_f64 v[6:7], v[140:141], v[108:109], -v[6:7]
	v_add_f64 v[4:5], v[4:5], v[6:7]
	v_mul_f64 v[6:7], v[146:147], v[114:115]
	v_fma_f64 v[6:7], v[144:145], v[112:113], -v[6:7]
	s_waitcnt vmcnt(5) lgkmcnt(2)
	v_mul_f64 v[194:195], v[160:161], v[134:135]
	v_add_f64 v[4:5], v[4:5], v[6:7]
	v_mul_f64 v[6:7], v[202:203], v[118:119]
	v_fmac_f64_e32 v[194:195], v[162:163], v[132:133]
	v_fma_f64 v[6:7], v[200:201], v[116:117], -v[6:7]
	v_add_f64 v[192:193], v[192:193], v[194:195]
	s_waitcnt vmcnt(4) lgkmcnt(1)
	v_mul_f64 v[194:195], v[184:185], v[174:175]
	v_add_f64 v[4:5], v[4:5], v[6:7]
	v_mul_f64 v[6:7], v[150:151], v[122:123]
	v_fmac_f64_e32 v[194:195], v[186:187], v[172:173]
	v_fma_f64 v[6:7], v[148:149], v[120:121], -v[6:7]
	v_add_f64 v[192:193], v[192:193], v[194:195]
	;; [unrolled: 7-line block ×3, first 2 shown]
	ds_read_b128 v[192:195], v2 offset:1376
	v_add_f64 v[4:5], v[4:5], v[6:7]
	v_mul_f64 v[6:7], v[190:191], v[130:131]
	v_fma_f64 v[6:7], v[188:189], v[128:129], -v[6:7]
	v_add_f64 v[4:5], v[4:5], v[6:7]
	v_mul_f64 v[6:7], v[158:159], v[138:139]
	v_fma_f64 v[6:7], v[156:157], v[136:137], -v[6:7]
	v_add_f64 v[4:5], v[4:5], v[6:7]
	v_mul_f64 v[6:7], v[162:163], v[134:135]
	s_waitcnt vmcnt(2) lgkmcnt(0)
	v_mul_f64 v[198:199], v[192:193], v[182:183]
	v_fma_f64 v[6:7], v[160:161], v[132:133], -v[6:7]
	v_fmac_f64_e32 v[198:199], v[194:195], v[180:181]
	v_add_f64 v[4:5], v[4:5], v[6:7]
	v_mul_f64 v[6:7], v[186:187], v[174:175]
	v_add_f64 v[252:253], v[196:197], v[198:199]
	ds_read_b128 v[196:199], v2 offset:1392
	v_fma_f64 v[6:7], v[184:185], v[172:173], -v[6:7]
	v_add_f64 v[4:5], v[4:5], v[6:7]
	v_mul_f64 v[6:7], v[166:167], v[178:179]
	v_fma_f64 v[6:7], v[164:165], v[176:177], -v[6:7]
	v_add_f64 v[4:5], v[4:5], v[6:7]
	v_mul_f64 v[6:7], v[194:195], v[182:183]
	v_fma_f64 v[6:7], v[192:193], v[180:181], -v[6:7]
	s_waitcnt vmcnt(1) lgkmcnt(0)
	v_mul_f64 v[2:3], v[196:197], v[206:207]
	v_add_f64 v[4:5], v[4:5], v[6:7]
	v_mul_f64 v[6:7], v[198:199], v[206:207]
	v_fmac_f64_e32 v[2:3], v[198:199], v[204:205]
	v_fma_f64 v[6:7], v[196:197], v[204:205], -v[6:7]
	v_add_f64 v[2:3], v[252:253], v[2:3]
	v_add_f64 v[4:5], v[4:5], v[6:7]
	s_waitcnt vmcnt(0)
	v_add_f64 v[4:5], v[246:247], -v[4:5]
	v_add_f64 v[6:7], v[248:249], -v[2:3]
	scratch_store_dwordx4 off, v[4:7], off offset:128
	s_and_saveexec_b64 s[0:1], vcc
	s_cbranch_execz .LBB107_265
; %bb.264:
	scratch_load_dwordx4 v[2:5], off, s54
	v_mov_b32_e32 v6, 0
	v_mov_b32_e32 v7, v6
	;; [unrolled: 1-line block ×4, first 2 shown]
	v_accvgpr_read_b32 v0, a89
	scratch_store_dwordx4 off, v[6:9], off offset:112
	s_waitcnt vmcnt(1)
	ds_write_b128 v0, v[2:5]
.LBB107_265:
	s_or_b64 exec, exec, s[0:1]
	s_waitcnt lgkmcnt(0)
	; wave barrier
	scratch_load_dwordx4 v[168:171], off, off offset:128
	scratch_load_dwordx4 v[172:175], off, off offset:144
	scratch_load_dwordx4 v[180:183], off, off offset:160
	scratch_load_dwordx4 v[184:187], off, off offset:176
	scratch_load_dwordx4 v[192:195], off, off offset:192
	scratch_load_dwordx4 v[196:199], off, off offset:208
	scratch_load_dwordx4 v[204:207], off, off offset:224
	scratch_load_dwordx4 v[208:211], off, off offset:240
	scratch_load_dwordx4 v[216:219], off, off offset:256
	scratch_load_dwordx4 v[4:7], off, off offset:272
	scratch_load_dwordx4 v[8:11], off, off offset:288
	scratch_load_dwordx4 v[12:15], off, off offset:304
	scratch_load_dwordx4 v[16:19], off, off offset:320
	scratch_load_dwordx4 v[20:23], off, off offset:336
	scratch_load_dwordx4 v[24:27], off, off offset:352
	scratch_load_dwordx4 v[28:31], off, off offset:368
	scratch_load_dwordx4 v[32:35], off, off offset:384
	scratch_load_dwordx4 v[36:39], off, off offset:400
	scratch_load_dwordx4 v[40:43], off, off offset:416
	scratch_load_dwordx4 v[44:47], off, off offset:432
	scratch_load_dwordx4 v[48:51], off, off offset:448
	scratch_load_dwordx4 v[52:55], off, off offset:464
	scratch_load_dwordx4 v[56:59], off, off offset:480
	scratch_load_dwordx4 v[60:63], off, off offset:496
	scratch_load_dwordx4 v[64:67], off, off offset:512
	scratch_load_dwordx4 v[68:71], off, off offset:528
	scratch_load_dwordx4 v[72:75], off, off offset:544
	scratch_load_dwordx4 v[76:79], off, off offset:560
	scratch_load_dwordx4 v[80:83], off, off offset:576
	scratch_load_dwordx4 v[84:87], off, off offset:592
	scratch_load_dwordx4 v[92:95], off, off offset:608
	scratch_load_dwordx4 v[88:91], off, off offset:624
	v_mov_b32_e32 v2, 0
	ds_read_b128 v[176:179], v2 offset:816
	ds_read_b128 v[188:191], v2 offset:832
	;; [unrolled: 1-line block ×17, first 2 shown]
	v_accvgpr_read_b32 v0, a88
	v_cmp_lt_u32_e32 vcc, 5, v0
	s_waitcnt vmcnt(31) lgkmcnt(14)
	v_mul_f64 v[104:105], v[176:177], v[170:171]
	s_waitcnt vmcnt(30)
	v_mul_f64 v[106:107], v[188:189], v[174:175]
	v_fmac_f64_e32 v[104:105], v[178:179], v[168:169]
	s_waitcnt vmcnt(29)
	v_mul_f64 v[108:109], v[200:201], v[182:183]
	v_fmac_f64_e32 v[106:107], v[190:191], v[172:173]
	v_add_f64 v[104:105], v[104:105], 0
	s_waitcnt vmcnt(28) lgkmcnt(13)
	v_mul_f64 v[110:111], v[212:213], v[186:187]
	v_fmac_f64_e32 v[108:109], v[202:203], v[180:181]
	v_add_f64 v[104:105], v[104:105], v[106:107]
	s_waitcnt vmcnt(27) lgkmcnt(12)
	v_mul_f64 v[120:121], v[220:221], v[194:195]
	v_fmac_f64_e32 v[110:111], v[214:215], v[184:185]
	v_add_f64 v[104:105], v[104:105], v[108:109]
	s_waitcnt vmcnt(26) lgkmcnt(11)
	v_mul_f64 v[122:123], v[224:225], v[198:199]
	v_fmac_f64_e32 v[120:121], v[222:223], v[192:193]
	v_add_f64 v[104:105], v[104:105], v[110:111]
	s_waitcnt vmcnt(25) lgkmcnt(10)
	v_mul_f64 v[132:133], v[228:229], v[206:207]
	v_fmac_f64_e32 v[122:123], v[226:227], v[196:197]
	v_add_f64 v[104:105], v[104:105], v[120:121]
	s_waitcnt vmcnt(24) lgkmcnt(9)
	v_mul_f64 v[134:135], v[244:245], v[210:211]
	v_fmac_f64_e32 v[132:133], v[230:231], v[204:205]
	v_add_f64 v[104:105], v[104:105], v[122:123]
	s_waitcnt vmcnt(23) lgkmcnt(8)
	v_mul_f64 v[144:145], v[248:249], v[218:219]
	v_fmac_f64_e32 v[134:135], v[246:247], v[208:209]
	v_add_f64 v[104:105], v[104:105], v[132:133]
	s_waitcnt vmcnt(22) lgkmcnt(7)
	v_mul_f64 v[146:147], v[140:141], v[6:7]
	v_fmac_f64_e32 v[144:145], v[250:251], v[216:217]
	v_add_f64 v[104:105], v[104:105], v[134:135]
	s_waitcnt vmcnt(21) lgkmcnt(6)
	v_mul_f64 v[148:149], v[136:137], v[10:11]
	v_fmac_f64_e32 v[146:147], v[142:143], v[4:5]
	v_add_f64 v[104:105], v[104:105], v[144:145]
	s_waitcnt vmcnt(20) lgkmcnt(5)
	v_mul_f64 v[150:151], v[128:129], v[14:15]
	v_fmac_f64_e32 v[148:149], v[138:139], v[8:9]
	v_add_f64 v[104:105], v[104:105], v[146:147]
	s_waitcnt vmcnt(19) lgkmcnt(4)
	v_mul_f64 v[152:153], v[124:125], v[18:19]
	v_fmac_f64_e32 v[150:151], v[130:131], v[12:13]
	v_add_f64 v[104:105], v[104:105], v[148:149]
	s_waitcnt vmcnt(18) lgkmcnt(3)
	v_mul_f64 v[154:155], v[116:117], v[22:23]
	v_fmac_f64_e32 v[152:153], v[126:127], v[16:17]
	v_add_f64 v[104:105], v[104:105], v[150:151]
	s_waitcnt vmcnt(17) lgkmcnt(2)
	v_mul_f64 v[156:157], v[112:113], v[26:27]
	v_fmac_f64_e32 v[154:155], v[118:119], v[20:21]
	v_add_f64 v[104:105], v[104:105], v[152:153]
	v_fmac_f64_e32 v[156:157], v[114:115], v[24:25]
	v_add_f64 v[104:105], v[104:105], v[154:155]
	s_waitcnt vmcnt(16) lgkmcnt(1)
	v_mul_f64 v[106:107], v[100:101], v[30:31]
	v_add_f64 v[104:105], v[104:105], v[156:157]
	v_fmac_f64_e32 v[106:107], v[102:103], v[28:29]
	v_add_f64 v[108:109], v[104:105], v[106:107]
	ds_read_b128 v[144:147], v2 offset:1088
	ds_read_b128 v[148:151], v2 offset:1104
	scratch_load_dwordx4 v[104:107], off, off offset:640
	s_waitcnt vmcnt(16) lgkmcnt(2)
	v_mul_f64 v[110:111], v[96:97], v[34:35]
	v_fmac_f64_e32 v[110:111], v[98:99], v[32:33]
	v_add_f64 v[120:121], v[108:109], v[110:111]
	scratch_load_dwordx4 v[108:111], off, off offset:656
	s_waitcnt vmcnt(16) lgkmcnt(1)
	v_mul_f64 v[122:123], v[144:145], v[38:39]
	v_fmac_f64_e32 v[122:123], v[146:147], v[36:37]
	v_add_f64 v[132:133], v[120:121], v[122:123]
	s_waitcnt vmcnt(15) lgkmcnt(0)
	v_mul_f64 v[134:135], v[148:149], v[42:43]
	scratch_load_dwordx4 v[120:123], off, off offset:672
	v_fmac_f64_e32 v[134:135], v[150:151], v[40:41]
	v_add_f64 v[160:161], v[132:133], v[134:135]
	scratch_load_dwordx4 v[132:135], off, off offset:688
	ds_read_b128 v[152:155], v2 offset:1120
	ds_read_b128 v[156:159], v2 offset:1136
	v_mul_f64 v[170:171], v[178:179], v[170:171]
	v_fma_f64 v[242:243], v[176:177], v[168:169], -v[170:171]
	ds_read_b128 v[168:171], v2 offset:1184
	s_waitcnt vmcnt(16) lgkmcnt(2)
	v_mul_f64 v[162:163], v[152:153], v[46:47]
	v_fmac_f64_e32 v[162:163], v[154:155], v[44:45]
	s_waitcnt vmcnt(15) lgkmcnt(1)
	v_mul_f64 v[166:167], v[156:157], v[50:51]
	v_add_f64 v[164:165], v[160:161], v[162:163]
	ds_read_b128 v[160:163], v2 offset:1152
	v_fmac_f64_e32 v[166:167], v[158:159], v[48:49]
	v_add_f64 v[232:233], v[164:165], v[166:167]
	ds_read_b128 v[164:167], v2 offset:1168
	v_mul_f64 v[174:175], v[190:191], v[174:175]
	s_waitcnt vmcnt(14) lgkmcnt(1)
	v_mul_f64 v[234:235], v[160:161], v[54:55]
	v_fmac_f64_e32 v[234:235], v[162:163], v[52:53]
	v_add_f64 v[232:233], v[232:233], v[234:235]
	s_waitcnt vmcnt(13) lgkmcnt(0)
	v_mul_f64 v[176:177], v[164:165], v[58:59]
	v_fmac_f64_e32 v[176:177], v[166:167], v[56:57]
	v_fma_f64 v[252:253], v[188:189], v[172:173], -v[174:175]
	ds_read_b128 v[172:175], v2 offset:1200
	s_waitcnt vmcnt(12)
	v_mul_f64 v[178:179], v[168:169], v[62:63]
	v_add_f64 v[176:177], v[232:233], v[176:177]
	v_fmac_f64_e32 v[178:179], v[170:171], v[60:61]
	v_add_f64 v[188:189], v[176:177], v[178:179]
	ds_read_b128 v[176:179], v2 offset:1216
	v_mul_f64 v[182:183], v[202:203], v[182:183]
	v_fma_f64 v[254:255], v[200:201], v[180:181], -v[182:183]
	ds_read_b128 v[180:183], v2 offset:1232
	s_waitcnt vmcnt(11) lgkmcnt(2)
	v_mul_f64 v[190:191], v[172:173], v[66:67]
	v_fmac_f64_e32 v[190:191], v[174:175], v[64:65]
	v_add_f64 v[188:189], v[188:189], v[190:191]
	s_waitcnt vmcnt(10) lgkmcnt(1)
	v_mul_f64 v[190:191], v[176:177], v[70:71]
	v_fmac_f64_e32 v[190:191], v[178:179], v[68:69]
	v_mul_f64 v[186:187], v[214:215], v[186:187]
	v_fma_f64 v[240:241], v[212:213], v[184:185], -v[186:187]
	ds_read_b128 v[184:187], v2 offset:1248
	v_add_f64 v[188:189], v[188:189], v[190:191]
	s_waitcnt vmcnt(9) lgkmcnt(1)
	v_mul_f64 v[190:191], v[180:181], v[74:75]
	v_fmac_f64_e32 v[190:191], v[182:183], v[72:73]
	v_add_f64 v[200:201], v[188:189], v[190:191]
	ds_read_b128 v[188:191], v2 offset:1264
	v_mul_f64 v[194:195], v[222:223], v[194:195]
	v_fma_f64 v[232:233], v[220:221], v[192:193], -v[194:195]
	ds_read_b128 v[192:195], v2 offset:1280
	s_waitcnt vmcnt(8) lgkmcnt(2)
	v_mul_f64 v[202:203], v[184:185], v[78:79]
	v_fmac_f64_e32 v[202:203], v[186:187], v[76:77]
	v_add_f64 v[200:201], v[200:201], v[202:203]
	s_waitcnt vmcnt(7) lgkmcnt(1)
	v_mul_f64 v[202:203], v[188:189], v[82:83]
	v_fmac_f64_e32 v[202:203], v[190:191], v[80:81]
	v_mul_f64 v[198:199], v[226:227], v[198:199]
	v_add_f64 v[200:201], v[200:201], v[202:203]
	v_fma_f64 v[234:235], v[224:225], v[196:197], -v[198:199]
	ds_read_b128 v[196:199], v2 offset:1296
	s_waitcnt vmcnt(6) lgkmcnt(1)
	v_mul_f64 v[202:203], v[192:193], v[86:87]
	v_fmac_f64_e32 v[202:203], v[194:195], v[84:85]
	v_add_f64 v[212:213], v[200:201], v[202:203]
	ds_read_b128 v[200:203], v2 offset:1312
	v_mul_f64 v[206:207], v[230:231], v[206:207]
	v_fma_f64 v[236:237], v[228:229], v[204:205], -v[206:207]
	ds_read_b128 v[204:207], v2 offset:1328
	s_waitcnt vmcnt(5) lgkmcnt(2)
	v_mul_f64 v[214:215], v[196:197], v[94:95]
	v_fmac_f64_e32 v[214:215], v[198:199], v[92:93]
	v_add_f64 v[212:213], v[212:213], v[214:215]
	s_waitcnt vmcnt(4) lgkmcnt(1)
	v_mul_f64 v[214:215], v[200:201], v[90:91]
	v_fmac_f64_e32 v[214:215], v[202:203], v[88:89]
	v_mul_f64 v[210:211], v[246:247], v[210:211]
	v_fma_f64 v[238:239], v[244:245], v[208:209], -v[210:211]
	ds_read_b128 v[208:211], v2 offset:1344
	v_add_f64 v[212:213], v[212:213], v[214:215]
	s_waitcnt vmcnt(3) lgkmcnt(1)
	v_mul_f64 v[214:215], v[204:205], v[106:107]
	v_fmac_f64_e32 v[214:215], v[206:207], v[104:105]
	v_add_f64 v[220:221], v[212:213], v[214:215]
	ds_read_b128 v[212:215], v2 offset:1360
	v_mul_f64 v[218:219], v[250:251], v[218:219]
	v_fma_f64 v[244:245], v[248:249], v[216:217], -v[218:219]
	ds_read_b128 v[216:219], v2 offset:1376
	ds_read_b128 v[224:227], v2 offset:1392
	s_waitcnt vmcnt(2) lgkmcnt(3)
	v_mul_f64 v[222:223], v[208:209], v[110:111]
	v_fmac_f64_e32 v[222:223], v[210:211], v[108:109]
	v_add_f64 v[220:221], v[220:221], v[222:223]
	s_waitcnt vmcnt(1) lgkmcnt(2)
	v_mul_f64 v[222:223], v[212:213], v[122:123]
	v_fmac_f64_e32 v[222:223], v[214:215], v[120:121]
	v_add_f64 v[220:221], v[220:221], v[222:223]
	;; [unrolled: 4-line block ×3, first 2 shown]
	scratch_load_dwordx4 v[220:223], off, off offset:704
	v_mul_f64 v[6:7], v[142:143], v[6:7]
	v_fma_f64 v[4:5], v[140:141], v[4:5], -v[6:7]
	v_mul_f64 v[6:7], v[138:139], v[10:11]
	v_fma_f64 v[6:7], v[136:137], v[8:9], -v[6:7]
	s_waitcnt vmcnt(0) lgkmcnt(0)
	v_mul_f64 v[230:231], v[224:225], v[222:223]
	v_fmac_f64_e32 v[230:231], v[226:227], v[220:221]
	v_add_f64 v[248:249], v[228:229], v[230:231]
	v_add_f64 v[228:229], v[242:243], 0
	;; [unrolled: 1-line block ×6, first 2 shown]
	scratch_load_dwordx4 v[228:231], off, off offset:112
	v_add_f64 v[232:233], v[246:247], v[234:235]
	v_add_f64 v[232:233], v[232:233], v[236:237]
	;; [unrolled: 1-line block ×6, first 2 shown]
	v_mul_f64 v[6:7], v[130:131], v[14:15]
	v_fma_f64 v[6:7], v[128:129], v[12:13], -v[6:7]
	v_add_f64 v[4:5], v[4:5], v[6:7]
	v_mul_f64 v[6:7], v[126:127], v[18:19]
	v_fma_f64 v[6:7], v[124:125], v[16:17], -v[6:7]
	v_add_f64 v[4:5], v[4:5], v[6:7]
	;; [unrolled: 3-line block ×26, first 2 shown]
	s_waitcnt vmcnt(0)
	v_add_f64 v[4:5], v[228:229], -v[4:5]
	v_add_f64 v[6:7], v[230:231], -v[248:249]
	scratch_store_dwordx4 off, v[4:7], off offset:112
	s_and_saveexec_b64 s[0:1], vcc
	s_cbranch_execz .LBB107_267
; %bb.266:
	scratch_load_dwordx4 v[6:9], off, s55
	v_mov_b32_e32 v3, v2
	v_mov_b32_e32 v4, v2
	;; [unrolled: 1-line block ×3, first 2 shown]
	v_accvgpr_read_b32 v0, a89
	scratch_store_dwordx4 off, v[2:5], off offset:96
	s_waitcnt vmcnt(1)
	ds_write_b128 v0, v[6:9]
.LBB107_267:
	s_or_b64 exec, exec, s[0:1]
	s_waitcnt lgkmcnt(0)
	; wave barrier
	scratch_load_dwordx4 v[168:171], off, off offset:112
	scratch_load_dwordx4 v[172:175], off, off offset:128
	;; [unrolled: 1-line block ×16, first 2 shown]
	ds_read_b128 v[232:235], v2 offset:800
	ds_read_b128 v[176:179], v2 offset:816
	scratch_load_dwordx4 v[32:35], off, off offset:368
	ds_read_b128 v[236:239], v2 offset:832
	ds_read_b128 v[188:191], v2 offset:848
	;; [unrolled: 1-line block ×5, first 2 shown]
	scratch_load_dwordx4 v[36:39], off, off offset:384
	ds_read_b128 v[224:227], v2 offset:912
	ds_read_b128 v[220:223], v2 offset:928
	;; [unrolled: 1-line block ×3, first 2 shown]
	scratch_load_dwordx4 v[40:43], off, off offset:400
	ds_read_b128 v[64:67], v2 offset:960
	ds_read_b128 v[60:63], v2 offset:976
	;; [unrolled: 1-line block ×4, first 2 shown]
	scratch_load_dwordx4 v[48:51], off, off offset:416
	ds_read_b128 v[80:83], v2 offset:1024
	ds_read_b128 v[72:75], v2 offset:1040
	;; [unrolled: 1-line block ×3, first 2 shown]
	scratch_load_dwordx4 v[76:79], off, off offset:432
	scratch_load_dwordx4 v[84:87], off, off offset:448
	;; [unrolled: 1-line block ×12, first 2 shown]
	v_accvgpr_read_b32 v0, a88
	v_cmp_lt_u32_e32 vcc, 4, v0
	s_waitcnt vmcnt(31) lgkmcnt(14)
	v_mul_f64 v[128:129], v[232:233], v[170:171]
	s_waitcnt vmcnt(30)
	v_mul_f64 v[130:131], v[176:177], v[174:175]
	v_fmac_f64_e32 v[128:129], v[234:235], v[168:169]
	s_waitcnt vmcnt(29)
	v_mul_f64 v[132:133], v[236:237], v[182:183]
	v_fmac_f64_e32 v[130:131], v[178:179], v[172:173]
	v_add_f64 v[128:129], v[128:129], 0
	s_waitcnt vmcnt(28) lgkmcnt(13)
	v_mul_f64 v[134:135], v[188:189], v[186:187]
	v_fmac_f64_e32 v[132:133], v[238:239], v[180:181]
	v_add_f64 v[128:129], v[128:129], v[130:131]
	s_waitcnt vmcnt(27) lgkmcnt(12)
	;; [unrolled: 4-line block ×13, first 2 shown]
	v_mul_f64 v[158:159], v[72:73], v[30:31]
	v_fmac_f64_e32 v[156:157], v[82:83], v[24:25]
	v_add_f64 v[128:129], v[128:129], v[154:155]
	v_add_f64 v[128:129], v[128:129], v[156:157]
	v_fmac_f64_e32 v[158:159], v[74:75], v[28:29]
	v_add_f64 v[132:133], v[128:129], v[158:159]
	ds_read_b128 v[144:147], v2 offset:1072
	ds_read_b128 v[148:151], v2 offset:1088
	scratch_load_dwordx4 v[128:131], off, off offset:624
	s_waitcnt vmcnt(16) lgkmcnt(2)
	v_mul_f64 v[134:135], v[68:69], v[34:35]
	v_fmac_f64_e32 v[134:135], v[70:71], v[32:33]
	s_waitcnt vmcnt(15) lgkmcnt(1)
	v_mul_f64 v[138:139], v[144:145], v[38:39]
	v_add_f64 v[136:137], v[132:133], v[134:135]
	scratch_load_dwordx4 v[132:135], off, off offset:640
	v_fmac_f64_e32 v[138:139], v[146:147], v[36:37]
	v_add_f64 v[140:141], v[136:137], v[138:139]
	s_waitcnt vmcnt(15) lgkmcnt(0)
	v_mul_f64 v[142:143], v[148:149], v[42:43]
	scratch_load_dwordx4 v[136:139], off, off offset:656
	v_fmac_f64_e32 v[142:143], v[150:151], v[40:41]
	v_add_f64 v[160:161], v[140:141], v[142:143]
	scratch_load_dwordx4 v[140:143], off, off offset:672
	ds_read_b128 v[152:155], v2 offset:1104
	ds_read_b128 v[156:159], v2 offset:1120
	v_mul_f64 v[170:171], v[234:235], v[170:171]
	v_mul_f64 v[174:175], v[178:179], v[174:175]
	;; [unrolled: 1-line block ×3, first 2 shown]
	s_waitcnt vmcnt(16) lgkmcnt(1)
	v_mul_f64 v[162:163], v[152:153], v[50:51]
	v_fmac_f64_e32 v[162:163], v[154:155], v[48:49]
	v_add_f64 v[164:165], v[160:161], v[162:163]
	ds_read_b128 v[160:163], v2 offset:1136
	s_waitcnt vmcnt(15) lgkmcnt(1)
	v_mul_f64 v[166:167], v[156:157], v[78:79]
	v_fmac_f64_e32 v[166:167], v[158:159], v[76:77]
	v_add_f64 v[240:241], v[164:165], v[166:167]
	ds_read_b128 v[164:167], v2 offset:1152
	s_waitcnt vmcnt(14) lgkmcnt(1)
	v_mul_f64 v[242:243], v[160:161], v[86:87]
	v_fmac_f64_e32 v[242:243], v[162:163], v[84:85]
	v_add_f64 v[240:241], v[240:241], v[242:243]
	v_fma_f64 v[242:243], v[232:233], v[168:169], -v[170:171]
	ds_read_b128 v[168:171], v2 offset:1168
	s_waitcnt vmcnt(13) lgkmcnt(1)
	v_mul_f64 v[232:233], v[164:165], v[90:91]
	v_fmac_f64_e32 v[232:233], v[166:167], v[88:89]
	v_add_f64 v[232:233], v[240:241], v[232:233]
	v_fma_f64 v[240:241], v[176:177], v[172:173], -v[174:175]
	ds_read_b128 v[172:175], v2 offset:1184
	s_waitcnt vmcnt(12) lgkmcnt(1)
	v_mul_f64 v[176:177], v[168:169], v[94:95]
	v_fmac_f64_e32 v[176:177], v[170:171], v[92:93]
	v_add_f64 v[232:233], v[232:233], v[176:177]
	ds_read_b128 v[176:179], v2 offset:1200
	v_fma_f64 v[236:237], v[236:237], v[180:181], -v[182:183]
	ds_read_b128 v[180:183], v2 offset:1216
	s_waitcnt vmcnt(11) lgkmcnt(2)
	v_mul_f64 v[234:235], v[172:173], v[98:99]
	v_fmac_f64_e32 v[234:235], v[174:175], v[96:97]
	v_add_f64 v[232:233], v[232:233], v[234:235]
	s_waitcnt vmcnt(10) lgkmcnt(1)
	v_mul_f64 v[234:235], v[176:177], v[102:103]
	v_fmac_f64_e32 v[234:235], v[178:179], v[100:101]
	v_mul_f64 v[186:187], v[190:191], v[186:187]
	s_waitcnt vmcnt(9) lgkmcnt(0)
	v_mul_f64 v[190:191], v[180:181], v[106:107]
	v_fma_f64 v[238:239], v[188:189], v[184:185], -v[186:187]
	ds_read_b128 v[184:187], v2 offset:1232
	v_add_f64 v[188:189], v[232:233], v[234:235]
	v_fmac_f64_e32 v[190:191], v[182:183], v[104:105]
	v_add_f64 v[232:233], v[188:189], v[190:191]
	ds_read_b128 v[188:191], v2 offset:1248
	v_mul_f64 v[194:195], v[230:231], v[194:195]
	v_fma_f64 v[248:249], v[228:229], v[192:193], -v[194:195]
	ds_read_b128 v[192:195], v2 offset:1264
	s_waitcnt vmcnt(8) lgkmcnt(2)
	v_mul_f64 v[234:235], v[184:185], v[110:111]
	v_fmac_f64_e32 v[234:235], v[186:187], v[108:109]
	s_waitcnt vmcnt(7) lgkmcnt(1)
	v_mul_f64 v[228:229], v[188:189], v[114:115]
	v_mul_f64 v[198:199], v[202:203], v[198:199]
	v_add_f64 v[232:233], v[232:233], v[234:235]
	v_fmac_f64_e32 v[228:229], v[190:191], v[112:113]
	v_fma_f64 v[250:251], v[200:201], v[196:197], -v[198:199]
	ds_read_b128 v[196:199], v2 offset:1280
	s_waitcnt vmcnt(6) lgkmcnt(1)
	v_mul_f64 v[200:201], v[192:193], v[118:119]
	v_add_f64 v[228:229], v[232:233], v[228:229]
	v_fmac_f64_e32 v[200:201], v[194:195], v[116:117]
	v_add_f64 v[228:229], v[228:229], v[200:201]
	ds_read_b128 v[200:203], v2 offset:1296
	v_mul_f64 v[206:207], v[214:215], v[206:207]
	v_add_f64 v[242:243], v[242:243], 0
	v_fma_f64 v[252:253], v[212:213], v[204:205], -v[206:207]
	ds_read_b128 v[204:207], v2 offset:1312
	v_add_f64 v[240:241], v[242:243], v[240:241]
	v_add_f64 v[236:237], v[240:241], v[236:237]
	;; [unrolled: 1-line block ×3, first 2 shown]
	s_waitcnt vmcnt(5) lgkmcnt(2)
	v_mul_f64 v[230:231], v[196:197], v[126:127]
	v_add_f64 v[236:237], v[236:237], v[248:249]
	v_fmac_f64_e32 v[230:231], v[198:199], v[124:125]
	s_waitcnt vmcnt(4) lgkmcnt(1)
	v_mul_f64 v[212:213], v[200:201], v[122:123]
	v_add_f64 v[236:237], v[236:237], v[250:251]
	v_add_f64 v[228:229], v[228:229], v[230:231]
	v_fmac_f64_e32 v[212:213], v[202:203], v[120:121]
	v_mul_f64 v[210:211], v[226:227], v[210:211]
	v_add_f64 v[248:249], v[236:237], v[252:253]
	scratch_load_dwordx4 v[236:239], off, off offset:96
	s_waitcnt vmcnt(4) lgkmcnt(0)
	v_mul_f64 v[214:215], v[204:205], v[130:131]
	v_fma_f64 v[244:245], v[224:225], v[208:209], -v[210:211]
	ds_read_b128 v[208:211], v2 offset:1328
	v_add_f64 v[212:213], v[228:229], v[212:213]
	v_fmac_f64_e32 v[214:215], v[206:207], v[128:129]
	v_add_f64 v[224:225], v[212:213], v[214:215]
	ds_read_b128 v[212:215], v2 offset:1344
	v_mul_f64 v[218:219], v[222:223], v[218:219]
	v_fma_f64 v[246:247], v[220:221], v[216:217], -v[218:219]
	ds_read_b128 v[216:219], v2 offset:1360
	s_waitcnt vmcnt(3) lgkmcnt(2)
	v_mul_f64 v[220:221], v[208:209], v[134:135]
	v_fmac_f64_e32 v[220:221], v[210:211], v[132:133]
	s_waitcnt vmcnt(2) lgkmcnt(1)
	v_mul_f64 v[222:223], v[212:213], v[138:139]
	v_add_f64 v[220:221], v[224:225], v[220:221]
	v_fmac_f64_e32 v[222:223], v[214:215], v[136:137]
	v_add_f64 v[220:221], v[220:221], v[222:223]
	ds_read_b128 v[224:227], v2 offset:1376
	scratch_load_dwordx4 v[232:235], off, off offset:704
	s_waitcnt vmcnt(2) lgkmcnt(1)
	v_mul_f64 v[222:223], v[216:217], v[142:143]
	v_fmac_f64_e32 v[222:223], v[218:219], v[140:141]
	v_add_f64 v[228:229], v[220:221], v[222:223]
	scratch_load_dwordx4 v[220:223], off, off offset:688
	v_add_f64 v[240:241], v[248:249], v[244:245]
	v_mul_f64 v[6:7], v[46:47], v[6:7]
	v_add_f64 v[240:241], v[240:241], v[246:247]
	v_fma_f64 v[4:5], v[44:45], v[4:5], -v[6:7]
	v_mul_f64 v[6:7], v[66:67], v[10:11]
	v_add_f64 v[4:5], v[240:241], v[4:5]
	v_fma_f64 v[6:7], v[64:65], v[8:9], -v[6:7]
	v_add_f64 v[4:5], v[4:5], v[6:7]
	v_mul_f64 v[6:7], v[62:63], v[14:15]
	v_fma_f64 v[6:7], v[60:61], v[12:13], -v[6:7]
	v_add_f64 v[4:5], v[4:5], v[6:7]
	v_mul_f64 v[6:7], v[58:59], v[18:19]
	;; [unrolled: 3-line block ×24, first 2 shown]
	v_fma_f64 v[6:7], v[212:213], v[136:137], -v[6:7]
	s_waitcnt vmcnt(0) lgkmcnt(0)
	v_mul_f64 v[230:231], v[224:225], v[222:223]
	v_fmac_f64_e32 v[230:231], v[226:227], v[220:221]
	v_add_f64 v[254:255], v[228:229], v[230:231]
	ds_read_b128 v[228:231], v2 offset:1392
	v_add_f64 v[4:5], v[4:5], v[6:7]
	v_mul_f64 v[6:7], v[218:219], v[142:143]
	v_fma_f64 v[6:7], v[216:217], v[140:141], -v[6:7]
	v_add_f64 v[4:5], v[4:5], v[6:7]
	v_mul_f64 v[6:7], v[226:227], v[222:223]
	v_fma_f64 v[6:7], v[224:225], v[220:221], -v[6:7]
	s_waitcnt lgkmcnt(0)
	v_mul_f64 v[2:3], v[228:229], v[234:235]
	v_add_f64 v[4:5], v[4:5], v[6:7]
	v_mul_f64 v[6:7], v[230:231], v[234:235]
	v_fmac_f64_e32 v[2:3], v[230:231], v[232:233]
	v_fma_f64 v[6:7], v[228:229], v[232:233], -v[6:7]
	v_add_f64 v[2:3], v[254:255], v[2:3]
	v_add_f64 v[4:5], v[4:5], v[6:7]
	v_add_f64 v[4:5], v[236:237], -v[4:5]
	v_add_f64 v[6:7], v[238:239], -v[2:3]
	scratch_store_dwordx4 off, v[4:7], off offset:96
	s_and_saveexec_b64 s[0:1], vcc
	s_cbranch_execz .LBB107_269
; %bb.268:
	scratch_load_dwordx4 v[2:5], off, s56
	v_mov_b32_e32 v6, 0
	v_mov_b32_e32 v7, v6
	;; [unrolled: 1-line block ×4, first 2 shown]
	v_accvgpr_read_b32 v0, a89
	scratch_store_dwordx4 off, v[6:9], off offset:80
	s_waitcnt vmcnt(1)
	ds_write_b128 v0, v[2:5]
.LBB107_269:
	s_or_b64 exec, exec, s[0:1]
	s_waitcnt lgkmcnt(0)
	; wave barrier
	scratch_load_dwordx4 v[80:83], off, off offset:96
	scratch_load_dwordx4 v[84:87], off, off offset:112
	;; [unrolled: 1-line block ×31, first 2 shown]
	v_mov_b32_e32 v2, 0
	ds_read_b128 v[196:199], v2 offset:784
	ds_read_b128 v[200:203], v2 offset:800
	;; [unrolled: 1-line block ×20, first 2 shown]
	s_waitcnt vmcnt(30) lgkmcnt(14)
	v_mul_f64 v[140:141], v[196:197], v[82:83]
	s_waitcnt vmcnt(29)
	v_mul_f64 v[142:143], v[200:201], v[86:87]
	v_fmac_f64_e32 v[140:141], v[198:199], v[80:81]
	s_waitcnt vmcnt(28)
	v_mul_f64 v[152:153], v[204:205], v[90:91]
	v_fmac_f64_e32 v[142:143], v[202:203], v[84:85]
	v_add_f64 v[140:141], v[140:141], 0
	s_waitcnt vmcnt(27)
	v_mul_f64 v[154:155], v[208:209], v[94:95]
	v_fmac_f64_e32 v[152:153], v[206:207], v[88:89]
	v_add_f64 v[140:141], v[140:141], v[142:143]
	;; [unrolled: 4-line block ×4, first 2 shown]
	s_waitcnt vmcnt(24) lgkmcnt(13)
	v_mul_f64 v[164:165], v[220:221], v[106:107]
	v_fmac_f64_e32 v[162:163], v[218:219], v[100:101]
	v_add_f64 v[140:141], v[140:141], v[160:161]
	s_waitcnt vmcnt(23) lgkmcnt(12)
	v_mul_f64 v[166:167], v[224:225], v[110:111]
	v_fmac_f64_e32 v[164:165], v[222:223], v[104:105]
	v_add_f64 v[140:141], v[140:141], v[162:163]
	;; [unrolled: 4-line block ×8, first 2 shown]
	v_fmac_f64_e32 v[178:179], v[146:147], v[12:13]
	v_add_f64 v[140:141], v[140:141], v[176:177]
	v_add_f64 v[140:141], v[140:141], v[178:179]
	ds_read_b128 v[176:179], v2 offset:1056
	s_waitcnt vmcnt(16) lgkmcnt(6)
	v_mul_f64 v[180:181], v[136:137], v[18:19]
	s_waitcnt vmcnt(15) lgkmcnt(5)
	v_mul_f64 v[182:183], v[132:133], v[22:23]
	v_fmac_f64_e32 v[180:181], v[138:139], v[16:17]
	v_add_f64 v[152:153], v[140:141], v[180:181]
	v_fmac_f64_e32 v[182:183], v[134:135], v[20:21]
	scratch_load_dwordx4 v[140:143], off, off offset:592
	s_waitcnt vmcnt(15) lgkmcnt(4)
	v_mul_f64 v[154:155], v[128:129], v[26:27]
	v_add_f64 v[152:153], v[152:153], v[182:183]
	v_fmac_f64_e32 v[154:155], v[130:131], v[24:25]
	v_add_f64 v[160:161], v[152:153], v[154:155]
	ds_read_b128 v[180:183], v2 offset:1072
	s_waitcnt vmcnt(14) lgkmcnt(1)
	v_mul_f64 v[162:163], v[176:177], v[30:31]
	scratch_load_dwordx4 v[152:155], off, off offset:608
	v_fmac_f64_e32 v[162:163], v[178:179], v[28:29]
	v_add_f64 v[164:165], v[160:161], v[162:163]
	scratch_load_dwordx4 v[160:163], off, off offset:624
	s_waitcnt vmcnt(15) lgkmcnt(0)
	v_mul_f64 v[166:167], v[180:181], v[34:35]
	v_fmac_f64_e32 v[166:167], v[182:183], v[32:33]
	v_add_f64 v[168:169], v[164:165], v[166:167]
	s_waitcnt vmcnt(14)
	v_mul_f64 v[170:171], v[184:185], v[38:39]
	scratch_load_dwordx4 v[164:167], off, off offset:640
	v_fmac_f64_e32 v[170:171], v[186:187], v[36:37]
	v_add_f64 v[168:169], v[168:169], v[170:171]
	s_waitcnt vmcnt(14)
	v_mul_f64 v[170:171], v[188:189], v[42:43]
	scratch_load_dwordx4 v[172:175], off, off offset:656
	v_fmac_f64_e32 v[170:171], v[190:191], v[40:41]
	v_add_f64 v[232:233], v[168:169], v[170:171]
	scratch_load_dwordx4 v[168:171], off, off offset:672
	v_mul_f64 v[82:83], v[198:199], v[82:83]
	v_fma_f64 v[240:241], v[196:197], v[80:81], -v[82:83]
	ds_read_b128 v[196:199], v2 offset:1136
	s_waitcnt vmcnt(15)
	v_mul_f64 v[80:81], v[192:193], v[46:47]
	v_fmac_f64_e32 v[80:81], v[194:195], v[44:45]
	v_add_f64 v[232:233], v[232:233], v[80:81]
	v_mul_f64 v[80:81], v[202:203], v[86:87]
	v_fma_f64 v[242:243], v[200:201], v[84:85], -v[80:81]
	scratch_load_dwordx4 v[80:83], off, off offset:688
	ds_read_b128 v[84:87], v2 offset:1152
	v_mul_f64 v[90:91], v[206:207], v[90:91]
	v_fma_f64 v[252:253], v[204:205], v[88:89], -v[90:91]
	ds_read_b128 v[88:91], v2 offset:1168
	s_waitcnt vmcnt(15) lgkmcnt(2)
	v_mul_f64 v[200:201], v[196:197], v[50:51]
	v_fmac_f64_e32 v[200:201], v[198:199], v[48:49]
	s_waitcnt vmcnt(14) lgkmcnt(1)
	v_mul_f64 v[202:203], v[84:85], v[54:55]
	v_add_f64 v[200:201], v[232:233], v[200:201]
	v_fmac_f64_e32 v[202:203], v[86:87], v[52:53]
	v_mul_f64 v[94:95], v[210:211], v[94:95]
	v_fma_f64 v[254:255], v[208:209], v[92:93], -v[94:95]
	ds_read_b128 v[92:95], v2 offset:1184
	v_add_f64 v[200:201], v[200:201], v[202:203]
	s_waitcnt vmcnt(13) lgkmcnt(1)
	v_mul_f64 v[202:203], v[88:89], v[58:59]
	v_fmac_f64_e32 v[202:203], v[90:91], v[56:57]
	v_add_f64 v[204:205], v[200:201], v[202:203]
	ds_read_b128 v[200:203], v2 offset:1200
	v_mul_f64 v[98:99], v[214:215], v[98:99]
	v_fma_f64 v[232:233], v[212:213], v[96:97], -v[98:99]
	ds_read_b128 v[96:99], v2 offset:1216
	s_waitcnt vmcnt(12) lgkmcnt(2)
	v_mul_f64 v[206:207], v[92:93], v[62:63]
	v_fmac_f64_e32 v[206:207], v[94:95], v[60:61]
	v_add_f64 v[204:205], v[204:205], v[206:207]
	s_waitcnt vmcnt(11) lgkmcnt(1)
	v_mul_f64 v[206:207], v[200:201], v[66:67]
	v_fmac_f64_e32 v[206:207], v[202:203], v[64:65]
	v_mul_f64 v[102:103], v[218:219], v[102:103]
	v_add_f64 v[204:205], v[204:205], v[206:207]
	v_fma_f64 v[4:5], v[216:217], v[100:101], -v[102:103]
	ds_read_b128 v[100:103], v2 offset:1232
	s_waitcnt vmcnt(10) lgkmcnt(1)
	v_mul_f64 v[206:207], v[96:97], v[70:71]
	v_fmac_f64_e32 v[206:207], v[98:99], v[68:69]
	v_add_f64 v[208:209], v[204:205], v[206:207]
	ds_read_b128 v[204:207], v2 offset:1248
	v_mul_f64 v[106:107], v[222:223], v[106:107]
	v_fma_f64 v[0:1], v[220:221], v[104:105], -v[106:107]
	ds_read_b128 v[104:107], v2 offset:1264
	s_waitcnt vmcnt(9) lgkmcnt(2)
	v_mul_f64 v[210:211], v[100:101], v[74:75]
	v_fmac_f64_e32 v[210:211], v[102:103], v[72:73]
	v_add_f64 v[208:209], v[208:209], v[210:211]
	s_waitcnt vmcnt(8) lgkmcnt(1)
	v_mul_f64 v[210:211], v[204:205], v[78:79]
	v_fmac_f64_e32 v[210:211], v[206:207], v[76:77]
	v_mul_f64 v[6:7], v[226:227], v[110:111]
	v_fma_f64 v[6:7], v[224:225], v[108:109], -v[6:7]
	ds_read_b128 v[108:111], v2 offset:1280
	v_add_f64 v[208:209], v[208:209], v[210:211]
	s_waitcnt vmcnt(7) lgkmcnt(1)
	v_mul_f64 v[210:211], v[104:105], v[126:127]
	v_fmac_f64_e32 v[210:211], v[106:107], v[124:125]
	v_mul_f64 v[114:115], v[230:231], v[114:115]
	v_add_f64 v[212:213], v[208:209], v[210:211]
	ds_read_b128 v[208:211], v2 offset:1296
	v_fma_f64 v[112:113], v[228:229], v[112:113], -v[114:115]
	v_accvgpr_write_b32 a90, v112
	v_accvgpr_write_b32 a91, v113
	ds_read_b128 v[112:115], v2 offset:1312
	s_waitcnt vmcnt(6) lgkmcnt(2)
	v_mul_f64 v[214:215], v[108:109], v[142:143]
	v_fmac_f64_e32 v[214:215], v[110:111], v[140:141]
	v_add_f64 v[212:213], v[212:213], v[214:215]
	s_waitcnt vmcnt(5) lgkmcnt(1)
	v_mul_f64 v[214:215], v[208:209], v[154:155]
	v_fmac_f64_e32 v[214:215], v[210:211], v[152:153]
	v_mul_f64 v[118:119], v[246:247], v[118:119]
	v_add_f64 v[212:213], v[212:213], v[214:215]
	v_fma_f64 v[238:239], v[244:245], v[116:117], -v[118:119]
	ds_read_b128 v[116:119], v2 offset:1328
	s_waitcnt vmcnt(4) lgkmcnt(1)
	v_mul_f64 v[214:215], v[112:113], v[162:163]
	v_fmac_f64_e32 v[214:215], v[114:115], v[160:161]
	v_add_f64 v[216:217], v[212:213], v[214:215]
	ds_read_b128 v[212:215], v2 offset:1344
	v_mul_f64 v[122:123], v[250:251], v[122:123]
	v_fma_f64 v[244:245], v[248:249], v[120:121], -v[122:123]
	ds_read_b128 v[120:123], v2 offset:1360
	s_waitcnt vmcnt(3) lgkmcnt(2)
	v_mul_f64 v[218:219], v[116:117], v[166:167]
	v_fmac_f64_e32 v[218:219], v[118:119], v[164:165]
	v_add_f64 v[216:217], v[216:217], v[218:219]
	s_waitcnt vmcnt(2) lgkmcnt(1)
	v_mul_f64 v[218:219], v[212:213], v[174:175]
	v_fmac_f64_e32 v[218:219], v[214:215], v[172:173]
	v_add_f64 v[216:217], v[216:217], v[218:219]
	s_waitcnt vmcnt(1) lgkmcnt(0)
	v_mul_f64 v[218:219], v[120:121], v[170:171]
	v_fmac_f64_e32 v[218:219], v[122:123], v[168:169]
	v_add_f64 v[220:221], v[216:217], v[218:219]
	ds_read_b128 v[216:219], v2 offset:1376
	ds_read_b128 v[224:227], v2 offset:1392
	s_waitcnt vmcnt(0) lgkmcnt(1)
	v_mul_f64 v[222:223], v[216:217], v[82:83]
	v_fmac_f64_e32 v[222:223], v[218:219], v[80:81]
	v_add_f64 v[228:229], v[220:221], v[222:223]
	scratch_load_dwordx4 v[220:223], off, off offset:704
	s_waitcnt vmcnt(0) lgkmcnt(0)
	v_mul_f64 v[230:231], v[224:225], v[222:223]
	v_fmac_f64_e32 v[230:231], v[226:227], v[220:221]
	v_add_f64 v[248:249], v[228:229], v[230:231]
	v_add_f64 v[228:229], v[240:241], 0
	;; [unrolled: 1-line block ×7, first 2 shown]
	scratch_load_dwordx4 v[228:231], off, off offset:80
	v_add_f64 v[246:247], v[4:5], v[0:1]
	v_accvgpr_read_b32 v4, a90
	v_add_f64 v[0:1], v[246:247], v[6:7]
	v_accvgpr_read_b32 v5, a91
	v_add_f64 v[0:1], v[0:1], v[4:5]
	v_add_f64 v[0:1], v[0:1], v[238:239]
	v_mul_f64 v[4:5], v[158:159], v[236:237]
	v_add_f64 v[0:1], v[0:1], v[244:245]
	v_fma_f64 v[4:5], v[156:157], v[234:235], -v[4:5]
	v_add_f64 v[0:1], v[0:1], v[4:5]
	v_mul_f64 v[4:5], v[150:151], v[10:11]
	v_fma_f64 v[4:5], v[148:149], v[8:9], -v[4:5]
	v_add_f64 v[0:1], v[0:1], v[4:5]
	v_mul_f64 v[4:5], v[146:147], v[14:15]
	;; [unrolled: 3-line block ×27, first 2 shown]
	v_fma_f64 v[4:5], v[224:225], v[220:221], -v[4:5]
	v_add_f64 v[0:1], v[0:1], v[4:5]
	s_waitcnt vmcnt(0)
	v_add_f64 v[4:5], v[228:229], -v[0:1]
	v_accvgpr_read_b32 v0, a88
	v_add_f64 v[6:7], v[230:231], -v[248:249]
	v_cmp_lt_u32_e32 vcc, 3, v0
	scratch_store_dwordx4 off, v[4:7], off offset:80
	s_and_saveexec_b64 s[0:1], vcc
	s_cbranch_execz .LBB107_271
; %bb.270:
	scratch_load_dwordx4 v[6:9], off, s57
	v_mov_b32_e32 v3, v2
	v_mov_b32_e32 v4, v2
	;; [unrolled: 1-line block ×3, first 2 shown]
	v_accvgpr_read_b32 v0, a89
	scratch_store_dwordx4 off, v[2:5], off offset:64
	s_waitcnt vmcnt(1)
	ds_write_b128 v0, v[6:9]
.LBB107_271:
	s_or_b64 exec, exec, s[0:1]
	s_waitcnt lgkmcnt(0)
	; wave barrier
	scratch_load_dwordx4 v[132:135], off, off offset:80
	scratch_load_dwordx4 v[160:163], off, off offset:96
	;; [unrolled: 1-line block ×16, first 2 shown]
	ds_read_b128 v[156:159], v2 offset:768
	ds_read_b128 v[172:175], v2 offset:784
	scratch_load_dwordx4 v[24:27], off, off offset:336
	ds_read_b128 v[232:235], v2 offset:800
	ds_read_b128 v[228:231], v2 offset:816
	scratch_load_dwordx4 v[28:31], off, off offset:352
	ds_read_b128 v[236:239], v2 offset:832
	ds_read_b128 v[184:187], v2 offset:848
	;; [unrolled: 1-line block ×5, first 2 shown]
	scratch_load_dwordx4 v[32:35], off, off offset:368
	ds_read_b128 v[220:223], v2 offset:912
	ds_read_b128 v[216:219], v2 offset:928
	;; [unrolled: 1-line block ×3, first 2 shown]
	scratch_load_dwordx4 v[36:39], off, off offset:384
	ds_read_b128 v[64:67], v2 offset:960
	ds_read_b128 v[60:63], v2 offset:976
	ds_read_b128 v[56:59], v2 offset:992
	ds_read_b128 v[48:51], v2 offset:1008
	ds_read_b128 v[44:47], v2 offset:1024
	scratch_load_dwordx4 v[52:55], off, off offset:400
	scratch_load_dwordx4 v[68:71], off, off offset:416
	;; [unrolled: 1-line block ×11, first 2 shown]
	ds_read_b128 v[144:147], v2 offset:1072
	ds_read_b128 v[148:151], v2 offset:1088
	;; [unrolled: 1-line block ×3, first 2 shown]
	s_waitcnt vmcnt(30) lgkmcnt(14)
	v_mul_f64 v[0:1], v[156:157], v[134:135]
	s_waitcnt vmcnt(29)
	v_mul_f64 v[108:109], v[172:173], v[162:163]
	v_fmac_f64_e32 v[0:1], v[158:159], v[132:133]
	s_waitcnt vmcnt(28)
	v_mul_f64 v[110:111], v[232:233], v[166:167]
	v_fmac_f64_e32 v[108:109], v[174:175], v[160:161]
	v_add_f64 v[0:1], v[0:1], 0
	s_waitcnt vmcnt(27)
	v_mul_f64 v[112:113], v[228:229], v[170:171]
	v_fmac_f64_e32 v[110:111], v[234:235], v[164:165]
	v_add_f64 v[0:1], v[0:1], v[108:109]
	;; [unrolled: 4-line block ×4, first 2 shown]
	s_waitcnt vmcnt(24) lgkmcnt(13)
	v_mul_f64 v[118:119], v[224:225], v[190:191]
	v_fmac_f64_e32 v[116:117], v[186:187], v[180:181]
	v_add_f64 v[0:1], v[0:1], v[114:115]
	s_waitcnt vmcnt(23) lgkmcnt(12)
	v_mul_f64 v[120:121], v[196:197], v[194:195]
	v_fmac_f64_e32 v[118:119], v[226:227], v[188:189]
	v_add_f64 v[0:1], v[0:1], v[116:117]
	;; [unrolled: 4-line block ×9, first 2 shown]
	v_fmac_f64_e32 v[138:139], v[58:59], v[16:17]
	v_add_f64 v[0:1], v[0:1], v[136:137]
	v_add_f64 v[0:1], v[0:1], v[138:139]
	ds_read_b128 v[136:139], v2 offset:1040
	s_waitcnt vmcnt(15) lgkmcnt(5)
	v_mul_f64 v[140:141], v[48:49], v[22:23]
	v_fmac_f64_e32 v[140:141], v[50:51], v[20:21]
	s_waitcnt vmcnt(14) lgkmcnt(4)
	v_mul_f64 v[112:113], v[44:45], v[26:27]
	scratch_load_dwordx4 v[108:111], off, off offset:576
	v_add_f64 v[0:1], v[0:1], v[140:141]
	v_fmac_f64_e32 v[112:113], v[46:47], v[24:25]
	v_add_f64 v[0:1], v[0:1], v[112:113]
	scratch_load_dwordx4 v[112:115], off, off offset:592
	ds_read_b128 v[140:143], v2 offset:1056
	s_waitcnt vmcnt(15) lgkmcnt(1)
	v_mul_f64 v[116:117], v[136:137], v[30:31]
	v_fmac_f64_e32 v[116:117], v[138:139], v[28:29]
	v_add_f64 v[0:1], v[0:1], v[116:117]
	scratch_load_dwordx4 v[116:119], off, off offset:608
	s_waitcnt vmcnt(15) lgkmcnt(0)
	v_mul_f64 v[120:121], v[140:141], v[34:35]
	v_fmac_f64_e32 v[120:121], v[142:143], v[32:33]
	s_waitcnt vmcnt(14)
	v_mul_f64 v[124:125], v[144:145], v[38:39]
	v_add_f64 v[0:1], v[0:1], v[120:121]
	scratch_load_dwordx4 v[120:123], off, off offset:624
	v_fmac_f64_e32 v[124:125], v[146:147], v[36:37]
	v_add_f64 v[0:1], v[0:1], v[124:125]
	s_waitcnt vmcnt(14)
	v_mul_f64 v[124:125], v[148:149], v[54:55]
	scratch_load_dwordx4 v[128:131], off, off offset:640
	v_fmac_f64_e32 v[124:125], v[150:151], v[52:53]
	v_add_f64 v[0:1], v[0:1], v[124:125]
	scratch_load_dwordx4 v[124:127], off, off offset:656
	v_mul_f64 v[134:135], v[158:159], v[134:135]
	v_fma_f64 v[240:241], v[156:157], v[132:133], -v[134:135]
	ds_read_b128 v[156:159], v2 offset:1120
	s_waitcnt vmcnt(15)
	v_mul_f64 v[132:133], v[152:153], v[70:71]
	v_fmac_f64_e32 v[132:133], v[154:155], v[68:69]
	v_add_f64 v[0:1], v[0:1], v[132:133]
	v_mul_f64 v[132:133], v[174:175], v[162:163]
	v_fma_f64 v[242:243], v[172:173], v[160:161], -v[132:133]
	scratch_load_dwordx4 v[132:135], off, off offset:672
	ds_read_b128 v[160:163], v2 offset:1136
	v_mul_f64 v[166:167], v[234:235], v[166:167]
	v_fma_f64 v[248:249], v[232:233], v[164:165], -v[166:167]
	ds_read_b128 v[164:167], v2 offset:1152
	s_waitcnt vmcnt(15) lgkmcnt(2)
	v_mul_f64 v[172:173], v[156:157], v[74:75]
	v_fmac_f64_e32 v[172:173], v[158:159], v[72:73]
	v_add_f64 v[0:1], v[0:1], v[172:173]
	s_waitcnt vmcnt(14) lgkmcnt(1)
	v_mul_f64 v[172:173], v[160:161], v[78:79]
	v_fmac_f64_e32 v[172:173], v[162:163], v[76:77]
	v_mul_f64 v[170:171], v[230:231], v[170:171]
	v_fma_f64 v[250:251], v[228:229], v[168:169], -v[170:171]
	ds_read_b128 v[168:171], v2 offset:1168
	v_add_f64 v[0:1], v[0:1], v[172:173]
	s_waitcnt vmcnt(13) lgkmcnt(1)
	v_mul_f64 v[172:173], v[164:165], v[82:83]
	v_fmac_f64_e32 v[172:173], v[166:167], v[80:81]
	v_add_f64 v[0:1], v[0:1], v[172:173]
	ds_read_b128 v[172:175], v2 offset:1184
	v_mul_f64 v[178:179], v[238:239], v[178:179]
	v_fma_f64 v[236:237], v[236:237], v[176:177], -v[178:179]
	ds_read_b128 v[176:179], v2 offset:1200
	s_waitcnt vmcnt(12) lgkmcnt(2)
	v_mul_f64 v[228:229], v[168:169], v[86:87]
	v_fmac_f64_e32 v[228:229], v[170:171], v[84:85]
	v_add_f64 v[0:1], v[0:1], v[228:229]
	s_waitcnt vmcnt(11) lgkmcnt(1)
	v_mul_f64 v[228:229], v[172:173], v[90:91]
	v_mul_f64 v[182:183], v[186:187], v[182:183]
	v_fmac_f64_e32 v[228:229], v[174:175], v[88:89]
	v_fma_f64 v[238:239], v[184:185], v[180:181], -v[182:183]
	ds_read_b128 v[180:183], v2 offset:1216
	s_waitcnt vmcnt(10) lgkmcnt(1)
	v_mul_f64 v[184:185], v[176:177], v[94:95]
	v_add_f64 v[0:1], v[0:1], v[228:229]
	v_fmac_f64_e32 v[184:185], v[178:179], v[92:93]
	v_add_f64 v[0:1], v[0:1], v[184:185]
	ds_read_b128 v[184:187], v2 offset:1232
	v_mul_f64 v[190:191], v[226:227], v[190:191]
	v_fma_f64 v[252:253], v[224:225], v[188:189], -v[190:191]
	ds_read_b128 v[188:191], v2 offset:1248
	s_waitcnt vmcnt(9) lgkmcnt(2)
	v_mul_f64 v[228:229], v[180:181], v[98:99]
	v_fmac_f64_e32 v[228:229], v[182:183], v[96:97]
	s_waitcnt vmcnt(8) lgkmcnt(1)
	v_mul_f64 v[224:225], v[184:185], v[102:103]
	v_mul_f64 v[194:195], v[198:199], v[194:195]
	v_add_f64 v[0:1], v[0:1], v[228:229]
	v_fmac_f64_e32 v[224:225], v[186:187], v[100:101]
	v_fma_f64 v[254:255], v[196:197], v[192:193], -v[194:195]
	s_waitcnt vmcnt(7) lgkmcnt(0)
	v_mul_f64 v[196:197], v[188:189], v[106:107]
	ds_read_b128 v[192:195], v2 offset:1264
	v_add_f64 v[0:1], v[0:1], v[224:225]
	v_fmac_f64_e32 v[196:197], v[190:191], v[104:105]
	v_add_f64 v[0:1], v[0:1], v[196:197]
	ds_read_b128 v[196:199], v2 offset:1280
	v_mul_f64 v[202:203], v[210:211], v[202:203]
	v_fma_f64 v[244:245], v[208:209], v[200:201], -v[202:203]
	ds_read_b128 v[200:203], v2 offset:1296
	s_waitcnt vmcnt(6) lgkmcnt(2)
	v_mul_f64 v[224:225], v[192:193], v[110:111]
	v_fmac_f64_e32 v[224:225], v[194:195], v[108:109]
	s_waitcnt vmcnt(5) lgkmcnt(1)
	v_mul_f64 v[208:209], v[196:197], v[114:115]
	v_add_f64 v[0:1], v[0:1], v[224:225]
	v_fmac_f64_e32 v[208:209], v[198:199], v[112:113]
	v_add_f64 v[208:209], v[0:1], v[208:209]
	v_mul_f64 v[0:1], v[222:223], v[206:207]
	v_fma_f64 v[0:1], v[220:221], v[204:205], -v[0:1]
	ds_read_b128 v[204:207], v2 offset:1312
	s_waitcnt vmcnt(4) lgkmcnt(1)
	v_mul_f64 v[210:211], v[200:201], v[118:119]
	v_fmac_f64_e32 v[210:211], v[202:203], v[116:117]
	v_add_f64 v[220:221], v[208:209], v[210:211]
	ds_read_b128 v[208:211], v2 offset:1328
	v_mul_f64 v[214:215], v[218:219], v[214:215]
	v_fma_f64 v[246:247], v[216:217], v[212:213], -v[214:215]
	ds_read_b128 v[212:215], v2 offset:1344
	s_waitcnt vmcnt(3) lgkmcnt(2)
	v_mul_f64 v[216:217], v[204:205], v[122:123]
	v_fmac_f64_e32 v[216:217], v[206:207], v[120:121]
	s_waitcnt vmcnt(2) lgkmcnt(1)
	v_mul_f64 v[218:219], v[208:209], v[130:131]
	v_add_f64 v[216:217], v[220:221], v[216:217]
	v_fmac_f64_e32 v[218:219], v[210:211], v[128:129]
	v_add_f64 v[216:217], v[216:217], v[218:219]
	s_waitcnt vmcnt(1) lgkmcnt(0)
	v_mul_f64 v[218:219], v[212:213], v[126:127]
	v_fmac_f64_e32 v[218:219], v[214:215], v[124:125]
	v_add_f64 v[220:221], v[216:217], v[218:219]
	ds_read_b128 v[216:219], v2 offset:1360
	ds_read_b128 v[224:227], v2 offset:1376
	scratch_load_dwordx4 v[232:235], off, off offset:704
	v_accvgpr_write_b32 a91, v1
	v_accvgpr_write_b32 a90, v0
	s_waitcnt vmcnt(1) lgkmcnt(1)
	v_mul_f64 v[222:223], v[216:217], v[134:135]
	v_fmac_f64_e32 v[222:223], v[218:219], v[132:133]
	v_add_f64 v[228:229], v[220:221], v[222:223]
	scratch_load_dwordx4 v[220:223], off, off offset:688
	v_mul_f64 v[6:7], v[42:43], v[6:7]
	v_fma_f64 v[4:5], v[40:41], v[4:5], -v[6:7]
	s_waitcnt vmcnt(0) lgkmcnt(0)
	v_mul_f64 v[230:231], v[224:225], v[222:223]
	v_fmac_f64_e32 v[230:231], v[226:227], v[220:221]
	v_add_f64 v[0:1], v[228:229], v[230:231]
	ds_read_b128 v[228:231], v2 offset:1392
	s_waitcnt lgkmcnt(0)
	v_mul_f64 v[2:3], v[228:229], v[234:235]
	v_fmac_f64_e32 v[2:3], v[230:231], v[232:233]
	v_add_f64 v[2:3], v[0:1], v[2:3]
	v_add_f64 v[0:1], v[240:241], 0
	;; [unrolled: 1-line block ×7, first 2 shown]
	scratch_load_dwordx4 v[236:239], off, off offset:64
	v_add_f64 v[0:1], v[0:1], v[252:253]
	v_add_f64 v[0:1], v[0:1], v[254:255]
	;; [unrolled: 1-line block ×3, first 2 shown]
	v_accvgpr_read_b32 v0, a90
	v_accvgpr_read_b32 v1, a91
	v_add_f64 v[0:1], v[248:249], v[0:1]
	v_add_f64 v[0:1], v[0:1], v[246:247]
	;; [unrolled: 1-line block ×3, first 2 shown]
	v_mul_f64 v[4:5], v[66:67], v[10:11]
	v_fma_f64 v[4:5], v[64:65], v[8:9], -v[4:5]
	v_add_f64 v[0:1], v[0:1], v[4:5]
	v_mul_f64 v[4:5], v[62:63], v[14:15]
	v_fma_f64 v[4:5], v[60:61], v[12:13], -v[4:5]
	v_add_f64 v[0:1], v[0:1], v[4:5]
	;; [unrolled: 3-line block ×28, first 2 shown]
	s_waitcnt vmcnt(0)
	v_add_f64 v[4:5], v[236:237], -v[0:1]
	v_accvgpr_read_b32 v0, a88
	v_add_f64 v[6:7], v[238:239], -v[2:3]
	v_cmp_lt_u32_e32 vcc, 2, v0
	scratch_store_dwordx4 off, v[4:7], off offset:64
	s_and_saveexec_b64 s[0:1], vcc
	s_cbranch_execz .LBB107_273
; %bb.272:
	scratch_load_dwordx4 v[2:5], off, s58
	v_mov_b32_e32 v6, 0
	v_mov_b32_e32 v7, v6
	v_mov_b32_e32 v8, v6
	v_mov_b32_e32 v9, v6
	v_accvgpr_read_b32 v0, a89
	scratch_store_dwordx4 off, v[6:9], off offset:48
	s_waitcnt vmcnt(1)
	ds_write_b128 v0, v[2:5]
.LBB107_273:
	s_or_b64 exec, exec, s[0:1]
	s_waitcnt lgkmcnt(0)
	; wave barrier
	scratch_load_dwordx4 v[112:115], off, off offset:64
	scratch_load_dwordx4 v[116:119], off, off offset:80
	;; [unrolled: 1-line block ×30, first 2 shown]
	v_mov_b32_e32 v2, 0
	ds_read_b128 v[144:147], v2 offset:752
	ds_read_b128 v[156:159], v2 offset:768
	ds_read_b128 v[168:171], v2 offset:784
	ds_read_b128 v[180:183], v2 offset:800
	ds_read_b128 v[192:195], v2 offset:816
	ds_read_b128 v[204:207], v2 offset:832
	ds_read_b128 v[212:215], v2 offset:848
	ds_read_b128 v[216:219], v2 offset:864
	ds_read_b128 v[220:223], v2 offset:880
	ds_read_b128 v[224:227], v2 offset:896
	ds_read_b128 v[228:231], v2 offset:912
	ds_read_b128 v[244:247], v2 offset:928
	ds_read_b128 v[248:251], v2 offset:944
	ds_read_b128 v[84:87], v2 offset:960
	ds_read_b128 v[80:83], v2 offset:976
	ds_read_b128 v[76:79], v2 offset:992
	ds_read_b128 v[72:75], v2 offset:1008
	ds_read_b128 v[132:135], v2 offset:1056
	ds_read_b128 v[136:139], v2 offset:1072
	ds_read_b128 v[140:143], v2 offset:1088
	s_waitcnt vmcnt(29) lgkmcnt(14)
	v_mul_f64 v[0:1], v[144:145], v[114:115]
	s_waitcnt vmcnt(28)
	v_mul_f64 v[88:89], v[156:157], v[118:119]
	v_fmac_f64_e32 v[0:1], v[146:147], v[112:113]
	s_waitcnt vmcnt(27)
	v_mul_f64 v[90:91], v[168:169], v[122:123]
	v_fmac_f64_e32 v[88:89], v[158:159], v[116:117]
	v_add_f64 v[0:1], v[0:1], 0
	s_waitcnt vmcnt(26)
	v_mul_f64 v[92:93], v[180:181], v[154:155]
	v_fmac_f64_e32 v[90:91], v[170:171], v[120:121]
	v_add_f64 v[0:1], v[0:1], v[88:89]
	;; [unrolled: 4-line block ×4, first 2 shown]
	s_waitcnt vmcnt(23) lgkmcnt(13)
	v_mul_f64 v[98:99], v[212:213], v[174:175]
	v_fmac_f64_e32 v[96:97], v[206:207], v[164:165]
	v_add_f64 v[0:1], v[0:1], v[94:95]
	s_waitcnt vmcnt(22) lgkmcnt(12)
	v_mul_f64 v[100:101], v[216:217], v[178:179]
	v_fmac_f64_e32 v[98:99], v[214:215], v[172:173]
	v_add_f64 v[0:1], v[0:1], v[96:97]
	;; [unrolled: 4-line block ×9, first 2 shown]
	v_fmac_f64_e32 v[126:127], v[82:83], v[8:9]
	v_add_f64 v[0:1], v[0:1], v[124:125]
	scratch_load_dwordx4 v[88:91], off, off offset:544
	s_waitcnt vmcnt(15) lgkmcnt(4)
	v_mul_f64 v[128:129], v[76:77], v[236:237]
	v_add_f64 v[0:1], v[0:1], v[126:127]
	ds_read_b128 v[124:127], v2 offset:1024
	v_fmac_f64_e32 v[128:129], v[78:79], v[234:235]
	v_add_f64 v[0:1], v[0:1], v[128:129]
	ds_read_b128 v[128:131], v2 offset:1040
	s_waitcnt vmcnt(14) lgkmcnt(5)
	v_mul_f64 v[92:93], v[72:73], v[18:19]
	v_fmac_f64_e32 v[92:93], v[74:75], v[16:17]
	v_add_f64 v[0:1], v[0:1], v[92:93]
	s_waitcnt vmcnt(13) lgkmcnt(1)
	v_mul_f64 v[96:97], v[124:125], v[22:23]
	scratch_load_dwordx4 v[92:95], off, off offset:560
	v_fmac_f64_e32 v[96:97], v[126:127], v[20:21]
	v_add_f64 v[0:1], v[0:1], v[96:97]
	s_waitcnt vmcnt(13) lgkmcnt(0)
	v_mul_f64 v[100:101], v[128:129], v[26:27]
	scratch_load_dwordx4 v[96:99], off, off offset:576
	v_fmac_f64_e32 v[100:101], v[130:131], v[24:25]
	v_add_f64 v[0:1], v[0:1], v[100:101]
	scratch_load_dwordx4 v[100:103], off, off offset:592
	s_waitcnt vmcnt(14)
	v_mul_f64 v[104:105], v[132:133], v[30:31]
	v_fmac_f64_e32 v[104:105], v[134:135], v[28:29]
	v_add_f64 v[0:1], v[0:1], v[104:105]
	s_waitcnt vmcnt(13)
	v_mul_f64 v[104:105], v[136:137], v[34:35]
	v_fmac_f64_e32 v[104:105], v[138:139], v[32:33]
	v_add_f64 v[0:1], v[0:1], v[104:105]
	scratch_load_dwordx4 v[104:107], off, off offset:608
	s_waitcnt vmcnt(13)
	v_mul_f64 v[108:109], v[140:141], v[38:39]
	v_fmac_f64_e32 v[108:109], v[142:143], v[36:37]
	v_add_f64 v[0:1], v[0:1], v[108:109]
	scratch_load_dwordx4 v[108:111], off, off offset:624
	v_mul_f64 v[114:115], v[146:147], v[114:115]
	v_fma_f64 v[240:241], v[144:145], v[112:113], -v[114:115]
	v_mul_f64 v[112:113], v[158:159], v[118:119]
	ds_read_b128 v[148:151], v2 offset:1104
	ds_read_b128 v[144:147], v2 offset:1120
	v_fma_f64 v[242:243], v[156:157], v[116:117], -v[112:113]
	scratch_load_dwordx4 v[116:119], off, off offset:640
	scratch_load_dwordx4 v[112:115], off, off offset:656
	v_mul_f64 v[122:123], v[170:171], v[122:123]
	v_fma_f64 v[252:253], v[168:169], v[120:121], -v[122:123]
	scratch_load_dwordx4 v[120:123], off, off offset:672
	s_waitcnt vmcnt(16) lgkmcnt(1)
	v_mul_f64 v[156:157], v[148:149], v[42:43]
	v_fmac_f64_e32 v[156:157], v[150:151], v[40:41]
	v_mul_f64 v[154:155], v[182:183], v[154:155]
	v_add_f64 v[0:1], v[0:1], v[156:157]
	v_fma_f64 v[254:255], v[180:181], v[152:153], -v[154:155]
	ds_read_b128 v[152:155], v2 offset:1136
	s_waitcnt vmcnt(15) lgkmcnt(1)
	v_mul_f64 v[156:157], v[144:145], v[46:47]
	v_fmac_f64_e32 v[156:157], v[146:147], v[44:45]
	v_add_f64 v[0:1], v[0:1], v[156:157]
	ds_read_b128 v[156:159], v2 offset:1152
	v_mul_f64 v[162:163], v[194:195], v[162:163]
	v_fma_f64 v[232:233], v[192:193], v[160:161], -v[162:163]
	ds_read_b128 v[160:163], v2 offset:1168
	s_waitcnt vmcnt(14) lgkmcnt(2)
	v_mul_f64 v[168:169], v[152:153], v[50:51]
	v_fmac_f64_e32 v[168:169], v[154:155], v[48:49]
	v_mul_f64 v[166:167], v[206:207], v[166:167]
	v_add_f64 v[0:1], v[0:1], v[168:169]
	s_waitcnt vmcnt(13) lgkmcnt(1)
	v_mul_f64 v[168:169], v[156:157], v[54:55]
	v_fma_f64 v[12:13], v[204:205], v[164:165], -v[166:167]
	ds_read_b128 v[164:167], v2 offset:1184
	v_accvgpr_write_b32 a93, v7
	v_fmac_f64_e32 v[168:169], v[158:159], v[52:53]
	v_accvgpr_write_b32 a92, v6
	v_accvgpr_write_b32 a91, v5
	;; [unrolled: 1-line block ×3, first 2 shown]
	v_add_f64 v[0:1], v[0:1], v[168:169]
	s_waitcnt vmcnt(12) lgkmcnt(1)
	v_mul_f64 v[6:7], v[160:161], v[58:59]
	ds_read_b128 v[168:171], v2 offset:1200
	v_fmac_f64_e32 v[6:7], v[162:163], v[56:57]
	v_accvgpr_write_b32 a97, v11
	v_add_f64 v[0:1], v[0:1], v[6:7]
	v_mul_f64 v[6:7], v[214:215], v[174:175]
	v_accvgpr_write_b32 a96, v10
	v_accvgpr_write_b32 a95, v9
	;; [unrolled: 1-line block ×3, first 2 shown]
	v_fma_f64 v[8:9], v[212:213], v[172:173], -v[6:7]
	s_waitcnt vmcnt(11) lgkmcnt(1)
	v_mul_f64 v[6:7], v[164:165], v[62:63]
	v_fmac_f64_e32 v[6:7], v[166:167], v[60:61]
	ds_read_b128 v[172:175], v2 offset:1216
	v_add_f64 v[0:1], v[0:1], v[6:7]
	s_waitcnt vmcnt(10) lgkmcnt(1)
	v_mul_f64 v[6:7], v[168:169], v[66:67]
	v_fmac_f64_e32 v[6:7], v[170:171], v[64:65]
	v_add_f64 v[0:1], v[0:1], v[6:7]
	v_mul_f64 v[6:7], v[218:219], v[178:179]
	v_fma_f64 v[10:11], v[216:217], v[176:177], -v[6:7]
	ds_read_b128 v[176:179], v2 offset:1232
	ds_read_b128 v[180:183], v2 offset:1248
	s_waitcnt vmcnt(9) lgkmcnt(2)
	v_mul_f64 v[6:7], v[172:173], v[70:71]
	v_fmac_f64_e32 v[6:7], v[174:175], v[68:69]
	v_add_f64 v[0:1], v[0:1], v[6:7]
	s_waitcnt vmcnt(8) lgkmcnt(1)
	v_mul_f64 v[6:7], v[176:177], v[90:91]
	v_fmac_f64_e32 v[6:7], v[178:179], v[88:89]
	v_add_f64 v[0:1], v[0:1], v[6:7]
	v_mul_f64 v[6:7], v[222:223], v[186:187]
	v_fma_f64 v[4:5], v[220:221], v[184:185], -v[6:7]
	ds_read_b128 v[184:187], v2 offset:1264
	v_mul_f64 v[6:7], v[226:227], v[190:191]
	v_fma_f64 v[6:7], v[224:225], v[188:189], -v[6:7]
	ds_read_b128 v[188:191], v2 offset:1280
	s_waitcnt vmcnt(7) lgkmcnt(2)
	v_mul_f64 v[14:15], v[180:181], v[94:95]
	v_fmac_f64_e32 v[14:15], v[182:183], v[92:93]
	v_add_f64 v[0:1], v[0:1], v[14:15]
	s_waitcnt vmcnt(6) lgkmcnt(1)
	v_mul_f64 v[14:15], v[184:185], v[98:99]
	v_fmac_f64_e32 v[14:15], v[186:187], v[96:97]
	v_add_f64 v[0:1], v[0:1], v[14:15]
	s_waitcnt vmcnt(5) lgkmcnt(0)
	v_mul_f64 v[14:15], v[188:189], v[102:103]
	ds_read_b128 v[192:195], v2 offset:1296
	v_fmac_f64_e32 v[14:15], v[190:191], v[100:101]
	v_add_f64 v[14:15], v[0:1], v[14:15]
	v_mul_f64 v[0:1], v[230:231], v[198:199]
	v_fma_f64 v[0:1], v[228:229], v[196:197], -v[0:1]
	ds_read_b128 v[196:199], v2 offset:1312
	v_mul_f64 v[202:203], v[246:247], v[202:203]
	s_waitcnt vmcnt(4) lgkmcnt(1)
	v_mul_f64 v[204:205], v[192:193], v[106:107]
	v_fma_f64 v[238:239], v[244:245], v[200:201], -v[202:203]
	ds_read_b128 v[200:203], v2 offset:1328
	v_fmac_f64_e32 v[204:205], v[194:195], v[104:105]
	v_add_f64 v[14:15], v[14:15], v[204:205]
	ds_read_b128 v[204:207], v2 offset:1344
	s_waitcnt vmcnt(3) lgkmcnt(2)
	v_mul_f64 v[212:213], v[196:197], v[110:111]
	v_mul_f64 v[210:211], v[250:251], v[210:211]
	v_fmac_f64_e32 v[212:213], v[198:199], v[108:109]
	v_fma_f64 v[244:245], v[248:249], v[208:209], -v[210:211]
	ds_read_b128 v[208:211], v2 offset:1360
	ds_read_b128 v[216:219], v2 offset:1376
	v_add_f64 v[14:15], v[14:15], v[212:213]
	s_waitcnt vmcnt(2) lgkmcnt(3)
	v_mul_f64 v[212:213], v[200:201], v[118:119]
	v_fmac_f64_e32 v[212:213], v[202:203], v[116:117]
	v_add_f64 v[14:15], v[14:15], v[212:213]
	s_waitcnt vmcnt(1) lgkmcnt(2)
	v_mul_f64 v[212:213], v[204:205], v[114:115]
	v_fmac_f64_e32 v[212:213], v[206:207], v[112:113]
	;; [unrolled: 4-line block ×3, first 2 shown]
	v_add_f64 v[14:15], v[14:15], v[212:213]
	scratch_load_dwordx4 v[212:215], off, off offset:688
	ds_read_b128 v[224:227], v2 offset:1392
	s_waitcnt vmcnt(0) lgkmcnt(1)
	v_mul_f64 v[220:221], v[216:217], v[214:215]
	v_fmac_f64_e32 v[220:221], v[218:219], v[212:213]
	v_add_f64 v[14:15], v[14:15], v[220:221]
	scratch_load_dwordx4 v[220:223], off, off offset:704
	s_waitcnt vmcnt(0) lgkmcnt(0)
	v_mul_f64 v[228:229], v[224:225], v[222:223]
	v_fmac_f64_e32 v[228:229], v[226:227], v[220:221]
	v_add_f64 v[248:249], v[14:15], v[228:229]
	scratch_load_dwordx4 v[228:231], off, off offset:48
	v_add_f64 v[14:15], v[240:241], 0
	v_add_f64 v[14:15], v[14:15], v[242:243]
	;; [unrolled: 1-line block ×10, first 2 shown]
	v_accvgpr_read_b32 v6, a90
	v_accvgpr_read_b32 v8, a92
	;; [unrolled: 1-line block ×3, first 2 shown]
	v_add_f64 v[0:1], v[4:5], v[0:1]
	v_accvgpr_read_b32 v7, a91
	v_mul_f64 v[4:5], v[86:87], v[8:9]
	v_add_f64 v[0:1], v[0:1], v[238:239]
	v_fma_f64 v[4:5], v[84:85], v[6:7], -v[4:5]
	v_accvgpr_read_b32 v6, a94
	v_add_f64 v[0:1], v[0:1], v[244:245]
	v_accvgpr_read_b32 v8, a96
	v_accvgpr_read_b32 v9, a97
	v_add_f64 v[0:1], v[0:1], v[4:5]
	v_accvgpr_read_b32 v7, a95
	v_mul_f64 v[4:5], v[82:83], v[8:9]
	v_fma_f64 v[4:5], v[80:81], v[6:7], -v[4:5]
	v_add_f64 v[0:1], v[0:1], v[4:5]
	v_mul_f64 v[4:5], v[78:79], v[236:237]
	v_fma_f64 v[4:5], v[76:77], v[234:235], -v[4:5]
	v_add_f64 v[0:1], v[0:1], v[4:5]
	;; [unrolled: 3-line block ×27, first 2 shown]
	s_waitcnt vmcnt(0)
	v_add_f64 v[4:5], v[228:229], -v[0:1]
	v_accvgpr_read_b32 v0, a88
	v_add_f64 v[6:7], v[230:231], -v[248:249]
	v_cmp_lt_u32_e32 vcc, 1, v0
	scratch_store_dwordx4 off, v[4:7], off offset:48
	s_and_saveexec_b64 s[0:1], vcc
	s_cbranch_execz .LBB107_275
; %bb.274:
	scratch_load_dwordx4 v[6:9], off, s59
	v_mov_b32_e32 v3, v2
	v_mov_b32_e32 v4, v2
	;; [unrolled: 1-line block ×3, first 2 shown]
	v_accvgpr_read_b32 v0, a89
	scratch_store_dwordx4 off, v[2:5], off offset:32
	s_waitcnt vmcnt(1)
	ds_write_b128 v0, v[6:9]
.LBB107_275:
	s_or_b64 exec, exec, s[0:1]
	s_waitcnt lgkmcnt(0)
	; wave barrier
	scratch_load_dwordx4 v[88:91], off, off offset:48
	scratch_load_dwordx4 v[92:95], off, off offset:64
	;; [unrolled: 1-line block ×17, first 2 shown]
	ds_read_b128 v[212:215], v2 offset:736
	ds_read_b128 v[204:207], v2 offset:752
	;; [unrolled: 1-line block ×3, first 2 shown]
	scratch_load_dwordx4 v[20:23], off, off offset:320
	ds_read_b128 v[216:219], v2 offset:784
	ds_read_b128 v[208:211], v2 offset:800
	;; [unrolled: 1-line block ×5, first 2 shown]
	scratch_load_dwordx4 v[24:27], off, off offset:336
	ds_read_b128 v[180:183], v2 offset:864
	ds_read_b128 v[160:163], v2 offset:880
	;; [unrolled: 1-line block ×3, first 2 shown]
	scratch_load_dwordx4 v[28:31], off, off offset:352
	ds_read_b128 v[172:175], v2 offset:912
	ds_read_b128 v[148:151], v2 offset:928
	;; [unrolled: 1-line block ×5, first 2 shown]
	scratch_load_dwordx4 v[36:39], off, off offset:368
	ds_read_b128 v[48:51], v2 offset:992
	scratch_load_dwordx4 v[52:55], off, off offset:384
	scratch_load_dwordx4 v[56:59], off, off offset:400
	;; [unrolled: 1-line block ×9, first 2 shown]
	ds_read_b128 v[140:143], v2 offset:1008
	ds_read_b128 v[232:235], v2 offset:1072
	;; [unrolled: 1-line block ×3, first 2 shown]
	s_waitcnt vmcnt(29) lgkmcnt(14)
	v_mul_f64 v[0:1], v[212:213], v[90:91]
	s_waitcnt vmcnt(28)
	v_mul_f64 v[152:153], v[204:205], v[94:95]
	v_fmac_f64_e32 v[0:1], v[214:215], v[88:89]
	s_waitcnt vmcnt(27)
	v_mul_f64 v[154:155], v[196:197], v[98:99]
	v_fmac_f64_e32 v[152:153], v[206:207], v[92:93]
	v_add_f64 v[0:1], v[0:1], 0
	s_waitcnt vmcnt(26)
	v_mul_f64 v[164:165], v[216:217], v[102:103]
	v_fmac_f64_e32 v[154:155], v[198:199], v[96:97]
	v_add_f64 v[0:1], v[0:1], v[152:153]
	;; [unrolled: 4-line block ×4, first 2 shown]
	s_waitcnt vmcnt(23) lgkmcnt(13)
	v_mul_f64 v[170:171], v[184:185], v[114:115]
	v_fmac_f64_e32 v[168:169], v[202:203], v[108:109]
	v_add_f64 v[0:1], v[0:1], v[166:167]
	s_waitcnt vmcnt(22) lgkmcnt(12)
	v_mul_f64 v[176:177], v[156:157], v[118:119]
	v_fmac_f64_e32 v[170:171], v[186:187], v[112:113]
	v_add_f64 v[0:1], v[0:1], v[168:169]
	;; [unrolled: 4-line block ×10, first 2 shown]
	v_fmac_f64_e32 v[224:225], v[34:35], v[12:13]
	v_add_f64 v[0:1], v[0:1], v[222:223]
	ds_read_b128 v[220:223], v2 offset:1024
	v_add_f64 v[0:1], v[0:1], v[224:225]
	ds_read_b128 v[224:227], v2 offset:1040
	s_waitcnt vmcnt(13) lgkmcnt(5)
	v_mul_f64 v[164:165], v[48:49], v[18:19]
	scratch_load_dwordx4 v[152:155], off, off offset:528
	v_fmac_f64_e32 v[164:165], v[50:51], v[16:17]
	s_waitcnt vmcnt(13) lgkmcnt(4)
	v_mul_f64 v[168:169], v[140:141], v[22:23]
	v_add_f64 v[0:1], v[0:1], v[164:165]
	v_fmac_f64_e32 v[168:169], v[142:143], v[20:21]
	scratch_load_dwordx4 v[164:167], off, off offset:544
	v_add_f64 v[0:1], v[0:1], v[168:169]
	s_waitcnt vmcnt(13) lgkmcnt(1)
	v_mul_f64 v[176:177], v[220:221], v[26:27]
	scratch_load_dwordx4 v[168:171], off, off offset:560
	v_fmac_f64_e32 v[176:177], v[222:223], v[24:25]
	s_waitcnt vmcnt(13) lgkmcnt(0)
	v_mul_f64 v[188:189], v[224:225], v[30:31]
	v_add_f64 v[0:1], v[0:1], v[176:177]
	scratch_load_dwordx4 v[176:179], off, off offset:576
	v_fmac_f64_e32 v[188:189], v[226:227], v[28:29]
	v_add_f64 v[0:1], v[0:1], v[188:189]
	s_waitcnt vmcnt(13)
	v_mul_f64 v[188:189], v[228:229], v[38:39]
	v_fmac_f64_e32 v[188:189], v[230:231], v[36:37]
	v_add_f64 v[0:1], v[0:1], v[188:189]
	scratch_load_dwordx4 v[188:191], off, off offset:592
	s_waitcnt vmcnt(13)
	v_mul_f64 v[192:193], v[232:233], v[54:55]
	v_fmac_f64_e32 v[192:193], v[234:235], v[52:53]
	v_mul_f64 v[90:91], v[214:215], v[90:91]
	v_add_f64 v[0:1], v[0:1], v[192:193]
	scratch_load_dwordx4 v[192:195], off, off offset:608
	v_fma_f64 v[240:241], v[212:213], v[88:89], -v[90:91]
	v_mul_f64 v[88:89], v[206:207], v[94:95]
	ds_read_b128 v[236:239], v2 offset:1088
	ds_read_b128 v[212:215], v2 offset:1104
	v_fma_f64 v[242:243], v[204:205], v[92:93], -v[88:89]
	scratch_load_dwordx4 v[92:95], off, off offset:624
	scratch_load_dwordx4 v[88:91], off, off offset:640
	v_mul_f64 v[98:99], v[198:199], v[98:99]
	v_fma_f64 v[248:249], v[196:197], v[96:97], -v[98:99]
	scratch_load_dwordx4 v[96:99], off, off offset:656
	s_waitcnt vmcnt(16) lgkmcnt(1)
	v_mul_f64 v[204:205], v[236:237], v[58:59]
	v_mul_f64 v[102:103], v[218:219], v[102:103]
	v_fmac_f64_e32 v[204:205], v[238:239], v[56:57]
	v_fma_f64 v[216:217], v[216:217], v[100:101], -v[102:103]
	ds_read_b128 v[100:103], v2 offset:1120
	s_waitcnt vmcnt(15) lgkmcnt(1)
	v_mul_f64 v[196:197], v[212:213], v[62:63]
	v_add_f64 v[0:1], v[0:1], v[204:205]
	v_fmac_f64_e32 v[196:197], v[214:215], v[60:61]
	v_add_f64 v[0:1], v[0:1], v[196:197]
	ds_read_b128 v[196:199], v2 offset:1136
	v_mul_f64 v[106:107], v[210:211], v[106:107]
	v_fma_f64 v[218:219], v[208:209], v[104:105], -v[106:107]
	ds_read_b128 v[104:107], v2 offset:1152
	s_waitcnt vmcnt(14) lgkmcnt(2)
	v_mul_f64 v[204:205], v[100:101], v[66:67]
	v_fmac_f64_e32 v[204:205], v[102:103], v[64:65]
	v_add_f64 v[0:1], v[0:1], v[204:205]
	s_waitcnt vmcnt(13) lgkmcnt(1)
	v_mul_f64 v[204:205], v[196:197], v[70:71]
	v_mul_f64 v[110:111], v[202:203], v[110:111]
	v_fmac_f64_e32 v[204:205], v[198:199], v[68:69]
	v_fma_f64 v[250:251], v[200:201], v[108:109], -v[110:111]
	ds_read_b128 v[108:111], v2 offset:1168
	s_waitcnt vmcnt(12) lgkmcnt(1)
	v_mul_f64 v[200:201], v[104:105], v[74:75]
	v_add_f64 v[0:1], v[0:1], v[204:205]
	v_fmac_f64_e32 v[200:201], v[106:107], v[72:73]
	v_add_f64 v[0:1], v[0:1], v[200:201]
	ds_read_b128 v[200:203], v2 offset:1184
	v_mul_f64 v[114:115], v[186:187], v[114:115]
	v_fma_f64 v[252:253], v[184:185], v[112:113], -v[114:115]
	ds_read_b128 v[112:115], v2 offset:1200
	s_waitcnt vmcnt(11) lgkmcnt(2)
	v_mul_f64 v[184:185], v[108:109], v[78:79]
	v_fmac_f64_e32 v[184:185], v[110:111], v[76:77]
	v_add_f64 v[0:1], v[0:1], v[184:185]
	s_waitcnt vmcnt(10) lgkmcnt(1)
	v_mul_f64 v[184:185], v[200:201], v[82:83]
	v_mul_f64 v[118:119], v[158:159], v[118:119]
	v_fmac_f64_e32 v[184:185], v[202:203], v[80:81]
	v_fma_f64 v[254:255], v[156:157], v[116:117], -v[118:119]
	s_waitcnt vmcnt(9) lgkmcnt(0)
	v_mul_f64 v[156:157], v[112:113], v[86:87]
	v_add_f64 v[0:1], v[0:1], v[184:185]
	ds_read_b128 v[116:119], v2 offset:1216
	v_fmac_f64_e32 v[156:157], v[114:115], v[84:85]
	v_add_f64 v[0:1], v[0:1], v[156:157]
	ds_read_b128 v[156:159], v2 offset:1232
	v_mul_f64 v[122:123], v[182:183], v[122:123]
	v_fma_f64 v[244:245], v[180:181], v[120:121], -v[122:123]
	ds_read_b128 v[120:123], v2 offset:1248
	v_accvgpr_write_b32 a93, v7
	v_mul_f64 v[126:127], v[162:163], v[126:127]
	v_accvgpr_write_b32 a92, v6
	v_accvgpr_write_b32 a91, v5
	;; [unrolled: 1-line block ×3, first 2 shown]
	v_fma_f64 v[4:5], v[160:161], v[124:125], -v[126:127]
	ds_read_b128 v[124:127], v2 offset:1264
	s_waitcnt vmcnt(8) lgkmcnt(3)
	v_mul_f64 v[184:185], v[116:117], v[154:155]
	v_fmac_f64_e32 v[184:185], v[118:119], v[152:153]
	s_waitcnt vmcnt(7) lgkmcnt(2)
	v_mul_f64 v[180:181], v[156:157], v[166:167]
	v_add_f64 v[0:1], v[0:1], v[184:185]
	v_fmac_f64_e32 v[180:181], v[158:159], v[164:165]
	s_waitcnt vmcnt(6) lgkmcnt(1)
	v_mul_f64 v[6:7], v[120:121], v[170:171]
	ds_read_b128 v[160:163], v2 offset:1280
	v_add_f64 v[0:1], v[0:1], v[180:181]
	v_fmac_f64_e32 v[6:7], v[122:123], v[168:169]
	v_add_f64 v[0:1], v[0:1], v[6:7]
	s_waitcnt vmcnt(5) lgkmcnt(1)
	v_mul_f64 v[6:7], v[124:125], v[178:179]
	v_fmac_f64_e32 v[6:7], v[126:127], v[176:177]
	v_add_f64 v[0:1], v[0:1], v[6:7]
	v_mul_f64 v[6:7], v[146:147], v[130:131]
	v_fma_f64 v[6:7], v[144:145], v[128:129], -v[6:7]
	ds_read_b128 v[128:131], v2 offset:1296
	s_waitcnt vmcnt(4) lgkmcnt(1)
	v_mul_f64 v[144:145], v[160:161], v[190:191]
	v_fmac_f64_e32 v[144:145], v[162:163], v[188:189]
	v_add_f64 v[180:181], v[0:1], v[144:145]
	v_mul_f64 v[0:1], v[174:175], v[134:135]
	v_fma_f64 v[0:1], v[172:173], v[132:133], -v[0:1]
	ds_read_b128 v[132:135], v2 offset:1312
	ds_read_b128 v[144:147], v2 offset:1328
	v_mul_f64 v[138:139], v[150:151], v[138:139]
	v_fma_f64 v[246:247], v[148:149], v[136:137], -v[138:139]
	ds_read_b128 v[136:139], v2 offset:1344
	s_waitcnt vmcnt(3) lgkmcnt(3)
	v_mul_f64 v[172:173], v[128:129], v[194:195]
	v_fmac_f64_e32 v[172:173], v[130:131], v[192:193]
	s_waitcnt vmcnt(2) lgkmcnt(2)
	v_mul_f64 v[148:149], v[132:133], v[94:95]
	v_add_f64 v[172:173], v[180:181], v[172:173]
	v_fmac_f64_e32 v[148:149], v[134:135], v[92:93]
	s_waitcnt vmcnt(1) lgkmcnt(1)
	v_mul_f64 v[150:151], v[144:145], v[90:91]
	v_add_f64 v[148:149], v[172:173], v[148:149]
	v_fmac_f64_e32 v[150:151], v[146:147], v[88:89]
	v_add_f64 v[148:149], v[148:149], v[150:151]
	ds_read_b128 v[172:175], v2 offset:1360
	scratch_load_dwordx4 v[208:211], off, off offset:704
	s_waitcnt vmcnt(1) lgkmcnt(1)
	v_mul_f64 v[150:151], v[136:137], v[98:99]
	v_fmac_f64_e32 v[150:151], v[138:139], v[96:97]
	v_add_f64 v[180:181], v[148:149], v[150:151]
	scratch_load_dwordx4 v[148:151], off, off offset:672
	ds_read_b128 v[184:187], v2 offset:1376
	v_accvgpr_write_b32 a95, v1
	v_accvgpr_write_b32 a94, v0
	s_waitcnt vmcnt(0) lgkmcnt(1)
	v_mul_f64 v[182:183], v[172:173], v[150:151]
	v_fmac_f64_e32 v[182:183], v[174:175], v[148:149]
	v_add_f64 v[204:205], v[180:181], v[182:183]
	scratch_load_dwordx4 v[180:183], off, off offset:688
	s_waitcnt vmcnt(0) lgkmcnt(0)
	v_mul_f64 v[206:207], v[184:185], v[182:183]
	v_fmac_f64_e32 v[206:207], v[186:187], v[180:181]
	v_add_f64 v[0:1], v[204:205], v[206:207]
	ds_read_b128 v[204:207], v2 offset:1392
	s_waitcnt lgkmcnt(0)
	v_mul_f64 v[2:3], v[204:205], v[210:211]
	v_fmac_f64_e32 v[2:3], v[206:207], v[208:209]
	v_add_f64 v[2:3], v[0:1], v[2:3]
	v_add_f64 v[0:1], v[240:241], 0
	;; [unrolled: 1-line block ×6, first 2 shown]
	scratch_load_dwordx4 v[216:219], off, off offset:32
	v_add_f64 v[0:1], v[0:1], v[250:251]
	v_add_f64 v[0:1], v[0:1], v[252:253]
	v_add_f64 v[0:1], v[0:1], v[254:255]
	v_add_f64 v[0:1], v[0:1], v[244:245]
	v_add_f64 v[0:1], v[0:1], v[4:5]
	v_add_f64 v[248:249], v[0:1], v[6:7]
	v_accvgpr_read_b32 v0, a94
	v_accvgpr_read_b32 v243, a93
	;; [unrolled: 1-line block ×4, first 2 shown]
	v_add_f64 v[0:1], v[248:249], v[0:1]
	v_accvgpr_read_b32 v241, a91
	v_accvgpr_read_b32 v240, a90
	v_mul_f64 v[4:5], v[46:47], v[242:243]
	v_add_f64 v[0:1], v[0:1], v[246:247]
	v_fma_f64 v[4:5], v[44:45], v[240:241], -v[4:5]
	v_add_f64 v[0:1], v[0:1], v[4:5]
	v_mul_f64 v[4:5], v[42:43], v[10:11]
	v_fma_f64 v[4:5], v[40:41], v[8:9], -v[4:5]
	v_add_f64 v[0:1], v[0:1], v[4:5]
	v_mul_f64 v[4:5], v[34:35], v[14:15]
	;; [unrolled: 3-line block ×28, first 2 shown]
	v_fma_f64 v[4:5], v[204:205], v[208:209], -v[4:5]
	v_add_f64 v[0:1], v[0:1], v[4:5]
	s_waitcnt vmcnt(0)
	v_add_f64 v[4:5], v[216:217], -v[0:1]
	v_accvgpr_read_b32 v0, a88
	v_add_f64 v[6:7], v[218:219], -v[2:3]
	v_cmp_ne_u32_e32 vcc, 0, v0
	scratch_store_dwordx4 off, v[4:7], off offset:32
	s_and_saveexec_b64 s[0:1], vcc
	s_cbranch_execz .LBB107_277
; %bb.276:
	scratch_load_dwordx4 v[2:5], off, off offset:16
	v_mov_b32_e32 v6, 0
	v_mov_b32_e32 v7, v6
	v_mov_b32_e32 v8, v6
	v_mov_b32_e32 v9, v6
	v_accvgpr_read_b32 v0, a89
	scratch_store_dwordx4 off, v[6:9], off offset:16
	s_waitcnt vmcnt(1)
	ds_write_b128 v0, v[2:5]
.LBB107_277:
	s_or_b64 exec, exec, s[0:1]
	s_waitcnt lgkmcnt(0)
	; wave barrier
	scratch_load_dwordx4 v[100:103], off, off offset:32
	scratch_load_dwordx4 v[104:107], off, off offset:48
	;; [unrolled: 1-line block ×30, first 2 shown]
	v_mov_b32_e32 v8, 0
	ds_read_b128 v[144:147], v8 offset:720
	ds_read_b128 v[148:151], v8 offset:736
	;; [unrolled: 1-line block ×19, first 2 shown]
	s_and_b64 vcc, exec, s[10:11]
	ds_read_b128 v[132:135], v8 offset:1040
	s_waitcnt vmcnt(29) lgkmcnt(14)
	v_mul_f64 v[76:77], v[144:145], v[102:103]
	s_waitcnt vmcnt(28)
	v_mul_f64 v[78:79], v[148:149], v[106:107]
	v_fmac_f64_e32 v[76:77], v[146:147], v[100:101]
	s_waitcnt vmcnt(27)
	v_mul_f64 v[80:81], v[152:153], v[110:111]
	v_fmac_f64_e32 v[78:79], v[150:151], v[104:105]
	v_add_f64 v[76:77], v[76:77], 0
	s_waitcnt vmcnt(26)
	v_mul_f64 v[82:83], v[156:157], v[114:115]
	v_fmac_f64_e32 v[80:81], v[154:155], v[108:109]
	v_add_f64 v[76:77], v[76:77], v[78:79]
	;; [unrolled: 4-line block ×4, first 2 shown]
	s_waitcnt vmcnt(23) lgkmcnt(13)
	v_mul_f64 v[88:89], v[196:197], v[166:167]
	v_fmac_f64_e32 v[86:87], v[186:187], v[160:161]
	v_add_f64 v[76:77], v[76:77], v[84:85]
	s_waitcnt vmcnt(22) lgkmcnt(12)
	v_mul_f64 v[90:91], v[208:209], v[170:171]
	v_fmac_f64_e32 v[88:89], v[198:199], v[164:165]
	v_add_f64 v[76:77], v[76:77], v[86:87]
	;; [unrolled: 4-line block ×8, first 2 shown]
	v_fmac_f64_e32 v[122:123], v[234:235], v[204:205]
	v_add_f64 v[76:77], v[76:77], v[120:121]
	s_waitcnt vmcnt(15) lgkmcnt(5)
	v_mul_f64 v[124:125], v[72:73], v[2:3]
	v_accvgpr_write_b32 a91, v3
	v_add_f64 v[76:77], v[76:77], v[122:123]
	ds_read_b128 v[120:123], v8 offset:992
	v_fmac_f64_e32 v[124:125], v[74:75], v[0:1]
	v_accvgpr_write_b32 a90, v2
	v_accvgpr_write_b32 a89, v1
	;; [unrolled: 1-line block ×3, first 2 shown]
	s_waitcnt vmcnt(13)
	v_mov_b64_e32 v[0:1], v[128:129]
	s_waitcnt lgkmcnt(5)
	v_mul_f64 v[126:127], v[68:69], v[6:7]
	v_mov_b64_e32 v[2:3], v[130:131]
	v_fmac_f64_e32 v[126:127], v[70:71], v[4:5]
	v_add_f64 v[76:77], v[76:77], v[124:125]
	s_waitcnt lgkmcnt(4)
	v_mul_f64 v[82:83], v[64:65], v[2:3]
	v_add_f64 v[80:81], v[76:77], v[126:127]
	scratch_load_dwordx4 v[76:79], off, off offset:512
	v_fmac_f64_e32 v[82:83], v[66:67], v[0:1]
	v_add_f64 v[84:85], v[80:81], v[82:83]
	scratch_load_dwordx4 v[80:83], off, off offset:528
	ds_read_b128 v[124:127], v8 offset:1008
	s_waitcnt vmcnt(14) lgkmcnt(1)
	v_mul_f64 v[86:87], v[120:121], v[14:15]
	v_fmac_f64_e32 v[86:87], v[122:123], v[12:13]
	v_accvgpr_write_b32 a96, v128
	v_add_f64 v[88:89], v[84:85], v[86:87]
	scratch_load_dwordx4 v[84:87], off, off offset:544
	v_accvgpr_write_b32 a97, v129
	v_accvgpr_write_b32 a98, v130
	v_accvgpr_write_b32 a99, v131
	ds_read_b128 v[128:131], v8 offset:1024
	s_waitcnt vmcnt(14) lgkmcnt(1)
	v_mul_f64 v[90:91], v[124:125], v[18:19]
	v_fmac_f64_e32 v[90:91], v[126:127], v[16:17]
	v_add_f64 v[92:93], v[88:89], v[90:91]
	scratch_load_dwordx4 v[88:91], off, off offset:560
	s_waitcnt vmcnt(14) lgkmcnt(0)
	v_mul_f64 v[94:95], v[128:129], v[22:23]
	v_fmac_f64_e32 v[94:95], v[130:131], v[20:21]
	v_add_f64 v[96:97], v[92:93], v[94:95]
	s_waitcnt vmcnt(13)
	v_mul_f64 v[98:99], v[132:133], v[26:27]
	scratch_load_dwordx4 v[92:95], off, off offset:576
	v_fmac_f64_e32 v[98:99], v[134:135], v[24:25]
	v_add_f64 v[236:237], v[96:97], v[98:99]
	scratch_load_dwordx4 v[96:99], off, off offset:592
	v_mul_f64 v[102:103], v[146:147], v[102:103]
	v_fma_f64 v[240:241], v[144:145], v[100:101], -v[102:103]
	scratch_load_dwordx4 v[100:103], off, off offset:608
	v_mul_f64 v[106:107], v[150:151], v[106:107]
	v_fma_f64 v[242:243], v[148:149], v[104:105], -v[106:107]
	;; [unrolled: 3-line block ×5, first 2 shown]
	v_mul_f64 v[116:117], v[186:187], v[162:163]
	v_fma_f64 v[254:255], v[184:185], v[160:161], -v[116:117]
	scratch_load_dwordx4 v[116:119], off, off offset:672
	ds_read_b128 v[144:147], v8 offset:1088
	ds_read_b128 v[148:151], v8 offset:1104
	s_waitcnt vmcnt(19)
	v_mul_f64 v[238:239], v[136:137], v[30:31]
	v_fmac_f64_e32 v[238:239], v[138:139], v[28:29]
	v_add_f64 v[236:237], v[236:237], v[238:239]
	s_waitcnt vmcnt(18)
	v_mul_f64 v[238:239], v[140:141], v[34:35]
	v_fmac_f64_e32 v[238:239], v[142:143], v[32:33]
	v_add_f64 v[236:237], v[236:237], v[238:239]
	s_waitcnt vmcnt(17) lgkmcnt(1)
	v_mul_f64 v[238:239], v[144:145], v[38:39]
	v_fmac_f64_e32 v[238:239], v[146:147], v[36:37]
	s_waitcnt vmcnt(16) lgkmcnt(0)
	v_mul_f64 v[156:157], v[148:149], v[42:43]
	v_add_f64 v[236:237], v[236:237], v[238:239]
	ds_read_b128 v[152:155], v8 offset:1120
	v_fmac_f64_e32 v[156:157], v[150:151], v[40:41]
	v_add_f64 v[236:237], v[236:237], v[156:157]
	ds_read_b128 v[156:159], v8 offset:1136
	ds_read_b128 v[160:163], v8 offset:1152
	v_mul_f64 v[166:167], v[198:199], v[166:167]
	v_fma_f64 v[0:1], v[196:197], v[164:165], -v[166:167]
	ds_read_b128 v[164:167], v8 offset:1168
	s_waitcnt vmcnt(15) lgkmcnt(3)
	v_mul_f64 v[172:173], v[152:153], v[46:47]
	v_fmac_f64_e32 v[172:173], v[154:155], v[44:45]
	s_waitcnt vmcnt(14) lgkmcnt(2)
	v_mul_f64 v[174:175], v[156:157], v[50:51]
	v_add_f64 v[172:173], v[236:237], v[172:173]
	v_fmac_f64_e32 v[174:175], v[158:159], v[48:49]
	s_waitcnt vmcnt(13) lgkmcnt(1)
	v_mul_f64 v[2:3], v[160:161], v[54:55]
	v_add_f64 v[172:173], v[172:173], v[174:175]
	v_fmac_f64_e32 v[2:3], v[162:163], v[52:53]
	v_mul_f64 v[170:171], v[210:211], v[170:171]
	v_add_f64 v[2:3], v[172:173], v[2:3]
	v_fma_f64 v[236:237], v[208:209], v[168:169], -v[170:171]
	ds_read_b128 v[168:171], v8 offset:1184
	s_waitcnt vmcnt(12) lgkmcnt(1)
	v_mul_f64 v[172:173], v[164:165], v[62:63]
	v_fmac_f64_e32 v[172:173], v[166:167], v[60:61]
	v_add_f64 v[2:3], v[2:3], v[172:173]
	ds_read_b128 v[172:175], v8 offset:1200
	v_mul_f64 v[178:179], v[214:215], v[178:179]
	v_fma_f64 v[248:249], v[212:213], v[176:177], -v[178:179]
	ds_read_b128 v[176:179], v8 offset:1216
	v_mul_f64 v[182:183], v[218:219], v[182:183]
	s_waitcnt vmcnt(11) lgkmcnt(2)
	v_mul_f64 v[184:185], v[168:169], v[58:59]
	v_fma_f64 v[244:245], v[216:217], v[180:181], -v[182:183]
	ds_read_b128 v[180:183], v8 offset:1232
	v_fmac_f64_e32 v[184:185], v[170:171], v[56:57]
	v_accvgpr_write_b32 a95, v7
	v_add_f64 v[2:3], v[2:3], v[184:185]
	s_waitcnt vmcnt(10) lgkmcnt(2)
	v_mul_f64 v[184:185], v[172:173], v[78:79]
	v_accvgpr_write_b32 a94, v6
	v_accvgpr_write_b32 a93, v5
	;; [unrolled: 1-line block ×3, first 2 shown]
	v_fmac_f64_e32 v[184:185], v[174:175], v[76:77]
	s_waitcnt vmcnt(9) lgkmcnt(1)
	v_mul_f64 v[6:7], v[176:177], v[82:83]
	v_add_f64 v[2:3], v[2:3], v[184:185]
	v_fmac_f64_e32 v[6:7], v[178:179], v[80:81]
	v_add_f64 v[2:3], v[2:3], v[6:7]
	s_waitcnt vmcnt(8) lgkmcnt(0)
	v_mul_f64 v[6:7], v[180:181], v[86:87]
	ds_read_b128 v[184:187], v8 offset:1248
	v_fmac_f64_e32 v[6:7], v[182:183], v[84:85]
	v_add_f64 v[2:3], v[2:3], v[6:7]
	v_mul_f64 v[6:7], v[222:223], v[190:191]
	v_fma_f64 v[6:7], v[220:221], v[188:189], -v[6:7]
	ds_read_b128 v[188:191], v8 offset:1264
	v_mul_f64 v[194:195], v[226:227], v[194:195]
	v_fma_f64 v[4:5], v[224:225], v[192:193], -v[194:195]
	ds_read_b128 v[192:195], v8 offset:1280
	s_waitcnt vmcnt(7) lgkmcnt(2)
	v_mul_f64 v[196:197], v[184:185], v[90:91]
	v_fmac_f64_e32 v[196:197], v[186:187], v[88:89]
	v_add_f64 v[2:3], v[2:3], v[196:197]
	s_waitcnt vmcnt(6) lgkmcnt(1)
	v_mul_f64 v[10:11], v[188:189], v[94:95]
	ds_read_b128 v[196:199], v8 offset:1296
	v_fmac_f64_e32 v[10:11], v[190:191], v[92:93]
	v_add_f64 v[2:3], v[2:3], v[10:11]
	s_waitcnt vmcnt(5) lgkmcnt(1)
	v_mul_f64 v[10:11], v[192:193], v[98:99]
	v_fmac_f64_e32 v[10:11], v[194:195], v[96:97]
	v_add_f64 v[2:3], v[2:3], v[10:11]
	v_mul_f64 v[10:11], v[230:231], v[202:203]
	v_fma_f64 v[238:239], v[228:229], v[200:201], -v[10:11]
	s_waitcnt vmcnt(4) lgkmcnt(0)
	v_mul_f64 v[10:11], v[196:197], v[102:103]
	ds_read_b128 v[200:203], v8 offset:1312
	v_fmac_f64_e32 v[10:11], v[198:199], v[100:101]
	v_add_f64 v[10:11], v[2:3], v[10:11]
	v_mul_f64 v[2:3], v[234:235], v[206:207]
	v_fma_f64 v[2:3], v[232:233], v[204:205], -v[2:3]
	ds_read_b128 v[204:207], v8 offset:1328
	ds_read_b128 v[208:211], v8 offset:1344
	;; [unrolled: 1-line block ×3, first 2 shown]
	s_waitcnt vmcnt(3) lgkmcnt(3)
	v_mul_f64 v[212:213], v[200:201], v[106:107]
	v_fmac_f64_e32 v[212:213], v[202:203], v[104:105]
	v_add_f64 v[10:11], v[10:11], v[212:213]
	s_waitcnt vmcnt(2) lgkmcnt(2)
	v_mul_f64 v[212:213], v[204:205], v[110:111]
	v_fmac_f64_e32 v[212:213], v[206:207], v[108:109]
	v_add_f64 v[10:11], v[10:11], v[212:213]
	;; [unrolled: 4-line block ×3, first 2 shown]
	ds_read_b128 v[212:215], v8 offset:1360
	ds_read_b128 v[228:231], v8 offset:1392
	s_waitcnt vmcnt(0) lgkmcnt(1)
	v_mul_f64 v[216:217], v[212:213], v[118:119]
	v_fmac_f64_e32 v[216:217], v[214:215], v[116:117]
	v_add_f64 v[10:11], v[10:11], v[216:217]
	scratch_load_dwordx4 v[216:219], off, off offset:688
	s_waitcnt vmcnt(0)
	v_mul_f64 v[224:225], v[220:221], v[218:219]
	v_fmac_f64_e32 v[224:225], v[222:223], v[216:217]
	v_add_f64 v[10:11], v[10:11], v[224:225]
	scratch_load_dwordx4 v[224:227], off, off offset:704
	s_waitcnt vmcnt(0) lgkmcnt(0)
	v_mul_f64 v[232:233], v[228:229], v[226:227]
	v_fmac_f64_e32 v[232:233], v[230:231], v[224:225]
	v_add_f64 v[10:11], v[10:11], v[232:233]
	scratch_load_dwordx4 v[232:235], off, off offset:16
	v_accvgpr_write_b32 a101, v11
	v_accvgpr_write_b32 a100, v10
	v_add_f64 v[10:11], v[240:241], 0
	v_add_f64 v[10:11], v[10:11], v[242:243]
	;; [unrolled: 1-line block ×12, first 2 shown]
	v_accvgpr_read_b32 v4, a88
	v_add_f64 v[0:1], v[246:247], v[238:239]
	v_accvgpr_read_b32 v6, a90
	v_accvgpr_read_b32 v7, a91
	v_add_f64 v[0:1], v[0:1], v[2:3]
	v_accvgpr_read_b32 v5, a89
	v_mul_f64 v[2:3], v[74:75], v[6:7]
	v_fma_f64 v[2:3], v[72:73], v[4:5], -v[2:3]
	v_accvgpr_read_b32 v4, a92
	v_accvgpr_read_b32 v6, a94
	;; [unrolled: 1-line block ×3, first 2 shown]
	v_add_f64 v[0:1], v[0:1], v[2:3]
	v_accvgpr_read_b32 v5, a93
	v_mul_f64 v[2:3], v[70:71], v[6:7]
	v_fma_f64 v[2:3], v[68:69], v[4:5], -v[2:3]
	v_accvgpr_read_b32 v4, a96
	v_accvgpr_read_b32 v6, a98
	;; [unrolled: 1-line block ×3, first 2 shown]
	v_add_f64 v[0:1], v[0:1], v[2:3]
	v_accvgpr_read_b32 v5, a97
	v_mul_f64 v[2:3], v[66:67], v[6:7]
	v_fma_f64 v[2:3], v[64:65], v[4:5], -v[2:3]
	v_add_f64 v[0:1], v[0:1], v[2:3]
	v_mul_f64 v[2:3], v[122:123], v[14:15]
	v_fma_f64 v[2:3], v[120:121], v[12:13], -v[2:3]
	v_add_f64 v[0:1], v[0:1], v[2:3]
	;; [unrolled: 3-line block ×27, first 2 shown]
	v_accvgpr_read_b32 v2, a100
	v_accvgpr_read_b32 v3, a101
	s_waitcnt vmcnt(0)
	v_add_f64 v[0:1], v[232:233], -v[0:1]
	v_add_f64 v[2:3], v[234:235], -v[2:3]
	scratch_store_dwordx4 off, v[0:3], off offset:16
	s_cbranch_vccz .LBB107_364
; %bb.278:
	global_load_dword v0, v8, s[8:9] offset:168
	s_waitcnt vmcnt(0)
	v_readfirstlane_b32 s0, v0
	s_add_i32 s0, s0, -1
	s_cmp_lg_u32 s0, 42
	s_cbranch_scc0 .LBB107_280
; %bb.279:
	s_lshl_b32 s0, s0, 4
	s_add_i32 s0, s0, 16
	scratch_load_dwordx4 v[0:3], off, s0
	scratch_load_dwordx4 v[4:7], off, s17
	s_waitcnt vmcnt(1)
	scratch_store_dwordx4 off, v[0:3], s17
	s_waitcnt vmcnt(1)
	scratch_store_dwordx4 off, v[4:7], s0
.LBB107_280:
	v_mov_b32_e32 v0, 0
	global_load_dword v1, v0, s[8:9] offset:164
	s_waitcnt vmcnt(0)
	v_readfirstlane_b32 s0, v1
	s_add_i32 s0, s0, -1
	s_cmp_eq_u32 s0, 41
	s_cbranch_scc1 .LBB107_282
; %bb.281:
	s_lshl_b32 s0, s0, 4
	s_add_i32 s0, s0, 16
	scratch_load_dwordx4 v[2:5], off, s0
	scratch_load_dwordx4 v[6:9], off, s18
	s_waitcnt vmcnt(1)
	scratch_store_dwordx4 off, v[2:5], s18
	s_waitcnt vmcnt(1)
	scratch_store_dwordx4 off, v[6:9], s0
.LBB107_282:
	global_load_dword v0, v0, s[8:9] offset:160
	s_waitcnt vmcnt(0)
	v_readfirstlane_b32 s0, v0
	s_add_i32 s0, s0, -1
	s_cmp_eq_u32 s0, 40
	s_cbranch_scc1 .LBB107_284
; %bb.283:
	s_lshl_b32 s0, s0, 4
	s_add_i32 s0, s0, 16
	scratch_load_dwordx4 v[0:3], off, s0
	scratch_load_dwordx4 v[4:7], off, s19
	s_waitcnt vmcnt(1)
	scratch_store_dwordx4 off, v[0:3], s19
	s_waitcnt vmcnt(1)
	scratch_store_dwordx4 off, v[4:7], s0
.LBB107_284:
	v_mov_b32_e32 v0, 0
	global_load_dword v1, v0, s[8:9] offset:156
	s_waitcnt vmcnt(0)
	v_readfirstlane_b32 s0, v1
	s_add_i32 s0, s0, -1
	s_cmp_eq_u32 s0, 39
	s_cbranch_scc1 .LBB107_286
; %bb.285:
	s_lshl_b32 s0, s0, 4
	s_add_i32 s0, s0, 16
	scratch_load_dwordx4 v[2:5], off, s0
	scratch_load_dwordx4 v[6:9], off, s20
	s_waitcnt vmcnt(1)
	scratch_store_dwordx4 off, v[2:5], s20
	s_waitcnt vmcnt(1)
	scratch_store_dwordx4 off, v[6:9], s0
.LBB107_286:
	global_load_dword v0, v0, s[8:9] offset:152
	s_waitcnt vmcnt(0)
	v_readfirstlane_b32 s0, v0
	s_add_i32 s0, s0, -1
	s_cmp_eq_u32 s0, 38
	s_cbranch_scc1 .LBB107_288
; %bb.287:
	s_lshl_b32 s0, s0, 4
	s_add_i32 s0, s0, 16
	scratch_load_dwordx4 v[0:3], off, s0
	scratch_load_dwordx4 v[4:7], off, s21
	s_waitcnt vmcnt(1)
	scratch_store_dwordx4 off, v[0:3], s21
	s_waitcnt vmcnt(1)
	scratch_store_dwordx4 off, v[4:7], s0
.LBB107_288:
	;; [unrolled: 33-line block ×20, first 2 shown]
	v_mov_b32_e32 v0, 0
	global_load_dword v1, v0, s[8:9] offset:4
	s_waitcnt vmcnt(0)
	v_readfirstlane_b32 s0, v1
	s_add_i32 s0, s0, -1
	s_cmp_eq_u32 s0, 1
	s_cbranch_scc1 .LBB107_362
; %bb.361:
	s_lshl_b32 s0, s0, 4
	s_add_i32 s0, s0, 16
	scratch_load_dwordx4 v[2:5], off, s0
	scratch_load_dwordx4 v[6:9], off, s59
	s_waitcnt vmcnt(1)
	scratch_store_dwordx4 off, v[2:5], s59
	s_waitcnt vmcnt(1)
	scratch_store_dwordx4 off, v[6:9], s0
.LBB107_362:
	global_load_dword v0, v0, s[8:9]
	s_waitcnt vmcnt(0)
	v_readfirstlane_b32 s0, v0
	s_add_i32 s0, s0, -1
	s_cmp_eq_u32 s0, 0
	s_cbranch_scc1 .LBB107_364
; %bb.363:
	s_lshl_b32 s0, s0, 4
	s_add_i32 s0, s0, 16
	scratch_load_dwordx4 v[0:3], off, s0
	scratch_load_dwordx4 v[4:7], off, off offset:16
	s_waitcnt vmcnt(1)
	scratch_store_dwordx4 off, v[0:3], off offset:16
	s_waitcnt vmcnt(1)
	scratch_store_dwordx4 off, v[4:7], s0
.LBB107_364:
	scratch_load_dwordx4 v[0:3], off, off offset:16
	s_nop 0
	v_accvgpr_read_b32 v5, a1
	v_accvgpr_read_b32 v4, a0
	s_waitcnt vmcnt(0)
	flat_store_dwordx4 v[4:5], v[0:3]
	scratch_load_dwordx4 v[0:3], off, s59
	v_accvgpr_read_b32 v5, a3
	v_accvgpr_read_b32 v4, a2
	s_waitcnt vmcnt(0)
	flat_store_dwordx4 v[4:5], v[0:3]
	scratch_load_dwordx4 v[0:3], off, s58
	;; [unrolled: 5-line block ×43, first 2 shown]
	v_accvgpr_read_b32 v4, a86
	v_accvgpr_read_b32 v5, a87
	s_waitcnt vmcnt(0)
	flat_store_dwordx4 v[4:5], v[0:3]
	s_endpgm
	.section	.rodata,"a",@progbits
	.p2align	6, 0x0
	.amdhsa_kernel _ZN9rocsolver6v33100L18getri_kernel_smallILi44E19rocblas_complex_numIdEPKPS3_EEvT1_iilPiilS8_bb
		.amdhsa_group_segment_fixed_size 1416
		.amdhsa_private_segment_fixed_size 736
		.amdhsa_kernarg_size 60
		.amdhsa_user_sgpr_count 2
		.amdhsa_user_sgpr_dispatch_ptr 0
		.amdhsa_user_sgpr_queue_ptr 0
		.amdhsa_user_sgpr_kernarg_segment_ptr 1
		.amdhsa_user_sgpr_dispatch_id 0
		.amdhsa_user_sgpr_kernarg_preload_length 0
		.amdhsa_user_sgpr_kernarg_preload_offset 0
		.amdhsa_user_sgpr_private_segment_size 0
		.amdhsa_uses_dynamic_stack 0
		.amdhsa_enable_private_segment 1
		.amdhsa_system_sgpr_workgroup_id_x 1
		.amdhsa_system_sgpr_workgroup_id_y 0
		.amdhsa_system_sgpr_workgroup_id_z 0
		.amdhsa_system_sgpr_workgroup_info 0
		.amdhsa_system_vgpr_workitem_id 0
		.amdhsa_next_free_vgpr 358
		.amdhsa_next_free_sgpr 76
		.amdhsa_accum_offset 256
		.amdhsa_reserve_vcc 1
		.amdhsa_float_round_mode_32 0
		.amdhsa_float_round_mode_16_64 0
		.amdhsa_float_denorm_mode_32 3
		.amdhsa_float_denorm_mode_16_64 3
		.amdhsa_dx10_clamp 1
		.amdhsa_ieee_mode 1
		.amdhsa_fp16_overflow 0
		.amdhsa_tg_split 0
		.amdhsa_exception_fp_ieee_invalid_op 0
		.amdhsa_exception_fp_denorm_src 0
		.amdhsa_exception_fp_ieee_div_zero 0
		.amdhsa_exception_fp_ieee_overflow 0
		.amdhsa_exception_fp_ieee_underflow 0
		.amdhsa_exception_fp_ieee_inexact 0
		.amdhsa_exception_int_div_zero 0
	.end_amdhsa_kernel
	.section	.text._ZN9rocsolver6v33100L18getri_kernel_smallILi44E19rocblas_complex_numIdEPKPS3_EEvT1_iilPiilS8_bb,"axG",@progbits,_ZN9rocsolver6v33100L18getri_kernel_smallILi44E19rocblas_complex_numIdEPKPS3_EEvT1_iilPiilS8_bb,comdat
.Lfunc_end107:
	.size	_ZN9rocsolver6v33100L18getri_kernel_smallILi44E19rocblas_complex_numIdEPKPS3_EEvT1_iilPiilS8_bb, .Lfunc_end107-_ZN9rocsolver6v33100L18getri_kernel_smallILi44E19rocblas_complex_numIdEPKPS3_EEvT1_iilPiilS8_bb
                                        ; -- End function
	.set _ZN9rocsolver6v33100L18getri_kernel_smallILi44E19rocblas_complex_numIdEPKPS3_EEvT1_iilPiilS8_bb.num_vgpr, 256
	.set _ZN9rocsolver6v33100L18getri_kernel_smallILi44E19rocblas_complex_numIdEPKPS3_EEvT1_iilPiilS8_bb.num_agpr, 102
	.set _ZN9rocsolver6v33100L18getri_kernel_smallILi44E19rocblas_complex_numIdEPKPS3_EEvT1_iilPiilS8_bb.numbered_sgpr, 76
	.set _ZN9rocsolver6v33100L18getri_kernel_smallILi44E19rocblas_complex_numIdEPKPS3_EEvT1_iilPiilS8_bb.num_named_barrier, 0
	.set _ZN9rocsolver6v33100L18getri_kernel_smallILi44E19rocblas_complex_numIdEPKPS3_EEvT1_iilPiilS8_bb.private_seg_size, 736
	.set _ZN9rocsolver6v33100L18getri_kernel_smallILi44E19rocblas_complex_numIdEPKPS3_EEvT1_iilPiilS8_bb.uses_vcc, 1
	.set _ZN9rocsolver6v33100L18getri_kernel_smallILi44E19rocblas_complex_numIdEPKPS3_EEvT1_iilPiilS8_bb.uses_flat_scratch, 0
	.set _ZN9rocsolver6v33100L18getri_kernel_smallILi44E19rocblas_complex_numIdEPKPS3_EEvT1_iilPiilS8_bb.has_dyn_sized_stack, 0
	.set _ZN9rocsolver6v33100L18getri_kernel_smallILi44E19rocblas_complex_numIdEPKPS3_EEvT1_iilPiilS8_bb.has_recursion, 0
	.set _ZN9rocsolver6v33100L18getri_kernel_smallILi44E19rocblas_complex_numIdEPKPS3_EEvT1_iilPiilS8_bb.has_indirect_call, 0
	.section	.AMDGPU.csdata,"",@progbits
; Kernel info:
; codeLenInByte = 83552
; TotalNumSgprs: 82
; NumVgprs: 256
; NumAgprs: 102
; TotalNumVgprs: 358
; ScratchSize: 736
; MemoryBound: 0
; FloatMode: 240
; IeeeMode: 1
; LDSByteSize: 1416 bytes/workgroup (compile time only)
; SGPRBlocks: 10
; VGPRBlocks: 44
; NumSGPRsForWavesPerEU: 82
; NumVGPRsForWavesPerEU: 358
; AccumOffset: 256
; Occupancy: 1
; WaveLimiterHint : 1
; COMPUTE_PGM_RSRC2:SCRATCH_EN: 1
; COMPUTE_PGM_RSRC2:USER_SGPR: 2
; COMPUTE_PGM_RSRC2:TRAP_HANDLER: 0
; COMPUTE_PGM_RSRC2:TGID_X_EN: 1
; COMPUTE_PGM_RSRC2:TGID_Y_EN: 0
; COMPUTE_PGM_RSRC2:TGID_Z_EN: 0
; COMPUTE_PGM_RSRC2:TIDIG_COMP_CNT: 0
; COMPUTE_PGM_RSRC3_GFX90A:ACCUM_OFFSET: 63
; COMPUTE_PGM_RSRC3_GFX90A:TG_SPLIT: 0
	.section	.text._ZN9rocsolver6v33100L18getri_kernel_smallILi45E19rocblas_complex_numIdEPKPS3_EEvT1_iilPiilS8_bb,"axG",@progbits,_ZN9rocsolver6v33100L18getri_kernel_smallILi45E19rocblas_complex_numIdEPKPS3_EEvT1_iilPiilS8_bb,comdat
	.globl	_ZN9rocsolver6v33100L18getri_kernel_smallILi45E19rocblas_complex_numIdEPKPS3_EEvT1_iilPiilS8_bb ; -- Begin function _ZN9rocsolver6v33100L18getri_kernel_smallILi45E19rocblas_complex_numIdEPKPS3_EEvT1_iilPiilS8_bb
	.p2align	8
	.type	_ZN9rocsolver6v33100L18getri_kernel_smallILi45E19rocblas_complex_numIdEPKPS3_EEvT1_iilPiilS8_bb,@function
_ZN9rocsolver6v33100L18getri_kernel_smallILi45E19rocblas_complex_numIdEPKPS3_EEvT1_iilPiilS8_bb: ; @_ZN9rocsolver6v33100L18getri_kernel_smallILi45E19rocblas_complex_numIdEPKPS3_EEvT1_iilPiilS8_bb
; %bb.0:
	v_mov_b32_e32 v240, v0
	v_cmp_gt_u32_e32 vcc, 45, v240
	s_and_saveexec_b64 s[4:5], vcc
	s_cbranch_execz .LBB108_194
; %bb.1:
	s_load_dword s14, s[0:1], 0x38
	s_load_dwordx2 s[8:9], s[0:1], 0x0
	s_load_dwordx4 s[4:7], s[0:1], 0x28
	s_waitcnt lgkmcnt(0)
	s_bitcmp1_b32 s14, 8
	s_cselect_b64 s[10:11], -1, 0
	s_ashr_i32 s3, s2, 31
	s_lshl_b64 s[12:13], s[2:3], 3
	s_add_u32 s8, s8, s12
	s_addc_u32 s9, s9, s13
	s_load_dwordx2 s[12:13], s[8:9], 0x0
	s_bfe_u32 s8, s14, 0x10008
	s_cmp_eq_u32 s8, 0
                                        ; implicit-def: $sgpr8_sgpr9
	s_cbranch_scc1 .LBB108_3
; %bb.2:
	s_load_dword s8, s[0:1], 0x20
	s_load_dwordx2 s[14:15], s[0:1], 0x18
	s_mul_i32 s9, s4, s3
	s_mul_hi_u32 s16, s4, s2
	s_add_i32 s16, s16, s9
	s_mul_i32 s5, s5, s2
	s_add_i32 s5, s16, s5
	s_mul_i32 s4, s4, s2
	s_waitcnt lgkmcnt(0)
	s_ashr_i32 s9, s8, 31
	s_lshl_b64 s[4:5], s[4:5], 2
	s_add_u32 s14, s14, s4
	s_addc_u32 s15, s15, s5
	s_lshl_b64 s[4:5], s[8:9], 2
	s_add_u32 s8, s14, s4
	s_addc_u32 s9, s15, s5
.LBB108_3:
	s_load_dwordx2 s[4:5], s[0:1], 0x8
	s_load_dword s14, s[0:1], 0x38
	v_lshlrev_b32_e32 v14, 4, v240
	v_mov_b32_e32 v15, 0
	s_movk_i32 s15, 0x80
	s_waitcnt lgkmcnt(0)
	s_ashr_i32 s1, s4, 31
	s_mov_b32 s0, s4
	s_lshl_b64 s[0:1], s[0:1], 4
	s_add_u32 s0, s12, s0
	s_addc_u32 s1, s13, s1
	v_lshl_add_u64 v[0:1], s[0:1], 0, v[14:15]
	flat_load_dwordx4 v[2:5], v[0:1]
	s_mov_b32 s12, s5
	s_ashr_i32 s13, s5, 31
	v_accvgpr_write_b32 a0, v0
	v_accvgpr_write_b32 a1, v1
	v_lshl_add_u64 v[0:1], s[12:13], 4, v[0:1]
	s_add_i32 s4, s5, s5
	v_add_u32_e32 v6, s4, v240
	v_accvgpr_write_b32 a3, v1
	v_ashrrev_i32_e32 v7, 31, v6
	v_accvgpr_write_b32 a2, v0
	s_movk_i32 s4, 0x50
	s_movk_i32 s12, 0x60
	;; [unrolled: 1-line block ×36, first 2 shown]
	s_add_i32 s56, s4, 16
	s_add_i32 s55, s12, 16
	;; [unrolled: 1-line block ×33, first 2 shown]
	s_waitcnt vmcnt(0) lgkmcnt(0)
	scratch_store_dwordx4 off, v[2:5], off offset:16
	flat_load_dwordx4 v[2:5], v[0:1]
	v_lshl_add_u64 v[0:1], v[6:7], 4, s[0:1]
	v_add_u32_e32 v6, s5, v6
	v_accvgpr_write_b32 a5, v1
	v_ashrrev_i32_e32 v7, 31, v6
	v_accvgpr_write_b32 a4, v0
	s_add_i32 s19, s73, 16
	s_add_i32 s18, s74, 16
	;; [unrolled: 1-line block ×4, first 2 shown]
	s_mov_b32 s60, 32
	s_mov_b32 s59, 48
	;; [unrolled: 1-line block ×3, first 2 shown]
	s_movk_i32 s57, 0x50
	s_waitcnt vmcnt(0) lgkmcnt(0)
	scratch_store_dwordx4 off, v[2:5], off offset:32
	flat_load_dwordx4 v[2:5], v[0:1]
	v_lshl_add_u64 v[0:1], v[6:7], 4, s[0:1]
	v_add_u32_e32 v6, s5, v6
	v_accvgpr_write_b32 a7, v1
	v_ashrrev_i32_e32 v7, 31, v6
	v_accvgpr_write_b32 a6, v0
	s_waitcnt vmcnt(0) lgkmcnt(0)
	scratch_store_dwordx4 off, v[2:5], off offset:48
	flat_load_dwordx4 v[2:5], v[0:1]
	v_lshl_add_u64 v[0:1], v[6:7], 4, s[0:1]
	v_add_u32_e32 v6, s5, v6
	v_accvgpr_write_b32 a9, v1
	v_ashrrev_i32_e32 v7, 31, v6
	v_accvgpr_write_b32 a8, v0
	;; [unrolled: 8-line block ×41, first 2 shown]
	s_movk_i32 s5, 0xd0
	s_add_i32 s48, s5, 16
	s_mov_b64 s[4:5], -1
	s_waitcnt vmcnt(0) lgkmcnt(0)
	scratch_store_dwordx4 off, v[2:5], off offset:688
	flat_load_dwordx4 v[2:5], v[0:1]
	v_lshl_add_u64 v[0:1], v[6:7], 4, s[0:1]
	s_movk_i32 s0, 0xb0
	s_movk_i32 s1, 0xc0
	v_accvgpr_write_b32 a89, v1
	s_add_i32 s50, s0, 16
	s_add_i32 s49, s1, 16
	v_accvgpr_write_b32 a88, v0
	s_bitcmp0_b32 s14, 0
	s_waitcnt vmcnt(0) lgkmcnt(0)
	scratch_store_dwordx4 off, v[2:5], off offset:704
	flat_load_dwordx4 v[2:5], v[0:1]
	s_waitcnt vmcnt(0) lgkmcnt(0)
	scratch_store_dwordx4 off, v[2:5], off offset:720
	s_cbranch_scc1 .LBB108_192
; %bb.4:
	v_cmp_eq_u32_e64 s[0:1], 0, v240
	s_and_saveexec_b64 s[4:5], s[0:1]
; %bb.5:
	v_mov_b32_e32 v0, 0
	ds_write_b32 v0, v0 offset:1440
; %bb.6:
	s_or_b64 exec, exec, s[4:5]
	s_waitcnt lgkmcnt(0)
	; wave barrier
	scratch_load_dwordx4 v[2:5], v14, off offset:16
	s_waitcnt vmcnt(0)
	v_cmp_eq_f64_e32 vcc, 0, v[2:3]
	v_cmp_eq_f64_e64 s[4:5], 0, v[4:5]
	s_and_b64 s[4:5], vcc, s[4:5]
	s_and_saveexec_b64 s[12:13], s[4:5]
	s_cbranch_execz .LBB108_10
; %bb.7:
	v_mov_b32_e32 v1, 0
	ds_read_b32 v0, v1 offset:1440
	v_add_u32_e32 v2, 1, v240
	s_waitcnt lgkmcnt(0)
	v_readfirstlane_b32 s4, v0
	s_cmp_eq_u32 s4, 0
	s_cselect_b64 s[14:15], -1, 0
	v_cmp_gt_i32_e32 vcc, s4, v2
	s_or_b64 s[14:15], s[14:15], vcc
	s_and_b64 exec, exec, s[14:15]
	s_cbranch_execz .LBB108_10
; %bb.8:
	s_mov_b64 s[14:15], 0
	v_mov_b32_e32 v3, s4
.LBB108_9:                              ; =>This Inner Loop Header: Depth=1
	ds_cmpst_rtn_b32 v3, v1, v3, v2 offset:1440
	s_waitcnt lgkmcnt(0)
	v_cmp_ne_u32_e32 vcc, 0, v3
	v_cmp_le_i32_e64 s[4:5], v3, v2
	s_and_b64 s[4:5], vcc, s[4:5]
	s_and_b64 s[4:5], exec, s[4:5]
	s_or_b64 s[14:15], s[4:5], s[14:15]
	s_andn2_b64 exec, exec, s[14:15]
	s_cbranch_execnz .LBB108_9
.LBB108_10:
	s_or_b64 exec, exec, s[12:13]
	v_mov_b32_e32 v2, 0
	; wave barrier
	ds_read_b32 v1, v2 offset:1440
	s_and_saveexec_b64 s[4:5], s[0:1]
	s_cbranch_execz .LBB108_12
; %bb.11:
	s_lshl_b64 s[12:13], s[2:3], 2
	s_add_u32 s12, s6, s12
	s_addc_u32 s13, s7, s13
	s_waitcnt lgkmcnt(0)
	global_store_dword v2, v1, s[12:13]
.LBB108_12:
	s_or_b64 exec, exec, s[4:5]
	s_waitcnt lgkmcnt(0)
	v_cmp_ne_u32_e32 vcc, 0, v1
	s_mov_b64 s[4:5], 0
	s_cbranch_vccnz .LBB108_192
; %bb.13:
	v_add_u32_e32 v15, 16, v14
	scratch_load_dwordx4 v[2:5], v15, off
                                        ; implicit-def: $vgpr6_vgpr7
                                        ; implicit-def: $vgpr10_vgpr11
	s_waitcnt vmcnt(0)
	v_cmp_ngt_f64_e64 s[4:5], |v[2:3]|, |v[4:5]|
	s_and_saveexec_b64 s[12:13], s[4:5]
	s_xor_b64 s[4:5], exec, s[12:13]
	s_cbranch_execz .LBB108_15
; %bb.14:
	v_div_scale_f64 v[6:7], s[12:13], v[4:5], v[4:5], v[2:3]
	v_rcp_f64_e32 v[8:9], v[6:7]
	v_div_scale_f64 v[10:11], vcc, v[2:3], v[4:5], v[2:3]
	v_fma_f64 v[12:13], -v[6:7], v[8:9], 1.0
	v_fmac_f64_e32 v[8:9], v[8:9], v[12:13]
	v_fma_f64 v[12:13], -v[6:7], v[8:9], 1.0
	v_fmac_f64_e32 v[8:9], v[8:9], v[12:13]
	v_mul_f64 v[12:13], v[10:11], v[8:9]
	v_fma_f64 v[6:7], -v[6:7], v[12:13], v[10:11]
	v_div_fmas_f64 v[6:7], v[6:7], v[8:9], v[12:13]
	v_div_fixup_f64 v[6:7], v[6:7], v[4:5], v[2:3]
	v_fmac_f64_e32 v[4:5], v[2:3], v[6:7]
	v_div_scale_f64 v[2:3], s[12:13], v[4:5], v[4:5], 1.0
	v_rcp_f64_e32 v[8:9], v[2:3]
	s_nop 0
	v_fma_f64 v[10:11], -v[2:3], v[8:9], 1.0
	v_fmac_f64_e32 v[8:9], v[8:9], v[10:11]
	v_fma_f64 v[10:11], -v[2:3], v[8:9], 1.0
	v_fmac_f64_e32 v[8:9], v[8:9], v[10:11]
	v_div_scale_f64 v[10:11], vcc, 1.0, v[4:5], 1.0
	v_mul_f64 v[12:13], v[10:11], v[8:9]
	v_fma_f64 v[2:3], -v[2:3], v[12:13], v[10:11]
	s_nop 1
	v_div_fmas_f64 v[2:3], v[2:3], v[8:9], v[12:13]
	v_div_fixup_f64 v[8:9], v[2:3], v[4:5], 1.0
	v_mul_f64 v[6:7], v[6:7], v[8:9]
	v_xor_b32_e32 v9, 0x80000000, v9
	v_xor_b32_e32 v11, 0x80000000, v7
	v_mov_b32_e32 v10, v6
                                        ; implicit-def: $vgpr2_vgpr3
.LBB108_15:
	s_andn2_saveexec_b64 s[4:5], s[4:5]
	s_cbranch_execz .LBB108_17
; %bb.16:
	v_div_scale_f64 v[6:7], s[12:13], v[2:3], v[2:3], v[4:5]
	v_rcp_f64_e32 v[8:9], v[6:7]
	v_div_scale_f64 v[10:11], vcc, v[4:5], v[2:3], v[4:5]
	v_fma_f64 v[12:13], -v[6:7], v[8:9], 1.0
	v_fmac_f64_e32 v[8:9], v[8:9], v[12:13]
	v_fma_f64 v[12:13], -v[6:7], v[8:9], 1.0
	v_fmac_f64_e32 v[8:9], v[8:9], v[12:13]
	v_mul_f64 v[12:13], v[10:11], v[8:9]
	v_fma_f64 v[6:7], -v[6:7], v[12:13], v[10:11]
	v_div_fmas_f64 v[6:7], v[6:7], v[8:9], v[12:13]
	v_div_fixup_f64 v[8:9], v[6:7], v[2:3], v[4:5]
	v_fmac_f64_e32 v[2:3], v[4:5], v[8:9]
	v_div_scale_f64 v[4:5], s[12:13], v[2:3], v[2:3], 1.0
	v_rcp_f64_e32 v[6:7], v[4:5]
	s_nop 0
	v_fma_f64 v[10:11], -v[4:5], v[6:7], 1.0
	v_fmac_f64_e32 v[6:7], v[6:7], v[10:11]
	v_fma_f64 v[10:11], -v[4:5], v[6:7], 1.0
	v_fmac_f64_e32 v[6:7], v[6:7], v[10:11]
	v_div_scale_f64 v[10:11], vcc, 1.0, v[2:3], 1.0
	v_mul_f64 v[12:13], v[10:11], v[6:7]
	v_fma_f64 v[4:5], -v[4:5], v[12:13], v[10:11]
	s_nop 1
	v_div_fmas_f64 v[4:5], v[4:5], v[6:7], v[12:13]
	v_div_fixup_f64 v[6:7], v[4:5], v[2:3], 1.0
	v_xor_b32_e32 v11, 0x80000000, v7
	v_mov_b32_e32 v10, v6
	v_mul_f64 v[8:9], v[8:9], -v[6:7]
.LBB108_17:
	s_or_b64 exec, exec, s[4:5]
	scratch_store_dwordx4 v15, v[6:9], off
	scratch_load_dwordx4 v[2:5], off, s60
	v_xor_b32_e32 v13, 0x80000000, v9
	v_mov_b32_e32 v12, v8
	v_add_u32_e32 v1, 0x2d0, v14
	ds_write_b128 v14, v[10:13]
	s_waitcnt vmcnt(0)
	ds_write_b128 v14, v[2:5] offset:720
	s_waitcnt lgkmcnt(0)
	; wave barrier
	s_and_saveexec_b64 s[4:5], s[0:1]
	s_cbranch_execz .LBB108_19
; %bb.18:
	scratch_load_dwordx4 v[2:5], v15, off
	ds_read_b128 v[6:9], v1
	v_mov_b32_e32 v0, 0
	ds_read_b128 v[10:13], v0 offset:16
	s_waitcnt vmcnt(0) lgkmcnt(1)
	v_mul_f64 v[16:17], v[8:9], v[4:5]
	v_mul_f64 v[4:5], v[6:7], v[4:5]
	v_fma_f64 v[6:7], v[6:7], v[2:3], -v[16:17]
	v_fmac_f64_e32 v[4:5], v[8:9], v[2:3]
	v_add_f64 v[2:3], v[6:7], 0
	v_add_f64 v[6:7], v[4:5], 0
	s_waitcnt lgkmcnt(0)
	v_mul_f64 v[8:9], v[6:7], v[12:13]
	v_mul_f64 v[4:5], v[2:3], v[12:13]
	v_fma_f64 v[2:3], v[2:3], v[10:11], -v[8:9]
	v_fmac_f64_e32 v[4:5], v[6:7], v[10:11]
	scratch_store_dwordx4 off, v[2:5], off offset:32
.LBB108_19:
	s_or_b64 exec, exec, s[4:5]
	; wave barrier
	scratch_load_dwordx4 v[2:5], off, s59
	v_cmp_gt_u32_e32 vcc, 2, v240
	s_waitcnt vmcnt(0)
	ds_write_b128 v1, v[2:5]
	s_waitcnt lgkmcnt(0)
	; wave barrier
	s_and_saveexec_b64 s[4:5], vcc
	s_cbranch_execz .LBB108_23
; %bb.20:
	scratch_load_dwordx4 v[2:5], v15, off
	ds_read_b128 v[6:9], v1
	s_waitcnt vmcnt(0) lgkmcnt(0)
	v_mul_f64 v[10:11], v[8:9], v[4:5]
	v_mul_f64 v[12:13], v[6:7], v[4:5]
	v_fma_f64 v[4:5], v[6:7], v[2:3], -v[10:11]
	v_fmac_f64_e32 v[12:13], v[8:9], v[2:3]
	v_add_f64 v[4:5], v[4:5], 0
	v_add_f64 v[2:3], v[12:13], 0
	s_and_saveexec_b64 s[12:13], s[0:1]
	s_cbranch_execz .LBB108_22
; %bb.21:
	scratch_load_dwordx4 v[6:9], off, off offset:32
	v_mov_b32_e32 v0, 0
	ds_read_b128 v[10:13], v0 offset:736
	s_waitcnt vmcnt(0) lgkmcnt(0)
	v_mul_f64 v[16:17], v[10:11], v[8:9]
	v_mul_f64 v[8:9], v[12:13], v[8:9]
	v_fmac_f64_e32 v[16:17], v[12:13], v[6:7]
	v_fma_f64 v[6:7], v[10:11], v[6:7], -v[8:9]
	v_add_f64 v[2:3], v[2:3], v[16:17]
	v_add_f64 v[4:5], v[4:5], v[6:7]
.LBB108_22:
	s_or_b64 exec, exec, s[12:13]
	v_mov_b32_e32 v0, 0
	ds_read_b128 v[6:9], v0 offset:32
	s_waitcnt lgkmcnt(0)
	v_mul_f64 v[12:13], v[2:3], v[8:9]
	v_mul_f64 v[10:11], v[4:5], v[8:9]
	v_fma_f64 v[8:9], v[4:5], v[6:7], -v[12:13]
	v_fmac_f64_e32 v[10:11], v[2:3], v[6:7]
	scratch_store_dwordx4 off, v[8:11], off offset:48
.LBB108_23:
	s_or_b64 exec, exec, s[4:5]
	; wave barrier
	scratch_load_dwordx4 v[2:5], off, s58
	v_cmp_gt_u32_e32 vcc, 3, v240
	v_add_u32_e32 v6, -1, v240
	s_waitcnt vmcnt(0)
	ds_write_b128 v1, v[2:5]
	s_waitcnt lgkmcnt(0)
	; wave barrier
	s_and_saveexec_b64 s[0:1], vcc
	s_cbranch_execz .LBB108_27
; %bb.24:
	v_add_u32_e32 v7, -1, v240
	v_add_u32_e32 v8, 0x2d0, v14
	v_add_u32_e32 v9, 16, v14
	v_mov_b64_e32 v[2:3], 0
	s_mov_b64 s[4:5], 0
	v_mov_b64_e32 v[4:5], 0
.LBB108_25:                             ; =>This Inner Loop Header: Depth=1
	scratch_load_dwordx4 v[10:13], v9, off
	ds_read_b128 v[16:19], v8
	v_add_u32_e32 v7, 1, v7
	v_cmp_lt_u32_e32 vcc, 1, v7
	v_add_u32_e32 v8, 16, v8
	v_add_u32_e32 v9, 16, v9
	s_or_b64 s[4:5], vcc, s[4:5]
	s_waitcnt vmcnt(0) lgkmcnt(0)
	v_mul_f64 v[20:21], v[18:19], v[12:13]
	v_mul_f64 v[12:13], v[16:17], v[12:13]
	v_fma_f64 v[16:17], v[16:17], v[10:11], -v[20:21]
	v_fmac_f64_e32 v[12:13], v[18:19], v[10:11]
	v_add_f64 v[4:5], v[4:5], v[16:17]
	v_add_f64 v[2:3], v[2:3], v[12:13]
	s_andn2_b64 exec, exec, s[4:5]
	s_cbranch_execnz .LBB108_25
; %bb.26:
	s_or_b64 exec, exec, s[4:5]
	v_mov_b32_e32 v0, 0
	ds_read_b128 v[8:11], v0 offset:48
	s_waitcnt lgkmcnt(0)
	v_mul_f64 v[16:17], v[2:3], v[10:11]
	v_mul_f64 v[12:13], v[4:5], v[10:11]
	v_fma_f64 v[10:11], v[4:5], v[8:9], -v[16:17]
	v_fmac_f64_e32 v[12:13], v[2:3], v[8:9]
	scratch_store_dwordx4 off, v[10:13], off offset:64
.LBB108_27:
	s_or_b64 exec, exec, s[0:1]
	; wave barrier
	scratch_load_dwordx4 v[2:5], off, s57
	v_cmp_gt_u32_e32 vcc, 4, v240
	s_waitcnt vmcnt(0)
	ds_write_b128 v1, v[2:5]
	s_waitcnt lgkmcnt(0)
	; wave barrier
	s_and_saveexec_b64 s[0:1], vcc
	s_cbranch_execz .LBB108_31
; %bb.28:
	v_add_u32_e32 v7, -1, v240
	v_add_u32_e32 v8, 0x2d0, v14
	v_add_u32_e32 v9, 16, v14
	v_mov_b64_e32 v[2:3], 0
	s_mov_b64 s[4:5], 0
	v_mov_b64_e32 v[4:5], 0
.LBB108_29:                             ; =>This Inner Loop Header: Depth=1
	scratch_load_dwordx4 v[10:13], v9, off
	ds_read_b128 v[16:19], v8
	v_add_u32_e32 v7, 1, v7
	v_cmp_lt_u32_e32 vcc, 2, v7
	v_add_u32_e32 v8, 16, v8
	v_add_u32_e32 v9, 16, v9
	s_or_b64 s[4:5], vcc, s[4:5]
	s_waitcnt vmcnt(0) lgkmcnt(0)
	v_mul_f64 v[20:21], v[18:19], v[12:13]
	v_mul_f64 v[12:13], v[16:17], v[12:13]
	v_fma_f64 v[16:17], v[16:17], v[10:11], -v[20:21]
	v_fmac_f64_e32 v[12:13], v[18:19], v[10:11]
	v_add_f64 v[4:5], v[4:5], v[16:17]
	v_add_f64 v[2:3], v[2:3], v[12:13]
	s_andn2_b64 exec, exec, s[4:5]
	s_cbranch_execnz .LBB108_29
; %bb.30:
	s_or_b64 exec, exec, s[4:5]
	v_mov_b32_e32 v0, 0
	ds_read_b128 v[8:11], v0 offset:64
	s_waitcnt lgkmcnt(0)
	v_mul_f64 v[16:17], v[2:3], v[10:11]
	v_mul_f64 v[12:13], v[4:5], v[10:11]
	v_fma_f64 v[10:11], v[4:5], v[8:9], -v[16:17]
	v_fmac_f64_e32 v[12:13], v[2:3], v[8:9]
	scratch_store_dwordx4 off, v[10:13], off offset:80
.LBB108_31:
	s_or_b64 exec, exec, s[0:1]
	; wave barrier
	scratch_load_dwordx4 v[2:5], off, s56
	v_cmp_gt_u32_e32 vcc, 5, v240
	;; [unrolled: 45-line block ×19, first 2 shown]
	s_waitcnt vmcnt(0)
	ds_write_b128 v1, v[2:5]
	s_waitcnt lgkmcnt(0)
	; wave barrier
	s_and_saveexec_b64 s[0:1], vcc
	s_cbranch_execz .LBB108_103
; %bb.100:
	v_add_u32_e32 v7, -1, v240
	v_add_u32_e32 v8, 0x2d0, v14
	v_add_u32_e32 v9, 16, v14
	v_mov_b64_e32 v[2:3], 0
	s_mov_b64 s[4:5], 0
	v_mov_b64_e32 v[4:5], 0
.LBB108_101:                            ; =>This Inner Loop Header: Depth=1
	scratch_load_dwordx4 v[10:13], v9, off
	ds_read_b128 v[16:19], v8
	v_add_u32_e32 v7, 1, v7
	v_cmp_lt_u32_e32 vcc, 20, v7
	v_add_u32_e32 v8, 16, v8
	v_add_u32_e32 v9, 16, v9
	s_or_b64 s[4:5], vcc, s[4:5]
	s_waitcnt vmcnt(0) lgkmcnt(0)
	v_mul_f64 v[20:21], v[18:19], v[12:13]
	v_mul_f64 v[12:13], v[16:17], v[12:13]
	v_fma_f64 v[16:17], v[16:17], v[10:11], -v[20:21]
	v_fmac_f64_e32 v[12:13], v[18:19], v[10:11]
	v_add_f64 v[4:5], v[4:5], v[16:17]
	v_add_f64 v[2:3], v[2:3], v[12:13]
	s_andn2_b64 exec, exec, s[4:5]
	s_cbranch_execnz .LBB108_101
; %bb.102:
	s_or_b64 exec, exec, s[4:5]
	v_mov_b32_e32 v0, 0
	ds_read_b128 v[8:11], v0 offset:352
	s_waitcnt lgkmcnt(0)
	v_mul_f64 v[16:17], v[2:3], v[10:11]
	v_mul_f64 v[12:13], v[4:5], v[10:11]
	v_fma_f64 v[10:11], v[4:5], v[8:9], -v[16:17]
	v_fmac_f64_e32 v[12:13], v[2:3], v[8:9]
	scratch_store_dwordx4 off, v[10:13], off offset:368
.LBB108_103:
	s_or_b64 exec, exec, s[0:1]
	; wave barrier
	scratch_load_dwordx4 v[2:5], off, s38
	v_cmp_gt_u32_e32 vcc, 23, v240
	s_waitcnt vmcnt(0)
	ds_write_b128 v1, v[2:5]
	s_waitcnt lgkmcnt(0)
	; wave barrier
	s_and_saveexec_b64 s[0:1], vcc
	s_cbranch_execz .LBB108_107
; %bb.104:
	v_add_u32_e32 v7, -1, v240
	v_add_u32_e32 v8, 0x2d0, v14
	v_add_u32_e32 v9, 16, v14
	v_mov_b64_e32 v[2:3], 0
	s_mov_b64 s[4:5], 0
	v_mov_b64_e32 v[4:5], 0
.LBB108_105:                            ; =>This Inner Loop Header: Depth=1
	scratch_load_dwordx4 v[10:13], v9, off
	ds_read_b128 v[16:19], v8
	v_add_u32_e32 v7, 1, v7
	v_cmp_lt_u32_e32 vcc, 21, v7
	v_add_u32_e32 v8, 16, v8
	v_add_u32_e32 v9, 16, v9
	s_or_b64 s[4:5], vcc, s[4:5]
	s_waitcnt vmcnt(0) lgkmcnt(0)
	v_mul_f64 v[20:21], v[18:19], v[12:13]
	v_mul_f64 v[12:13], v[16:17], v[12:13]
	v_fma_f64 v[16:17], v[16:17], v[10:11], -v[20:21]
	v_fmac_f64_e32 v[12:13], v[18:19], v[10:11]
	v_add_f64 v[4:5], v[4:5], v[16:17]
	v_add_f64 v[2:3], v[2:3], v[12:13]
	s_andn2_b64 exec, exec, s[4:5]
	s_cbranch_execnz .LBB108_105
; %bb.106:
	s_or_b64 exec, exec, s[4:5]
	v_mov_b32_e32 v0, 0
	ds_read_b128 v[8:11], v0 offset:368
	s_waitcnt lgkmcnt(0)
	v_mul_f64 v[16:17], v[2:3], v[10:11]
	v_mul_f64 v[12:13], v[4:5], v[10:11]
	v_fma_f64 v[10:11], v[4:5], v[8:9], -v[16:17]
	v_fmac_f64_e32 v[12:13], v[2:3], v[8:9]
	scratch_store_dwordx4 off, v[10:13], off offset:384
.LBB108_107:
	s_or_b64 exec, exec, s[0:1]
	; wave barrier
	scratch_load_dwordx4 v[2:5], off, s37
	v_cmp_gt_u32_e32 vcc, 24, v240
	;; [unrolled: 45-line block ×21, first 2 shown]
	s_waitcnt vmcnt(0)
	ds_write_b128 v1, v[2:5]
	s_waitcnt lgkmcnt(0)
	; wave barrier
	s_and_saveexec_b64 s[0:1], vcc
	s_cbranch_execz .LBB108_187
; %bb.184:
	v_add_u32_e32 v7, -1, v240
	v_add_u32_e32 v8, 0x2d0, v14
	v_add_u32_e32 v9, 16, v14
	v_mov_b64_e32 v[2:3], 0
	s_mov_b64 s[4:5], 0
	v_mov_b64_e32 v[4:5], 0
.LBB108_185:                            ; =>This Inner Loop Header: Depth=1
	scratch_load_dwordx4 v[10:13], v9, off
	ds_read_b128 v[16:19], v8
	v_add_u32_e32 v7, 1, v7
	v_cmp_lt_u32_e32 vcc, 41, v7
	v_add_u32_e32 v8, 16, v8
	v_add_u32_e32 v9, 16, v9
	s_or_b64 s[4:5], vcc, s[4:5]
	s_waitcnt vmcnt(0) lgkmcnt(0)
	v_mul_f64 v[20:21], v[18:19], v[12:13]
	v_mul_f64 v[12:13], v[16:17], v[12:13]
	v_fma_f64 v[16:17], v[16:17], v[10:11], -v[20:21]
	v_fmac_f64_e32 v[12:13], v[18:19], v[10:11]
	v_add_f64 v[4:5], v[4:5], v[16:17]
	v_add_f64 v[2:3], v[2:3], v[12:13]
	s_andn2_b64 exec, exec, s[4:5]
	s_cbranch_execnz .LBB108_185
; %bb.186:
	s_or_b64 exec, exec, s[4:5]
	v_mov_b32_e32 v0, 0
	ds_read_b128 v[8:11], v0 offset:688
	s_waitcnt lgkmcnt(0)
	v_mul_f64 v[16:17], v[2:3], v[10:11]
	v_mul_f64 v[12:13], v[4:5], v[10:11]
	v_fma_f64 v[10:11], v[4:5], v[8:9], -v[16:17]
	v_fmac_f64_e32 v[12:13], v[2:3], v[8:9]
	scratch_store_dwordx4 off, v[10:13], off offset:704
.LBB108_187:
	s_or_b64 exec, exec, s[0:1]
	; wave barrier
	scratch_load_dwordx4 v[2:5], off, s16
	v_cmp_ne_u32_e32 vcc, 44, v240
	s_waitcnt vmcnt(0)
	ds_write_b128 v1, v[2:5]
	s_waitcnt lgkmcnt(0)
	; wave barrier
	s_and_saveexec_b64 s[0:1], vcc
	s_cbranch_execz .LBB108_191
; %bb.188:
	v_add_u32_e32 v1, 0x2d0, v14
	v_add_u32_e32 v7, 16, v14
	v_mov_b64_e32 v[2:3], 0
	s_mov_b64 s[4:5], 0
	v_mov_b64_e32 v[4:5], 0
.LBB108_189:                            ; =>This Inner Loop Header: Depth=1
	scratch_load_dwordx4 v[8:11], v7, off
	ds_read_b128 v[12:15], v1
	v_add_u32_e32 v6, 1, v6
	v_cmp_lt_u32_e32 vcc, 42, v6
	v_add_u32_e32 v1, 16, v1
	v_add_u32_e32 v7, 16, v7
	s_or_b64 s[4:5], vcc, s[4:5]
	s_waitcnt vmcnt(0) lgkmcnt(0)
	v_mul_f64 v[16:17], v[14:15], v[10:11]
	v_mul_f64 v[10:11], v[12:13], v[10:11]
	v_fma_f64 v[12:13], v[12:13], v[8:9], -v[16:17]
	v_fmac_f64_e32 v[10:11], v[14:15], v[8:9]
	v_add_f64 v[4:5], v[4:5], v[12:13]
	v_add_f64 v[2:3], v[2:3], v[10:11]
	s_andn2_b64 exec, exec, s[4:5]
	s_cbranch_execnz .LBB108_189
; %bb.190:
	s_or_b64 exec, exec, s[4:5]
	v_mov_b32_e32 v0, 0
	ds_read_b128 v[6:9], v0 offset:704
	s_waitcnt lgkmcnt(0)
	v_mul_f64 v[12:13], v[2:3], v[8:9]
	v_mul_f64 v[10:11], v[4:5], v[8:9]
	v_fma_f64 v[8:9], v[4:5], v[6:7], -v[12:13]
	v_fmac_f64_e32 v[10:11], v[2:3], v[6:7]
	scratch_store_dwordx4 off, v[8:11], off offset:720
.LBB108_191:
	s_or_b64 exec, exec, s[0:1]
	s_mov_b64 s[4:5], -1
	; wave barrier
.LBB108_192:
	s_and_b64 vcc, exec, s[4:5]
	s_cbranch_vccz .LBB108_194
; %bb.193:
	s_lshl_b64 s[0:1], s[2:3], 2
	s_add_u32 s0, s6, s0
	s_addc_u32 s1, s7, s1
	v_mov_b32_e32 v0, 0
	global_load_dword v0, v0, s[0:1]
	s_waitcnt vmcnt(0)
	v_cmp_ne_u32_e32 vcc, 0, v0
	s_cbranch_vccz .LBB108_195
.LBB108_194:
	s_endpgm
.LBB108_195:
	v_mov_b32_e32 v0, 0x2d0
	v_lshl_add_u32 v0, v240, 4, v0
	v_accvgpr_write_b32 a91, v0
	v_cmp_eq_u32_e32 vcc, 44, v240
	s_and_saveexec_b64 s[0:1], vcc
	s_cbranch_execz .LBB108_197
; %bb.196:
	scratch_load_dwordx4 v[2:5], off, s17
	v_mov_b32_e32 v6, 0
	v_mov_b32_e32 v7, v6
	;; [unrolled: 1-line block ×4, first 2 shown]
	v_accvgpr_read_b32 v0, a91
	scratch_store_dwordx4 off, v[6:9], off offset:704
	s_waitcnt vmcnt(1)
	ds_write_b128 v0, v[2:5]
.LBB108_197:
	s_or_b64 exec, exec, s[0:1]
	s_waitcnt lgkmcnt(0)
	; wave barrier
	scratch_load_dwordx4 v[4:7], off, off offset:720
	scratch_load_dwordx4 v[8:11], off, off offset:704
	v_mov_b32_e32 v2, 0
	ds_read_b128 v[12:15], v2 offset:1424
	v_cmp_lt_u32_e32 vcc, 42, v240
	s_waitcnt vmcnt(1) lgkmcnt(0)
	v_mul_f64 v[16:17], v[12:13], v[6:7]
	v_mul_f64 v[6:7], v[14:15], v[6:7]
	v_fmac_f64_e32 v[16:17], v[14:15], v[4:5]
	v_fma_f64 v[4:5], v[12:13], v[4:5], -v[6:7]
	v_add_f64 v[6:7], v[16:17], 0
	v_add_f64 v[4:5], v[4:5], 0
	s_waitcnt vmcnt(0)
	v_add_f64 v[4:5], v[8:9], -v[4:5]
	v_add_f64 v[6:7], v[10:11], -v[6:7]
	scratch_store_dwordx4 off, v[4:7], off offset:704
	s_and_saveexec_b64 s[0:1], vcc
	s_cbranch_execz .LBB108_199
; %bb.198:
	scratch_load_dwordx4 v[6:9], off, s18
	v_mov_b32_e32 v3, v2
	v_mov_b32_e32 v4, v2
	;; [unrolled: 1-line block ×3, first 2 shown]
	v_accvgpr_read_b32 v0, a91
	scratch_store_dwordx4 off, v[2:5], off offset:688
	s_waitcnt vmcnt(1)
	ds_write_b128 v0, v[6:9]
.LBB108_199:
	s_or_b64 exec, exec, s[0:1]
	s_waitcnt lgkmcnt(0)
	; wave barrier
	scratch_load_dwordx4 v[4:7], off, off offset:704
	scratch_load_dwordx4 v[8:11], off, off offset:720
	;; [unrolled: 1-line block ×3, first 2 shown]
	ds_read_b128 v[16:19], v2 offset:1408
	ds_read_b128 v[20:23], v2 offset:1424
	v_cmp_lt_u32_e32 vcc, 41, v240
	s_waitcnt vmcnt(2) lgkmcnt(1)
	v_mul_f64 v[2:3], v[16:17], v[6:7]
	v_mul_f64 v[6:7], v[18:19], v[6:7]
	s_waitcnt vmcnt(1) lgkmcnt(0)
	v_mul_f64 v[24:25], v[20:21], v[10:11]
	v_mul_f64 v[10:11], v[22:23], v[10:11]
	v_fmac_f64_e32 v[2:3], v[18:19], v[4:5]
	v_fma_f64 v[4:5], v[16:17], v[4:5], -v[6:7]
	v_fmac_f64_e32 v[24:25], v[22:23], v[8:9]
	v_fma_f64 v[6:7], v[20:21], v[8:9], -v[10:11]
	v_add_f64 v[2:3], v[2:3], 0
	v_add_f64 v[4:5], v[4:5], 0
	v_add_f64 v[8:9], v[2:3], v[24:25]
	v_add_f64 v[2:3], v[4:5], v[6:7]
	s_waitcnt vmcnt(0)
	v_add_f64 v[2:3], v[12:13], -v[2:3]
	v_add_f64 v[4:5], v[14:15], -v[8:9]
	scratch_store_dwordx4 off, v[2:5], off offset:688
	s_and_saveexec_b64 s[0:1], vcc
	s_cbranch_execz .LBB108_201
; %bb.200:
	scratch_load_dwordx4 v[2:5], off, s19
	v_mov_b32_e32 v6, 0
	v_mov_b32_e32 v7, v6
	v_mov_b32_e32 v8, v6
	v_mov_b32_e32 v9, v6
	v_accvgpr_read_b32 v0, a91
	scratch_store_dwordx4 off, v[6:9], off offset:672
	s_waitcnt vmcnt(1)
	ds_write_b128 v0, v[2:5]
.LBB108_201:
	s_or_b64 exec, exec, s[0:1]
	v_mov_b32_e32 v2, 0
	s_waitcnt lgkmcnt(0)
	; wave barrier
	ds_read_b128 v[4:7], v2 offset:1392
	ds_read_b128 v[8:11], v2 offset:1408
	;; [unrolled: 1-line block ×3, first 2 shown]
	scratch_load_dwordx4 v[16:19], off, off offset:688
	v_cmp_lt_u32_e32 vcc, 40, v240
	s_waitcnt vmcnt(0) lgkmcnt(2)
	v_mul_f64 v[20:21], v[4:5], v[18:19]
	v_fmac_f64_e32 v[20:21], v[6:7], v[16:17]
	v_add_f64 v[24:25], v[20:21], 0
	scratch_load_dwordx4 v[20:23], off, off offset:704
	v_mul_f64 v[6:7], v[6:7], v[18:19]
	v_fma_f64 v[4:5], v[4:5], v[16:17], -v[6:7]
	v_add_f64 v[4:5], v[4:5], 0
	s_waitcnt vmcnt(0) lgkmcnt(1)
	v_mul_f64 v[26:27], v[8:9], v[22:23]
	v_fmac_f64_e32 v[26:27], v[10:11], v[20:21]
	v_add_f64 v[28:29], v[24:25], v[26:27]
	scratch_load_dwordx4 v[24:27], off, off offset:720
	v_mul_f64 v[6:7], v[10:11], v[22:23]
	v_fma_f64 v[6:7], v[8:9], v[20:21], -v[6:7]
	v_add_f64 v[4:5], v[4:5], v[6:7]
	s_waitcnt vmcnt(0) lgkmcnt(0)
	v_mul_f64 v[6:7], v[14:15], v[26:27]
	v_fma_f64 v[6:7], v[12:13], v[24:25], -v[6:7]
	v_add_f64 v[8:9], v[4:5], v[6:7]
	scratch_load_dwordx4 v[4:7], off, off offset:672
	v_mul_f64 v[30:31], v[12:13], v[26:27]
	v_fmac_f64_e32 v[30:31], v[14:15], v[24:25]
	v_add_f64 v[28:29], v[28:29], v[30:31]
	s_waitcnt vmcnt(0)
	v_add_f64 v[4:5], v[4:5], -v[8:9]
	v_add_f64 v[6:7], v[6:7], -v[28:29]
	scratch_store_dwordx4 off, v[4:7], off offset:672
	s_and_saveexec_b64 s[0:1], vcc
	s_cbranch_execz .LBB108_203
; %bb.202:
	scratch_load_dwordx4 v[6:9], off, s20
	v_mov_b32_e32 v3, v2
	v_mov_b32_e32 v4, v2
	;; [unrolled: 1-line block ×3, first 2 shown]
	v_accvgpr_read_b32 v0, a91
	scratch_store_dwordx4 off, v[2:5], off offset:656
	s_waitcnt vmcnt(1)
	ds_write_b128 v0, v[6:9]
.LBB108_203:
	s_or_b64 exec, exec, s[0:1]
	s_waitcnt lgkmcnt(0)
	; wave barrier
	scratch_load_dwordx4 v[4:7], off, off offset:672
	scratch_load_dwordx4 v[8:11], off, off offset:688
	;; [unrolled: 1-line block ×5, first 2 shown]
	ds_read_b128 v[24:27], v2 offset:1376
	ds_read_b128 v[28:31], v2 offset:1392
	;; [unrolled: 1-line block ×4, first 2 shown]
	v_cmp_lt_u32_e32 vcc, 39, v240
	s_waitcnt vmcnt(4) lgkmcnt(3)
	v_mul_f64 v[2:3], v[24:25], v[6:7]
	v_mul_f64 v[6:7], v[26:27], v[6:7]
	s_waitcnt vmcnt(3) lgkmcnt(2)
	v_mul_f64 v[40:41], v[28:29], v[10:11]
	v_mul_f64 v[10:11], v[30:31], v[10:11]
	v_fmac_f64_e32 v[2:3], v[26:27], v[4:5]
	v_fma_f64 v[4:5], v[24:25], v[4:5], -v[6:7]
	s_waitcnt vmcnt(2) lgkmcnt(1)
	v_mul_f64 v[42:43], v[32:33], v[14:15]
	v_mul_f64 v[14:15], v[34:35], v[14:15]
	v_fmac_f64_e32 v[40:41], v[30:31], v[8:9]
	v_fma_f64 v[6:7], v[28:29], v[8:9], -v[10:11]
	v_add_f64 v[2:3], v[2:3], 0
	v_add_f64 v[4:5], v[4:5], 0
	s_waitcnt vmcnt(1) lgkmcnt(0)
	v_mul_f64 v[44:45], v[36:37], v[18:19]
	v_mul_f64 v[18:19], v[38:39], v[18:19]
	v_fmac_f64_e32 v[42:43], v[34:35], v[12:13]
	v_fma_f64 v[8:9], v[32:33], v[12:13], -v[14:15]
	v_add_f64 v[2:3], v[2:3], v[40:41]
	v_add_f64 v[4:5], v[4:5], v[6:7]
	v_fmac_f64_e32 v[44:45], v[38:39], v[16:17]
	v_fma_f64 v[10:11], v[36:37], v[16:17], -v[18:19]
	v_add_f64 v[2:3], v[2:3], v[42:43]
	v_add_f64 v[4:5], v[4:5], v[8:9]
	v_add_f64 v[6:7], v[2:3], v[44:45]
	v_add_f64 v[2:3], v[4:5], v[10:11]
	s_waitcnt vmcnt(0)
	v_add_f64 v[2:3], v[20:21], -v[2:3]
	v_add_f64 v[4:5], v[22:23], -v[6:7]
	scratch_store_dwordx4 off, v[2:5], off offset:656
	s_and_saveexec_b64 s[0:1], vcc
	s_cbranch_execz .LBB108_205
; %bb.204:
	scratch_load_dwordx4 v[2:5], off, s21
	v_mov_b32_e32 v6, 0
	v_mov_b32_e32 v7, v6
	;; [unrolled: 1-line block ×4, first 2 shown]
	v_accvgpr_read_b32 v0, a91
	scratch_store_dwordx4 off, v[6:9], off offset:640
	s_waitcnt vmcnt(1)
	ds_write_b128 v0, v[2:5]
.LBB108_205:
	s_or_b64 exec, exec, s[0:1]
	s_waitcnt lgkmcnt(0)
	; wave barrier
	scratch_load_dwordx4 v[4:7], off, off offset:656
	scratch_load_dwordx4 v[8:11], off, off offset:672
	;; [unrolled: 1-line block ×6, first 2 shown]
	v_mov_b32_e32 v2, 0
	ds_read_b128 v[28:31], v2 offset:1360
	ds_read_b128 v[32:35], v2 offset:1376
	;; [unrolled: 1-line block ×5, first 2 shown]
	v_cmp_lt_u32_e32 vcc, 38, v240
	s_waitcnt vmcnt(5) lgkmcnt(4)
	v_mul_f64 v[48:49], v[28:29], v[6:7]
	v_mul_f64 v[6:7], v[30:31], v[6:7]
	s_waitcnt vmcnt(4) lgkmcnt(3)
	v_mul_f64 v[50:51], v[32:33], v[10:11]
	s_waitcnt vmcnt(3) lgkmcnt(2)
	v_mul_f64 v[52:53], v[36:37], v[14:15]
	v_mul_f64 v[10:11], v[34:35], v[10:11]
	;; [unrolled: 1-line block ×3, first 2 shown]
	v_fmac_f64_e32 v[48:49], v[30:31], v[4:5]
	v_fma_f64 v[4:5], v[28:29], v[4:5], -v[6:7]
	v_fmac_f64_e32 v[50:51], v[34:35], v[8:9]
	v_fma_f64 v[6:7], v[32:33], v[8:9], -v[10:11]
	v_fma_f64 v[8:9], v[36:37], v[12:13], -v[14:15]
	v_add_f64 v[14:15], v[48:49], 0
	v_add_f64 v[4:5], v[4:5], 0
	s_waitcnt vmcnt(2) lgkmcnt(1)
	v_mul_f64 v[54:55], v[40:41], v[18:19]
	v_mul_f64 v[18:19], v[42:43], v[18:19]
	v_fmac_f64_e32 v[52:53], v[38:39], v[12:13]
	v_add_f64 v[14:15], v[14:15], v[50:51]
	v_add_f64 v[4:5], v[4:5], v[6:7]
	s_waitcnt vmcnt(1) lgkmcnt(0)
	v_mul_f64 v[56:57], v[44:45], v[22:23]
	v_mul_f64 v[22:23], v[46:47], v[22:23]
	v_fmac_f64_e32 v[54:55], v[42:43], v[16:17]
	v_fma_f64 v[10:11], v[40:41], v[16:17], -v[18:19]
	v_add_f64 v[6:7], v[14:15], v[52:53]
	v_add_f64 v[4:5], v[4:5], v[8:9]
	v_fmac_f64_e32 v[56:57], v[46:47], v[20:21]
	v_fma_f64 v[12:13], v[44:45], v[20:21], -v[22:23]
	v_add_f64 v[6:7], v[6:7], v[54:55]
	v_add_f64 v[4:5], v[4:5], v[10:11]
	;; [unrolled: 1-line block ×4, first 2 shown]
	s_waitcnt vmcnt(0)
	v_add_f64 v[4:5], v[24:25], -v[4:5]
	v_add_f64 v[6:7], v[26:27], -v[6:7]
	scratch_store_dwordx4 off, v[4:7], off offset:640
	s_and_saveexec_b64 s[0:1], vcc
	s_cbranch_execz .LBB108_207
; %bb.206:
	scratch_load_dwordx4 v[6:9], off, s22
	v_mov_b32_e32 v3, v2
	v_mov_b32_e32 v4, v2
	;; [unrolled: 1-line block ×3, first 2 shown]
	v_accvgpr_read_b32 v0, a91
	scratch_store_dwordx4 off, v[2:5], off offset:624
	s_waitcnt vmcnt(1)
	ds_write_b128 v0, v[6:9]
.LBB108_207:
	s_or_b64 exec, exec, s[0:1]
	s_waitcnt lgkmcnt(0)
	; wave barrier
	scratch_load_dwordx4 v[4:7], off, off offset:640
	scratch_load_dwordx4 v[8:11], off, off offset:656
	scratch_load_dwordx4 v[12:15], off, off offset:672
	scratch_load_dwordx4 v[16:19], off, off offset:688
	scratch_load_dwordx4 v[20:23], off, off offset:704
	scratch_load_dwordx4 v[24:27], off, off offset:720
	scratch_load_dwordx4 v[28:31], off, off offset:624
	ds_read_b128 v[32:35], v2 offset:1344
	ds_read_b128 v[36:39], v2 offset:1360
	;; [unrolled: 1-line block ×6, first 2 shown]
	v_cmp_lt_u32_e32 vcc, 37, v240
	s_waitcnt vmcnt(6) lgkmcnt(5)
	v_mul_f64 v[2:3], v[32:33], v[6:7]
	v_mul_f64 v[6:7], v[34:35], v[6:7]
	s_waitcnt vmcnt(5) lgkmcnt(4)
	v_mul_f64 v[56:57], v[36:37], v[10:11]
	v_mul_f64 v[10:11], v[38:39], v[10:11]
	v_fmac_f64_e32 v[2:3], v[34:35], v[4:5]
	v_fma_f64 v[4:5], v[32:33], v[4:5], -v[6:7]
	s_waitcnt vmcnt(4) lgkmcnt(3)
	v_mul_f64 v[58:59], v[40:41], v[14:15]
	v_mul_f64 v[14:15], v[42:43], v[14:15]
	v_fmac_f64_e32 v[56:57], v[38:39], v[8:9]
	v_fma_f64 v[6:7], v[36:37], v[8:9], -v[10:11]
	v_add_f64 v[2:3], v[2:3], 0
	v_add_f64 v[4:5], v[4:5], 0
	s_waitcnt vmcnt(3) lgkmcnt(2)
	v_mul_f64 v[60:61], v[44:45], v[18:19]
	v_mul_f64 v[18:19], v[46:47], v[18:19]
	v_fmac_f64_e32 v[58:59], v[42:43], v[12:13]
	v_fma_f64 v[8:9], v[40:41], v[12:13], -v[14:15]
	v_add_f64 v[2:3], v[2:3], v[56:57]
	v_add_f64 v[4:5], v[4:5], v[6:7]
	;; [unrolled: 7-line block ×4, first 2 shown]
	v_fmac_f64_e32 v[64:65], v[54:55], v[24:25]
	v_fma_f64 v[14:15], v[52:53], v[24:25], -v[26:27]
	v_add_f64 v[2:3], v[2:3], v[62:63]
	v_add_f64 v[4:5], v[4:5], v[12:13]
	v_add_f64 v[6:7], v[2:3], v[64:65]
	v_add_f64 v[2:3], v[4:5], v[14:15]
	s_waitcnt vmcnt(0)
	v_add_f64 v[2:3], v[28:29], -v[2:3]
	v_add_f64 v[4:5], v[30:31], -v[6:7]
	scratch_store_dwordx4 off, v[2:5], off offset:624
	s_and_saveexec_b64 s[0:1], vcc
	s_cbranch_execz .LBB108_209
; %bb.208:
	scratch_load_dwordx4 v[2:5], off, s23
	v_mov_b32_e32 v6, 0
	v_mov_b32_e32 v7, v6
	v_mov_b32_e32 v8, v6
	v_mov_b32_e32 v9, v6
	v_accvgpr_read_b32 v0, a91
	scratch_store_dwordx4 off, v[6:9], off offset:608
	s_waitcnt vmcnt(1)
	ds_write_b128 v0, v[2:5]
.LBB108_209:
	s_or_b64 exec, exec, s[0:1]
	v_mov_b32_e32 v2, 0
	s_waitcnt lgkmcnt(0)
	; wave barrier
	ds_read_b128 v[4:7], v2 offset:1328
	ds_read_b128 v[8:11], v2 offset:1344
	;; [unrolled: 1-line block ×4, first 2 shown]
	scratch_load_dwordx4 v[20:23], off, off offset:624
	scratch_load_dwordx4 v[40:43], off, off offset:688
	v_cmp_lt_u32_e32 vcc, 36, v240
	scratch_load_dwordx4 v[48:51], off, off offset:704
	scratch_load_dwordx4 v[56:59], off, off offset:720
	s_waitcnt vmcnt(3) lgkmcnt(3)
	v_mul_f64 v[24:25], v[4:5], v[22:23]
	v_fmac_f64_e32 v[24:25], v[6:7], v[20:21]
	v_add_f64 v[28:29], v[24:25], 0
	scratch_load_dwordx4 v[24:27], off, off offset:640
	v_mul_f64 v[6:7], v[6:7], v[22:23]
	v_fma_f64 v[4:5], v[4:5], v[20:21], -v[6:7]
	v_add_f64 v[4:5], v[4:5], 0
	s_waitcnt vmcnt(0) lgkmcnt(2)
	v_mul_f64 v[30:31], v[8:9], v[26:27]
	v_fmac_f64_e32 v[30:31], v[10:11], v[24:25]
	v_add_f64 v[32:33], v[28:29], v[30:31]
	scratch_load_dwordx4 v[28:31], off, off offset:656
	v_mul_f64 v[6:7], v[10:11], v[26:27]
	v_fma_f64 v[6:7], v[8:9], v[24:25], -v[6:7]
	v_add_f64 v[4:5], v[4:5], v[6:7]
	s_waitcnt vmcnt(0) lgkmcnt(1)
	v_mul_f64 v[34:35], v[12:13], v[30:31]
	v_fmac_f64_e32 v[34:35], v[14:15], v[28:29]
	v_add_f64 v[36:37], v[32:33], v[34:35]
	scratch_load_dwordx4 v[32:35], off, off offset:672
	v_mul_f64 v[6:7], v[14:15], v[30:31]
	v_fma_f64 v[6:7], v[12:13], v[28:29], -v[6:7]
	v_add_f64 v[4:5], v[4:5], v[6:7]
	s_waitcnt vmcnt(0) lgkmcnt(0)
	v_mul_f64 v[38:39], v[16:17], v[34:35]
	v_fmac_f64_e32 v[38:39], v[18:19], v[32:33]
	v_add_f64 v[44:45], v[36:37], v[38:39]
	ds_read_b128 v[36:39], v2 offset:1392
	v_mul_f64 v[6:7], v[18:19], v[34:35]
	v_fma_f64 v[6:7], v[16:17], v[32:33], -v[6:7]
	v_add_f64 v[4:5], v[4:5], v[6:7]
	s_waitcnt lgkmcnt(0)
	v_mul_f64 v[46:47], v[36:37], v[42:43]
	v_fmac_f64_e32 v[46:47], v[38:39], v[40:41]
	v_add_f64 v[52:53], v[44:45], v[46:47]
	ds_read_b128 v[44:47], v2 offset:1408
	v_mul_f64 v[6:7], v[38:39], v[42:43]
	v_fma_f64 v[6:7], v[36:37], v[40:41], -v[6:7]
	v_add_f64 v[4:5], v[4:5], v[6:7]
	s_waitcnt lgkmcnt(0)
	;; [unrolled: 8-line block ×3, first 2 shown]
	v_mul_f64 v[6:7], v[54:55], v[58:59]
	v_fma_f64 v[6:7], v[52:53], v[56:57], -v[6:7]
	v_add_f64 v[8:9], v[4:5], v[6:7]
	scratch_load_dwordx4 v[4:7], off, off offset:608
	v_mul_f64 v[62:63], v[52:53], v[58:59]
	v_fmac_f64_e32 v[62:63], v[54:55], v[56:57]
	v_add_f64 v[60:61], v[60:61], v[62:63]
	s_waitcnt vmcnt(0)
	v_add_f64 v[4:5], v[4:5], -v[8:9]
	v_add_f64 v[6:7], v[6:7], -v[60:61]
	scratch_store_dwordx4 off, v[4:7], off offset:608
	s_and_saveexec_b64 s[0:1], vcc
	s_cbranch_execz .LBB108_211
; %bb.210:
	scratch_load_dwordx4 v[6:9], off, s24
	v_mov_b32_e32 v3, v2
	v_mov_b32_e32 v4, v2
	;; [unrolled: 1-line block ×3, first 2 shown]
	v_accvgpr_read_b32 v0, a91
	scratch_store_dwordx4 off, v[2:5], off offset:592
	s_waitcnt vmcnt(1)
	ds_write_b128 v0, v[6:9]
.LBB108_211:
	s_or_b64 exec, exec, s[0:1]
	s_waitcnt lgkmcnt(0)
	; wave barrier
	ds_read_b128 v[4:7], v2 offset:1312
	ds_read_b128 v[8:11], v2 offset:1328
	;; [unrolled: 1-line block ×4, first 2 shown]
	scratch_load_dwordx4 v[20:23], off, off offset:608
	scratch_load_dwordx4 v[40:43], off, off offset:672
	v_cmp_lt_u32_e32 vcc, 35, v240
	scratch_load_dwordx4 v[48:51], off, off offset:688
	scratch_load_dwordx4 v[56:59], off, off offset:704
	;; [unrolled: 1-line block ×3, first 2 shown]
	s_waitcnt vmcnt(4) lgkmcnt(3)
	v_mul_f64 v[24:25], v[4:5], v[22:23]
	v_fmac_f64_e32 v[24:25], v[6:7], v[20:21]
	v_add_f64 v[28:29], v[24:25], 0
	scratch_load_dwordx4 v[24:27], off, off offset:624
	s_waitcnt vmcnt(0) lgkmcnt(2)
	v_mul_f64 v[30:31], v[8:9], v[26:27]
	v_fmac_f64_e32 v[30:31], v[10:11], v[24:25]
	v_add_f64 v[32:33], v[28:29], v[30:31]
	scratch_load_dwordx4 v[28:31], off, off offset:640
	s_waitcnt vmcnt(0) lgkmcnt(1)
	v_mul_f64 v[34:35], v[12:13], v[30:31]
	v_fmac_f64_e32 v[34:35], v[14:15], v[28:29]
	v_add_f64 v[36:37], v[32:33], v[34:35]
	scratch_load_dwordx4 v[32:35], off, off offset:656
	s_waitcnt vmcnt(0) lgkmcnt(0)
	v_mul_f64 v[38:39], v[16:17], v[34:35]
	v_fmac_f64_e32 v[38:39], v[18:19], v[32:33]
	v_add_f64 v[44:45], v[36:37], v[38:39]
	ds_read_b128 v[36:39], v2 offset:1376
	s_waitcnt lgkmcnt(0)
	v_mul_f64 v[46:47], v[36:37], v[42:43]
	v_fmac_f64_e32 v[46:47], v[38:39], v[40:41]
	v_add_f64 v[52:53], v[44:45], v[46:47]
	ds_read_b128 v[44:47], v2 offset:1392
	s_waitcnt lgkmcnt(0)
	;; [unrolled: 5-line block ×4, first 2 shown]
	v_mul_f64 v[2:3], v[60:61], v[66:67]
	v_fmac_f64_e32 v[2:3], v[62:63], v[64:65]
	v_add_f64 v[68:69], v[68:69], v[2:3]
	v_mul_f64 v[2:3], v[6:7], v[22:23]
	v_fma_f64 v[2:3], v[4:5], v[20:21], -v[2:3]
	v_mul_f64 v[4:5], v[10:11], v[26:27]
	v_add_f64 v[2:3], v[2:3], 0
	v_fma_f64 v[4:5], v[8:9], v[24:25], -v[4:5]
	v_add_f64 v[2:3], v[2:3], v[4:5]
	v_mul_f64 v[4:5], v[14:15], v[30:31]
	v_fma_f64 v[4:5], v[12:13], v[28:29], -v[4:5]
	v_add_f64 v[2:3], v[2:3], v[4:5]
	v_mul_f64 v[4:5], v[18:19], v[34:35]
	v_fma_f64 v[4:5], v[16:17], v[32:33], -v[4:5]
	v_add_f64 v[2:3], v[2:3], v[4:5]
	v_mul_f64 v[4:5], v[38:39], v[42:43]
	v_fma_f64 v[4:5], v[36:37], v[40:41], -v[4:5]
	v_add_f64 v[2:3], v[2:3], v[4:5]
	v_mul_f64 v[4:5], v[46:47], v[50:51]
	v_fma_f64 v[4:5], v[44:45], v[48:49], -v[4:5]
	v_add_f64 v[2:3], v[2:3], v[4:5]
	v_mul_f64 v[4:5], v[54:55], v[58:59]
	v_fma_f64 v[4:5], v[52:53], v[56:57], -v[4:5]
	v_add_f64 v[2:3], v[2:3], v[4:5]
	v_mul_f64 v[4:5], v[62:63], v[66:67]
	v_fma_f64 v[4:5], v[60:61], v[64:65], -v[4:5]
	v_add_f64 v[6:7], v[2:3], v[4:5]
	scratch_load_dwordx4 v[2:5], off, off offset:592
	s_waitcnt vmcnt(0)
	v_add_f64 v[2:3], v[2:3], -v[6:7]
	v_add_f64 v[4:5], v[4:5], -v[68:69]
	scratch_store_dwordx4 off, v[2:5], off offset:592
	s_and_saveexec_b64 s[0:1], vcc
	s_cbranch_execz .LBB108_213
; %bb.212:
	scratch_load_dwordx4 v[2:5], off, s25
	v_mov_b32_e32 v6, 0
	v_mov_b32_e32 v7, v6
	;; [unrolled: 1-line block ×4, first 2 shown]
	v_accvgpr_read_b32 v0, a91
	scratch_store_dwordx4 off, v[6:9], off offset:576
	s_waitcnt vmcnt(1)
	ds_write_b128 v0, v[2:5]
.LBB108_213:
	s_or_b64 exec, exec, s[0:1]
	s_waitcnt lgkmcnt(0)
	; wave barrier
	scratch_load_dwordx4 v[4:7], off, off offset:592
	scratch_load_dwordx4 v[8:11], off, off offset:608
	;; [unrolled: 1-line block ×10, first 2 shown]
	v_mov_b32_e32 v2, 0
	ds_read_b128 v[44:47], v2 offset:1296
	ds_read_b128 v[48:51], v2 offset:1312
	;; [unrolled: 1-line block ×9, first 2 shown]
	v_cmp_lt_u32_e32 vcc, 34, v240
	s_waitcnt vmcnt(9) lgkmcnt(8)
	v_mul_f64 v[80:81], v[44:45], v[6:7]
	v_mul_f64 v[6:7], v[46:47], v[6:7]
	s_waitcnt vmcnt(8) lgkmcnt(7)
	v_mul_f64 v[82:83], v[48:49], v[10:11]
	s_waitcnt vmcnt(7) lgkmcnt(6)
	;; [unrolled: 2-line block ×3, first 2 shown]
	v_mul_f64 v[88:89], v[60:61], v[22:23]
	v_mul_f64 v[10:11], v[50:51], v[10:11]
	;; [unrolled: 1-line block ×4, first 2 shown]
	v_fmac_f64_e32 v[80:81], v[46:47], v[4:5]
	v_fma_f64 v[4:5], v[44:45], v[4:5], -v[6:7]
	v_fmac_f64_e32 v[82:83], v[50:51], v[8:9]
	v_fmac_f64_e32 v[84:85], v[54:55], v[12:13]
	v_fma_f64 v[6:7], v[48:49], v[8:9], -v[10:11]
	v_fma_f64 v[8:9], v[52:53], v[12:13], -v[14:15]
	;; [unrolled: 1-line block ×3, first 2 shown]
	v_add_f64 v[22:23], v[80:81], 0
	v_add_f64 v[4:5], v[4:5], 0
	v_mul_f64 v[86:87], v[56:57], v[18:19]
	v_mul_f64 v[18:19], v[58:59], v[18:19]
	v_add_f64 v[22:23], v[22:23], v[82:83]
	v_add_f64 v[4:5], v[4:5], v[6:7]
	v_fmac_f64_e32 v[86:87], v[58:59], v[16:17]
	v_fma_f64 v[10:11], v[56:57], v[16:17], -v[18:19]
	v_add_f64 v[6:7], v[22:23], v[84:85]
	v_add_f64 v[4:5], v[4:5], v[8:9]
	s_waitcnt vmcnt(4) lgkmcnt(3)
	v_mul_f64 v[90:91], v[64:65], v[26:27]
	v_mul_f64 v[26:27], v[66:67], v[26:27]
	v_fmac_f64_e32 v[88:89], v[62:63], v[20:21]
	v_add_f64 v[6:7], v[6:7], v[86:87]
	v_add_f64 v[4:5], v[4:5], v[10:11]
	s_waitcnt vmcnt(3) lgkmcnt(2)
	v_mul_f64 v[92:93], v[68:69], v[30:31]
	v_mul_f64 v[30:31], v[70:71], v[30:31]
	v_fmac_f64_e32 v[90:91], v[66:67], v[24:25]
	v_fma_f64 v[14:15], v[64:65], v[24:25], -v[26:27]
	v_add_f64 v[6:7], v[6:7], v[88:89]
	v_add_f64 v[4:5], v[4:5], v[12:13]
	s_waitcnt vmcnt(2) lgkmcnt(1)
	v_mul_f64 v[94:95], v[72:73], v[34:35]
	v_mul_f64 v[34:35], v[74:75], v[34:35]
	v_fmac_f64_e32 v[92:93], v[70:71], v[28:29]
	v_fma_f64 v[16:17], v[68:69], v[28:29], -v[30:31]
	;; [unrolled: 7-line block ×3, first 2 shown]
	v_add_f64 v[6:7], v[6:7], v[92:93]
	v_add_f64 v[4:5], v[4:5], v[16:17]
	v_fmac_f64_e32 v[96:97], v[78:79], v[36:37]
	v_fma_f64 v[20:21], v[76:77], v[36:37], -v[38:39]
	v_add_f64 v[6:7], v[6:7], v[94:95]
	v_add_f64 v[4:5], v[4:5], v[18:19]
	;; [unrolled: 1-line block ×4, first 2 shown]
	s_waitcnt vmcnt(0)
	v_add_f64 v[4:5], v[40:41], -v[4:5]
	v_add_f64 v[6:7], v[42:43], -v[6:7]
	scratch_store_dwordx4 off, v[4:7], off offset:576
	s_and_saveexec_b64 s[0:1], vcc
	s_cbranch_execz .LBB108_215
; %bb.214:
	scratch_load_dwordx4 v[6:9], off, s26
	v_mov_b32_e32 v3, v2
	v_mov_b32_e32 v4, v2
	;; [unrolled: 1-line block ×3, first 2 shown]
	v_accvgpr_read_b32 v0, a91
	scratch_store_dwordx4 off, v[2:5], off offset:560
	s_waitcnt vmcnt(1)
	ds_write_b128 v0, v[6:9]
.LBB108_215:
	s_or_b64 exec, exec, s[0:1]
	s_waitcnt lgkmcnt(0)
	; wave barrier
	scratch_load_dwordx4 v[4:7], off, off offset:576
	scratch_load_dwordx4 v[8:11], off, off offset:592
	;; [unrolled: 1-line block ×11, first 2 shown]
	ds_read_b128 v[48:51], v2 offset:1280
	ds_read_b128 v[52:55], v2 offset:1296
	;; [unrolled: 1-line block ×10, first 2 shown]
	v_cmp_lt_u32_e32 vcc, 33, v240
	s_waitcnt vmcnt(10) lgkmcnt(9)
	v_mul_f64 v[2:3], v[48:49], v[6:7]
	v_mul_f64 v[6:7], v[50:51], v[6:7]
	s_waitcnt vmcnt(9) lgkmcnt(8)
	v_mul_f64 v[88:89], v[52:53], v[10:11]
	v_mul_f64 v[10:11], v[54:55], v[10:11]
	v_fmac_f64_e32 v[2:3], v[50:51], v[4:5]
	v_fma_f64 v[4:5], v[48:49], v[4:5], -v[6:7]
	s_waitcnt vmcnt(8) lgkmcnt(7)
	v_mul_f64 v[90:91], v[56:57], v[14:15]
	v_mul_f64 v[14:15], v[58:59], v[14:15]
	v_fmac_f64_e32 v[88:89], v[54:55], v[8:9]
	v_fma_f64 v[6:7], v[52:53], v[8:9], -v[10:11]
	v_add_f64 v[2:3], v[2:3], 0
	v_add_f64 v[4:5], v[4:5], 0
	s_waitcnt vmcnt(7) lgkmcnt(6)
	v_mul_f64 v[92:93], v[60:61], v[18:19]
	v_mul_f64 v[18:19], v[62:63], v[18:19]
	v_fmac_f64_e32 v[90:91], v[58:59], v[12:13]
	v_fma_f64 v[8:9], v[56:57], v[12:13], -v[14:15]
	v_add_f64 v[2:3], v[2:3], v[88:89]
	v_add_f64 v[4:5], v[4:5], v[6:7]
	;; [unrolled: 7-line block ×8, first 2 shown]
	v_fmac_f64_e32 v[104:105], v[86:87], v[40:41]
	v_fma_f64 v[22:23], v[84:85], v[40:41], -v[42:43]
	v_add_f64 v[2:3], v[2:3], v[102:103]
	v_add_f64 v[4:5], v[4:5], v[20:21]
	;; [unrolled: 1-line block ×4, first 2 shown]
	s_waitcnt vmcnt(0)
	v_add_f64 v[2:3], v[44:45], -v[2:3]
	v_add_f64 v[4:5], v[46:47], -v[6:7]
	scratch_store_dwordx4 off, v[2:5], off offset:560
	s_and_saveexec_b64 s[0:1], vcc
	s_cbranch_execz .LBB108_217
; %bb.216:
	scratch_load_dwordx4 v[2:5], off, s27
	v_mov_b32_e32 v6, 0
	v_mov_b32_e32 v7, v6
	;; [unrolled: 1-line block ×4, first 2 shown]
	v_accvgpr_read_b32 v0, a91
	scratch_store_dwordx4 off, v[6:9], off offset:544
	s_waitcnt vmcnt(1)
	ds_write_b128 v0, v[2:5]
.LBB108_217:
	s_or_b64 exec, exec, s[0:1]
	s_waitcnt lgkmcnt(0)
	; wave barrier
	scratch_load_dwordx4 v[4:7], off, off offset:560
	scratch_load_dwordx4 v[8:11], off, off offset:576
	;; [unrolled: 1-line block ×12, first 2 shown]
	v_mov_b32_e32 v2, 0
	ds_read_b128 v[52:55], v2 offset:1264
	ds_read_b128 v[56:59], v2 offset:1280
	;; [unrolled: 1-line block ×11, first 2 shown]
	v_cmp_lt_u32_e32 vcc, 32, v240
	s_waitcnt vmcnt(11) lgkmcnt(10)
	v_mul_f64 v[96:97], v[52:53], v[6:7]
	v_mul_f64 v[6:7], v[54:55], v[6:7]
	s_waitcnt vmcnt(10) lgkmcnt(9)
	v_mul_f64 v[98:99], v[56:57], v[10:11]
	s_waitcnt vmcnt(9) lgkmcnt(8)
	v_mul_f64 v[100:101], v[60:61], v[14:15]
	v_mul_f64 v[10:11], v[58:59], v[10:11]
	s_waitcnt vmcnt(6) lgkmcnt(5)
	v_mul_f64 v[106:107], v[72:73], v[26:27]
	v_mul_f64 v[14:15], v[62:63], v[14:15]
	;; [unrolled: 1-line block ×3, first 2 shown]
	v_fmac_f64_e32 v[96:97], v[54:55], v[4:5]
	v_fma_f64 v[4:5], v[52:53], v[4:5], -v[6:7]
	v_fmac_f64_e32 v[98:99], v[58:59], v[8:9]
	v_fma_f64 v[6:7], v[56:57], v[8:9], -v[10:11]
	v_fma_f64 v[8:9], v[60:61], v[12:13], -v[14:15]
	;; [unrolled: 1-line block ×3, first 2 shown]
	v_add_f64 v[26:27], v[96:97], 0
	v_add_f64 v[4:5], v[4:5], 0
	v_mul_f64 v[102:103], v[64:65], v[18:19]
	v_mul_f64 v[18:19], v[66:67], v[18:19]
	v_fmac_f64_e32 v[100:101], v[62:63], v[12:13]
	v_add_f64 v[26:27], v[26:27], v[98:99]
	v_add_f64 v[4:5], v[4:5], v[6:7]
	v_mul_f64 v[104:105], v[68:69], v[22:23]
	v_mul_f64 v[22:23], v[70:71], v[22:23]
	v_fmac_f64_e32 v[102:103], v[66:67], v[16:17]
	v_fma_f64 v[10:11], v[64:65], v[16:17], -v[18:19]
	v_add_f64 v[6:7], v[26:27], v[100:101]
	v_add_f64 v[4:5], v[4:5], v[8:9]
	v_fmac_f64_e32 v[104:105], v[70:71], v[20:21]
	v_fma_f64 v[12:13], v[68:69], v[20:21], -v[22:23]
	v_add_f64 v[6:7], v[6:7], v[102:103]
	v_add_f64 v[4:5], v[4:5], v[10:11]
	s_waitcnt vmcnt(5) lgkmcnt(4)
	v_mul_f64 v[108:109], v[76:77], v[30:31]
	v_mul_f64 v[30:31], v[78:79], v[30:31]
	v_fmac_f64_e32 v[106:107], v[74:75], v[24:25]
	v_add_f64 v[6:7], v[6:7], v[104:105]
	v_add_f64 v[4:5], v[4:5], v[12:13]
	s_waitcnt vmcnt(4) lgkmcnt(3)
	v_mul_f64 v[110:111], v[80:81], v[34:35]
	v_mul_f64 v[34:35], v[82:83], v[34:35]
	v_fmac_f64_e32 v[108:109], v[78:79], v[28:29]
	v_fma_f64 v[16:17], v[76:77], v[28:29], -v[30:31]
	v_add_f64 v[6:7], v[6:7], v[106:107]
	v_add_f64 v[4:5], v[4:5], v[14:15]
	s_waitcnt vmcnt(3) lgkmcnt(2)
	v_mul_f64 v[112:113], v[84:85], v[38:39]
	v_mul_f64 v[38:39], v[86:87], v[38:39]
	v_fmac_f64_e32 v[110:111], v[82:83], v[32:33]
	v_fma_f64 v[18:19], v[80:81], v[32:33], -v[34:35]
	;; [unrolled: 7-line block ×4, first 2 shown]
	v_add_f64 v[6:7], v[6:7], v[112:113]
	v_add_f64 v[4:5], v[4:5], v[20:21]
	v_fmac_f64_e32 v[116:117], v[94:95], v[44:45]
	v_fma_f64 v[24:25], v[92:93], v[44:45], -v[46:47]
	v_add_f64 v[6:7], v[6:7], v[114:115]
	v_add_f64 v[4:5], v[4:5], v[22:23]
	;; [unrolled: 1-line block ×4, first 2 shown]
	s_waitcnt vmcnt(0)
	v_add_f64 v[4:5], v[48:49], -v[4:5]
	v_add_f64 v[6:7], v[50:51], -v[6:7]
	scratch_store_dwordx4 off, v[4:7], off offset:544
	s_and_saveexec_b64 s[0:1], vcc
	s_cbranch_execz .LBB108_219
; %bb.218:
	scratch_load_dwordx4 v[6:9], off, s28
	v_mov_b32_e32 v3, v2
	v_mov_b32_e32 v4, v2
	;; [unrolled: 1-line block ×3, first 2 shown]
	v_accvgpr_read_b32 v0, a91
	scratch_store_dwordx4 off, v[2:5], off offset:528
	s_waitcnt vmcnt(1)
	ds_write_b128 v0, v[6:9]
.LBB108_219:
	s_or_b64 exec, exec, s[0:1]
	s_waitcnt lgkmcnt(0)
	; wave barrier
	scratch_load_dwordx4 v[4:7], off, off offset:544
	scratch_load_dwordx4 v[8:11], off, off offset:560
	;; [unrolled: 1-line block ×12, first 2 shown]
	ds_read_b128 v[52:55], v2 offset:1248
	ds_read_b128 v[56:59], v2 offset:1264
	;; [unrolled: 1-line block ×4, first 2 shown]
	scratch_load_dwordx4 v[68:71], off, off offset:528
	ds_read_b128 v[72:75], v2 offset:1312
	ds_read_b128 v[76:79], v2 offset:1328
	;; [unrolled: 1-line block ×8, first 2 shown]
	v_cmp_lt_u32_e32 vcc, 31, v240
	s_waitcnt vmcnt(12) lgkmcnt(11)
	v_mul_f64 v[2:3], v[52:53], v[6:7]
	s_waitcnt vmcnt(11) lgkmcnt(10)
	v_mul_f64 v[104:105], v[56:57], v[10:11]
	v_fmac_f64_e32 v[2:3], v[54:55], v[4:5]
	s_waitcnt vmcnt(10) lgkmcnt(9)
	v_mul_f64 v[106:107], v[60:61], v[14:15]
	v_mul_f64 v[6:7], v[54:55], v[6:7]
	v_fmac_f64_e32 v[104:105], v[58:59], v[8:9]
	v_add_f64 v[2:3], v[2:3], 0
	s_waitcnt vmcnt(9) lgkmcnt(8)
	v_mul_f64 v[108:109], v[64:65], v[18:19]
	v_mul_f64 v[10:11], v[58:59], v[10:11]
	v_fmac_f64_e32 v[106:107], v[62:63], v[12:13]
	v_fma_f64 v[4:5], v[52:53], v[4:5], -v[6:7]
	v_add_f64 v[2:3], v[2:3], v[104:105]
	s_waitcnt vmcnt(8) lgkmcnt(7)
	v_mul_f64 v[110:111], v[72:73], v[22:23]
	v_mul_f64 v[14:15], v[62:63], v[14:15]
	v_fmac_f64_e32 v[108:109], v[66:67], v[16:17]
	v_fma_f64 v[6:7], v[56:57], v[8:9], -v[10:11]
	v_add_f64 v[4:5], v[4:5], 0
	v_add_f64 v[2:3], v[2:3], v[106:107]
	s_waitcnt vmcnt(7) lgkmcnt(6)
	v_mul_f64 v[112:113], v[76:77], v[26:27]
	v_mul_f64 v[18:19], v[66:67], v[18:19]
	v_fmac_f64_e32 v[110:111], v[74:75], v[20:21]
	v_fma_f64 v[8:9], v[60:61], v[12:13], -v[14:15]
	v_add_f64 v[4:5], v[4:5], v[6:7]
	;; [unrolled: 7-line block ×8, first 2 shown]
	v_add_f64 v[2:3], v[2:3], v[120:121]
	v_mul_f64 v[46:47], v[98:99], v[46:47]
	v_fmac_f64_e32 v[124:125], v[102:103], v[48:49]
	v_fma_f64 v[22:23], v[92:93], v[40:41], -v[42:43]
	v_add_f64 v[4:5], v[4:5], v[20:21]
	v_add_f64 v[2:3], v[2:3], v[122:123]
	;; [unrolled: 1-line block ×4, first 2 shown]
	v_fma_f64 v[2:3], v[96:97], v[44:45], -v[46:47]
	v_add_f64 v[2:3], v[4:5], v[2:3]
	v_mul_f64 v[4:5], v[102:103], v[50:51]
	v_fma_f64 v[4:5], v[100:101], v[48:49], -v[4:5]
	v_add_f64 v[2:3], v[2:3], v[4:5]
	s_waitcnt vmcnt(0)
	v_add_f64 v[2:3], v[68:69], -v[2:3]
	v_add_f64 v[4:5], v[70:71], -v[6:7]
	scratch_store_dwordx4 off, v[2:5], off offset:528
	s_and_saveexec_b64 s[0:1], vcc
	s_cbranch_execz .LBB108_221
; %bb.220:
	scratch_load_dwordx4 v[2:5], off, s29
	v_mov_b32_e32 v6, 0
	v_mov_b32_e32 v7, v6
	;; [unrolled: 1-line block ×4, first 2 shown]
	v_accvgpr_read_b32 v0, a91
	scratch_store_dwordx4 off, v[6:9], off offset:512
	s_waitcnt vmcnt(1)
	ds_write_b128 v0, v[2:5]
.LBB108_221:
	s_or_b64 exec, exec, s[0:1]
	s_waitcnt lgkmcnt(0)
	; wave barrier
	scratch_load_dwordx4 v[4:7], off, off offset:528
	scratch_load_dwordx4 v[8:11], off, off offset:544
	;; [unrolled: 1-line block ×14, first 2 shown]
	v_mov_b32_e32 v2, 0
	ds_read_b128 v[60:63], v2 offset:1232
	ds_read_b128 v[64:67], v2 offset:1248
	;; [unrolled: 1-line block ×13, first 2 shown]
	v_cmp_lt_u32_e32 vcc, 30, v240
	s_waitcnt vmcnt(13) lgkmcnt(12)
	v_mul_f64 v[112:113], v[60:61], v[6:7]
	v_mul_f64 v[6:7], v[62:63], v[6:7]
	s_waitcnt vmcnt(12) lgkmcnt(11)
	v_mul_f64 v[114:115], v[64:65], v[10:11]
	v_mul_f64 v[10:11], v[66:67], v[10:11]
	v_fmac_f64_e32 v[112:113], v[62:63], v[4:5]
	v_fma_f64 v[4:5], v[60:61], v[4:5], -v[6:7]
	s_waitcnt vmcnt(11) lgkmcnt(10)
	v_mul_f64 v[116:117], v[68:69], v[14:15]
	v_mul_f64 v[14:15], v[70:71], v[14:15]
	v_fma_f64 v[6:7], v[64:65], v[8:9], -v[10:11]
	v_add_f64 v[4:5], v[4:5], 0
	s_waitcnt vmcnt(10) lgkmcnt(9)
	v_mul_f64 v[118:119], v[72:73], v[18:19]
	v_mul_f64 v[18:19], v[74:75], v[18:19]
	v_fmac_f64_e32 v[114:115], v[66:67], v[8:9]
	v_fma_f64 v[8:9], v[68:69], v[12:13], -v[14:15]
	v_add_f64 v[4:5], v[4:5], v[6:7]
	s_waitcnt vmcnt(9) lgkmcnt(8)
	v_mul_f64 v[120:121], v[76:77], v[22:23]
	v_mul_f64 v[22:23], v[78:79], v[22:23]
	v_fma_f64 v[10:11], v[72:73], v[16:17], -v[18:19]
	v_add_f64 v[4:5], v[4:5], v[8:9]
	s_waitcnt vmcnt(8) lgkmcnt(7)
	v_mul_f64 v[122:123], v[80:81], v[26:27]
	v_mul_f64 v[26:27], v[82:83], v[26:27]
	v_fmac_f64_e32 v[116:117], v[70:71], v[12:13]
	v_fma_f64 v[12:13], v[76:77], v[20:21], -v[22:23]
	v_add_f64 v[22:23], v[112:113], 0
	v_add_f64 v[4:5], v[4:5], v[10:11]
	s_waitcnt vmcnt(7) lgkmcnt(6)
	v_mul_f64 v[124:125], v[84:85], v[30:31]
	v_mul_f64 v[30:31], v[86:87], v[30:31]
	v_fma_f64 v[14:15], v[80:81], v[24:25], -v[26:27]
	v_add_f64 v[22:23], v[22:23], v[114:115]
	v_add_f64 v[4:5], v[4:5], v[12:13]
	s_waitcnt vmcnt(6) lgkmcnt(5)
	v_mul_f64 v[126:127], v[88:89], v[34:35]
	v_mul_f64 v[34:35], v[90:91], v[34:35]
	v_fmac_f64_e32 v[118:119], v[74:75], v[16:17]
	v_fma_f64 v[16:17], v[84:85], v[28:29], -v[30:31]
	v_add_f64 v[6:7], v[22:23], v[116:117]
	v_add_f64 v[4:5], v[4:5], v[14:15]
	s_waitcnt vmcnt(5) lgkmcnt(4)
	v_mul_f64 v[128:129], v[92:93], v[38:39]
	v_mul_f64 v[38:39], v[94:95], v[38:39]
	v_fmac_f64_e32 v[120:121], v[78:79], v[20:21]
	v_fma_f64 v[18:19], v[88:89], v[32:33], -v[34:35]
	v_add_f64 v[6:7], v[6:7], v[118:119]
	v_add_f64 v[4:5], v[4:5], v[16:17]
	v_fmac_f64_e32 v[122:123], v[82:83], v[24:25]
	v_fma_f64 v[20:21], v[92:93], v[36:37], -v[38:39]
	v_add_f64 v[6:7], v[6:7], v[120:121]
	v_add_f64 v[4:5], v[4:5], v[18:19]
	s_waitcnt vmcnt(4) lgkmcnt(3)
	v_mul_f64 v[8:9], v[98:99], v[42:43]
	v_fmac_f64_e32 v[124:125], v[86:87], v[28:29]
	v_add_f64 v[6:7], v[6:7], v[122:123]
	v_add_f64 v[4:5], v[4:5], v[20:21]
	v_fma_f64 v[8:9], v[96:97], v[40:41], -v[8:9]
	v_fmac_f64_e32 v[126:127], v[90:91], v[32:33]
	v_add_f64 v[6:7], v[6:7], v[124:125]
	v_add_f64 v[4:5], v[4:5], v[8:9]
	s_waitcnt vmcnt(3) lgkmcnt(2)
	v_mul_f64 v[8:9], v[102:103], v[46:47]
	v_mul_f64 v[130:131], v[96:97], v[42:43]
	v_fmac_f64_e32 v[128:129], v[94:95], v[36:37]
	v_add_f64 v[6:7], v[6:7], v[126:127]
	v_fma_f64 v[8:9], v[100:101], v[44:45], -v[8:9]
	v_mul_f64 v[132:133], v[100:101], v[46:47]
	v_fmac_f64_e32 v[130:131], v[98:99], v[40:41]
	v_add_f64 v[6:7], v[6:7], v[128:129]
	v_add_f64 v[4:5], v[4:5], v[8:9]
	s_waitcnt vmcnt(2) lgkmcnt(1)
	v_mul_f64 v[8:9], v[106:107], v[50:51]
	v_mul_f64 v[134:135], v[104:105], v[50:51]
	v_fmac_f64_e32 v[132:133], v[102:103], v[44:45]
	v_add_f64 v[6:7], v[6:7], v[130:131]
	v_fma_f64 v[8:9], v[104:105], v[48:49], -v[8:9]
	s_waitcnt vmcnt(1) lgkmcnt(0)
	v_mul_f64 v[136:137], v[108:109], v[54:55]
	v_fmac_f64_e32 v[134:135], v[106:107], v[48:49]
	v_add_f64 v[6:7], v[6:7], v[132:133]
	v_add_f64 v[4:5], v[4:5], v[8:9]
	v_mul_f64 v[8:9], v[110:111], v[54:55]
	v_fmac_f64_e32 v[136:137], v[110:111], v[52:53]
	v_add_f64 v[6:7], v[6:7], v[134:135]
	v_fma_f64 v[8:9], v[108:109], v[52:53], -v[8:9]
	v_add_f64 v[6:7], v[6:7], v[136:137]
	v_add_f64 v[4:5], v[4:5], v[8:9]
	s_waitcnt vmcnt(0)
	v_add_f64 v[4:5], v[56:57], -v[4:5]
	v_add_f64 v[6:7], v[58:59], -v[6:7]
	scratch_store_dwordx4 off, v[4:7], off offset:512
	s_and_saveexec_b64 s[0:1], vcc
	s_cbranch_execz .LBB108_223
; %bb.222:
	scratch_load_dwordx4 v[6:9], off, s30
	v_mov_b32_e32 v3, v2
	v_mov_b32_e32 v4, v2
	v_mov_b32_e32 v5, v2
	v_accvgpr_read_b32 v0, a91
	scratch_store_dwordx4 off, v[2:5], off offset:496
	s_waitcnt vmcnt(1)
	ds_write_b128 v0, v[6:9]
.LBB108_223:
	s_or_b64 exec, exec, s[0:1]
	s_waitcnt lgkmcnt(0)
	; wave barrier
	scratch_load_dwordx4 v[4:7], off, off offset:512
	scratch_load_dwordx4 v[8:11], off, off offset:528
	;; [unrolled: 1-line block ×14, first 2 shown]
	ds_read_b128 v[60:63], v2 offset:1216
	ds_read_b128 v[64:67], v2 offset:1232
	;; [unrolled: 1-line block ×14, first 2 shown]
	scratch_load_dwordx4 v[116:119], off, off offset:496
	v_cmp_lt_u32_e32 vcc, 29, v240
	s_waitcnt vmcnt(14) lgkmcnt(13)
	v_mul_f64 v[2:3], v[60:61], v[6:7]
	s_waitcnt vmcnt(13) lgkmcnt(12)
	v_mul_f64 v[120:121], v[64:65], v[10:11]
	v_fmac_f64_e32 v[2:3], v[62:63], v[4:5]
	s_waitcnt vmcnt(12) lgkmcnt(11)
	v_mul_f64 v[122:123], v[68:69], v[14:15]
	v_fmac_f64_e32 v[120:121], v[66:67], v[8:9]
	v_add_f64 v[2:3], v[2:3], 0
	s_waitcnt vmcnt(11) lgkmcnt(10)
	v_mul_f64 v[124:125], v[72:73], v[18:19]
	v_fmac_f64_e32 v[122:123], v[70:71], v[12:13]
	v_add_f64 v[2:3], v[2:3], v[120:121]
	s_waitcnt vmcnt(10) lgkmcnt(9)
	v_mul_f64 v[126:127], v[76:77], v[22:23]
	v_fmac_f64_e32 v[124:125], v[74:75], v[16:17]
	v_add_f64 v[2:3], v[2:3], v[122:123]
	s_waitcnt vmcnt(9) lgkmcnt(8)
	v_mul_f64 v[128:129], v[80:81], v[26:27]
	v_fmac_f64_e32 v[126:127], v[78:79], v[20:21]
	v_add_f64 v[2:3], v[2:3], v[124:125]
	s_waitcnt vmcnt(8) lgkmcnt(7)
	v_mul_f64 v[130:131], v[84:85], v[30:31]
	v_mul_f64 v[6:7], v[62:63], v[6:7]
	v_fmac_f64_e32 v[128:129], v[82:83], v[24:25]
	v_add_f64 v[2:3], v[2:3], v[126:127]
	s_waitcnt vmcnt(7) lgkmcnt(6)
	v_mul_f64 v[132:133], v[88:89], v[34:35]
	v_mul_f64 v[10:11], v[66:67], v[10:11]
	v_fmac_f64_e32 v[130:131], v[86:87], v[28:29]
	v_fma_f64 v[4:5], v[60:61], v[4:5], -v[6:7]
	v_add_f64 v[2:3], v[2:3], v[128:129]
	s_waitcnt vmcnt(6) lgkmcnt(5)
	v_mul_f64 v[134:135], v[92:93], v[38:39]
	v_mul_f64 v[14:15], v[70:71], v[14:15]
	v_fmac_f64_e32 v[132:133], v[90:91], v[32:33]
	v_fma_f64 v[6:7], v[64:65], v[8:9], -v[10:11]
	v_add_f64 v[4:5], v[4:5], 0
	v_add_f64 v[2:3], v[2:3], v[130:131]
	s_waitcnt vmcnt(5) lgkmcnt(4)
	v_mul_f64 v[136:137], v[96:97], v[42:43]
	v_mul_f64 v[18:19], v[74:75], v[18:19]
	v_fmac_f64_e32 v[134:135], v[94:95], v[36:37]
	v_fma_f64 v[8:9], v[68:69], v[12:13], -v[14:15]
	v_add_f64 v[4:5], v[4:5], v[6:7]
	;; [unrolled: 7-line block ×6, first 2 shown]
	v_add_f64 v[2:3], v[2:3], v[140:141]
	v_fmac_f64_e32 v[144:145], v[114:115], v[56:57]
	v_fma_f64 v[18:19], v[88:89], v[32:33], -v[34:35]
	v_add_f64 v[4:5], v[4:5], v[16:17]
	v_add_f64 v[2:3], v[2:3], v[142:143]
	;; [unrolled: 1-line block ×4, first 2 shown]
	v_mul_f64 v[4:5], v[94:95], v[38:39]
	v_fma_f64 v[4:5], v[92:93], v[36:37], -v[4:5]
	v_add_f64 v[2:3], v[2:3], v[4:5]
	v_mul_f64 v[4:5], v[98:99], v[42:43]
	v_fma_f64 v[4:5], v[96:97], v[40:41], -v[4:5]
	v_add_f64 v[2:3], v[2:3], v[4:5]
	;; [unrolled: 3-line block ×6, first 2 shown]
	s_waitcnt vmcnt(0)
	v_add_f64 v[2:3], v[116:117], -v[2:3]
	v_add_f64 v[4:5], v[118:119], -v[6:7]
	scratch_store_dwordx4 off, v[2:5], off offset:496
	s_and_saveexec_b64 s[0:1], vcc
	s_cbranch_execz .LBB108_225
; %bb.224:
	scratch_load_dwordx4 v[2:5], off, s31
	v_mov_b32_e32 v6, 0
	v_mov_b32_e32 v7, v6
	;; [unrolled: 1-line block ×4, first 2 shown]
	v_accvgpr_read_b32 v0, a91
	scratch_store_dwordx4 off, v[6:9], off offset:480
	s_waitcnt vmcnt(1)
	ds_write_b128 v0, v[2:5]
.LBB108_225:
	s_or_b64 exec, exec, s[0:1]
	s_waitcnt lgkmcnt(0)
	; wave barrier
	scratch_load_dwordx4 v[4:7], off, off offset:496
	scratch_load_dwordx4 v[8:11], off, off offset:512
	;; [unrolled: 1-line block ×16, first 2 shown]
	v_mov_b32_e32 v2, 0
	ds_read_b128 v[68:71], v2 offset:1200
	ds_read_b128 v[72:75], v2 offset:1216
	;; [unrolled: 1-line block ×15, first 2 shown]
	v_cmp_lt_u32_e32 vcc, 28, v240
	s_waitcnt vmcnt(15) lgkmcnt(14)
	v_mul_f64 v[128:129], v[68:69], v[6:7]
	v_mul_f64 v[6:7], v[70:71], v[6:7]
	s_waitcnt vmcnt(14) lgkmcnt(13)
	v_mul_f64 v[130:131], v[72:73], v[10:11]
	v_mul_f64 v[10:11], v[74:75], v[10:11]
	v_fmac_f64_e32 v[128:129], v[70:71], v[4:5]
	v_fma_f64 v[4:5], v[68:69], v[4:5], -v[6:7]
	s_waitcnt vmcnt(13) lgkmcnt(12)
	v_mul_f64 v[132:133], v[76:77], v[14:15]
	v_mul_f64 v[14:15], v[78:79], v[14:15]
	v_fma_f64 v[6:7], v[72:73], v[8:9], -v[10:11]
	v_add_f64 v[4:5], v[4:5], 0
	s_waitcnt vmcnt(12) lgkmcnt(11)
	v_mul_f64 v[134:135], v[80:81], v[18:19]
	v_mul_f64 v[18:19], v[82:83], v[18:19]
	v_fmac_f64_e32 v[130:131], v[74:75], v[8:9]
	v_fma_f64 v[8:9], v[76:77], v[12:13], -v[14:15]
	v_add_f64 v[4:5], v[4:5], v[6:7]
	s_waitcnt vmcnt(11) lgkmcnt(10)
	v_mul_f64 v[136:137], v[84:85], v[22:23]
	v_mul_f64 v[22:23], v[86:87], v[22:23]
	v_fma_f64 v[10:11], v[80:81], v[16:17], -v[18:19]
	v_add_f64 v[4:5], v[4:5], v[8:9]
	s_waitcnt vmcnt(10) lgkmcnt(9)
	v_mul_f64 v[138:139], v[88:89], v[26:27]
	v_mul_f64 v[26:27], v[90:91], v[26:27]
	v_fmac_f64_e32 v[132:133], v[78:79], v[12:13]
	v_fma_f64 v[12:13], v[84:85], v[20:21], -v[22:23]
	v_add_f64 v[4:5], v[4:5], v[10:11]
	v_fma_f64 v[14:15], v[88:89], v[24:25], -v[26:27]
	v_add_f64 v[4:5], v[4:5], v[12:13]
	s_waitcnt vmcnt(9) lgkmcnt(8)
	v_mul_f64 v[8:9], v[94:95], v[30:31]
	v_add_f64 v[4:5], v[4:5], v[14:15]
	v_fma_f64 v[8:9], v[92:93], v[28:29], -v[8:9]
	v_add_f64 v[4:5], v[4:5], v[8:9]
	s_waitcnt vmcnt(8) lgkmcnt(7)
	v_mul_f64 v[8:9], v[98:99], v[34:35]
	v_fma_f64 v[8:9], v[96:97], v[32:33], -v[8:9]
	v_fmac_f64_e32 v[134:135], v[82:83], v[16:17]
	v_add_f64 v[16:17], v[128:129], 0
	v_add_f64 v[4:5], v[4:5], v[8:9]
	s_waitcnt vmcnt(7) lgkmcnt(6)
	v_mul_f64 v[8:9], v[102:103], v[38:39]
	v_add_f64 v[16:17], v[16:17], v[130:131]
	v_fma_f64 v[8:9], v[100:101], v[36:37], -v[8:9]
	v_add_f64 v[6:7], v[16:17], v[132:133]
	v_add_f64 v[4:5], v[4:5], v[8:9]
	s_waitcnt vmcnt(6) lgkmcnt(5)
	v_mul_f64 v[8:9], v[106:107], v[42:43]
	v_fmac_f64_e32 v[136:137], v[86:87], v[20:21]
	v_add_f64 v[6:7], v[6:7], v[134:135]
	v_fma_f64 v[8:9], v[104:105], v[40:41], -v[8:9]
	v_mul_f64 v[140:141], v[92:93], v[30:31]
	v_fmac_f64_e32 v[138:139], v[90:91], v[24:25]
	v_add_f64 v[6:7], v[6:7], v[136:137]
	v_add_f64 v[4:5], v[4:5], v[8:9]
	s_waitcnt vmcnt(5) lgkmcnt(4)
	v_mul_f64 v[8:9], v[110:111], v[46:47]
	v_mul_f64 v[142:143], v[96:97], v[34:35]
	v_fmac_f64_e32 v[140:141], v[94:95], v[28:29]
	v_add_f64 v[6:7], v[6:7], v[138:139]
	v_fma_f64 v[8:9], v[108:109], v[44:45], -v[8:9]
	v_mul_f64 v[144:145], v[100:101], v[38:39]
	v_fmac_f64_e32 v[142:143], v[98:99], v[32:33]
	v_add_f64 v[6:7], v[6:7], v[140:141]
	v_add_f64 v[4:5], v[4:5], v[8:9]
	s_waitcnt vmcnt(4) lgkmcnt(3)
	v_mul_f64 v[8:9], v[114:115], v[50:51]
	;; [unrolled: 10-line block ×4, first 2 shown]
	v_mul_f64 v[154:155], v[120:121], v[58:59]
	v_fmac_f64_e32 v[152:153], v[118:119], v[52:53]
	v_add_f64 v[6:7], v[6:7], v[150:151]
	v_fma_f64 v[8:9], v[120:121], v[56:57], -v[8:9]
	s_waitcnt vmcnt(1) lgkmcnt(0)
	v_mul_f64 v[156:157], v[124:125], v[62:63]
	v_fmac_f64_e32 v[154:155], v[122:123], v[56:57]
	v_add_f64 v[6:7], v[6:7], v[152:153]
	v_add_f64 v[4:5], v[4:5], v[8:9]
	v_mul_f64 v[8:9], v[126:127], v[62:63]
	v_fmac_f64_e32 v[156:157], v[126:127], v[60:61]
	v_add_f64 v[6:7], v[6:7], v[154:155]
	v_fma_f64 v[8:9], v[124:125], v[60:61], -v[8:9]
	v_add_f64 v[6:7], v[6:7], v[156:157]
	v_add_f64 v[4:5], v[4:5], v[8:9]
	s_waitcnt vmcnt(0)
	v_add_f64 v[4:5], v[64:65], -v[4:5]
	v_add_f64 v[6:7], v[66:67], -v[6:7]
	scratch_store_dwordx4 off, v[4:7], off offset:480
	s_and_saveexec_b64 s[0:1], vcc
	s_cbranch_execz .LBB108_227
; %bb.226:
	scratch_load_dwordx4 v[6:9], off, s33
	v_mov_b32_e32 v3, v2
	v_mov_b32_e32 v4, v2
	v_mov_b32_e32 v5, v2
	v_accvgpr_read_b32 v0, a91
	scratch_store_dwordx4 off, v[2:5], off offset:464
	s_waitcnt vmcnt(1)
	ds_write_b128 v0, v[6:9]
.LBB108_227:
	s_or_b64 exec, exec, s[0:1]
	s_waitcnt lgkmcnt(0)
	; wave barrier
	ds_read_b128 v[16:19], v2 offset:1184
	ds_read_b128 v[12:15], v2 offset:1200
	;; [unrolled: 1-line block ×4, first 2 shown]
	scratch_load_dwordx4 v[20:23], off, off offset:480
	scratch_load_dwordx4 v[40:43], off, off offset:544
	;; [unrolled: 1-line block ×10, first 2 shown]
	v_cmp_lt_u32_e32 vcc, 27, v240
	scratch_load_dwordx4 v[48:51], off, off offset:560
	scratch_load_dwordx4 v[56:59], off, off offset:576
	;; [unrolled: 1-line block ×3, first 2 shown]
	s_waitcnt vmcnt(12) lgkmcnt(3)
	v_mul_f64 v[24:25], v[16:17], v[22:23]
	v_fmac_f64_e32 v[24:25], v[18:19], v[20:21]
	v_add_f64 v[28:29], v[24:25], 0
	scratch_load_dwordx4 v[24:27], off, off offset:496
	s_waitcnt vmcnt(0) lgkmcnt(2)
	v_mul_f64 v[30:31], v[12:13], v[26:27]
	v_fmac_f64_e32 v[30:31], v[14:15], v[24:25]
	v_add_f64 v[32:33], v[28:29], v[30:31]
	scratch_load_dwordx4 v[28:31], off, off offset:512
	v_mul_f64 v[14:15], v[14:15], v[26:27]
	v_fma_f64 v[12:13], v[12:13], v[24:25], -v[14:15]
	s_waitcnt vmcnt(0) lgkmcnt(1)
	v_mul_f64 v[34:35], v[8:9], v[30:31]
	v_fmac_f64_e32 v[34:35], v[10:11], v[28:29]
	v_add_f64 v[36:37], v[32:33], v[34:35]
	scratch_load_dwordx4 v[32:35], off, off offset:528
	v_mul_f64 v[10:11], v[10:11], v[30:31]
	v_fma_f64 v[8:9], v[8:9], v[28:29], -v[10:11]
	s_waitcnt vmcnt(0) lgkmcnt(0)
	v_mul_f64 v[38:39], v[4:5], v[34:35]
	v_fmac_f64_e32 v[38:39], v[6:7], v[32:33]
	v_add_f64 v[44:45], v[36:37], v[38:39]
	ds_read_b128 v[36:39], v2 offset:1248
	v_mul_f64 v[6:7], v[6:7], v[34:35]
	v_fma_f64 v[4:5], v[4:5], v[32:33], -v[6:7]
	s_waitcnt lgkmcnt(0)
	v_mul_f64 v[46:47], v[36:37], v[42:43]
	v_fmac_f64_e32 v[46:47], v[38:39], v[40:41]
	v_add_f64 v[52:53], v[44:45], v[46:47]
	ds_read_b128 v[44:47], v2 offset:1264
	s_waitcnt lgkmcnt(0)
	v_mul_f64 v[54:55], v[44:45], v[50:51]
	v_fmac_f64_e32 v[54:55], v[46:47], v[48:49]
	v_add_f64 v[60:61], v[52:53], v[54:55]
	ds_read_b128 v[52:55], v2 offset:1280
	;; [unrolled: 5-line block ×11, first 2 shown]
	s_waitcnt lgkmcnt(0)
	v_mul_f64 v[2:3], v[126:127], v[132:133]
	v_fmac_f64_e32 v[2:3], v[128:129], v[130:131]
	v_add_f64 v[64:65], v[64:65], v[2:3]
	v_mul_f64 v[2:3], v[18:19], v[22:23]
	v_fma_f64 v[2:3], v[16:17], v[20:21], -v[2:3]
	v_add_f64 v[2:3], v[2:3], 0
	v_add_f64 v[2:3], v[2:3], v[12:13]
	;; [unrolled: 1-line block ×4, first 2 shown]
	v_mul_f64 v[4:5], v[38:39], v[42:43]
	v_fma_f64 v[4:5], v[36:37], v[40:41], -v[4:5]
	v_add_f64 v[2:3], v[2:3], v[4:5]
	v_mul_f64 v[4:5], v[46:47], v[50:51]
	v_fma_f64 v[4:5], v[44:45], v[48:49], -v[4:5]
	v_add_f64 v[2:3], v[2:3], v[4:5]
	;; [unrolled: 3-line block ×12, first 2 shown]
	scratch_load_dwordx4 v[2:5], off, off offset:464
	s_waitcnt vmcnt(0)
	v_add_f64 v[2:3], v[2:3], -v[6:7]
	v_add_f64 v[4:5], v[4:5], -v[64:65]
	scratch_store_dwordx4 off, v[2:5], off offset:464
	s_and_saveexec_b64 s[0:1], vcc
	s_cbranch_execz .LBB108_229
; %bb.228:
	scratch_load_dwordx4 v[2:5], off, s34
	v_mov_b32_e32 v6, 0
	v_mov_b32_e32 v7, v6
	;; [unrolled: 1-line block ×4, first 2 shown]
	v_accvgpr_read_b32 v0, a91
	scratch_store_dwordx4 off, v[6:9], off offset:448
	s_waitcnt vmcnt(1)
	ds_write_b128 v0, v[2:5]
.LBB108_229:
	s_or_b64 exec, exec, s[0:1]
	v_mov_b32_e32 v2, 0
	s_waitcnt lgkmcnt(0)
	; wave barrier
	ds_read_b128 v[16:19], v2 offset:1168
	ds_read_b128 v[12:15], v2 offset:1184
	ds_read_b128 v[8:11], v2 offset:1200
	ds_read_b128 v[4:7], v2 offset:1216
	scratch_load_dwordx4 v[20:23], off, off offset:464
	scratch_load_dwordx4 v[40:43], off, off offset:528
	;; [unrolled: 1-line block ×11, first 2 shown]
	v_cmp_lt_u32_e32 vcc, 26, v240
	scratch_load_dwordx4 v[48:51], off, off offset:544
	scratch_load_dwordx4 v[56:59], off, off offset:560
	scratch_load_dwordx4 v[64:67], off, off offset:576
	s_waitcnt vmcnt(13) lgkmcnt(3)
	v_mul_f64 v[24:25], v[16:17], v[22:23]
	v_fmac_f64_e32 v[24:25], v[18:19], v[20:21]
	v_add_f64 v[28:29], v[24:25], 0
	scratch_load_dwordx4 v[24:27], off, off offset:480
	v_mul_f64 v[18:19], v[18:19], v[22:23]
	v_fma_f64 v[16:17], v[16:17], v[20:21], -v[18:19]
	v_add_f64 v[16:17], v[16:17], 0
	s_waitcnt vmcnt(0) lgkmcnt(2)
	v_mul_f64 v[30:31], v[12:13], v[26:27]
	v_fmac_f64_e32 v[30:31], v[14:15], v[24:25]
	v_add_f64 v[32:33], v[28:29], v[30:31]
	scratch_load_dwordx4 v[28:31], off, off offset:496
	v_mul_f64 v[14:15], v[14:15], v[26:27]
	v_fma_f64 v[12:13], v[12:13], v[24:25], -v[14:15]
	v_add_f64 v[12:13], v[16:17], v[12:13]
	;; [unrolled: 8-line block ×3, first 2 shown]
	s_waitcnt vmcnt(0) lgkmcnt(0)
	v_mul_f64 v[38:39], v[4:5], v[34:35]
	v_fmac_f64_e32 v[38:39], v[6:7], v[32:33]
	v_add_f64 v[44:45], v[36:37], v[38:39]
	ds_read_b128 v[36:39], v2 offset:1232
	v_mul_f64 v[6:7], v[6:7], v[34:35]
	v_fma_f64 v[4:5], v[4:5], v[32:33], -v[6:7]
	v_add_f64 v[4:5], v[8:9], v[4:5]
	s_waitcnt lgkmcnt(0)
	v_mul_f64 v[46:47], v[36:37], v[42:43]
	v_fmac_f64_e32 v[46:47], v[38:39], v[40:41]
	v_add_f64 v[52:53], v[44:45], v[46:47]
	ds_read_b128 v[44:47], v2 offset:1248
	v_mul_f64 v[6:7], v[38:39], v[42:43]
	v_fma_f64 v[6:7], v[36:37], v[40:41], -v[6:7]
	v_add_f64 v[4:5], v[4:5], v[6:7]
	s_waitcnt lgkmcnt(0)
	;; [unrolled: 8-line block ×13, first 2 shown]
	v_mul_f64 v[6:7], v[136:137], v[140:141]
	v_fma_f64 v[6:7], v[134:135], v[138:139], -v[6:7]
	v_add_f64 v[8:9], v[4:5], v[6:7]
	scratch_load_dwordx4 v[4:7], off, off offset:448
	v_mul_f64 v[142:143], v[134:135], v[140:141]
	v_fmac_f64_e32 v[142:143], v[136:137], v[138:139]
	v_add_f64 v[72:73], v[72:73], v[142:143]
	s_waitcnt vmcnt(0)
	v_add_f64 v[4:5], v[4:5], -v[8:9]
	v_add_f64 v[6:7], v[6:7], -v[72:73]
	scratch_store_dwordx4 off, v[4:7], off offset:448
	s_and_saveexec_b64 s[0:1], vcc
	s_cbranch_execz .LBB108_231
; %bb.230:
	scratch_load_dwordx4 v[6:9], off, s35
	v_mov_b32_e32 v3, v2
	v_mov_b32_e32 v4, v2
	;; [unrolled: 1-line block ×3, first 2 shown]
	v_accvgpr_read_b32 v0, a91
	scratch_store_dwordx4 off, v[2:5], off offset:432
	s_waitcnt vmcnt(1)
	ds_write_b128 v0, v[6:9]
.LBB108_231:
	s_or_b64 exec, exec, s[0:1]
	s_waitcnt lgkmcnt(0)
	; wave barrier
	ds_read_b128 v[16:19], v2 offset:1152
	ds_read_b128 v[12:15], v2 offset:1168
	;; [unrolled: 1-line block ×4, first 2 shown]
	scratch_load_dwordx4 v[20:23], off, off offset:448
	scratch_load_dwordx4 v[40:43], off, off offset:512
	;; [unrolled: 1-line block ×12, first 2 shown]
	v_cmp_lt_u32_e32 vcc, 25, v240
	scratch_load_dwordx4 v[48:51], off, off offset:528
	scratch_load_dwordx4 v[56:59], off, off offset:544
	;; [unrolled: 1-line block ×3, first 2 shown]
	s_waitcnt vmcnt(14) lgkmcnt(3)
	v_mul_f64 v[24:25], v[16:17], v[22:23]
	v_fmac_f64_e32 v[24:25], v[18:19], v[20:21]
	v_add_f64 v[28:29], v[24:25], 0
	scratch_load_dwordx4 v[24:27], off, off offset:464
	s_waitcnt vmcnt(0) lgkmcnt(2)
	v_mul_f64 v[30:31], v[12:13], v[26:27]
	v_fmac_f64_e32 v[30:31], v[14:15], v[24:25]
	v_add_f64 v[32:33], v[28:29], v[30:31]
	scratch_load_dwordx4 v[28:31], off, off offset:480
	v_mul_f64 v[14:15], v[14:15], v[26:27]
	v_fma_f64 v[12:13], v[12:13], v[24:25], -v[14:15]
	s_waitcnt vmcnt(0) lgkmcnt(1)
	v_mul_f64 v[34:35], v[8:9], v[30:31]
	v_fmac_f64_e32 v[34:35], v[10:11], v[28:29]
	v_add_f64 v[36:37], v[32:33], v[34:35]
	scratch_load_dwordx4 v[32:35], off, off offset:496
	v_mul_f64 v[10:11], v[10:11], v[30:31]
	v_fma_f64 v[8:9], v[8:9], v[28:29], -v[10:11]
	s_waitcnt vmcnt(0) lgkmcnt(0)
	v_mul_f64 v[38:39], v[4:5], v[34:35]
	v_fmac_f64_e32 v[38:39], v[6:7], v[32:33]
	v_add_f64 v[44:45], v[36:37], v[38:39]
	ds_read_b128 v[36:39], v2 offset:1216
	v_mul_f64 v[6:7], v[6:7], v[34:35]
	v_fma_f64 v[4:5], v[4:5], v[32:33], -v[6:7]
	s_waitcnt lgkmcnt(0)
	v_mul_f64 v[46:47], v[36:37], v[42:43]
	v_fmac_f64_e32 v[46:47], v[38:39], v[40:41]
	v_add_f64 v[52:53], v[44:45], v[46:47]
	ds_read_b128 v[44:47], v2 offset:1232
	s_waitcnt lgkmcnt(0)
	v_mul_f64 v[54:55], v[44:45], v[50:51]
	v_fmac_f64_e32 v[54:55], v[46:47], v[48:49]
	v_add_f64 v[60:61], v[52:53], v[54:55]
	ds_read_b128 v[52:55], v2 offset:1248
	;; [unrolled: 5-line block ×13, first 2 shown]
	s_waitcnt lgkmcnt(0)
	v_mul_f64 v[2:3], v[142:143], v[148:149]
	v_fmac_f64_e32 v[2:3], v[144:145], v[146:147]
	v_add_f64 v[80:81], v[80:81], v[2:3]
	v_mul_f64 v[2:3], v[18:19], v[22:23]
	v_fma_f64 v[2:3], v[16:17], v[20:21], -v[2:3]
	v_add_f64 v[2:3], v[2:3], 0
	v_add_f64 v[2:3], v[2:3], v[12:13]
	;; [unrolled: 1-line block ×4, first 2 shown]
	v_mul_f64 v[4:5], v[38:39], v[42:43]
	v_fma_f64 v[4:5], v[36:37], v[40:41], -v[4:5]
	v_add_f64 v[2:3], v[2:3], v[4:5]
	v_mul_f64 v[4:5], v[46:47], v[50:51]
	v_fma_f64 v[4:5], v[44:45], v[48:49], -v[4:5]
	v_add_f64 v[2:3], v[2:3], v[4:5]
	;; [unrolled: 3-line block ×14, first 2 shown]
	scratch_load_dwordx4 v[2:5], off, off offset:432
	s_waitcnt vmcnt(0)
	v_add_f64 v[2:3], v[2:3], -v[6:7]
	v_add_f64 v[4:5], v[4:5], -v[80:81]
	scratch_store_dwordx4 off, v[2:5], off offset:432
	s_and_saveexec_b64 s[0:1], vcc
	s_cbranch_execz .LBB108_233
; %bb.232:
	scratch_load_dwordx4 v[2:5], off, s36
	v_mov_b32_e32 v6, 0
	v_mov_b32_e32 v7, v6
	v_mov_b32_e32 v8, v6
	v_mov_b32_e32 v9, v6
	v_accvgpr_read_b32 v0, a91
	scratch_store_dwordx4 off, v[6:9], off offset:416
	s_waitcnt vmcnt(1)
	ds_write_b128 v0, v[2:5]
.LBB108_233:
	s_or_b64 exec, exec, s[0:1]
	v_mov_b32_e32 v2, 0
	s_waitcnt lgkmcnt(0)
	; wave barrier
	ds_read_b128 v[16:19], v2 offset:1136
	ds_read_b128 v[12:15], v2 offset:1152
	;; [unrolled: 1-line block ×4, first 2 shown]
	scratch_load_dwordx4 v[20:23], off, off offset:432
	scratch_load_dwordx4 v[40:43], off, off offset:496
	;; [unrolled: 1-line block ×13, first 2 shown]
	v_cmp_lt_u32_e32 vcc, 24, v240
	scratch_load_dwordx4 v[48:51], off, off offset:512
	scratch_load_dwordx4 v[56:59], off, off offset:528
	;; [unrolled: 1-line block ×3, first 2 shown]
	s_waitcnt vmcnt(15) lgkmcnt(3)
	v_mul_f64 v[24:25], v[16:17], v[22:23]
	v_fmac_f64_e32 v[24:25], v[18:19], v[20:21]
	v_add_f64 v[28:29], v[24:25], 0
	scratch_load_dwordx4 v[24:27], off, off offset:448
	v_mul_f64 v[18:19], v[18:19], v[22:23]
	v_fma_f64 v[16:17], v[16:17], v[20:21], -v[18:19]
	v_add_f64 v[16:17], v[16:17], 0
	s_waitcnt vmcnt(0) lgkmcnt(2)
	v_mul_f64 v[30:31], v[12:13], v[26:27]
	v_fmac_f64_e32 v[30:31], v[14:15], v[24:25]
	v_add_f64 v[32:33], v[28:29], v[30:31]
	scratch_load_dwordx4 v[28:31], off, off offset:464
	v_mul_f64 v[14:15], v[14:15], v[26:27]
	v_fma_f64 v[12:13], v[12:13], v[24:25], -v[14:15]
	v_add_f64 v[12:13], v[16:17], v[12:13]
	;; [unrolled: 8-line block ×3, first 2 shown]
	s_waitcnt vmcnt(0) lgkmcnt(0)
	v_mul_f64 v[38:39], v[4:5], v[34:35]
	v_fmac_f64_e32 v[38:39], v[6:7], v[32:33]
	v_add_f64 v[44:45], v[36:37], v[38:39]
	ds_read_b128 v[36:39], v2 offset:1200
	v_mul_f64 v[6:7], v[6:7], v[34:35]
	v_fma_f64 v[4:5], v[4:5], v[32:33], -v[6:7]
	v_add_f64 v[4:5], v[8:9], v[4:5]
	s_waitcnt lgkmcnt(0)
	v_mul_f64 v[46:47], v[36:37], v[42:43]
	v_fmac_f64_e32 v[46:47], v[38:39], v[40:41]
	v_add_f64 v[52:53], v[44:45], v[46:47]
	ds_read_b128 v[44:47], v2 offset:1216
	v_mul_f64 v[6:7], v[38:39], v[42:43]
	v_fma_f64 v[6:7], v[36:37], v[40:41], -v[6:7]
	v_add_f64 v[4:5], v[4:5], v[6:7]
	s_waitcnt lgkmcnt(0)
	;; [unrolled: 8-line block ×15, first 2 shown]
	v_mul_f64 v[6:7], v[152:153], v[156:157]
	v_fma_f64 v[6:7], v[150:151], v[154:155], -v[6:7]
	v_add_f64 v[8:9], v[4:5], v[6:7]
	scratch_load_dwordx4 v[4:7], off, off offset:416
	v_mul_f64 v[158:159], v[150:151], v[156:157]
	v_fmac_f64_e32 v[158:159], v[152:153], v[154:155]
	v_add_f64 v[88:89], v[88:89], v[158:159]
	s_waitcnt vmcnt(0)
	v_add_f64 v[4:5], v[4:5], -v[8:9]
	v_add_f64 v[6:7], v[6:7], -v[88:89]
	scratch_store_dwordx4 off, v[4:7], off offset:416
	s_and_saveexec_b64 s[0:1], vcc
	s_cbranch_execz .LBB108_235
; %bb.234:
	scratch_load_dwordx4 v[6:9], off, s37
	v_mov_b32_e32 v3, v2
	v_mov_b32_e32 v4, v2
	;; [unrolled: 1-line block ×3, first 2 shown]
	v_accvgpr_read_b32 v0, a91
	scratch_store_dwordx4 off, v[2:5], off offset:400
	s_waitcnt vmcnt(1)
	ds_write_b128 v0, v[6:9]
.LBB108_235:
	s_or_b64 exec, exec, s[0:1]
	s_waitcnt lgkmcnt(0)
	; wave barrier
	ds_read_b128 v[16:19], v2 offset:1120
	ds_read_b128 v[12:15], v2 offset:1136
	;; [unrolled: 1-line block ×4, first 2 shown]
	scratch_load_dwordx4 v[20:23], off, off offset:416
	scratch_load_dwordx4 v[40:43], off, off offset:480
	;; [unrolled: 1-line block ×14, first 2 shown]
	v_cmp_lt_u32_e32 vcc, 23, v240
	scratch_load_dwordx4 v[48:51], off, off offset:496
	scratch_load_dwordx4 v[56:59], off, off offset:512
	;; [unrolled: 1-line block ×3, first 2 shown]
	s_waitcnt vmcnt(16) lgkmcnt(3)
	v_mul_f64 v[24:25], v[16:17], v[22:23]
	v_fmac_f64_e32 v[24:25], v[18:19], v[20:21]
	v_add_f64 v[28:29], v[24:25], 0
	scratch_load_dwordx4 v[24:27], off, off offset:432
	s_waitcnt vmcnt(0) lgkmcnt(2)
	v_mul_f64 v[30:31], v[12:13], v[26:27]
	v_fmac_f64_e32 v[30:31], v[14:15], v[24:25]
	v_add_f64 v[32:33], v[28:29], v[30:31]
	scratch_load_dwordx4 v[28:31], off, off offset:448
	v_mul_f64 v[14:15], v[14:15], v[26:27]
	v_fma_f64 v[12:13], v[12:13], v[24:25], -v[14:15]
	s_waitcnt vmcnt(0) lgkmcnt(1)
	v_mul_f64 v[34:35], v[8:9], v[30:31]
	v_fmac_f64_e32 v[34:35], v[10:11], v[28:29]
	v_add_f64 v[36:37], v[32:33], v[34:35]
	scratch_load_dwordx4 v[32:35], off, off offset:464
	v_mul_f64 v[10:11], v[10:11], v[30:31]
	v_fma_f64 v[8:9], v[8:9], v[28:29], -v[10:11]
	s_waitcnt vmcnt(0) lgkmcnt(0)
	v_mul_f64 v[38:39], v[4:5], v[34:35]
	v_fmac_f64_e32 v[38:39], v[6:7], v[32:33]
	v_add_f64 v[44:45], v[36:37], v[38:39]
	ds_read_b128 v[36:39], v2 offset:1184
	v_mul_f64 v[6:7], v[6:7], v[34:35]
	v_fma_f64 v[4:5], v[4:5], v[32:33], -v[6:7]
	s_waitcnt lgkmcnt(0)
	v_mul_f64 v[46:47], v[36:37], v[42:43]
	v_fmac_f64_e32 v[46:47], v[38:39], v[40:41]
	v_add_f64 v[52:53], v[44:45], v[46:47]
	ds_read_b128 v[44:47], v2 offset:1200
	s_waitcnt lgkmcnt(0)
	v_mul_f64 v[54:55], v[44:45], v[50:51]
	v_fmac_f64_e32 v[54:55], v[46:47], v[48:49]
	v_add_f64 v[60:61], v[52:53], v[54:55]
	ds_read_b128 v[52:55], v2 offset:1216
	;; [unrolled: 5-line block ×15, first 2 shown]
	s_waitcnt lgkmcnt(0)
	v_mul_f64 v[2:3], v[158:159], v[164:165]
	v_fmac_f64_e32 v[2:3], v[160:161], v[162:163]
	v_add_f64 v[96:97], v[96:97], v[2:3]
	v_mul_f64 v[2:3], v[18:19], v[22:23]
	v_fma_f64 v[2:3], v[16:17], v[20:21], -v[2:3]
	v_add_f64 v[2:3], v[2:3], 0
	v_add_f64 v[2:3], v[2:3], v[12:13]
	;; [unrolled: 1-line block ×4, first 2 shown]
	v_mul_f64 v[4:5], v[38:39], v[42:43]
	v_fma_f64 v[4:5], v[36:37], v[40:41], -v[4:5]
	v_add_f64 v[2:3], v[2:3], v[4:5]
	v_mul_f64 v[4:5], v[46:47], v[50:51]
	v_fma_f64 v[4:5], v[44:45], v[48:49], -v[4:5]
	v_add_f64 v[2:3], v[2:3], v[4:5]
	;; [unrolled: 3-line block ×16, first 2 shown]
	scratch_load_dwordx4 v[2:5], off, off offset:400
	s_waitcnt vmcnt(0)
	v_add_f64 v[2:3], v[2:3], -v[6:7]
	v_add_f64 v[4:5], v[4:5], -v[96:97]
	scratch_store_dwordx4 off, v[2:5], off offset:400
	s_and_saveexec_b64 s[0:1], vcc
	s_cbranch_execz .LBB108_237
; %bb.236:
	scratch_load_dwordx4 v[2:5], off, s38
	v_mov_b32_e32 v6, 0
	v_mov_b32_e32 v7, v6
	;; [unrolled: 1-line block ×4, first 2 shown]
	v_accvgpr_read_b32 v0, a91
	scratch_store_dwordx4 off, v[6:9], off offset:384
	s_waitcnt vmcnt(1)
	ds_write_b128 v0, v[2:5]
.LBB108_237:
	s_or_b64 exec, exec, s[0:1]
	v_mov_b32_e32 v2, 0
	s_waitcnt lgkmcnt(0)
	; wave barrier
	ds_read_b128 v[16:19], v2 offset:1104
	ds_read_b128 v[12:15], v2 offset:1120
	;; [unrolled: 1-line block ×4, first 2 shown]
	scratch_load_dwordx4 v[20:23], off, off offset:400
	scratch_load_dwordx4 v[40:43], off, off offset:464
	;; [unrolled: 1-line block ×15, first 2 shown]
	v_cmp_lt_u32_e32 vcc, 22, v240
	scratch_load_dwordx4 v[48:51], off, off offset:480
	scratch_load_dwordx4 v[56:59], off, off offset:496
	;; [unrolled: 1-line block ×3, first 2 shown]
	s_waitcnt vmcnt(17) lgkmcnt(3)
	v_mul_f64 v[24:25], v[16:17], v[22:23]
	v_fmac_f64_e32 v[24:25], v[18:19], v[20:21]
	v_add_f64 v[28:29], v[24:25], 0
	scratch_load_dwordx4 v[24:27], off, off offset:416
	v_mul_f64 v[18:19], v[18:19], v[22:23]
	v_fma_f64 v[16:17], v[16:17], v[20:21], -v[18:19]
	v_add_f64 v[16:17], v[16:17], 0
	s_waitcnt vmcnt(0) lgkmcnt(2)
	v_mul_f64 v[30:31], v[12:13], v[26:27]
	v_fmac_f64_e32 v[30:31], v[14:15], v[24:25]
	v_add_f64 v[32:33], v[28:29], v[30:31]
	scratch_load_dwordx4 v[28:31], off, off offset:432
	v_mul_f64 v[14:15], v[14:15], v[26:27]
	v_fma_f64 v[12:13], v[12:13], v[24:25], -v[14:15]
	v_add_f64 v[12:13], v[16:17], v[12:13]
	;; [unrolled: 8-line block ×3, first 2 shown]
	s_waitcnt vmcnt(0) lgkmcnt(0)
	v_mul_f64 v[38:39], v[4:5], v[34:35]
	v_fmac_f64_e32 v[38:39], v[6:7], v[32:33]
	v_add_f64 v[44:45], v[36:37], v[38:39]
	ds_read_b128 v[36:39], v2 offset:1168
	v_mul_f64 v[6:7], v[6:7], v[34:35]
	v_fma_f64 v[4:5], v[4:5], v[32:33], -v[6:7]
	v_add_f64 v[4:5], v[8:9], v[4:5]
	s_waitcnt lgkmcnt(0)
	v_mul_f64 v[46:47], v[36:37], v[42:43]
	v_fmac_f64_e32 v[46:47], v[38:39], v[40:41]
	v_add_f64 v[52:53], v[44:45], v[46:47]
	ds_read_b128 v[44:47], v2 offset:1184
	v_mul_f64 v[6:7], v[38:39], v[42:43]
	v_fma_f64 v[6:7], v[36:37], v[40:41], -v[6:7]
	v_add_f64 v[4:5], v[4:5], v[6:7]
	s_waitcnt lgkmcnt(0)
	;; [unrolled: 8-line block ×17, first 2 shown]
	v_mul_f64 v[6:7], v[168:169], v[172:173]
	v_fma_f64 v[6:7], v[166:167], v[170:171], -v[6:7]
	v_add_f64 v[8:9], v[4:5], v[6:7]
	scratch_load_dwordx4 v[4:7], off, off offset:384
	v_mul_f64 v[174:175], v[166:167], v[172:173]
	v_fmac_f64_e32 v[174:175], v[168:169], v[170:171]
	v_add_f64 v[104:105], v[104:105], v[174:175]
	s_waitcnt vmcnt(0)
	v_add_f64 v[4:5], v[4:5], -v[8:9]
	v_add_f64 v[6:7], v[6:7], -v[104:105]
	scratch_store_dwordx4 off, v[4:7], off offset:384
	s_and_saveexec_b64 s[0:1], vcc
	s_cbranch_execz .LBB108_239
; %bb.238:
	scratch_load_dwordx4 v[6:9], off, s39
	v_mov_b32_e32 v3, v2
	v_mov_b32_e32 v4, v2
	v_mov_b32_e32 v5, v2
	v_accvgpr_read_b32 v0, a91
	scratch_store_dwordx4 off, v[2:5], off offset:368
	s_waitcnt vmcnt(1)
	ds_write_b128 v0, v[6:9]
.LBB108_239:
	s_or_b64 exec, exec, s[0:1]
	s_waitcnt lgkmcnt(0)
	; wave barrier
	ds_read_b128 v[16:19], v2 offset:1088
	ds_read_b128 v[12:15], v2 offset:1104
	;; [unrolled: 1-line block ×4, first 2 shown]
	scratch_load_dwordx4 v[20:23], off, off offset:384
	scratch_load_dwordx4 v[40:43], off, off offset:448
	;; [unrolled: 1-line block ×16, first 2 shown]
	v_cmp_lt_u32_e32 vcc, 21, v240
	scratch_load_dwordx4 v[48:51], off, off offset:464
	scratch_load_dwordx4 v[56:59], off, off offset:480
	;; [unrolled: 1-line block ×3, first 2 shown]
	s_waitcnt vmcnt(18) lgkmcnt(3)
	v_mul_f64 v[24:25], v[16:17], v[22:23]
	v_fmac_f64_e32 v[24:25], v[18:19], v[20:21]
	v_add_f64 v[28:29], v[24:25], 0
	scratch_load_dwordx4 v[24:27], off, off offset:400
	s_waitcnt vmcnt(0) lgkmcnt(2)
	v_mul_f64 v[30:31], v[12:13], v[26:27]
	v_fmac_f64_e32 v[30:31], v[14:15], v[24:25]
	v_add_f64 v[32:33], v[28:29], v[30:31]
	scratch_load_dwordx4 v[28:31], off, off offset:416
	v_mul_f64 v[14:15], v[14:15], v[26:27]
	v_fma_f64 v[12:13], v[12:13], v[24:25], -v[14:15]
	s_waitcnt vmcnt(0) lgkmcnt(1)
	v_mul_f64 v[34:35], v[8:9], v[30:31]
	v_fmac_f64_e32 v[34:35], v[10:11], v[28:29]
	v_add_f64 v[36:37], v[32:33], v[34:35]
	scratch_load_dwordx4 v[32:35], off, off offset:432
	v_mul_f64 v[10:11], v[10:11], v[30:31]
	v_fma_f64 v[8:9], v[8:9], v[28:29], -v[10:11]
	s_waitcnt vmcnt(0) lgkmcnt(0)
	v_mul_f64 v[38:39], v[4:5], v[34:35]
	v_fmac_f64_e32 v[38:39], v[6:7], v[32:33]
	v_add_f64 v[44:45], v[36:37], v[38:39]
	ds_read_b128 v[36:39], v2 offset:1152
	v_mul_f64 v[6:7], v[6:7], v[34:35]
	v_fma_f64 v[4:5], v[4:5], v[32:33], -v[6:7]
	s_waitcnt lgkmcnt(0)
	v_mul_f64 v[46:47], v[36:37], v[42:43]
	v_fmac_f64_e32 v[46:47], v[38:39], v[40:41]
	v_add_f64 v[52:53], v[44:45], v[46:47]
	ds_read_b128 v[44:47], v2 offset:1168
	s_waitcnt lgkmcnt(0)
	v_mul_f64 v[54:55], v[44:45], v[50:51]
	v_fmac_f64_e32 v[54:55], v[46:47], v[48:49]
	v_add_f64 v[60:61], v[52:53], v[54:55]
	ds_read_b128 v[52:55], v2 offset:1184
	;; [unrolled: 5-line block ×17, first 2 shown]
	s_waitcnt lgkmcnt(0)
	v_mul_f64 v[2:3], v[174:175], v[180:181]
	v_fmac_f64_e32 v[2:3], v[176:177], v[178:179]
	v_add_f64 v[120:121], v[120:121], v[2:3]
	v_mul_f64 v[2:3], v[18:19], v[22:23]
	v_fma_f64 v[2:3], v[16:17], v[20:21], -v[2:3]
	v_add_f64 v[2:3], v[2:3], 0
	v_add_f64 v[2:3], v[2:3], v[12:13]
	;; [unrolled: 1-line block ×4, first 2 shown]
	v_mul_f64 v[4:5], v[38:39], v[42:43]
	v_fma_f64 v[4:5], v[36:37], v[40:41], -v[4:5]
	v_add_f64 v[2:3], v[2:3], v[4:5]
	v_mul_f64 v[4:5], v[46:47], v[50:51]
	v_fma_f64 v[4:5], v[44:45], v[48:49], -v[4:5]
	v_add_f64 v[2:3], v[2:3], v[4:5]
	;; [unrolled: 3-line block ×18, first 2 shown]
	scratch_load_dwordx4 v[2:5], off, off offset:368
	s_waitcnt vmcnt(0)
	v_add_f64 v[2:3], v[2:3], -v[6:7]
	v_add_f64 v[4:5], v[4:5], -v[120:121]
	scratch_store_dwordx4 off, v[2:5], off offset:368
	s_and_saveexec_b64 s[0:1], vcc
	s_cbranch_execz .LBB108_241
; %bb.240:
	scratch_load_dwordx4 v[2:5], off, s40
	v_mov_b32_e32 v6, 0
	v_mov_b32_e32 v7, v6
	;; [unrolled: 1-line block ×4, first 2 shown]
	v_accvgpr_read_b32 v0, a91
	scratch_store_dwordx4 off, v[6:9], off offset:352
	s_waitcnt vmcnt(1)
	ds_write_b128 v0, v[2:5]
.LBB108_241:
	s_or_b64 exec, exec, s[0:1]
	v_mov_b32_e32 v2, 0
	s_waitcnt lgkmcnt(0)
	; wave barrier
	ds_read_b128 v[16:19], v2 offset:1072
	ds_read_b128 v[12:15], v2 offset:1088
	;; [unrolled: 1-line block ×4, first 2 shown]
	scratch_load_dwordx4 v[20:23], off, off offset:368
	scratch_load_dwordx4 v[40:43], off, off offset:432
	;; [unrolled: 1-line block ×17, first 2 shown]
	v_cmp_lt_u32_e32 vcc, 20, v240
	scratch_load_dwordx4 v[48:51], off, off offset:448
	scratch_load_dwordx4 v[56:59], off, off offset:464
	;; [unrolled: 1-line block ×3, first 2 shown]
	s_waitcnt vmcnt(19) lgkmcnt(3)
	v_mul_f64 v[24:25], v[16:17], v[22:23]
	v_fmac_f64_e32 v[24:25], v[18:19], v[20:21]
	v_add_f64 v[28:29], v[24:25], 0
	scratch_load_dwordx4 v[24:27], off, off offset:384
	v_mul_f64 v[18:19], v[18:19], v[22:23]
	v_fma_f64 v[16:17], v[16:17], v[20:21], -v[18:19]
	v_add_f64 v[16:17], v[16:17], 0
	s_waitcnt vmcnt(0) lgkmcnt(2)
	v_mul_f64 v[30:31], v[12:13], v[26:27]
	v_fmac_f64_e32 v[30:31], v[14:15], v[24:25]
	v_add_f64 v[32:33], v[28:29], v[30:31]
	scratch_load_dwordx4 v[28:31], off, off offset:400
	v_mul_f64 v[14:15], v[14:15], v[26:27]
	v_fma_f64 v[12:13], v[12:13], v[24:25], -v[14:15]
	v_add_f64 v[12:13], v[16:17], v[12:13]
	;; [unrolled: 8-line block ×3, first 2 shown]
	s_waitcnt vmcnt(0) lgkmcnt(0)
	v_mul_f64 v[38:39], v[4:5], v[34:35]
	v_fmac_f64_e32 v[38:39], v[6:7], v[32:33]
	v_add_f64 v[44:45], v[36:37], v[38:39]
	ds_read_b128 v[36:39], v2 offset:1136
	v_mul_f64 v[6:7], v[6:7], v[34:35]
	v_fma_f64 v[4:5], v[4:5], v[32:33], -v[6:7]
	v_add_f64 v[4:5], v[8:9], v[4:5]
	s_waitcnt lgkmcnt(0)
	v_mul_f64 v[46:47], v[36:37], v[42:43]
	v_fmac_f64_e32 v[46:47], v[38:39], v[40:41]
	v_add_f64 v[52:53], v[44:45], v[46:47]
	ds_read_b128 v[44:47], v2 offset:1152
	v_mul_f64 v[6:7], v[38:39], v[42:43]
	v_fma_f64 v[6:7], v[36:37], v[40:41], -v[6:7]
	v_add_f64 v[4:5], v[4:5], v[6:7]
	s_waitcnt lgkmcnt(0)
	;; [unrolled: 8-line block ×19, first 2 shown]
	v_mul_f64 v[6:7], v[184:185], v[188:189]
	v_fma_f64 v[6:7], v[182:183], v[186:187], -v[6:7]
	v_add_f64 v[8:9], v[4:5], v[6:7]
	scratch_load_dwordx4 v[4:7], off, off offset:352
	v_mul_f64 v[190:191], v[182:183], v[188:189]
	v_fmac_f64_e32 v[190:191], v[184:185], v[186:187]
	v_add_f64 v[128:129], v[128:129], v[190:191]
	s_waitcnt vmcnt(0)
	v_add_f64 v[4:5], v[4:5], -v[8:9]
	v_add_f64 v[6:7], v[6:7], -v[128:129]
	scratch_store_dwordx4 off, v[4:7], off offset:352
	s_and_saveexec_b64 s[0:1], vcc
	s_cbranch_execz .LBB108_243
; %bb.242:
	scratch_load_dwordx4 v[6:9], off, s41
	v_mov_b32_e32 v3, v2
	v_mov_b32_e32 v4, v2
	;; [unrolled: 1-line block ×3, first 2 shown]
	v_accvgpr_read_b32 v0, a91
	scratch_store_dwordx4 off, v[2:5], off offset:336
	s_waitcnt vmcnt(1)
	ds_write_b128 v0, v[6:9]
.LBB108_243:
	s_or_b64 exec, exec, s[0:1]
	s_waitcnt lgkmcnt(0)
	; wave barrier
	ds_read_b128 v[16:19], v2 offset:1056
	ds_read_b128 v[12:15], v2 offset:1072
	ds_read_b128 v[8:11], v2 offset:1088
	ds_read_b128 v[4:7], v2 offset:1104
	scratch_load_dwordx4 v[20:23], off, off offset:352
	scratch_load_dwordx4 v[40:43], off, off offset:416
	scratch_load_dwordx4 v[72:75], off, off offset:480
	scratch_load_dwordx4 v[80:83], off, off offset:496
	scratch_load_dwordx4 v[88:91], off, off offset:512
	scratch_load_dwordx4 v[96:99], off, off offset:528
	scratch_load_dwordx4 v[104:107], off, off offset:544
	scratch_load_dwordx4 v[112:115], off, off offset:560
	scratch_load_dwordx4 v[120:123], off, off offset:576
	scratch_load_dwordx4 v[128:131], off, off offset:592
	scratch_load_dwordx4 v[136:139], off, off offset:608
	scratch_load_dwordx4 v[144:147], off, off offset:624
	scratch_load_dwordx4 v[154:157], off, off offset:640
	scratch_load_dwordx4 v[162:165], off, off offset:656
	scratch_load_dwordx4 v[170:173], off, off offset:672
	scratch_load_dwordx4 v[178:181], off, off offset:688
	scratch_load_dwordx4 v[186:189], off, off offset:704
	scratch_load_dwordx4 v[194:197], off, off offset:720
	v_cmp_lt_u32_e32 vcc, 19, v240
	scratch_load_dwordx4 v[48:51], off, off offset:432
	scratch_load_dwordx4 v[56:59], off, off offset:448
	;; [unrolled: 1-line block ×3, first 2 shown]
	s_waitcnt vmcnt(20) lgkmcnt(3)
	v_mul_f64 v[24:25], v[16:17], v[22:23]
	v_fmac_f64_e32 v[24:25], v[18:19], v[20:21]
	v_add_f64 v[28:29], v[24:25], 0
	scratch_load_dwordx4 v[24:27], off, off offset:368
	s_waitcnt vmcnt(0) lgkmcnt(2)
	v_mul_f64 v[30:31], v[12:13], v[26:27]
	v_fmac_f64_e32 v[30:31], v[14:15], v[24:25]
	v_add_f64 v[32:33], v[28:29], v[30:31]
	scratch_load_dwordx4 v[28:31], off, off offset:384
	v_mul_f64 v[14:15], v[14:15], v[26:27]
	v_fma_f64 v[12:13], v[12:13], v[24:25], -v[14:15]
	s_waitcnt vmcnt(0) lgkmcnt(1)
	v_mul_f64 v[34:35], v[8:9], v[30:31]
	v_fmac_f64_e32 v[34:35], v[10:11], v[28:29]
	v_add_f64 v[36:37], v[32:33], v[34:35]
	scratch_load_dwordx4 v[32:35], off, off offset:400
	v_mul_f64 v[10:11], v[10:11], v[30:31]
	v_fma_f64 v[8:9], v[8:9], v[28:29], -v[10:11]
	s_waitcnt vmcnt(0) lgkmcnt(0)
	v_mul_f64 v[38:39], v[4:5], v[34:35]
	v_fmac_f64_e32 v[38:39], v[6:7], v[32:33]
	v_add_f64 v[44:45], v[36:37], v[38:39]
	ds_read_b128 v[36:39], v2 offset:1120
	v_mul_f64 v[6:7], v[6:7], v[34:35]
	v_fma_f64 v[4:5], v[4:5], v[32:33], -v[6:7]
	s_waitcnt lgkmcnt(0)
	v_mul_f64 v[46:47], v[36:37], v[42:43]
	v_fmac_f64_e32 v[46:47], v[38:39], v[40:41]
	v_add_f64 v[52:53], v[44:45], v[46:47]
	ds_read_b128 v[44:47], v2 offset:1136
	s_waitcnt lgkmcnt(0)
	v_mul_f64 v[54:55], v[44:45], v[50:51]
	v_fmac_f64_e32 v[54:55], v[46:47], v[48:49]
	v_add_f64 v[60:61], v[52:53], v[54:55]
	ds_read_b128 v[52:55], v2 offset:1152
	;; [unrolled: 5-line block ×19, first 2 shown]
	s_waitcnt lgkmcnt(0)
	v_mul_f64 v[2:3], v[190:191], v[196:197]
	v_fmac_f64_e32 v[2:3], v[192:193], v[194:195]
	v_add_f64 v[148:149], v[148:149], v[2:3]
	v_mul_f64 v[2:3], v[18:19], v[22:23]
	v_fma_f64 v[2:3], v[16:17], v[20:21], -v[2:3]
	v_add_f64 v[2:3], v[2:3], 0
	v_add_f64 v[2:3], v[2:3], v[12:13]
	;; [unrolled: 1-line block ×4, first 2 shown]
	v_mul_f64 v[4:5], v[38:39], v[42:43]
	v_fma_f64 v[4:5], v[36:37], v[40:41], -v[4:5]
	v_add_f64 v[2:3], v[2:3], v[4:5]
	v_mul_f64 v[4:5], v[46:47], v[50:51]
	v_fma_f64 v[4:5], v[44:45], v[48:49], -v[4:5]
	v_add_f64 v[2:3], v[2:3], v[4:5]
	;; [unrolled: 3-line block ×20, first 2 shown]
	scratch_load_dwordx4 v[2:5], off, off offset:336
	s_waitcnt vmcnt(0)
	v_add_f64 v[2:3], v[2:3], -v[6:7]
	v_add_f64 v[4:5], v[4:5], -v[148:149]
	scratch_store_dwordx4 off, v[2:5], off offset:336
	s_and_saveexec_b64 s[0:1], vcc
	s_cbranch_execz .LBB108_245
; %bb.244:
	scratch_load_dwordx4 v[2:5], off, s42
	v_mov_b32_e32 v6, 0
	v_mov_b32_e32 v7, v6
	v_mov_b32_e32 v8, v6
	v_mov_b32_e32 v9, v6
	v_accvgpr_read_b32 v0, a91
	scratch_store_dwordx4 off, v[6:9], off offset:320
	s_waitcnt vmcnt(1)
	ds_write_b128 v0, v[2:5]
.LBB108_245:
	s_or_b64 exec, exec, s[0:1]
	v_mov_b32_e32 v2, 0
	s_waitcnt lgkmcnt(0)
	; wave barrier
	ds_read_b128 v[16:19], v2 offset:1040
	ds_read_b128 v[12:15], v2 offset:1056
	;; [unrolled: 1-line block ×4, first 2 shown]
	scratch_load_dwordx4 v[20:23], off, off offset:336
	scratch_load_dwordx4 v[40:43], off, off offset:400
	;; [unrolled: 1-line block ×19, first 2 shown]
	v_cmp_lt_u32_e32 vcc, 18, v240
	scratch_load_dwordx4 v[48:51], off, off offset:416
	scratch_load_dwordx4 v[56:59], off, off offset:432
	;; [unrolled: 1-line block ×3, first 2 shown]
	s_waitcnt vmcnt(21) lgkmcnt(3)
	v_mul_f64 v[24:25], v[16:17], v[22:23]
	v_fmac_f64_e32 v[24:25], v[18:19], v[20:21]
	v_add_f64 v[28:29], v[24:25], 0
	scratch_load_dwordx4 v[24:27], off, off offset:352
	v_mul_f64 v[18:19], v[18:19], v[22:23]
	v_fma_f64 v[16:17], v[16:17], v[20:21], -v[18:19]
	v_add_f64 v[16:17], v[16:17], 0
	s_waitcnt vmcnt(0) lgkmcnt(2)
	v_mul_f64 v[30:31], v[12:13], v[26:27]
	v_fmac_f64_e32 v[30:31], v[14:15], v[24:25]
	v_add_f64 v[32:33], v[28:29], v[30:31]
	scratch_load_dwordx4 v[28:31], off, off offset:368
	v_mul_f64 v[14:15], v[14:15], v[26:27]
	v_fma_f64 v[12:13], v[12:13], v[24:25], -v[14:15]
	v_add_f64 v[12:13], v[16:17], v[12:13]
	;; [unrolled: 8-line block ×3, first 2 shown]
	s_waitcnt vmcnt(0) lgkmcnt(0)
	v_mul_f64 v[38:39], v[4:5], v[34:35]
	v_fmac_f64_e32 v[38:39], v[6:7], v[32:33]
	v_add_f64 v[44:45], v[36:37], v[38:39]
	ds_read_b128 v[36:39], v2 offset:1104
	v_mul_f64 v[6:7], v[6:7], v[34:35]
	v_fma_f64 v[4:5], v[4:5], v[32:33], -v[6:7]
	v_add_f64 v[4:5], v[8:9], v[4:5]
	s_waitcnt lgkmcnt(0)
	v_mul_f64 v[46:47], v[36:37], v[42:43]
	v_fmac_f64_e32 v[46:47], v[38:39], v[40:41]
	v_add_f64 v[52:53], v[44:45], v[46:47]
	ds_read_b128 v[44:47], v2 offset:1120
	v_mul_f64 v[6:7], v[38:39], v[42:43]
	v_fma_f64 v[6:7], v[36:37], v[40:41], -v[6:7]
	v_add_f64 v[4:5], v[4:5], v[6:7]
	s_waitcnt lgkmcnt(0)
	;; [unrolled: 8-line block ×21, first 2 shown]
	v_mul_f64 v[6:7], v[200:201], v[204:205]
	v_fma_f64 v[6:7], v[198:199], v[202:203], -v[6:7]
	v_add_f64 v[8:9], v[4:5], v[6:7]
	scratch_load_dwordx4 v[4:7], off, off offset:320
	v_mul_f64 v[206:207], v[198:199], v[204:205]
	v_fmac_f64_e32 v[206:207], v[200:201], v[202:203]
	v_add_f64 v[144:145], v[144:145], v[206:207]
	s_waitcnt vmcnt(0)
	v_add_f64 v[4:5], v[4:5], -v[8:9]
	v_add_f64 v[6:7], v[6:7], -v[144:145]
	scratch_store_dwordx4 off, v[4:7], off offset:320
	s_and_saveexec_b64 s[0:1], vcc
	s_cbranch_execz .LBB108_247
; %bb.246:
	scratch_load_dwordx4 v[6:9], off, s43
	v_mov_b32_e32 v3, v2
	v_mov_b32_e32 v4, v2
	v_mov_b32_e32 v5, v2
	v_accvgpr_read_b32 v0, a91
	scratch_store_dwordx4 off, v[2:5], off offset:304
	s_waitcnt vmcnt(1)
	ds_write_b128 v0, v[6:9]
.LBB108_247:
	s_or_b64 exec, exec, s[0:1]
	s_waitcnt lgkmcnt(0)
	; wave barrier
	ds_read_b128 v[16:19], v2 offset:1024
	ds_read_b128 v[12:15], v2 offset:1040
	;; [unrolled: 1-line block ×4, first 2 shown]
	scratch_load_dwordx4 v[20:23], off, off offset:320
	scratch_load_dwordx4 v[40:43], off, off offset:384
	;; [unrolled: 1-line block ×20, first 2 shown]
	v_cmp_lt_u32_e32 vcc, 17, v240
	scratch_load_dwordx4 v[48:51], off, off offset:400
	scratch_load_dwordx4 v[56:59], off, off offset:416
	;; [unrolled: 1-line block ×3, first 2 shown]
	s_waitcnt vmcnt(22) lgkmcnt(3)
	v_mul_f64 v[24:25], v[16:17], v[22:23]
	v_fmac_f64_e32 v[24:25], v[18:19], v[20:21]
	v_add_f64 v[28:29], v[24:25], 0
	scratch_load_dwordx4 v[24:27], off, off offset:336
	s_waitcnt vmcnt(0) lgkmcnt(2)
	v_mul_f64 v[30:31], v[12:13], v[26:27]
	v_fmac_f64_e32 v[30:31], v[14:15], v[24:25]
	v_add_f64 v[32:33], v[28:29], v[30:31]
	scratch_load_dwordx4 v[28:31], off, off offset:352
	v_mul_f64 v[14:15], v[14:15], v[26:27]
	v_fma_f64 v[12:13], v[12:13], v[24:25], -v[14:15]
	s_waitcnt vmcnt(0) lgkmcnt(1)
	v_mul_f64 v[34:35], v[8:9], v[30:31]
	v_fmac_f64_e32 v[34:35], v[10:11], v[28:29]
	v_add_f64 v[36:37], v[32:33], v[34:35]
	scratch_load_dwordx4 v[32:35], off, off offset:368
	v_mul_f64 v[10:11], v[10:11], v[30:31]
	v_fma_f64 v[8:9], v[8:9], v[28:29], -v[10:11]
	s_waitcnt vmcnt(0) lgkmcnt(0)
	v_mul_f64 v[38:39], v[4:5], v[34:35]
	v_fmac_f64_e32 v[38:39], v[6:7], v[32:33]
	v_add_f64 v[44:45], v[36:37], v[38:39]
	ds_read_b128 v[36:39], v2 offset:1088
	v_mul_f64 v[6:7], v[6:7], v[34:35]
	v_fma_f64 v[4:5], v[4:5], v[32:33], -v[6:7]
	s_waitcnt lgkmcnt(0)
	v_mul_f64 v[46:47], v[36:37], v[42:43]
	v_fmac_f64_e32 v[46:47], v[38:39], v[40:41]
	v_add_f64 v[52:53], v[44:45], v[46:47]
	ds_read_b128 v[44:47], v2 offset:1104
	s_waitcnt lgkmcnt(0)
	v_mul_f64 v[54:55], v[44:45], v[50:51]
	v_fmac_f64_e32 v[54:55], v[46:47], v[48:49]
	v_add_f64 v[60:61], v[52:53], v[54:55]
	ds_read_b128 v[52:55], v2 offset:1120
	;; [unrolled: 5-line block ×21, first 2 shown]
	s_waitcnt lgkmcnt(0)
	v_mul_f64 v[2:3], v[206:207], v[212:213]
	v_fmac_f64_e32 v[2:3], v[208:209], v[210:211]
	v_add_f64 v[168:169], v[168:169], v[2:3]
	v_mul_f64 v[2:3], v[18:19], v[22:23]
	v_fma_f64 v[2:3], v[16:17], v[20:21], -v[2:3]
	v_add_f64 v[2:3], v[2:3], 0
	v_add_f64 v[2:3], v[2:3], v[12:13]
	;; [unrolled: 1-line block ×4, first 2 shown]
	v_mul_f64 v[4:5], v[38:39], v[42:43]
	v_fma_f64 v[4:5], v[36:37], v[40:41], -v[4:5]
	v_add_f64 v[2:3], v[2:3], v[4:5]
	v_mul_f64 v[4:5], v[46:47], v[50:51]
	v_fma_f64 v[4:5], v[44:45], v[48:49], -v[4:5]
	v_add_f64 v[2:3], v[2:3], v[4:5]
	;; [unrolled: 3-line block ×22, first 2 shown]
	scratch_load_dwordx4 v[2:5], off, off offset:304
	s_waitcnt vmcnt(0)
	v_add_f64 v[2:3], v[2:3], -v[6:7]
	v_add_f64 v[4:5], v[4:5], -v[168:169]
	scratch_store_dwordx4 off, v[2:5], off offset:304
	s_and_saveexec_b64 s[0:1], vcc
	s_cbranch_execz .LBB108_249
; %bb.248:
	scratch_load_dwordx4 v[2:5], off, s44
	v_mov_b32_e32 v6, 0
	v_mov_b32_e32 v7, v6
	v_mov_b32_e32 v8, v6
	v_mov_b32_e32 v9, v6
	v_accvgpr_read_b32 v0, a91
	scratch_store_dwordx4 off, v[6:9], off offset:288
	s_waitcnt vmcnt(1)
	ds_write_b128 v0, v[2:5]
.LBB108_249:
	s_or_b64 exec, exec, s[0:1]
	v_mov_b32_e32 v2, 0
	s_waitcnt lgkmcnt(0)
	; wave barrier
	ds_read_b128 v[16:19], v2 offset:1008
	ds_read_b128 v[12:15], v2 offset:1024
	;; [unrolled: 1-line block ×4, first 2 shown]
	scratch_load_dwordx4 v[20:23], off, off offset:304
	scratch_load_dwordx4 v[40:43], off, off offset:368
	;; [unrolled: 1-line block ×21, first 2 shown]
	v_cmp_lt_u32_e32 vcc, 16, v240
	scratch_load_dwordx4 v[48:51], off, off offset:384
	scratch_load_dwordx4 v[56:59], off, off offset:400
	;; [unrolled: 1-line block ×3, first 2 shown]
	s_waitcnt vmcnt(23) lgkmcnt(3)
	v_mul_f64 v[24:25], v[16:17], v[22:23]
	v_fmac_f64_e32 v[24:25], v[18:19], v[20:21]
	v_add_f64 v[28:29], v[24:25], 0
	scratch_load_dwordx4 v[24:27], off, off offset:320
	v_mul_f64 v[18:19], v[18:19], v[22:23]
	v_fma_f64 v[16:17], v[16:17], v[20:21], -v[18:19]
	v_add_f64 v[16:17], v[16:17], 0
	s_waitcnt vmcnt(0) lgkmcnt(2)
	v_mul_f64 v[30:31], v[12:13], v[26:27]
	v_fmac_f64_e32 v[30:31], v[14:15], v[24:25]
	v_add_f64 v[32:33], v[28:29], v[30:31]
	scratch_load_dwordx4 v[28:31], off, off offset:336
	v_mul_f64 v[14:15], v[14:15], v[26:27]
	v_fma_f64 v[12:13], v[12:13], v[24:25], -v[14:15]
	v_add_f64 v[12:13], v[16:17], v[12:13]
	;; [unrolled: 8-line block ×3, first 2 shown]
	s_waitcnt vmcnt(0) lgkmcnt(0)
	v_mul_f64 v[38:39], v[4:5], v[34:35]
	v_fmac_f64_e32 v[38:39], v[6:7], v[32:33]
	v_add_f64 v[44:45], v[36:37], v[38:39]
	ds_read_b128 v[36:39], v2 offset:1072
	v_mul_f64 v[6:7], v[6:7], v[34:35]
	v_fma_f64 v[4:5], v[4:5], v[32:33], -v[6:7]
	v_add_f64 v[4:5], v[8:9], v[4:5]
	s_waitcnt lgkmcnt(0)
	v_mul_f64 v[46:47], v[36:37], v[42:43]
	v_fmac_f64_e32 v[46:47], v[38:39], v[40:41]
	v_add_f64 v[52:53], v[44:45], v[46:47]
	ds_read_b128 v[44:47], v2 offset:1088
	v_mul_f64 v[6:7], v[38:39], v[42:43]
	v_fma_f64 v[6:7], v[36:37], v[40:41], -v[6:7]
	v_add_f64 v[4:5], v[4:5], v[6:7]
	s_waitcnt lgkmcnt(0)
	;; [unrolled: 8-line block ×23, first 2 shown]
	v_mul_f64 v[6:7], v[216:217], v[220:221]
	v_fma_f64 v[6:7], v[214:215], v[218:219], -v[6:7]
	v_add_f64 v[8:9], v[4:5], v[6:7]
	scratch_load_dwordx4 v[4:7], off, off offset:288
	v_mul_f64 v[222:223], v[214:215], v[220:221]
	v_fmac_f64_e32 v[222:223], v[216:217], v[218:219]
	v_add_f64 v[160:161], v[160:161], v[222:223]
	s_waitcnt vmcnt(0)
	v_add_f64 v[4:5], v[4:5], -v[8:9]
	v_add_f64 v[6:7], v[6:7], -v[160:161]
	scratch_store_dwordx4 off, v[4:7], off offset:288
	s_and_saveexec_b64 s[0:1], vcc
	s_cbranch_execz .LBB108_251
; %bb.250:
	scratch_load_dwordx4 v[6:9], off, s45
	v_mov_b32_e32 v3, v2
	v_mov_b32_e32 v4, v2
	v_mov_b32_e32 v5, v2
	v_accvgpr_read_b32 v0, a91
	scratch_store_dwordx4 off, v[2:5], off offset:272
	s_waitcnt vmcnt(1)
	ds_write_b128 v0, v[6:9]
.LBB108_251:
	s_or_b64 exec, exec, s[0:1]
	s_waitcnt lgkmcnt(0)
	; wave barrier
	ds_read_b128 v[16:19], v2 offset:992
	ds_read_b128 v[12:15], v2 offset:1008
	;; [unrolled: 1-line block ×4, first 2 shown]
	scratch_load_dwordx4 v[20:23], off, off offset:288
	scratch_load_dwordx4 v[40:43], off, off offset:352
	;; [unrolled: 1-line block ×22, first 2 shown]
	v_cmp_lt_u32_e32 vcc, 15, v240
	scratch_load_dwordx4 v[48:51], off, off offset:368
	scratch_load_dwordx4 v[56:59], off, off offset:384
	;; [unrolled: 1-line block ×3, first 2 shown]
	s_waitcnt vmcnt(24) lgkmcnt(3)
	v_mul_f64 v[24:25], v[16:17], v[22:23]
	v_fmac_f64_e32 v[24:25], v[18:19], v[20:21]
	v_add_f64 v[28:29], v[24:25], 0
	scratch_load_dwordx4 v[24:27], off, off offset:304
	s_waitcnt vmcnt(0) lgkmcnt(2)
	v_mul_f64 v[30:31], v[12:13], v[26:27]
	v_fmac_f64_e32 v[30:31], v[14:15], v[24:25]
	v_add_f64 v[32:33], v[28:29], v[30:31]
	scratch_load_dwordx4 v[28:31], off, off offset:320
	v_mul_f64 v[14:15], v[14:15], v[26:27]
	v_fma_f64 v[12:13], v[12:13], v[24:25], -v[14:15]
	s_waitcnt vmcnt(0) lgkmcnt(1)
	v_mul_f64 v[34:35], v[8:9], v[30:31]
	v_fmac_f64_e32 v[34:35], v[10:11], v[28:29]
	v_add_f64 v[36:37], v[32:33], v[34:35]
	scratch_load_dwordx4 v[32:35], off, off offset:336
	v_mul_f64 v[10:11], v[10:11], v[30:31]
	v_fma_f64 v[8:9], v[8:9], v[28:29], -v[10:11]
	s_waitcnt vmcnt(0) lgkmcnt(0)
	v_mul_f64 v[38:39], v[4:5], v[34:35]
	v_fmac_f64_e32 v[38:39], v[6:7], v[32:33]
	v_add_f64 v[44:45], v[36:37], v[38:39]
	ds_read_b128 v[36:39], v2 offset:1056
	v_mul_f64 v[6:7], v[6:7], v[34:35]
	v_fma_f64 v[4:5], v[4:5], v[32:33], -v[6:7]
	s_waitcnt lgkmcnt(0)
	v_mul_f64 v[46:47], v[36:37], v[42:43]
	v_fmac_f64_e32 v[46:47], v[38:39], v[40:41]
	v_add_f64 v[52:53], v[44:45], v[46:47]
	ds_read_b128 v[44:47], v2 offset:1072
	s_waitcnt lgkmcnt(0)
	v_mul_f64 v[54:55], v[44:45], v[50:51]
	v_fmac_f64_e32 v[54:55], v[46:47], v[48:49]
	v_add_f64 v[60:61], v[52:53], v[54:55]
	ds_read_b128 v[52:55], v2 offset:1088
	;; [unrolled: 5-line block ×23, first 2 shown]
	s_waitcnt lgkmcnt(0)
	v_mul_f64 v[2:3], v[222:223], v[228:229]
	v_fmac_f64_e32 v[2:3], v[224:225], v[226:227]
	v_add_f64 v[176:177], v[176:177], v[2:3]
	v_mul_f64 v[2:3], v[18:19], v[22:23]
	v_fma_f64 v[2:3], v[16:17], v[20:21], -v[2:3]
	v_add_f64 v[2:3], v[2:3], 0
	v_add_f64 v[2:3], v[2:3], v[12:13]
	;; [unrolled: 1-line block ×4, first 2 shown]
	v_mul_f64 v[4:5], v[38:39], v[42:43]
	v_fma_f64 v[4:5], v[36:37], v[40:41], -v[4:5]
	v_add_f64 v[2:3], v[2:3], v[4:5]
	v_mul_f64 v[4:5], v[46:47], v[50:51]
	v_fma_f64 v[4:5], v[44:45], v[48:49], -v[4:5]
	v_add_f64 v[2:3], v[2:3], v[4:5]
	;; [unrolled: 3-line block ×24, first 2 shown]
	scratch_load_dwordx4 v[2:5], off, off offset:272
	s_waitcnt vmcnt(0)
	v_add_f64 v[2:3], v[2:3], -v[6:7]
	v_add_f64 v[4:5], v[4:5], -v[176:177]
	scratch_store_dwordx4 off, v[2:5], off offset:272
	s_and_saveexec_b64 s[0:1], vcc
	s_cbranch_execz .LBB108_253
; %bb.252:
	scratch_load_dwordx4 v[2:5], off, s46
	v_mov_b32_e32 v6, 0
	v_mov_b32_e32 v7, v6
	;; [unrolled: 1-line block ×4, first 2 shown]
	v_accvgpr_read_b32 v0, a91
	scratch_store_dwordx4 off, v[6:9], off offset:256
	s_waitcnt vmcnt(1)
	ds_write_b128 v0, v[2:5]
.LBB108_253:
	s_or_b64 exec, exec, s[0:1]
	v_mov_b32_e32 v2, 0
	s_waitcnt lgkmcnt(0)
	; wave barrier
	ds_read_b128 v[16:19], v2 offset:976
	ds_read_b128 v[12:15], v2 offset:992
	;; [unrolled: 1-line block ×4, first 2 shown]
	scratch_load_dwordx4 v[20:23], off, off offset:272
	scratch_load_dwordx4 v[40:43], off, off offset:336
	;; [unrolled: 1-line block ×23, first 2 shown]
	v_cmp_lt_u32_e32 vcc, 14, v240
	scratch_load_dwordx4 v[48:51], off, off offset:352
	scratch_load_dwordx4 v[56:59], off, off offset:368
	;; [unrolled: 1-line block ×3, first 2 shown]
	s_waitcnt vmcnt(25) lgkmcnt(3)
	v_mul_f64 v[24:25], v[16:17], v[22:23]
	v_fmac_f64_e32 v[24:25], v[18:19], v[20:21]
	v_add_f64 v[28:29], v[24:25], 0
	scratch_load_dwordx4 v[24:27], off, off offset:288
	v_mul_f64 v[18:19], v[18:19], v[22:23]
	v_fma_f64 v[16:17], v[16:17], v[20:21], -v[18:19]
	v_add_f64 v[16:17], v[16:17], 0
	s_waitcnt vmcnt(0) lgkmcnt(2)
	v_mul_f64 v[30:31], v[12:13], v[26:27]
	v_fmac_f64_e32 v[30:31], v[14:15], v[24:25]
	v_add_f64 v[32:33], v[28:29], v[30:31]
	scratch_load_dwordx4 v[28:31], off, off offset:304
	v_mul_f64 v[14:15], v[14:15], v[26:27]
	v_fma_f64 v[12:13], v[12:13], v[24:25], -v[14:15]
	v_add_f64 v[12:13], v[16:17], v[12:13]
	;; [unrolled: 8-line block ×3, first 2 shown]
	s_waitcnt vmcnt(0) lgkmcnt(0)
	v_mul_f64 v[38:39], v[4:5], v[34:35]
	v_fmac_f64_e32 v[38:39], v[6:7], v[32:33]
	v_add_f64 v[44:45], v[36:37], v[38:39]
	ds_read_b128 v[36:39], v2 offset:1040
	v_mul_f64 v[6:7], v[6:7], v[34:35]
	v_fma_f64 v[4:5], v[4:5], v[32:33], -v[6:7]
	v_add_f64 v[4:5], v[8:9], v[4:5]
	s_waitcnt lgkmcnt(0)
	v_mul_f64 v[46:47], v[36:37], v[42:43]
	v_fmac_f64_e32 v[46:47], v[38:39], v[40:41]
	v_add_f64 v[52:53], v[44:45], v[46:47]
	ds_read_b128 v[44:47], v2 offset:1056
	v_mul_f64 v[6:7], v[38:39], v[42:43]
	v_fma_f64 v[6:7], v[36:37], v[40:41], -v[6:7]
	v_add_f64 v[4:5], v[4:5], v[6:7]
	s_waitcnt lgkmcnt(0)
	;; [unrolled: 8-line block ×25, first 2 shown]
	v_mul_f64 v[6:7], v[232:233], v[236:237]
	v_fma_f64 v[6:7], v[230:231], v[234:235], -v[6:7]
	v_add_f64 v[8:9], v[4:5], v[6:7]
	scratch_load_dwordx4 v[4:7], off, off offset:256
	v_mul_f64 v[238:239], v[230:231], v[236:237]
	v_fmac_f64_e32 v[238:239], v[232:233], v[234:235]
	v_add_f64 v[176:177], v[176:177], v[238:239]
	s_waitcnt vmcnt(0)
	v_add_f64 v[4:5], v[4:5], -v[8:9]
	v_add_f64 v[6:7], v[6:7], -v[176:177]
	scratch_store_dwordx4 off, v[4:7], off offset:256
	s_and_saveexec_b64 s[0:1], vcc
	s_cbranch_execz .LBB108_255
; %bb.254:
	scratch_load_dwordx4 v[6:9], off, s47
	v_mov_b32_e32 v3, v2
	v_mov_b32_e32 v4, v2
	v_mov_b32_e32 v5, v2
	v_accvgpr_read_b32 v0, a91
	scratch_store_dwordx4 off, v[2:5], off offset:240
	s_waitcnt vmcnt(1)
	ds_write_b128 v0, v[6:9]
.LBB108_255:
	s_or_b64 exec, exec, s[0:1]
	s_waitcnt lgkmcnt(0)
	; wave barrier
	ds_read_b128 v[16:19], v2 offset:960
	ds_read_b128 v[12:15], v2 offset:976
	;; [unrolled: 1-line block ×4, first 2 shown]
	scratch_load_dwordx4 v[20:23], off, off offset:256
	scratch_load_dwordx4 v[40:43], off, off offset:320
	scratch_load_dwordx4 v[72:75], off, off offset:384
	scratch_load_dwordx4 v[80:83], off, off offset:400
	scratch_load_dwordx4 v[88:91], off, off offset:416
	scratch_load_dwordx4 v[96:99], off, off offset:432
	scratch_load_dwordx4 v[104:107], off, off offset:448
	scratch_load_dwordx4 v[112:115], off, off offset:464
	scratch_load_dwordx4 v[120:123], off, off offset:480
	scratch_load_dwordx4 v[128:131], off, off offset:496
	scratch_load_dwordx4 v[136:139], off, off offset:512
	scratch_load_dwordx4 v[144:147], off, off offset:528
	scratch_load_dwordx4 v[152:155], off, off offset:544
	scratch_load_dwordx4 v[160:163], off, off offset:560
	scratch_load_dwordx4 v[168:171], off, off offset:576
	scratch_load_dwordx4 v[176:179], off, off offset:592
	scratch_load_dwordx4 v[186:189], off, off offset:608
	scratch_load_dwordx4 v[194:197], off, off offset:624
	scratch_load_dwordx4 v[202:205], off, off offset:640
	scratch_load_dwordx4 v[210:213], off, off offset:656
	scratch_load_dwordx4 v[218:221], off, off offset:672
	scratch_load_dwordx4 v[226:229], off, off offset:688
	scratch_load_dwordx4 v[234:237], off, off offset:704
	scratch_load_dwordx4 v[250:253], off, off offset:720
	v_cmp_lt_u32_e32 vcc, 13, v240
	scratch_load_dwordx4 v[48:51], off, off offset:336
	scratch_load_dwordx4 v[56:59], off, off offset:352
	;; [unrolled: 1-line block ×3, first 2 shown]
	ds_read_b128 v[246:249], v2 offset:1424
	s_waitcnt vmcnt(26) lgkmcnt(4)
	v_mul_f64 v[24:25], v[16:17], v[22:23]
	v_fmac_f64_e32 v[24:25], v[18:19], v[20:21]
	v_add_f64 v[28:29], v[24:25], 0
	scratch_load_dwordx4 v[24:27], off, off offset:272
	s_waitcnt vmcnt(0) lgkmcnt(3)
	v_mul_f64 v[30:31], v[12:13], v[26:27]
	v_fmac_f64_e32 v[30:31], v[14:15], v[24:25]
	v_add_f64 v[32:33], v[28:29], v[30:31]
	scratch_load_dwordx4 v[28:31], off, off offset:288
	v_mul_f64 v[14:15], v[14:15], v[26:27]
	v_fma_f64 v[12:13], v[12:13], v[24:25], -v[14:15]
	s_waitcnt vmcnt(0) lgkmcnt(2)
	v_mul_f64 v[34:35], v[8:9], v[30:31]
	v_fmac_f64_e32 v[34:35], v[10:11], v[28:29]
	v_add_f64 v[36:37], v[32:33], v[34:35]
	scratch_load_dwordx4 v[32:35], off, off offset:304
	v_mul_f64 v[10:11], v[10:11], v[30:31]
	v_fma_f64 v[8:9], v[8:9], v[28:29], -v[10:11]
	s_waitcnt vmcnt(0) lgkmcnt(1)
	v_mul_f64 v[38:39], v[4:5], v[34:35]
	v_fmac_f64_e32 v[38:39], v[6:7], v[32:33]
	v_add_f64 v[44:45], v[36:37], v[38:39]
	ds_read_b128 v[36:39], v2 offset:1024
	v_mul_f64 v[6:7], v[6:7], v[34:35]
	v_fma_f64 v[4:5], v[4:5], v[32:33], -v[6:7]
	s_waitcnt lgkmcnt(0)
	v_mul_f64 v[46:47], v[36:37], v[42:43]
	v_fmac_f64_e32 v[46:47], v[38:39], v[40:41]
	v_add_f64 v[52:53], v[44:45], v[46:47]
	ds_read_b128 v[44:47], v2 offset:1040
	s_waitcnt lgkmcnt(0)
	v_mul_f64 v[54:55], v[44:45], v[50:51]
	v_fmac_f64_e32 v[54:55], v[46:47], v[48:49]
	v_add_f64 v[60:61], v[52:53], v[54:55]
	ds_read_b128 v[52:55], v2 offset:1056
	;; [unrolled: 5-line block ×24, first 2 shown]
	v_mul_f64 v[2:3], v[246:247], v[252:253]
	v_fmac_f64_e32 v[2:3], v[248:249], v[250:251]
	s_waitcnt lgkmcnt(0)
	v_mul_f64 v[238:239], v[230:231], v[236:237]
	v_fmac_f64_e32 v[238:239], v[232:233], v[234:235]
	v_add_f64 v[184:185], v[184:185], v[238:239]
	v_add_f64 v[184:185], v[184:185], v[2:3]
	v_mul_f64 v[2:3], v[18:19], v[22:23]
	v_fma_f64 v[2:3], v[16:17], v[20:21], -v[2:3]
	v_add_f64 v[2:3], v[2:3], 0
	v_add_f64 v[2:3], v[2:3], v[12:13]
	v_add_f64 v[2:3], v[2:3], v[8:9]
	v_add_f64 v[2:3], v[2:3], v[4:5]
	v_mul_f64 v[4:5], v[38:39], v[42:43]
	v_fma_f64 v[4:5], v[36:37], v[40:41], -v[4:5]
	v_add_f64 v[2:3], v[2:3], v[4:5]
	v_mul_f64 v[4:5], v[46:47], v[50:51]
	v_fma_f64 v[4:5], v[44:45], v[48:49], -v[4:5]
	v_add_f64 v[2:3], v[2:3], v[4:5]
	;; [unrolled: 3-line block ×26, first 2 shown]
	scratch_load_dwordx4 v[2:5], off, off offset:240
	s_waitcnt vmcnt(0)
	v_add_f64 v[2:3], v[2:3], -v[6:7]
	v_add_f64 v[4:5], v[4:5], -v[184:185]
	scratch_store_dwordx4 off, v[2:5], off offset:240
	s_and_saveexec_b64 s[0:1], vcc
	s_cbranch_execz .LBB108_257
; %bb.256:
	scratch_load_dwordx4 v[2:5], off, s48
	v_mov_b32_e32 v6, 0
	v_mov_b32_e32 v7, v6
	;; [unrolled: 1-line block ×4, first 2 shown]
	v_accvgpr_read_b32 v0, a91
	scratch_store_dwordx4 off, v[6:9], off offset:224
	s_waitcnt vmcnt(1)
	ds_write_b128 v0, v[2:5]
.LBB108_257:
	s_or_b64 exec, exec, s[0:1]
	s_waitcnt lgkmcnt(0)
	; wave barrier
	scratch_load_dwordx4 v[16:19], off, off offset:240
	scratch_load_dwordx4 v[12:15], off, off offset:256
	scratch_load_dwordx4 v[8:11], off, off offset:272
	scratch_load_dwordx4 v[4:7], off, off offset:288
	scratch_load_dwordx4 v[20:23], off, off offset:304
	scratch_load_dwordx4 v[24:27], off, off offset:320
	scratch_load_dwordx4 v[28:31], off, off offset:336
	scratch_load_dwordx4 v[32:35], off, off offset:352
	scratch_load_dwordx4 v[36:39], off, off offset:368
	scratch_load_dwordx4 v[40:43], off, off offset:384
	scratch_load_dwordx4 v[44:47], off, off offset:400
	scratch_load_dwordx4 v[48:51], off, off offset:416
	scratch_load_dwordx4 v[52:55], off, off offset:432
	scratch_load_dwordx4 v[56:59], off, off offset:448
	scratch_load_dwordx4 v[60:63], off, off offset:464
	scratch_load_dwordx4 v[64:67], off, off offset:480
	scratch_load_dwordx4 v[68:71], off, off offset:496
	scratch_load_dwordx4 v[72:75], off, off offset:512
	scratch_load_dwordx4 v[76:79], off, off offset:528
	scratch_load_dwordx4 v[80:83], off, off offset:544
	scratch_load_dwordx4 v[84:87], off, off offset:560
	scratch_load_dwordx4 v[88:91], off, off offset:576
	scratch_load_dwordx4 v[92:95], off, off offset:592
	scratch_load_dwordx4 v[96:99], off, off offset:608
	scratch_load_dwordx4 v[100:103], off, off offset:624
	scratch_load_dwordx4 v[104:107], off, off offset:640
	scratch_load_dwordx4 v[108:111], off, off offset:656
	scratch_load_dwordx4 v[112:115], off, off offset:672
	scratch_load_dwordx4 v[116:119], off, off offset:688
	scratch_load_dwordx4 v[120:123], off, off offset:704
	scratch_load_dwordx4 v[124:127], off, off offset:720
	scratch_load_dwordx4 v[128:131], off, off offset:224
	v_mov_b32_e32 v2, 0
	ds_read_b128 v[132:135], v2 offset:944
	ds_read_b128 v[136:139], v2 offset:960
	;; [unrolled: 1-line block ×17, first 2 shown]
	v_cmp_lt_u32_e32 vcc, 12, v240
	s_waitcnt vmcnt(31) lgkmcnt(14)
	v_mul_f64 v[200:201], v[132:133], v[18:19]
	s_waitcnt vmcnt(30)
	v_mul_f64 v[202:203], v[136:137], v[14:15]
	v_fmac_f64_e32 v[200:201], v[134:135], v[16:17]
	s_waitcnt vmcnt(29)
	v_mul_f64 v[204:205], v[140:141], v[10:11]
	v_fmac_f64_e32 v[202:203], v[138:139], v[12:13]
	v_add_f64 v[200:201], v[200:201], 0
	s_waitcnt vmcnt(28) lgkmcnt(13)
	v_mul_f64 v[206:207], v[144:145], v[6:7]
	v_fmac_f64_e32 v[204:205], v[142:143], v[8:9]
	v_add_f64 v[200:201], v[200:201], v[202:203]
	s_waitcnt vmcnt(27) lgkmcnt(12)
	;; [unrolled: 4-line block ×12, first 2 shown]
	v_mul_f64 v[228:229], v[188:189], v[62:63]
	v_fmac_f64_e32 v[226:227], v[186:187], v[56:57]
	v_add_f64 v[200:201], v[200:201], v[224:225]
	v_fmac_f64_e32 v[228:229], v[190:191], v[60:61]
	v_add_f64 v[200:201], v[200:201], v[226:227]
	s_waitcnt vmcnt(16) lgkmcnt(1)
	v_mul_f64 v[202:203], v[192:193], v[66:67]
	v_add_f64 v[200:201], v[200:201], v[228:229]
	v_fmac_f64_e32 v[202:203], v[194:195], v[64:65]
	s_waitcnt vmcnt(15) lgkmcnt(0)
	v_mul_f64 v[206:207], v[196:197], v[70:71]
	v_add_f64 v[204:205], v[200:201], v[202:203]
	ds_read_b128 v[200:203], v2 offset:1216
	v_fmac_f64_e32 v[206:207], v[198:199], v[68:69]
	v_add_f64 v[208:209], v[204:205], v[206:207]
	ds_read_b128 v[204:207], v2 offset:1232
	v_mul_f64 v[18:19], v[134:135], v[18:19]
	s_waitcnt vmcnt(14) lgkmcnt(1)
	v_mul_f64 v[210:211], v[200:201], v[74:75]
	v_fmac_f64_e32 v[210:211], v[202:203], v[72:73]
	v_add_f64 v[212:213], v[208:209], v[210:211]
	s_waitcnt vmcnt(13) lgkmcnt(0)
	v_mul_f64 v[214:215], v[204:205], v[78:79]
	ds_read_b128 v[208:211], v2 offset:1248
	v_fmac_f64_e32 v[214:215], v[206:207], v[76:77]
	v_add_f64 v[216:217], v[212:213], v[214:215]
	ds_read_b128 v[212:215], v2 offset:1264
	v_fma_f64 v[248:249], v[132:133], v[16:17], -v[18:19]
	s_waitcnt vmcnt(12) lgkmcnt(1)
	v_mul_f64 v[218:219], v[208:209], v[82:83]
	v_fmac_f64_e32 v[218:219], v[210:211], v[80:81]
	v_add_f64 v[220:221], v[216:217], v[218:219]
	s_waitcnt vmcnt(11) lgkmcnt(0)
	v_mul_f64 v[222:223], v[212:213], v[86:87]
	ds_read_b128 v[216:219], v2 offset:1280
	v_fmac_f64_e32 v[222:223], v[214:215], v[84:85]
	v_add_f64 v[224:225], v[220:221], v[222:223]
	ds_read_b128 v[220:223], v2 offset:1296
	ds_read_b128 v[16:19], v2 offset:1376
	s_waitcnt vmcnt(10) lgkmcnt(2)
	v_mul_f64 v[226:227], v[216:217], v[90:91]
	v_fmac_f64_e32 v[226:227], v[218:219], v[88:89]
	v_add_f64 v[228:229], v[224:225], v[226:227]
	s_waitcnt vmcnt(9) lgkmcnt(1)
	v_mul_f64 v[230:231], v[220:221], v[94:95]
	ds_read_b128 v[224:227], v2 offset:1312
	v_fmac_f64_e32 v[230:231], v[222:223], v[92:93]
	v_add_f64 v[232:233], v[228:229], v[230:231]
	ds_read_b128 v[228:231], v2 offset:1328
	v_mul_f64 v[14:15], v[138:139], v[14:15]
	s_waitcnt vmcnt(8) lgkmcnt(1)
	v_mul_f64 v[234:235], v[224:225], v[98:99]
	v_fmac_f64_e32 v[234:235], v[226:227], v[96:97]
	v_add_f64 v[236:237], v[232:233], v[234:235]
	s_waitcnt vmcnt(7) lgkmcnt(0)
	v_mul_f64 v[238:239], v[228:229], v[102:103]
	ds_read_b128 v[232:235], v2 offset:1344
	v_fmac_f64_e32 v[238:239], v[230:231], v[100:101]
	v_add_f64 v[246:247], v[236:237], v[238:239]
	ds_read_b128 v[236:239], v2 offset:1360
	v_fma_f64 v[136:137], v[136:137], v[12:13], -v[14:15]
	s_waitcnt vmcnt(6) lgkmcnt(1)
	v_mul_f64 v[132:133], v[232:233], v[106:107]
	v_fmac_f64_e32 v[132:133], v[234:235], v[104:105]
	v_add_f64 v[132:133], v[246:247], v[132:133]
	s_waitcnt vmcnt(5) lgkmcnt(0)
	v_mul_f64 v[134:135], v[236:237], v[110:111]
	v_fmac_f64_e32 v[134:135], v[238:239], v[108:109]
	v_add_f64 v[132:133], v[132:133], v[134:135]
	ds_read_b128 v[12:15], v2 offset:1392
	s_waitcnt vmcnt(4)
	v_mul_f64 v[134:135], v[16:17], v[114:115]
	v_fmac_f64_e32 v[134:135], v[18:19], v[112:113]
	v_add_f64 v[138:139], v[132:133], v[134:135]
	ds_read_b128 v[132:135], v2 offset:1408
	v_mul_f64 v[10:11], v[142:143], v[10:11]
	v_fma_f64 v[140:141], v[140:141], v[8:9], -v[10:11]
	ds_read_b128 v[8:11], v2 offset:1424
	s_waitcnt vmcnt(3) lgkmcnt(2)
	v_mul_f64 v[142:143], v[12:13], v[118:119]
	v_fmac_f64_e32 v[142:143], v[14:15], v[116:117]
	v_add_f64 v[138:139], v[138:139], v[142:143]
	s_waitcnt vmcnt(2) lgkmcnt(1)
	v_mul_f64 v[142:143], v[132:133], v[122:123]
	v_fmac_f64_e32 v[142:143], v[134:135], v[120:121]
	v_add_f64 v[138:139], v[138:139], v[142:143]
	;; [unrolled: 4-line block ×3, first 2 shown]
	v_add_f64 v[142:143], v[248:249], 0
	v_add_f64 v[136:137], v[142:143], v[136:137]
	v_mul_f64 v[6:7], v[146:147], v[6:7]
	v_add_f64 v[136:137], v[136:137], v[140:141]
	v_fma_f64 v[4:5], v[144:145], v[4:5], -v[6:7]
	v_mul_f64 v[6:7], v[150:151], v[22:23]
	v_add_f64 v[4:5], v[136:137], v[4:5]
	v_fma_f64 v[6:7], v[148:149], v[20:21], -v[6:7]
	v_add_f64 v[4:5], v[4:5], v[6:7]
	v_mul_f64 v[6:7], v[154:155], v[26:27]
	v_fma_f64 v[6:7], v[152:153], v[24:25], -v[6:7]
	v_add_f64 v[4:5], v[4:5], v[6:7]
	v_mul_f64 v[6:7], v[158:159], v[30:31]
	;; [unrolled: 3-line block ×26, first 2 shown]
	v_fma_f64 v[6:7], v[8:9], v[124:125], -v[6:7]
	v_add_f64 v[4:5], v[4:5], v[6:7]
	s_waitcnt vmcnt(0)
	v_add_f64 v[4:5], v[128:129], -v[4:5]
	v_add_f64 v[6:7], v[130:131], -v[138:139]
	scratch_store_dwordx4 off, v[4:7], off offset:224
	s_and_saveexec_b64 s[0:1], vcc
	s_cbranch_execz .LBB108_259
; %bb.258:
	scratch_load_dwordx4 v[6:9], off, s49
	v_mov_b32_e32 v3, v2
	v_mov_b32_e32 v4, v2
	;; [unrolled: 1-line block ×3, first 2 shown]
	v_accvgpr_read_b32 v0, a91
	scratch_store_dwordx4 off, v[2:5], off offset:208
	s_waitcnt vmcnt(1)
	ds_write_b128 v0, v[6:9]
.LBB108_259:
	s_or_b64 exec, exec, s[0:1]
	s_waitcnt lgkmcnt(0)
	; wave barrier
	scratch_load_dwordx4 v[140:143], off, off offset:224
	scratch_load_dwordx4 v[148:151], off, off offset:240
	;; [unrolled: 1-line block ×16, first 2 shown]
	ds_read_b128 v[188:191], v2 offset:928
	ds_read_b128 v[184:187], v2 offset:944
	scratch_load_dwordx4 v[56:59], off, off offset:480
	ds_read_b128 v[192:195], v2 offset:960
	ds_read_b128 v[68:71], v2 offset:976
	scratch_load_dwordx4 v[60:63], off, off offset:496
	ds_read_b128 v[88:91], v2 offset:992
	ds_read_b128 v[84:87], v2 offset:1008
	;; [unrolled: 1-line block ×4, first 2 shown]
	scratch_load_dwordx4 v[64:67], off, off offset:512
	ds_read_b128 v[100:103], v2 offset:1056
	ds_read_b128 v[96:99], v2 offset:1072
	scratch_load_dwordx4 v[72:75], off, off offset:528
	ds_read_b128 v[116:119], v2 offset:1088
	ds_read_b128 v[112:115], v2 offset:1104
	;; [unrolled: 1-line block ×4, first 2 shown]
	scratch_load_dwordx4 v[92:95], off, off offset:544
	ds_read_b128 v[132:135], v2 offset:1152
	ds_read_b128 v[128:131], v2 offset:1168
	;; [unrolled: 1-line block ×3, first 2 shown]
	scratch_load_dwordx4 v[120:123], off, off offset:560
	scratch_load_dwordx4 v[136:139], off, off offset:576
	scratch_load_dwordx4 v[144:147], off, off offset:592
	scratch_load_dwordx4 v[156:159], off, off offset:608
	scratch_load_dwordx4 v[160:163], off, off offset:624
	scratch_load_dwordx4 v[164:167], off, off offset:640
	scratch_load_dwordx4 v[168:171], off, off offset:656
	scratch_load_dwordx4 v[172:175], off, off offset:672
	scratch_load_dwordx4 v[176:179], off, off offset:688
	scratch_load_dwordx4 v[180:183], off, off offset:704
	scratch_load_dwordx4 v[196:199], off, off offset:720
	v_cmp_lt_u32_e32 vcc, 11, v240
	s_waitcnt vmcnt(31) lgkmcnt(14)
	v_mul_f64 v[200:201], v[188:189], v[142:143]
	s_waitcnt vmcnt(30)
	v_mul_f64 v[202:203], v[184:185], v[150:151]
	v_fmac_f64_e32 v[200:201], v[190:191], v[140:141]
	s_waitcnt vmcnt(29)
	v_mul_f64 v[204:205], v[192:193], v[154:155]
	v_fmac_f64_e32 v[202:203], v[186:187], v[148:149]
	v_add_f64 v[200:201], v[200:201], 0
	s_waitcnt vmcnt(28) lgkmcnt(13)
	v_mul_f64 v[206:207], v[68:69], v[6:7]
	v_fmac_f64_e32 v[204:205], v[194:195], v[152:153]
	v_add_f64 v[200:201], v[200:201], v[202:203]
	s_waitcnt vmcnt(27) lgkmcnt(12)
	;; [unrolled: 4-line block ×13, first 2 shown]
	v_mul_f64 v[230:231], v[128:129], v[54:55]
	v_fmac_f64_e32 v[228:229], v[134:135], v[48:49]
	v_add_f64 v[200:201], v[200:201], v[226:227]
	v_add_f64 v[200:201], v[200:201], v[228:229]
	v_fmac_f64_e32 v[230:231], v[130:131], v[52:53]
	v_add_f64 v[204:205], v[200:201], v[230:231]
	ds_read_b128 v[200:203], v2 offset:1200
	s_waitcnt vmcnt(15) lgkmcnt(1)
	v_mul_f64 v[206:207], v[124:125], v[58:59]
	v_fmac_f64_e32 v[206:207], v[126:127], v[56:57]
	v_add_f64 v[208:209], v[204:205], v[206:207]
	ds_read_b128 v[204:207], v2 offset:1216
	s_waitcnt vmcnt(14) lgkmcnt(1)
	v_mul_f64 v[210:211], v[200:201], v[62:63]
	v_fmac_f64_e32 v[210:211], v[202:203], v[60:61]
	v_add_f64 v[212:213], v[208:209], v[210:211]
	ds_read_b128 v[208:211], v2 offset:1232
	s_waitcnt vmcnt(13) lgkmcnt(1)
	v_mul_f64 v[214:215], v[204:205], v[66:67]
	v_fmac_f64_e32 v[214:215], v[206:207], v[64:65]
	v_add_f64 v[216:217], v[212:213], v[214:215]
	ds_read_b128 v[212:215], v2 offset:1248
	s_waitcnt vmcnt(12) lgkmcnt(1)
	v_mul_f64 v[218:219], v[208:209], v[74:75]
	v_fmac_f64_e32 v[218:219], v[210:211], v[72:73]
	v_add_f64 v[220:221], v[216:217], v[218:219]
	ds_read_b128 v[216:219], v2 offset:1264
	s_waitcnt vmcnt(11) lgkmcnt(1)
	v_mul_f64 v[222:223], v[212:213], v[94:95]
	v_fmac_f64_e32 v[222:223], v[214:215], v[92:93]
	v_add_f64 v[224:225], v[220:221], v[222:223]
	ds_read_b128 v[220:223], v2 offset:1280
	s_waitcnt vmcnt(10) lgkmcnt(1)
	v_mul_f64 v[226:227], v[216:217], v[122:123]
	v_fmac_f64_e32 v[226:227], v[218:219], v[120:121]
	v_add_f64 v[228:229], v[224:225], v[226:227]
	ds_read_b128 v[224:227], v2 offset:1296
	s_waitcnt vmcnt(9) lgkmcnt(1)
	v_mul_f64 v[230:231], v[220:221], v[138:139]
	v_fmac_f64_e32 v[230:231], v[222:223], v[136:137]
	v_add_f64 v[232:233], v[228:229], v[230:231]
	ds_read_b128 v[228:231], v2 offset:1312
	s_waitcnt vmcnt(8) lgkmcnt(1)
	v_mul_f64 v[234:235], v[224:225], v[146:147]
	v_fmac_f64_e32 v[234:235], v[226:227], v[144:145]
	v_add_f64 v[236:237], v[232:233], v[234:235]
	ds_read_b128 v[232:235], v2 offset:1328
	s_waitcnt vmcnt(7) lgkmcnt(1)
	v_mul_f64 v[238:239], v[228:229], v[158:159]
	v_fmac_f64_e32 v[238:239], v[230:231], v[156:157]
	v_add_f64 v[246:247], v[236:237], v[238:239]
	ds_read_b128 v[236:239], v2 offset:1344
	s_waitcnt vmcnt(6) lgkmcnt(1)
	v_mul_f64 v[248:249], v[232:233], v[162:163]
	v_fmac_f64_e32 v[248:249], v[234:235], v[160:161]
	v_mul_f64 v[142:143], v[190:191], v[142:143]
	v_add_f64 v[248:249], v[246:247], v[248:249]
	v_fma_f64 v[246:247], v[188:189], v[140:141], -v[142:143]
	ds_read_b128 v[140:143], v2 offset:1360
	s_waitcnt vmcnt(5) lgkmcnt(1)
	v_mul_f64 v[188:189], v[236:237], v[166:167]
	v_fmac_f64_e32 v[188:189], v[238:239], v[164:165]
	v_mul_f64 v[150:151], v[186:187], v[150:151]
	v_add_f64 v[188:189], v[248:249], v[188:189]
	v_fma_f64 v[248:249], v[184:185], v[148:149], -v[150:151]
	ds_read_b128 v[148:151], v2 offset:1376
	s_waitcnt vmcnt(4) lgkmcnt(1)
	v_mul_f64 v[184:185], v[140:141], v[170:171]
	v_fmac_f64_e32 v[184:185], v[142:143], v[168:169]
	v_add_f64 v[188:189], v[188:189], v[184:185]
	ds_read_b128 v[184:187], v2 offset:1392
	v_mul_f64 v[154:155], v[194:195], v[154:155]
	s_waitcnt vmcnt(3) lgkmcnt(1)
	v_mul_f64 v[190:191], v[148:149], v[174:175]
	v_fma_f64 v[252:253], v[192:193], v[152:153], -v[154:155]
	ds_read_b128 v[152:155], v2 offset:1408
	v_fmac_f64_e32 v[190:191], v[150:151], v[172:173]
	v_add_f64 v[250:251], v[188:189], v[190:191]
	ds_read_b128 v[188:191], v2 offset:1424
	s_waitcnt vmcnt(2) lgkmcnt(2)
	v_mul_f64 v[192:193], v[184:185], v[178:179]
	v_fmac_f64_e32 v[192:193], v[186:187], v[176:177]
	v_add_f64 v[2:3], v[250:251], v[192:193]
	s_waitcnt vmcnt(1) lgkmcnt(1)
	v_mul_f64 v[192:193], v[152:153], v[182:183]
	v_fmac_f64_e32 v[192:193], v[154:155], v[180:181]
	v_add_f64 v[2:3], v[2:3], v[192:193]
	;; [unrolled: 4-line block ×3, first 2 shown]
	scratch_load_dwordx4 v[192:195], off, off offset:208
	v_add_f64 v[246:247], v[246:247], 0
	v_add_f64 v[246:247], v[246:247], v[248:249]
	v_mul_f64 v[6:7], v[70:71], v[6:7]
	v_add_f64 v[246:247], v[246:247], v[252:253]
	v_fma_f64 v[4:5], v[68:69], v[4:5], -v[6:7]
	v_mul_f64 v[6:7], v[90:91], v[10:11]
	v_add_f64 v[4:5], v[246:247], v[4:5]
	v_fma_f64 v[6:7], v[88:89], v[8:9], -v[6:7]
	v_add_f64 v[4:5], v[4:5], v[6:7]
	v_mul_f64 v[6:7], v[86:87], v[14:15]
	v_fma_f64 v[6:7], v[84:85], v[12:13], -v[6:7]
	v_add_f64 v[4:5], v[4:5], v[6:7]
	v_mul_f64 v[6:7], v[82:83], v[18:19]
	v_fma_f64 v[6:7], v[80:81], v[16:17], -v[6:7]
	v_add_f64 v[4:5], v[4:5], v[6:7]
	v_mul_f64 v[6:7], v[78:79], v[22:23]
	v_fma_f64 v[6:7], v[76:77], v[20:21], -v[6:7]
	v_add_f64 v[4:5], v[4:5], v[6:7]
	v_mul_f64 v[6:7], v[102:103], v[26:27]
	v_fma_f64 v[6:7], v[100:101], v[24:25], -v[6:7]
	v_add_f64 v[4:5], v[4:5], v[6:7]
	v_mul_f64 v[6:7], v[98:99], v[30:31]
	v_fma_f64 v[6:7], v[96:97], v[28:29], -v[6:7]
	v_add_f64 v[4:5], v[4:5], v[6:7]
	v_mul_f64 v[6:7], v[118:119], v[34:35]
	v_fma_f64 v[6:7], v[116:117], v[32:33], -v[6:7]
	v_add_f64 v[4:5], v[4:5], v[6:7]
	v_mul_f64 v[6:7], v[114:115], v[38:39]
	v_fma_f64 v[6:7], v[112:113], v[36:37], -v[6:7]
	v_add_f64 v[4:5], v[4:5], v[6:7]
	v_mul_f64 v[6:7], v[110:111], v[42:43]
	v_fma_f64 v[6:7], v[108:109], v[40:41], -v[6:7]
	v_add_f64 v[4:5], v[4:5], v[6:7]
	v_mul_f64 v[6:7], v[106:107], v[46:47]
	v_fma_f64 v[6:7], v[104:105], v[44:45], -v[6:7]
	v_add_f64 v[4:5], v[4:5], v[6:7]
	v_mul_f64 v[6:7], v[134:135], v[50:51]
	v_fma_f64 v[6:7], v[132:133], v[48:49], -v[6:7]
	v_add_f64 v[4:5], v[4:5], v[6:7]
	v_mul_f64 v[6:7], v[130:131], v[54:55]
	v_fma_f64 v[6:7], v[128:129], v[52:53], -v[6:7]
	v_add_f64 v[4:5], v[4:5], v[6:7]
	v_mul_f64 v[6:7], v[126:127], v[58:59]
	v_fma_f64 v[6:7], v[124:125], v[56:57], -v[6:7]
	v_add_f64 v[4:5], v[4:5], v[6:7]
	v_mul_f64 v[6:7], v[202:203], v[62:63]
	v_fma_f64 v[6:7], v[200:201], v[60:61], -v[6:7]
	v_add_f64 v[4:5], v[4:5], v[6:7]
	v_mul_f64 v[6:7], v[206:207], v[66:67]
	v_fma_f64 v[6:7], v[204:205], v[64:65], -v[6:7]
	v_add_f64 v[4:5], v[4:5], v[6:7]
	v_mul_f64 v[6:7], v[210:211], v[74:75]
	v_fma_f64 v[6:7], v[208:209], v[72:73], -v[6:7]
	v_add_f64 v[4:5], v[4:5], v[6:7]
	v_mul_f64 v[6:7], v[214:215], v[94:95]
	v_fma_f64 v[6:7], v[212:213], v[92:93], -v[6:7]
	v_add_f64 v[4:5], v[4:5], v[6:7]
	v_mul_f64 v[6:7], v[218:219], v[122:123]
	v_fma_f64 v[6:7], v[216:217], v[120:121], -v[6:7]
	v_add_f64 v[4:5], v[4:5], v[6:7]
	v_mul_f64 v[6:7], v[222:223], v[138:139]
	v_fma_f64 v[6:7], v[220:221], v[136:137], -v[6:7]
	v_add_f64 v[4:5], v[4:5], v[6:7]
	v_mul_f64 v[6:7], v[226:227], v[146:147]
	v_fma_f64 v[6:7], v[224:225], v[144:145], -v[6:7]
	v_add_f64 v[4:5], v[4:5], v[6:7]
	v_mul_f64 v[6:7], v[230:231], v[158:159]
	v_fma_f64 v[6:7], v[228:229], v[156:157], -v[6:7]
	v_add_f64 v[4:5], v[4:5], v[6:7]
	v_mul_f64 v[6:7], v[234:235], v[162:163]
	v_fma_f64 v[6:7], v[232:233], v[160:161], -v[6:7]
	v_add_f64 v[4:5], v[4:5], v[6:7]
	v_mul_f64 v[6:7], v[238:239], v[166:167]
	v_fma_f64 v[6:7], v[236:237], v[164:165], -v[6:7]
	v_add_f64 v[4:5], v[4:5], v[6:7]
	v_mul_f64 v[6:7], v[142:143], v[170:171]
	v_fma_f64 v[6:7], v[140:141], v[168:169], -v[6:7]
	v_add_f64 v[4:5], v[4:5], v[6:7]
	v_mul_f64 v[6:7], v[150:151], v[174:175]
	v_fma_f64 v[6:7], v[148:149], v[172:173], -v[6:7]
	v_add_f64 v[4:5], v[4:5], v[6:7]
	v_mul_f64 v[6:7], v[186:187], v[178:179]
	v_fma_f64 v[6:7], v[184:185], v[176:177], -v[6:7]
	v_add_f64 v[4:5], v[4:5], v[6:7]
	v_mul_f64 v[6:7], v[154:155], v[182:183]
	v_fma_f64 v[6:7], v[152:153], v[180:181], -v[6:7]
	v_add_f64 v[4:5], v[4:5], v[6:7]
	v_mul_f64 v[6:7], v[190:191], v[198:199]
	v_fma_f64 v[6:7], v[188:189], v[196:197], -v[6:7]
	v_add_f64 v[4:5], v[4:5], v[6:7]
	s_waitcnt vmcnt(0)
	v_add_f64 v[4:5], v[192:193], -v[4:5]
	v_add_f64 v[6:7], v[194:195], -v[2:3]
	scratch_store_dwordx4 off, v[4:7], off offset:208
	s_and_saveexec_b64 s[0:1], vcc
	s_cbranch_execz .LBB108_261
; %bb.260:
	scratch_load_dwordx4 v[2:5], off, s50
	v_mov_b32_e32 v6, 0
	v_mov_b32_e32 v7, v6
	;; [unrolled: 1-line block ×4, first 2 shown]
	v_accvgpr_read_b32 v0, a91
	scratch_store_dwordx4 off, v[6:9], off offset:192
	s_waitcnt vmcnt(1)
	ds_write_b128 v0, v[2:5]
.LBB108_261:
	s_or_b64 exec, exec, s[0:1]
	s_waitcnt lgkmcnt(0)
	; wave barrier
	scratch_load_dwordx4 v[108:111], off, off offset:208
	scratch_load_dwordx4 v[116:119], off, off offset:224
	;; [unrolled: 1-line block ×33, first 2 shown]
	v_mov_b32_e32 v2, 0
	ds_read_b128 v[220:223], v2 offset:912
	ds_read_b128 v[224:227], v2 offset:928
	;; [unrolled: 1-line block ×16, first 2 shown]
	v_cmp_lt_u32_e32 vcc, 10, v240
	s_waitcnt vmcnt(32) lgkmcnt(14)
	v_mul_f64 v[180:181], v[220:221], v[110:111]
	s_waitcnt vmcnt(31)
	v_mul_f64 v[182:183], v[224:225], v[118:119]
	v_fmac_f64_e32 v[180:181], v[222:223], v[108:109]
	s_waitcnt vmcnt(30) lgkmcnt(13)
	v_mul_f64 v[184:185], v[234:235], v[122:123]
	v_fmac_f64_e32 v[182:183], v[226:227], v[116:117]
	v_add_f64 v[180:181], v[180:181], 0
	s_waitcnt vmcnt(29) lgkmcnt(12)
	v_mul_f64 v[186:187], v[246:247], v[126:127]
	v_fmac_f64_e32 v[184:185], v[236:237], v[120:121]
	v_add_f64 v[180:181], v[180:181], v[182:183]
	;; [unrolled: 4-line block ×13, first 2 shown]
	v_fmac_f64_e32 v[208:209], v[142:143], v[40:41]
	v_add_f64 v[180:181], v[180:181], v[206:207]
	v_add_f64 v[184:185], v[180:181], v[208:209]
	ds_read_b128 v[180:183], v2 offset:1168
	s_waitcnt vmcnt(17) lgkmcnt(1)
	v_mul_f64 v[186:187], v[136:137], v[46:47]
	v_fmac_f64_e32 v[186:187], v[138:139], v[44:45]
	v_add_f64 v[188:189], v[184:185], v[186:187]
	ds_read_b128 v[184:187], v2 offset:1184
	s_waitcnt vmcnt(16) lgkmcnt(1)
	v_mul_f64 v[190:191], v[180:181], v[50:51]
	v_fmac_f64_e32 v[190:191], v[182:183], v[48:49]
	;; [unrolled: 5-line block ×10, first 2 shown]
	v_mul_f64 v[110:111], v[222:223], v[110:111]
	v_add_f64 v[228:229], v[228:229], v[230:231]
	v_fma_f64 v[230:231], v[220:221], v[108:109], -v[110:111]
	ds_read_b128 v[108:111], v2 offset:1328
	s_waitcnt vmcnt(7) lgkmcnt(1)
	v_mul_f64 v[220:221], v[216:217], v[86:87]
	v_mul_f64 v[118:119], v[226:227], v[118:119]
	v_fmac_f64_e32 v[220:221], v[218:219], v[84:85]
	v_fma_f64 v[232:233], v[224:225], v[116:117], -v[118:119]
	ds_read_b128 v[116:119], v2 offset:1344
	s_waitcnt vmcnt(6) lgkmcnt(1)
	v_mul_f64 v[222:223], v[108:109], v[90:91]
	v_add_f64 v[220:221], v[228:229], v[220:221]
	v_fmac_f64_e32 v[222:223], v[110:111], v[88:89]
	v_add_f64 v[224:225], v[220:221], v[222:223]
	ds_read_b128 v[220:223], v2 offset:1360
	v_mul_f64 v[122:123], v[236:237], v[122:123]
	v_fma_f64 v[234:235], v[234:235], v[120:121], -v[122:123]
	ds_read_b128 v[120:123], v2 offset:1376
	s_waitcnt vmcnt(5) lgkmcnt(2)
	v_mul_f64 v[226:227], v[116:117], v[94:95]
	v_fmac_f64_e32 v[226:227], v[118:119], v[92:93]
	v_mul_f64 v[126:127], v[248:249], v[126:127]
	v_add_f64 v[224:225], v[224:225], v[226:227]
	s_waitcnt vmcnt(4) lgkmcnt(1)
	v_mul_f64 v[226:227], v[220:221], v[98:99]
	v_fma_f64 v[236:237], v[246:247], v[124:125], -v[126:127]
	ds_read_b128 v[124:127], v2 offset:1392
	v_fmac_f64_e32 v[226:227], v[222:223], v[96:97]
	v_add_f64 v[228:229], v[224:225], v[226:227]
	s_waitcnt vmcnt(3) lgkmcnt(1)
	v_mul_f64 v[238:239], v[120:121], v[102:103]
	ds_read_b128 v[224:227], v2 offset:1408
	v_fmac_f64_e32 v[238:239], v[122:123], v[100:101]
	v_mul_f64 v[130:131], v[252:253], v[130:131]
	v_add_f64 v[228:229], v[228:229], v[238:239]
	v_fma_f64 v[238:239], v[250:251], v[128:129], -v[130:131]
	ds_read_b128 v[128:131], v2 offset:1424
	s_waitcnt vmcnt(2) lgkmcnt(2)
	v_mul_f64 v[246:247], v[124:125], v[106:107]
	v_fmac_f64_e32 v[246:247], v[126:127], v[104:105]
	v_add_f64 v[228:229], v[228:229], v[246:247]
	s_waitcnt vmcnt(1) lgkmcnt(1)
	v_mul_f64 v[246:247], v[224:225], v[114:115]
	v_fmac_f64_e32 v[246:247], v[226:227], v[112:113]
	v_add_f64 v[228:229], v[228:229], v[246:247]
	;; [unrolled: 4-line block ×3, first 2 shown]
	scratch_load_dwordx4 v[246:249], off, off offset:192
	v_add_f64 v[230:231], v[230:231], 0
	v_add_f64 v[230:231], v[230:231], v[232:233]
	;; [unrolled: 1-line block ×4, first 2 shown]
	v_mul_f64 v[6:7], v[178:179], v[6:7]
	v_add_f64 v[230:231], v[230:231], v[238:239]
	v_fma_f64 v[4:5], v[176:177], v[4:5], -v[6:7]
	v_mul_f64 v[6:7], v[174:175], v[10:11]
	v_add_f64 v[4:5], v[230:231], v[4:5]
	v_fma_f64 v[6:7], v[172:173], v[8:9], -v[6:7]
	v_add_f64 v[4:5], v[4:5], v[6:7]
	v_mul_f64 v[6:7], v[170:171], v[14:15]
	v_fma_f64 v[6:7], v[168:169], v[12:13], -v[6:7]
	v_add_f64 v[4:5], v[4:5], v[6:7]
	v_mul_f64 v[6:7], v[166:167], v[18:19]
	;; [unrolled: 3-line block ×26, first 2 shown]
	v_fma_f64 v[6:7], v[128:129], v[132:133], -v[6:7]
	v_add_f64 v[4:5], v[4:5], v[6:7]
	s_waitcnt vmcnt(0)
	v_add_f64 v[4:5], v[246:247], -v[4:5]
	v_add_f64 v[6:7], v[248:249], -v[228:229]
	scratch_store_dwordx4 off, v[4:7], off offset:192
	s_and_saveexec_b64 s[0:1], vcc
	s_cbranch_execz .LBB108_263
; %bb.262:
	scratch_load_dwordx4 v[6:9], off, s51
	v_mov_b32_e32 v3, v2
	v_mov_b32_e32 v4, v2
	;; [unrolled: 1-line block ×3, first 2 shown]
	v_accvgpr_read_b32 v0, a91
	scratch_store_dwordx4 off, v[2:5], off offset:176
	s_waitcnt vmcnt(1)
	ds_write_b128 v0, v[6:9]
.LBB108_263:
	s_or_b64 exec, exec, s[0:1]
	s_waitcnt lgkmcnt(0)
	; wave barrier
	scratch_load_dwordx4 v[144:147], off, off offset:192
	scratch_load_dwordx4 v[152:155], off, off offset:208
	;; [unrolled: 1-line block ×16, first 2 shown]
	ds_read_b128 v[196:199], v2 offset:896
	ds_read_b128 v[188:191], v2 offset:912
	ds_read_b128 v[180:183], v2 offset:928
	scratch_load_dwordx4 v[48:51], off, off offset:448
	ds_read_b128 v[192:195], v2 offset:944
	ds_read_b128 v[184:187], v2 offset:960
	ds_read_b128 v[64:67], v2 offset:976
	scratch_load_dwordx4 v[52:55], off, off offset:464
	;; [unrolled: 4-line block ×5, first 2 shown]
	ds_read_b128 v[116:119], v2 offset:1136
	ds_read_b128 v[112:115], v2 offset:1152
	scratch_load_dwordx4 v[108:111], off, off offset:528
	scratch_load_dwordx4 v[120:123], off, off offset:544
	scratch_load_dwordx4 v[124:127], off, off offset:560
	scratch_load_dwordx4 v[128:131], off, off offset:576
	scratch_load_dwordx4 v[132:135], off, off offset:592
	scratch_load_dwordx4 v[136:139], off, off offset:608
	scratch_load_dwordx4 v[140:143], off, off offset:624
	scratch_load_dwordx4 v[148:151], off, off offset:640
	scratch_load_dwordx4 v[164:167], off, off offset:656
	scratch_load_dwordx4 v[172:175], off, off offset:672
	scratch_load_dwordx4 v[176:179], off, off offset:688
	scratch_load_dwordx4 v[200:203], off, off offset:704
	v_cmp_lt_u32_e32 vcc, 9, v240
	s_waitcnt vmcnt(32) lgkmcnt(14)
	v_mul_f64 v[204:205], v[196:197], v[146:147]
	s_waitcnt vmcnt(31)
	v_mul_f64 v[206:207], v[188:189], v[154:155]
	v_fmac_f64_e32 v[204:205], v[198:199], v[144:145]
	s_waitcnt vmcnt(30)
	v_mul_f64 v[208:209], v[180:181], v[158:159]
	v_fmac_f64_e32 v[206:207], v[190:191], v[152:153]
	v_add_f64 v[204:205], v[204:205], 0
	s_waitcnt vmcnt(29) lgkmcnt(13)
	v_mul_f64 v[210:211], v[192:193], v[162:163]
	v_fmac_f64_e32 v[208:209], v[182:183], v[156:157]
	v_add_f64 v[204:205], v[204:205], v[206:207]
	s_waitcnt vmcnt(28) lgkmcnt(12)
	;; [unrolled: 4-line block ×12, first 2 shown]
	v_mul_f64 v[232:233], v[96:97], v[42:43]
	v_fmac_f64_e32 v[230:231], v[102:103], v[36:37]
	v_add_f64 v[204:205], v[204:205], v[228:229]
	v_fmac_f64_e32 v[232:233], v[98:99], v[40:41]
	v_add_f64 v[204:205], v[204:205], v[230:231]
	s_waitcnt vmcnt(17) lgkmcnt(1)
	v_mul_f64 v[206:207], v[116:117], v[46:47]
	v_add_f64 v[204:205], v[204:205], v[232:233]
	v_fmac_f64_e32 v[206:207], v[118:119], v[44:45]
	s_waitcnt vmcnt(16) lgkmcnt(0)
	v_mul_f64 v[210:211], v[112:113], v[50:51]
	v_add_f64 v[208:209], v[204:205], v[206:207]
	ds_read_b128 v[204:207], v2 offset:1168
	v_fmac_f64_e32 v[210:211], v[114:115], v[48:49]
	v_add_f64 v[212:213], v[208:209], v[210:211]
	ds_read_b128 v[208:211], v2 offset:1184
	v_mul_f64 v[146:147], v[198:199], v[146:147]
	s_waitcnt vmcnt(15) lgkmcnt(1)
	v_mul_f64 v[214:215], v[204:205], v[54:55]
	v_fmac_f64_e32 v[214:215], v[206:207], v[52:53]
	v_add_f64 v[216:217], v[212:213], v[214:215]
	s_waitcnt vmcnt(14) lgkmcnt(0)
	v_mul_f64 v[218:219], v[208:209], v[58:59]
	ds_read_b128 v[212:215], v2 offset:1200
	v_fmac_f64_e32 v[218:219], v[210:211], v[56:57]
	v_add_f64 v[220:221], v[216:217], v[218:219]
	ds_read_b128 v[216:219], v2 offset:1216
	v_mul_f64 v[154:155], v[190:191], v[154:155]
	s_waitcnt vmcnt(13) lgkmcnt(1)
	v_mul_f64 v[222:223], v[212:213], v[62:63]
	v_fmac_f64_e32 v[222:223], v[214:215], v[60:61]
	v_add_f64 v[224:225], v[220:221], v[222:223]
	s_waitcnt vmcnt(12) lgkmcnt(0)
	v_mul_f64 v[226:227], v[216:217], v[94:95]
	ds_read_b128 v[220:223], v2 offset:1232
	v_fmac_f64_e32 v[226:227], v[218:219], v[92:93]
	v_add_f64 v[228:229], v[224:225], v[226:227]
	ds_read_b128 v[224:227], v2 offset:1248
	v_fma_f64 v[250:251], v[188:189], v[152:153], -v[154:155]
	s_waitcnt vmcnt(11) lgkmcnt(1)
	v_mul_f64 v[230:231], v[220:221], v[110:111]
	v_fmac_f64_e32 v[230:231], v[222:223], v[108:109]
	v_add_f64 v[232:233], v[228:229], v[230:231]
	s_waitcnt vmcnt(10) lgkmcnt(0)
	v_mul_f64 v[234:235], v[224:225], v[122:123]
	ds_read_b128 v[228:231], v2 offset:1264
	v_fmac_f64_e32 v[234:235], v[226:227], v[120:121]
	v_add_f64 v[236:237], v[232:233], v[234:235]
	ds_read_b128 v[232:235], v2 offset:1280
	ds_read_b128 v[152:155], v2 offset:1328
	s_waitcnt vmcnt(9) lgkmcnt(2)
	v_mul_f64 v[238:239], v[228:229], v[126:127]
	v_fmac_f64_e32 v[238:239], v[230:231], v[124:125]
	v_add_f64 v[246:247], v[236:237], v[238:239]
	s_waitcnt vmcnt(8) lgkmcnt(1)
	v_mul_f64 v[248:249], v[232:233], v[130:131]
	ds_read_b128 v[236:239], v2 offset:1296
	v_fmac_f64_e32 v[248:249], v[234:235], v[128:129]
	v_add_f64 v[246:247], v[246:247], v[248:249]
	v_fma_f64 v[248:249], v[196:197], v[144:145], -v[146:147]
	ds_read_b128 v[144:147], v2 offset:1312
	s_waitcnt vmcnt(7) lgkmcnt(1)
	v_mul_f64 v[196:197], v[236:237], v[134:135]
	v_fmac_f64_e32 v[196:197], v[238:239], v[132:133]
	v_add_f64 v[188:189], v[246:247], v[196:197]
	v_mul_f64 v[158:159], v[182:183], v[158:159]
	s_waitcnt vmcnt(6) lgkmcnt(0)
	v_mul_f64 v[190:191], v[144:145], v[138:139]
	v_fmac_f64_e32 v[190:191], v[146:147], v[136:137]
	v_add_f64 v[196:197], v[188:189], v[190:191]
	ds_read_b128 v[188:191], v2 offset:1344
	v_fma_f64 v[246:247], v[180:181], v[156:157], -v[158:159]
	ds_read_b128 v[156:159], v2 offset:1360
	s_waitcnt vmcnt(5)
	v_mul_f64 v[198:199], v[152:153], v[142:143]
	v_fmac_f64_e32 v[198:199], v[154:155], v[140:141]
	s_waitcnt vmcnt(4) lgkmcnt(1)
	v_mul_f64 v[180:181], v[188:189], v[150:151]
	v_add_f64 v[196:197], v[196:197], v[198:199]
	v_fmac_f64_e32 v[180:181], v[190:191], v[148:149]
	v_mul_f64 v[162:163], v[194:195], v[162:163]
	v_add_f64 v[198:199], v[196:197], v[180:181]
	v_fma_f64 v[196:197], v[192:193], v[160:161], -v[162:163]
	ds_read_b128 v[160:163], v2 offset:1376
	s_waitcnt vmcnt(3) lgkmcnt(1)
	v_mul_f64 v[192:193], v[156:157], v[166:167]
	ds_read_b128 v[180:183], v2 offset:1392
	v_fmac_f64_e32 v[192:193], v[158:159], v[164:165]
	v_mul_f64 v[170:171], v[186:187], v[170:171]
	v_add_f64 v[192:193], v[198:199], v[192:193]
	v_fma_f64 v[198:199], v[184:185], v[168:169], -v[170:171]
	ds_read_b128 v[168:171], v2 offset:1408
	s_waitcnt vmcnt(2) lgkmcnt(2)
	v_mul_f64 v[184:185], v[160:161], v[174:175]
	v_fmac_f64_e32 v[184:185], v[162:163], v[172:173]
	s_waitcnt vmcnt(1) lgkmcnt(1)
	v_mul_f64 v[186:187], v[180:181], v[178:179]
	v_add_f64 v[184:185], v[192:193], v[184:185]
	v_fmac_f64_e32 v[186:187], v[182:183], v[176:177]
	v_add_f64 v[184:185], v[184:185], v[186:187]
	s_waitcnt vmcnt(0) lgkmcnt(0)
	v_mul_f64 v[186:187], v[168:169], v[202:203]
	v_fmac_f64_e32 v[186:187], v[170:171], v[200:201]
	v_add_f64 v[252:253], v[184:185], v[186:187]
	scratch_load_dwordx4 v[184:187], off, off offset:720
	v_add_f64 v[248:249], v[248:249], 0
	v_add_f64 v[248:249], v[248:249], v[250:251]
	;; [unrolled: 1-line block ×3, first 2 shown]
	scratch_load_dwordx4 v[248:251], off, off offset:176
	v_add_f64 v[196:197], v[246:247], v[196:197]
	v_mul_f64 v[6:7], v[66:67], v[6:7]
	v_add_f64 v[196:197], v[196:197], v[198:199]
	v_fma_f64 v[4:5], v[64:65], v[4:5], -v[6:7]
	v_mul_f64 v[6:7], v[78:79], v[10:11]
	v_add_f64 v[4:5], v[196:197], v[4:5]
	v_fma_f64 v[6:7], v[76:77], v[8:9], -v[6:7]
	v_add_f64 v[4:5], v[4:5], v[6:7]
	v_mul_f64 v[6:7], v[74:75], v[14:15]
	v_fma_f64 v[6:7], v[72:73], v[12:13], -v[6:7]
	v_add_f64 v[4:5], v[4:5], v[6:7]
	v_mul_f64 v[6:7], v[70:71], v[18:19]
	;; [unrolled: 3-line block ×24, first 2 shown]
	ds_read_b128 v[192:195], v2 offset:1424
	v_fma_f64 v[6:7], v[160:161], v[172:173], -v[6:7]
	v_add_f64 v[4:5], v[4:5], v[6:7]
	v_mul_f64 v[6:7], v[182:183], v[178:179]
	v_fma_f64 v[6:7], v[180:181], v[176:177], -v[6:7]
	v_add_f64 v[4:5], v[4:5], v[6:7]
	v_mul_f64 v[6:7], v[170:171], v[202:203]
	v_fma_f64 v[6:7], v[168:169], v[200:201], -v[6:7]
	s_waitcnt vmcnt(1) lgkmcnt(0)
	v_mul_f64 v[2:3], v[192:193], v[186:187]
	v_add_f64 v[4:5], v[4:5], v[6:7]
	v_mul_f64 v[6:7], v[194:195], v[186:187]
	v_fmac_f64_e32 v[2:3], v[194:195], v[184:185]
	v_fma_f64 v[6:7], v[192:193], v[184:185], -v[6:7]
	v_add_f64 v[2:3], v[252:253], v[2:3]
	v_add_f64 v[4:5], v[4:5], v[6:7]
	s_waitcnt vmcnt(0)
	v_add_f64 v[4:5], v[248:249], -v[4:5]
	v_add_f64 v[6:7], v[250:251], -v[2:3]
	scratch_store_dwordx4 off, v[4:7], off offset:176
	s_and_saveexec_b64 s[0:1], vcc
	s_cbranch_execz .LBB108_265
; %bb.264:
	scratch_load_dwordx4 v[2:5], off, s52
	v_mov_b32_e32 v6, 0
	v_mov_b32_e32 v7, v6
	;; [unrolled: 1-line block ×4, first 2 shown]
	v_accvgpr_read_b32 v0, a91
	scratch_store_dwordx4 off, v[6:9], off offset:160
	s_waitcnt vmcnt(1)
	ds_write_b128 v0, v[2:5]
.LBB108_265:
	s_or_b64 exec, exec, s[0:1]
	s_waitcnt lgkmcnt(0)
	; wave barrier
	scratch_load_dwordx4 v[184:187], off, off offset:176
	scratch_load_dwordx4 v[188:191], off, off offset:192
	;; [unrolled: 1-line block ×32, first 2 shown]
	v_mov_b32_e32 v2, 0
	ds_read_b128 v[192:195], v2 offset:880
	ds_read_b128 v[204:207], v2 offset:896
	;; [unrolled: 1-line block ×16, first 2 shown]
	v_cmp_lt_u32_e32 vcc, 8, v240
	s_waitcnt vmcnt(31) lgkmcnt(14)
	v_mul_f64 v[104:105], v[192:193], v[186:187]
	s_waitcnt vmcnt(30)
	v_mul_f64 v[106:107], v[204:205], v[190:191]
	v_fmac_f64_e32 v[104:105], v[194:195], v[184:185]
	s_waitcnt vmcnt(29) lgkmcnt(13)
	v_mul_f64 v[112:113], v[216:217], v[198:199]
	v_fmac_f64_e32 v[106:107], v[206:207], v[188:189]
	v_add_f64 v[104:105], v[104:105], 0
	s_waitcnt vmcnt(28) lgkmcnt(12)
	v_mul_f64 v[114:115], v[224:225], v[202:203]
	v_fmac_f64_e32 v[112:113], v[218:219], v[196:197]
	v_add_f64 v[104:105], v[104:105], v[106:107]
	;; [unrolled: 4-line block ×10, first 2 shown]
	ds_read_b128 v[152:155], v2 offset:1136
	ds_read_b128 v[156:159], v2 offset:1152
	s_waitcnt vmcnt(19) lgkmcnt(5)
	v_mul_f64 v[164:165], v[124:125], v[26:27]
	v_fmac_f64_e32 v[162:163], v[134:135], v[20:21]
	v_add_f64 v[104:105], v[104:105], v[160:161]
	s_waitcnt vmcnt(18) lgkmcnt(4)
	v_mul_f64 v[166:167], v[120:121], v[30:31]
	v_fmac_f64_e32 v[164:165], v[126:127], v[24:25]
	v_add_f64 v[104:105], v[104:105], v[162:163]
	;; [unrolled: 4-line block ×4, first 2 shown]
	v_add_f64 v[112:113], v[104:105], v[168:169]
	v_fmac_f64_e32 v[170:171], v[110:111], v[36:37]
	scratch_load_dwordx4 v[104:107], off, off offset:688
	s_waitcnt vmcnt(16) lgkmcnt(1)
	v_mul_f64 v[114:115], v[152:153], v[42:43]
	v_add_f64 v[112:113], v[112:113], v[170:171]
	v_fmac_f64_e32 v[114:115], v[154:155], v[40:41]
	v_add_f64 v[128:129], v[112:113], v[114:115]
	scratch_load_dwordx4 v[112:115], off, off offset:704
	s_waitcnt vmcnt(16) lgkmcnt(0)
	v_mul_f64 v[130:131], v[156:157], v[46:47]
	v_fmac_f64_e32 v[130:131], v[158:159], v[44:45]
	v_add_f64 v[168:169], v[128:129], v[130:131]
	scratch_load_dwordx4 v[128:131], off, off offset:720
	ds_read_b128 v[160:163], v2 offset:1168
	ds_read_b128 v[164:167], v2 offset:1184
	v_mul_f64 v[186:187], v[194:195], v[186:187]
	v_fma_f64 v[254:255], v[192:193], v[184:185], -v[186:187]
	ds_read_b128 v[184:187], v2 offset:1264
	s_waitcnt vmcnt(16) lgkmcnt(2)
	v_mul_f64 v[170:171], v[160:161], v[50:51]
	v_fmac_f64_e32 v[170:171], v[162:163], v[48:49]
	s_waitcnt vmcnt(15) lgkmcnt(1)
	v_mul_f64 v[174:175], v[164:165], v[54:55]
	v_add_f64 v[172:173], v[168:169], v[170:171]
	ds_read_b128 v[168:171], v2 offset:1200
	v_fmac_f64_e32 v[174:175], v[166:167], v[52:53]
	v_add_f64 v[176:177], v[172:173], v[174:175]
	ds_read_b128 v[172:175], v2 offset:1216
	v_mul_f64 v[190:191], v[206:207], v[190:191]
	s_waitcnt vmcnt(14) lgkmcnt(1)
	v_mul_f64 v[178:179], v[168:169], v[58:59]
	v_fmac_f64_e32 v[178:179], v[170:171], v[56:57]
	v_add_f64 v[180:181], v[176:177], v[178:179]
	s_waitcnt vmcnt(13) lgkmcnt(0)
	v_mul_f64 v[182:183], v[172:173], v[62:63]
	ds_read_b128 v[176:179], v2 offset:1232
	v_fmac_f64_e32 v[182:183], v[174:175], v[60:61]
	v_add_f64 v[232:233], v[180:181], v[182:183]
	ds_read_b128 v[180:183], v2 offset:1248
	v_fma_f64 v[242:243], v[204:205], v[188:189], -v[190:191]
	s_waitcnt vmcnt(12) lgkmcnt(1)
	v_mul_f64 v[234:235], v[176:177], v[66:67]
	v_fmac_f64_e32 v[234:235], v[178:179], v[64:65]
	v_add_f64 v[232:233], v[232:233], v[234:235]
	s_waitcnt vmcnt(11) lgkmcnt(0)
	v_mul_f64 v[192:193], v[180:181], v[70:71]
	v_fmac_f64_e32 v[192:193], v[182:183], v[68:69]
	ds_read_b128 v[188:191], v2 offset:1280
	s_waitcnt vmcnt(10)
	v_mul_f64 v[194:195], v[184:185], v[74:75]
	v_add_f64 v[192:193], v[232:233], v[192:193]
	v_fmac_f64_e32 v[194:195], v[186:187], v[72:73]
	v_add_f64 v[204:205], v[192:193], v[194:195]
	ds_read_b128 v[192:195], v2 offset:1296
	v_mul_f64 v[198:199], v[218:219], v[198:199]
	v_fma_f64 v[244:245], v[216:217], v[196:197], -v[198:199]
	ds_read_b128 v[196:199], v2 offset:1312
	s_waitcnt vmcnt(9) lgkmcnt(2)
	v_mul_f64 v[206:207], v[188:189], v[78:79]
	v_fmac_f64_e32 v[206:207], v[190:191], v[76:77]
	v_add_f64 v[204:205], v[204:205], v[206:207]
	s_waitcnt vmcnt(8) lgkmcnt(1)
	v_mul_f64 v[206:207], v[192:193], v[82:83]
	v_fmac_f64_e32 v[206:207], v[194:195], v[80:81]
	v_mul_f64 v[202:203], v[226:227], v[202:203]
	v_add_f64 v[204:205], v[204:205], v[206:207]
	v_fma_f64 v[234:235], v[224:225], v[200:201], -v[202:203]
	ds_read_b128 v[200:203], v2 offset:1328
	s_waitcnt vmcnt(7) lgkmcnt(1)
	v_mul_f64 v[206:207], v[196:197], v[86:87]
	v_fmac_f64_e32 v[206:207], v[198:199], v[84:85]
	v_add_f64 v[216:217], v[204:205], v[206:207]
	ds_read_b128 v[204:207], v2 offset:1344
	v_mul_f64 v[210:211], v[230:231], v[210:211]
	v_fma_f64 v[236:237], v[228:229], v[208:209], -v[210:211]
	ds_read_b128 v[208:211], v2 offset:1360
	s_waitcnt vmcnt(6) lgkmcnt(2)
	v_mul_f64 v[218:219], v[200:201], v[90:91]
	v_fmac_f64_e32 v[218:219], v[202:203], v[88:89]
	v_add_f64 v[216:217], v[216:217], v[218:219]
	s_waitcnt vmcnt(5) lgkmcnt(1)
	v_mul_f64 v[218:219], v[204:205], v[94:95]
	v_fmac_f64_e32 v[218:219], v[206:207], v[92:93]
	v_mul_f64 v[214:215], v[248:249], v[214:215]
	v_fma_f64 v[238:239], v[246:247], v[212:213], -v[214:215]
	ds_read_b128 v[212:215], v2 offset:1376
	v_add_f64 v[216:217], v[216:217], v[218:219]
	s_waitcnt vmcnt(4) lgkmcnt(1)
	v_mul_f64 v[218:219], v[208:209], v[102:103]
	v_fmac_f64_e32 v[218:219], v[210:211], v[100:101]
	v_add_f64 v[224:225], v[216:217], v[218:219]
	ds_read_b128 v[216:219], v2 offset:1392
	v_mul_f64 v[222:223], v[252:253], v[222:223]
	v_fma_f64 v[246:247], v[250:251], v[220:221], -v[222:223]
	ds_read_b128 v[220:223], v2 offset:1408
	s_waitcnt vmcnt(3) lgkmcnt(2)
	v_mul_f64 v[226:227], v[212:213], v[98:99]
	v_fmac_f64_e32 v[226:227], v[214:215], v[96:97]
	v_add_f64 v[224:225], v[224:225], v[226:227]
	s_waitcnt vmcnt(2) lgkmcnt(1)
	v_mul_f64 v[226:227], v[216:217], v[106:107]
	v_fmac_f64_e32 v[226:227], v[218:219], v[104:105]
	v_add_f64 v[224:225], v[224:225], v[226:227]
	;; [unrolled: 4-line block ×3, first 2 shown]
	ds_read_b128 v[224:227], v2 offset:1424
	v_mul_f64 v[6:7], v[150:151], v[6:7]
	v_fma_f64 v[4:5], v[148:149], v[4:5], -v[6:7]
	v_mul_f64 v[6:7], v[146:147], v[10:11]
	v_fma_f64 v[6:7], v[144:145], v[8:9], -v[6:7]
	s_waitcnt vmcnt(0) lgkmcnt(0)
	v_mul_f64 v[230:231], v[224:225], v[130:131]
	v_fmac_f64_e32 v[230:231], v[226:227], v[128:129]
	v_add_f64 v[232:233], v[228:229], v[230:231]
	v_add_f64 v[228:229], v[254:255], 0
	;; [unrolled: 1-line block ×4, first 2 shown]
	scratch_load_dwordx4 v[228:231], off, off offset:160
	v_add_f64 v[234:235], v[248:249], v[234:235]
	v_add_f64 v[234:235], v[234:235], v[236:237]
	;; [unrolled: 1-line block ×6, first 2 shown]
	v_mul_f64 v[6:7], v[142:143], v[14:15]
	v_fma_f64 v[6:7], v[140:141], v[12:13], -v[6:7]
	v_add_f64 v[4:5], v[4:5], v[6:7]
	v_mul_f64 v[6:7], v[138:139], v[18:19]
	v_fma_f64 v[6:7], v[136:137], v[16:17], -v[6:7]
	v_add_f64 v[4:5], v[4:5], v[6:7]
	;; [unrolled: 3-line block ×26, first 2 shown]
	s_waitcnt vmcnt(0)
	v_add_f64 v[4:5], v[228:229], -v[4:5]
	v_add_f64 v[6:7], v[230:231], -v[232:233]
	scratch_store_dwordx4 off, v[4:7], off offset:160
	s_and_saveexec_b64 s[0:1], vcc
	s_cbranch_execz .LBB108_267
; %bb.266:
	scratch_load_dwordx4 v[6:9], off, s53
	v_mov_b32_e32 v3, v2
	v_mov_b32_e32 v4, v2
	;; [unrolled: 1-line block ×3, first 2 shown]
	v_accvgpr_read_b32 v0, a91
	scratch_store_dwordx4 off, v[2:5], off offset:144
	s_waitcnt vmcnt(1)
	ds_write_b128 v0, v[6:9]
.LBB108_267:
	s_or_b64 exec, exec, s[0:1]
	s_waitcnt lgkmcnt(0)
	; wave barrier
	scratch_load_dwordx4 v[140:143], off, off offset:160
	scratch_load_dwordx4 v[144:147], off, off offset:176
	;; [unrolled: 1-line block ×16, first 2 shown]
	ds_read_b128 v[208:211], v2 offset:864
	ds_read_b128 v[200:203], v2 offset:880
	;; [unrolled: 1-line block ×3, first 2 shown]
	scratch_load_dwordx4 v[40:43], off, off offset:416
	ds_read_b128 v[204:207], v2 offset:912
	ds_read_b128 v[192:195], v2 offset:928
	;; [unrolled: 1-line block ×3, first 2 shown]
	scratch_load_dwordx4 v[44:47], off, off offset:432
	ds_read_b128 v[196:199], v2 offset:960
	ds_read_b128 v[64:67], v2 offset:976
	;; [unrolled: 1-line block ×4, first 2 shown]
	scratch_load_dwordx4 v[48:51], off, off offset:448
	ds_read_b128 v[72:75], v2 offset:1024
	ds_read_b128 v[68:71], v2 offset:1040
	scratch_load_dwordx4 v[56:59], off, off offset:464
	ds_read_b128 v[92:95], v2 offset:1056
	ds_read_b128 v[88:91], v2 offset:1072
	ds_read_b128 v[84:87], v2 offset:1088
	ds_read_b128 v[80:83], v2 offset:1104
	scratch_load_dwordx4 v[76:79], off, off offset:480
	scratch_load_dwordx4 v[96:99], off, off offset:496
	;; [unrolled: 1-line block ×12, first 2 shown]
	ds_read_b128 v[168:171], v2 offset:1120
	v_accvgpr_write_b32 a90, v240
	v_cmp_lt_u32_e32 vcc, 7, v240
	s_waitcnt vmcnt(31) lgkmcnt(14)
	v_mul_f64 v[172:173], v[208:209], v[142:143]
	s_waitcnt vmcnt(30)
	v_mul_f64 v[174:175], v[200:201], v[146:147]
	v_fmac_f64_e32 v[172:173], v[210:211], v[140:141]
	s_waitcnt vmcnt(29)
	v_mul_f64 v[176:177], v[188:189], v[150:151]
	v_fmac_f64_e32 v[174:175], v[202:203], v[144:145]
	v_add_f64 v[172:173], v[172:173], 0
	s_waitcnt vmcnt(28) lgkmcnt(13)
	v_mul_f64 v[178:179], v[204:205], v[154:155]
	v_fmac_f64_e32 v[176:177], v[190:191], v[148:149]
	v_add_f64 v[172:173], v[172:173], v[174:175]
	s_waitcnt vmcnt(27) lgkmcnt(12)
	;; [unrolled: 4-line block ×10, first 2 shown]
	v_mul_f64 v[224:225], v[92:93], v[26:27]
	v_fmac_f64_e32 v[222:223], v[70:71], v[20:21]
	v_add_f64 v[172:173], v[172:173], v[220:221]
	ds_read_b128 v[212:215], v2 offset:1136
	s_waitcnt vmcnt(18) lgkmcnt(4)
	v_mul_f64 v[226:227], v[88:89], v[30:31]
	v_fmac_f64_e32 v[224:225], v[94:95], v[24:25]
	v_add_f64 v[172:173], v[172:173], v[222:223]
	ds_read_b128 v[216:219], v2 offset:1152
	ds_read_b128 v[220:223], v2 offset:1168
	s_waitcnt vmcnt(17) lgkmcnt(5)
	v_mul_f64 v[228:229], v[84:85], v[34:35]
	v_fmac_f64_e32 v[226:227], v[90:91], v[28:29]
	v_add_f64 v[172:173], v[172:173], v[224:225]
	s_waitcnt vmcnt(16) lgkmcnt(4)
	v_mul_f64 v[230:231], v[80:81], v[38:39]
	v_fmac_f64_e32 v[228:229], v[86:87], v[32:33]
	v_add_f64 v[172:173], v[172:173], v[226:227]
	v_add_f64 v[176:177], v[172:173], v[228:229]
	v_fmac_f64_e32 v[230:231], v[82:83], v[36:37]
	s_waitcnt vmcnt(15) lgkmcnt(3)
	v_mul_f64 v[178:179], v[168:169], v[42:43]
	v_add_f64 v[176:177], v[176:177], v[230:231]
	v_fmac_f64_e32 v[178:179], v[170:171], v[40:41]
	s_waitcnt vmcnt(14) lgkmcnt(2)
	v_mul_f64 v[182:183], v[212:213], v[46:47]
	v_add_f64 v[180:181], v[176:177], v[178:179]
	v_fmac_f64_e32 v[182:183], v[214:215], v[44:45]
	s_waitcnt vmcnt(13) lgkmcnt(1)
	v_mul_f64 v[226:227], v[216:217], v[50:51]
	v_add_f64 v[224:225], v[180:181], v[182:183]
	v_fmac_f64_e32 v[226:227], v[218:219], v[48:49]
	v_add_f64 v[228:229], v[224:225], v[226:227]
	ds_read_b128 v[224:227], v2 offset:1184
	s_waitcnt vmcnt(12) lgkmcnt(1)
	v_mul_f64 v[230:231], v[220:221], v[58:59]
	v_fmac_f64_e32 v[230:231], v[222:223], v[56:57]
	v_add_f64 v[232:233], v[228:229], v[230:231]
	ds_read_b128 v[228:231], v2 offset:1200
	s_waitcnt vmcnt(11) lgkmcnt(1)
	v_mul_f64 v[234:235], v[224:225], v[78:79]
	;; [unrolled: 5-line block ×4, first 2 shown]
	v_fmac_f64_e32 v[244:245], v[234:235], v[100:101]
	v_mul_f64 v[142:143], v[210:211], v[142:143]
	v_add_f64 v[242:243], v[242:243], v[244:245]
	v_fma_f64 v[244:245], v[208:209], v[140:141], -v[142:143]
	ds_read_b128 v[140:143], v2 offset:1248
	s_waitcnt vmcnt(8) lgkmcnt(1)
	v_mul_f64 v[208:209], v[236:237], v[106:107]
	v_fmac_f64_e32 v[208:209], v[238:239], v[104:105]
	v_mul_f64 v[146:147], v[202:203], v[146:147]
	v_add_f64 v[208:209], v[242:243], v[208:209]
	v_fma_f64 v[242:243], v[200:201], v[144:145], -v[146:147]
	ds_read_b128 v[144:147], v2 offset:1264
	s_waitcnt vmcnt(7) lgkmcnt(1)
	v_mul_f64 v[200:201], v[140:141], v[110:111]
	scratch_load_dwordx4 v[172:175], off, off offset:672
	v_fmac_f64_e32 v[200:201], v[142:143], v[108:109]
	v_add_f64 v[208:209], v[208:209], v[200:201]
	ds_read_b128 v[200:203], v2 offset:1280
	v_mul_f64 v[150:151], v[190:191], v[150:151]
	scratch_load_dwordx4 v[176:179], off, off offset:688
	scratch_load_dwordx4 v[180:183], off, off offset:704
	v_fma_f64 v[246:247], v[188:189], v[148:149], -v[150:151]
	ds_read_b128 v[148:151], v2 offset:1296
	s_waitcnt vmcnt(9) lgkmcnt(2)
	v_mul_f64 v[210:211], v[144:145], v[114:115]
	v_fmac_f64_e32 v[210:211], v[146:147], v[112:113]
	s_waitcnt vmcnt(8) lgkmcnt(1)
	v_mul_f64 v[188:189], v[200:201], v[118:119]
	v_add_f64 v[208:209], v[208:209], v[210:211]
	v_fmac_f64_e32 v[188:189], v[202:203], v[116:117]
	v_mul_f64 v[154:155], v[206:207], v[154:155]
	s_waitcnt vmcnt(7) lgkmcnt(0)
	v_mul_f64 v[190:191], v[148:149], v[122:123]
	v_add_f64 v[188:189], v[208:209], v[188:189]
	v_fma_f64 v[248:249], v[204:205], v[152:153], -v[154:155]
	ds_read_b128 v[152:155], v2 offset:1312
	v_fmac_f64_e32 v[190:191], v[150:151], v[120:121]
	v_add_f64 v[204:205], v[188:189], v[190:191]
	ds_read_b128 v[188:191], v2 offset:1328
	v_mul_f64 v[158:159], v[194:195], v[158:159]
	s_waitcnt vmcnt(6) lgkmcnt(1)
	v_mul_f64 v[206:207], v[152:153], v[126:127]
	v_fmac_f64_e32 v[206:207], v[154:155], v[124:125]
	v_fma_f64 v[250:251], v[192:193], v[156:157], -v[158:159]
	s_waitcnt vmcnt(5) lgkmcnt(0)
	v_mul_f64 v[192:193], v[188:189], v[130:131]
	v_add_f64 v[204:205], v[204:205], v[206:207]
	v_fmac_f64_e32 v[192:193], v[190:191], v[128:129]
	v_mul_f64 v[162:163], v[186:187], v[162:163]
	v_add_f64 v[244:245], v[244:245], 0
	v_fma_f64 v[208:209], v[184:185], v[160:161], -v[162:163]
	v_add_f64 v[184:185], v[204:205], v[192:193]
	scratch_load_dwordx4 v[204:207], off, off offset:720
	v_add_f64 v[242:243], v[244:245], v[242:243]
	v_add_f64 v[242:243], v[242:243], v[246:247]
	;; [unrolled: 1-line block ×4, first 2 shown]
	scratch_load_dwordx4 v[248:251], off, off offset:144
	v_mul_f64 v[166:167], v[198:199], v[166:167]
	v_fma_f64 v[210:211], v[196:197], v[164:165], -v[166:167]
	v_add_f64 v[208:209], v[246:247], v[208:209]
	v_mul_f64 v[6:7], v[66:67], v[6:7]
	v_add_f64 v[208:209], v[208:209], v[210:211]
	v_fma_f64 v[4:5], v[64:65], v[4:5], -v[6:7]
	v_mul_f64 v[6:7], v[62:63], v[10:11]
	v_add_f64 v[4:5], v[208:209], v[4:5]
	v_fma_f64 v[6:7], v[60:61], v[8:9], -v[6:7]
	v_add_f64 v[4:5], v[4:5], v[6:7]
	v_mul_f64 v[6:7], v[54:55], v[14:15]
	v_fma_f64 v[6:7], v[52:53], v[12:13], -v[6:7]
	v_add_f64 v[4:5], v[4:5], v[6:7]
	v_mul_f64 v[6:7], v[74:75], v[18:19]
	;; [unrolled: 3-line block ×12, first 2 shown]
	v_fma_f64 v[6:7], v[224:225], v[76:77], -v[6:7]
	ds_read_b128 v[156:159], v2 offset:1344
	ds_read_b128 v[160:163], v2 offset:1360
	v_add_f64 v[4:5], v[4:5], v[6:7]
	v_mul_f64 v[6:7], v[230:231], v[98:99]
	v_fma_f64 v[6:7], v[228:229], v[96:97], -v[6:7]
	v_add_f64 v[4:5], v[4:5], v[6:7]
	v_mul_f64 v[6:7], v[234:235], v[102:103]
	v_fma_f64 v[6:7], v[232:233], v[100:101], -v[6:7]
	v_add_f64 v[4:5], v[4:5], v[6:7]
	v_mul_f64 v[6:7], v[238:239], v[106:107]
	s_waitcnt vmcnt(6) lgkmcnt(1)
	v_mul_f64 v[186:187], v[156:157], v[138:139]
	v_fma_f64 v[6:7], v[236:237], v[104:105], -v[6:7]
	v_fmac_f64_e32 v[186:187], v[158:159], v[136:137]
	v_add_f64 v[4:5], v[4:5], v[6:7]
	v_mul_f64 v[6:7], v[142:143], v[110:111]
	v_add_f64 v[192:193], v[184:185], v[186:187]
	ds_read_b128 v[184:187], v2 offset:1376
	ds_read_b128 v[164:167], v2 offset:1392
	v_fma_f64 v[6:7], v[140:141], v[108:109], -v[6:7]
	v_add_f64 v[4:5], v[4:5], v[6:7]
	v_mul_f64 v[6:7], v[146:147], v[114:115]
	v_fma_f64 v[6:7], v[144:145], v[112:113], -v[6:7]
	s_waitcnt vmcnt(5) lgkmcnt(2)
	v_mul_f64 v[194:195], v[160:161], v[134:135]
	v_add_f64 v[4:5], v[4:5], v[6:7]
	v_mul_f64 v[6:7], v[202:203], v[118:119]
	v_fmac_f64_e32 v[194:195], v[162:163], v[132:133]
	v_fma_f64 v[6:7], v[200:201], v[116:117], -v[6:7]
	v_add_f64 v[192:193], v[192:193], v[194:195]
	s_waitcnt vmcnt(4) lgkmcnt(1)
	v_mul_f64 v[194:195], v[184:185], v[174:175]
	v_add_f64 v[4:5], v[4:5], v[6:7]
	v_mul_f64 v[6:7], v[150:151], v[122:123]
	v_fmac_f64_e32 v[194:195], v[186:187], v[172:173]
	v_fma_f64 v[6:7], v[148:149], v[120:121], -v[6:7]
	v_add_f64 v[192:193], v[192:193], v[194:195]
	;; [unrolled: 7-line block ×3, first 2 shown]
	ds_read_b128 v[192:195], v2 offset:1408
	v_add_f64 v[4:5], v[4:5], v[6:7]
	v_mul_f64 v[6:7], v[190:191], v[130:131]
	v_fma_f64 v[6:7], v[188:189], v[128:129], -v[6:7]
	v_add_f64 v[4:5], v[4:5], v[6:7]
	v_mul_f64 v[6:7], v[158:159], v[138:139]
	v_fma_f64 v[6:7], v[156:157], v[136:137], -v[6:7]
	v_add_f64 v[4:5], v[4:5], v[6:7]
	v_mul_f64 v[6:7], v[162:163], v[134:135]
	s_waitcnt vmcnt(2) lgkmcnt(0)
	v_mul_f64 v[198:199], v[192:193], v[182:183]
	v_fma_f64 v[6:7], v[160:161], v[132:133], -v[6:7]
	v_fmac_f64_e32 v[198:199], v[194:195], v[180:181]
	v_add_f64 v[4:5], v[4:5], v[6:7]
	v_mul_f64 v[6:7], v[186:187], v[174:175]
	v_add_f64 v[252:253], v[196:197], v[198:199]
	ds_read_b128 v[196:199], v2 offset:1424
	v_fma_f64 v[6:7], v[184:185], v[172:173], -v[6:7]
	v_add_f64 v[4:5], v[4:5], v[6:7]
	v_mul_f64 v[6:7], v[166:167], v[178:179]
	v_fma_f64 v[6:7], v[164:165], v[176:177], -v[6:7]
	v_add_f64 v[4:5], v[4:5], v[6:7]
	v_mul_f64 v[6:7], v[194:195], v[182:183]
	v_fma_f64 v[6:7], v[192:193], v[180:181], -v[6:7]
	s_waitcnt vmcnt(1) lgkmcnt(0)
	v_mul_f64 v[2:3], v[196:197], v[206:207]
	v_add_f64 v[4:5], v[4:5], v[6:7]
	v_mul_f64 v[6:7], v[198:199], v[206:207]
	v_fmac_f64_e32 v[2:3], v[198:199], v[204:205]
	v_fma_f64 v[6:7], v[196:197], v[204:205], -v[6:7]
	v_add_f64 v[2:3], v[252:253], v[2:3]
	v_add_f64 v[4:5], v[4:5], v[6:7]
	s_waitcnt vmcnt(0)
	v_add_f64 v[4:5], v[248:249], -v[4:5]
	v_add_f64 v[6:7], v[250:251], -v[2:3]
	scratch_store_dwordx4 off, v[4:7], off offset:144
	s_and_saveexec_b64 s[0:1], vcc
	s_cbranch_execz .LBB108_269
; %bb.268:
	scratch_load_dwordx4 v[2:5], off, s54
	v_mov_b32_e32 v6, 0
	v_mov_b32_e32 v7, v6
	;; [unrolled: 1-line block ×4, first 2 shown]
	v_accvgpr_read_b32 v0, a91
	scratch_store_dwordx4 off, v[6:9], off offset:128
	s_waitcnt vmcnt(1)
	ds_write_b128 v0, v[2:5]
.LBB108_269:
	s_or_b64 exec, exec, s[0:1]
	s_waitcnt lgkmcnt(0)
	; wave barrier
	scratch_load_dwordx4 v[168:171], off, off offset:144
	scratch_load_dwordx4 v[172:175], off, off offset:160
	;; [unrolled: 1-line block ×32, first 2 shown]
	v_mov_b32_e32 v2, 0
	ds_read_b128 v[176:179], v2 offset:848
	ds_read_b128 v[188:191], v2 offset:864
	;; [unrolled: 1-line block ×17, first 2 shown]
	v_accvgpr_read_b32 v0, a90
	v_cmp_lt_u32_e32 vcc, 6, v0
	s_waitcnt vmcnt(31) lgkmcnt(14)
	v_mul_f64 v[104:105], v[176:177], v[170:171]
	s_waitcnt vmcnt(30)
	v_mul_f64 v[106:107], v[188:189], v[174:175]
	v_fmac_f64_e32 v[104:105], v[178:179], v[168:169]
	s_waitcnt vmcnt(29)
	v_mul_f64 v[108:109], v[200:201], v[182:183]
	v_fmac_f64_e32 v[106:107], v[190:191], v[172:173]
	v_add_f64 v[104:105], v[104:105], 0
	s_waitcnt vmcnt(28) lgkmcnt(13)
	v_mul_f64 v[110:111], v[212:213], v[186:187]
	v_fmac_f64_e32 v[108:109], v[202:203], v[180:181]
	v_add_f64 v[104:105], v[104:105], v[106:107]
	s_waitcnt vmcnt(27) lgkmcnt(12)
	;; [unrolled: 4-line block ×12, first 2 shown]
	v_mul_f64 v[156:157], v[112:113], v[26:27]
	v_fmac_f64_e32 v[154:155], v[118:119], v[20:21]
	v_add_f64 v[104:105], v[104:105], v[152:153]
	v_fmac_f64_e32 v[156:157], v[114:115], v[24:25]
	v_add_f64 v[104:105], v[104:105], v[154:155]
	s_waitcnt vmcnt(16) lgkmcnt(1)
	v_mul_f64 v[106:107], v[100:101], v[30:31]
	v_add_f64 v[104:105], v[104:105], v[156:157]
	v_fmac_f64_e32 v[106:107], v[102:103], v[28:29]
	v_add_f64 v[108:109], v[104:105], v[106:107]
	ds_read_b128 v[144:147], v2 offset:1120
	ds_read_b128 v[148:151], v2 offset:1136
	scratch_load_dwordx4 v[104:107], off, off offset:656
	s_waitcnt vmcnt(16) lgkmcnt(2)
	v_mul_f64 v[110:111], v[96:97], v[34:35]
	v_fmac_f64_e32 v[110:111], v[98:99], v[32:33]
	v_add_f64 v[120:121], v[108:109], v[110:111]
	scratch_load_dwordx4 v[108:111], off, off offset:672
	s_waitcnt vmcnt(16) lgkmcnt(1)
	v_mul_f64 v[122:123], v[144:145], v[38:39]
	v_fmac_f64_e32 v[122:123], v[146:147], v[36:37]
	v_add_f64 v[132:133], v[120:121], v[122:123]
	s_waitcnt vmcnt(15) lgkmcnt(0)
	v_mul_f64 v[134:135], v[148:149], v[42:43]
	scratch_load_dwordx4 v[120:123], off, off offset:688
	v_fmac_f64_e32 v[134:135], v[150:151], v[40:41]
	v_add_f64 v[160:161], v[132:133], v[134:135]
	scratch_load_dwordx4 v[132:135], off, off offset:704
	ds_read_b128 v[152:155], v2 offset:1152
	ds_read_b128 v[156:159], v2 offset:1168
	v_mul_f64 v[170:171], v[178:179], v[170:171]
	v_fma_f64 v[242:243], v[176:177], v[168:169], -v[170:171]
	ds_read_b128 v[168:171], v2 offset:1216
	s_waitcnt vmcnt(16) lgkmcnt(2)
	v_mul_f64 v[162:163], v[152:153], v[46:47]
	v_fmac_f64_e32 v[162:163], v[154:155], v[44:45]
	s_waitcnt vmcnt(15) lgkmcnt(1)
	v_mul_f64 v[166:167], v[156:157], v[50:51]
	v_add_f64 v[164:165], v[160:161], v[162:163]
	ds_read_b128 v[160:163], v2 offset:1184
	v_fmac_f64_e32 v[166:167], v[158:159], v[48:49]
	v_add_f64 v[232:233], v[164:165], v[166:167]
	ds_read_b128 v[164:167], v2 offset:1200
	v_mul_f64 v[174:175], v[190:191], v[174:175]
	s_waitcnt vmcnt(14) lgkmcnt(1)
	v_mul_f64 v[234:235], v[160:161], v[54:55]
	v_fmac_f64_e32 v[234:235], v[162:163], v[52:53]
	v_add_f64 v[232:233], v[232:233], v[234:235]
	s_waitcnt vmcnt(13) lgkmcnt(0)
	v_mul_f64 v[176:177], v[164:165], v[58:59]
	v_fmac_f64_e32 v[176:177], v[166:167], v[56:57]
	v_fma_f64 v[244:245], v[188:189], v[172:173], -v[174:175]
	ds_read_b128 v[172:175], v2 offset:1232
	s_waitcnt vmcnt(12)
	v_mul_f64 v[178:179], v[168:169], v[62:63]
	v_add_f64 v[176:177], v[232:233], v[176:177]
	v_fmac_f64_e32 v[178:179], v[170:171], v[60:61]
	v_add_f64 v[188:189], v[176:177], v[178:179]
	ds_read_b128 v[176:179], v2 offset:1248
	v_mul_f64 v[182:183], v[202:203], v[182:183]
	v_fma_f64 v[254:255], v[200:201], v[180:181], -v[182:183]
	ds_read_b128 v[180:183], v2 offset:1264
	s_waitcnt vmcnt(11) lgkmcnt(2)
	v_mul_f64 v[190:191], v[172:173], v[66:67]
	v_fmac_f64_e32 v[190:191], v[174:175], v[64:65]
	v_add_f64 v[188:189], v[188:189], v[190:191]
	s_waitcnt vmcnt(10) lgkmcnt(1)
	v_mul_f64 v[190:191], v[176:177], v[70:71]
	v_fmac_f64_e32 v[190:191], v[178:179], v[68:69]
	v_mul_f64 v[186:187], v[214:215], v[186:187]
	v_fma_f64 v[240:241], v[212:213], v[184:185], -v[186:187]
	ds_read_b128 v[184:187], v2 offset:1280
	v_add_f64 v[188:189], v[188:189], v[190:191]
	s_waitcnt vmcnt(9) lgkmcnt(1)
	v_mul_f64 v[190:191], v[180:181], v[74:75]
	v_fmac_f64_e32 v[190:191], v[182:183], v[72:73]
	v_add_f64 v[200:201], v[188:189], v[190:191]
	ds_read_b128 v[188:191], v2 offset:1296
	v_mul_f64 v[194:195], v[222:223], v[194:195]
	v_fma_f64 v[232:233], v[220:221], v[192:193], -v[194:195]
	ds_read_b128 v[192:195], v2 offset:1312
	s_waitcnt vmcnt(8) lgkmcnt(2)
	v_mul_f64 v[202:203], v[184:185], v[78:79]
	v_fmac_f64_e32 v[202:203], v[186:187], v[76:77]
	v_add_f64 v[200:201], v[200:201], v[202:203]
	s_waitcnt vmcnt(7) lgkmcnt(1)
	v_mul_f64 v[202:203], v[188:189], v[82:83]
	v_fmac_f64_e32 v[202:203], v[190:191], v[80:81]
	v_mul_f64 v[198:199], v[226:227], v[198:199]
	v_add_f64 v[200:201], v[200:201], v[202:203]
	v_fma_f64 v[234:235], v[224:225], v[196:197], -v[198:199]
	ds_read_b128 v[196:199], v2 offset:1328
	s_waitcnt vmcnt(6) lgkmcnt(1)
	v_mul_f64 v[202:203], v[192:193], v[86:87]
	v_fmac_f64_e32 v[202:203], v[194:195], v[84:85]
	v_add_f64 v[212:213], v[200:201], v[202:203]
	ds_read_b128 v[200:203], v2 offset:1344
	v_mul_f64 v[206:207], v[230:231], v[206:207]
	v_fma_f64 v[236:237], v[228:229], v[204:205], -v[206:207]
	ds_read_b128 v[204:207], v2 offset:1360
	s_waitcnt vmcnt(5) lgkmcnt(2)
	v_mul_f64 v[214:215], v[196:197], v[94:95]
	v_fmac_f64_e32 v[214:215], v[198:199], v[92:93]
	v_add_f64 v[212:213], v[212:213], v[214:215]
	s_waitcnt vmcnt(4) lgkmcnt(1)
	v_mul_f64 v[214:215], v[200:201], v[90:91]
	v_fmac_f64_e32 v[214:215], v[202:203], v[88:89]
	v_mul_f64 v[210:211], v[248:249], v[210:211]
	v_fma_f64 v[238:239], v[246:247], v[208:209], -v[210:211]
	ds_read_b128 v[208:211], v2 offset:1376
	v_add_f64 v[212:213], v[212:213], v[214:215]
	s_waitcnt vmcnt(3) lgkmcnt(1)
	v_mul_f64 v[214:215], v[204:205], v[106:107]
	v_fmac_f64_e32 v[214:215], v[206:207], v[104:105]
	v_add_f64 v[220:221], v[212:213], v[214:215]
	ds_read_b128 v[212:215], v2 offset:1392
	v_mul_f64 v[218:219], v[252:253], v[218:219]
	v_fma_f64 v[246:247], v[250:251], v[216:217], -v[218:219]
	ds_read_b128 v[216:219], v2 offset:1408
	ds_read_b128 v[224:227], v2 offset:1424
	s_waitcnt vmcnt(2) lgkmcnt(3)
	v_mul_f64 v[222:223], v[208:209], v[110:111]
	v_fmac_f64_e32 v[222:223], v[210:211], v[108:109]
	v_add_f64 v[220:221], v[220:221], v[222:223]
	s_waitcnt vmcnt(1) lgkmcnt(2)
	v_mul_f64 v[222:223], v[212:213], v[122:123]
	v_fmac_f64_e32 v[222:223], v[214:215], v[120:121]
	v_add_f64 v[220:221], v[220:221], v[222:223]
	s_waitcnt vmcnt(0) lgkmcnt(1)
	v_mul_f64 v[222:223], v[216:217], v[134:135]
	v_fmac_f64_e32 v[222:223], v[218:219], v[132:133]
	v_add_f64 v[228:229], v[220:221], v[222:223]
	scratch_load_dwordx4 v[220:223], off, off offset:720
	v_mul_f64 v[6:7], v[142:143], v[6:7]
	v_fma_f64 v[4:5], v[140:141], v[4:5], -v[6:7]
	v_mul_f64 v[6:7], v[138:139], v[10:11]
	v_fma_f64 v[6:7], v[136:137], v[8:9], -v[6:7]
	s_waitcnt vmcnt(0) lgkmcnt(0)
	v_mul_f64 v[230:231], v[224:225], v[222:223]
	v_fmac_f64_e32 v[230:231], v[226:227], v[220:221]
	v_add_f64 v[250:251], v[228:229], v[230:231]
	v_add_f64 v[228:229], v[242:243], 0
	;; [unrolled: 1-line block ×6, first 2 shown]
	scratch_load_dwordx4 v[228:231], off, off offset:128
	v_add_f64 v[232:233], v[248:249], v[234:235]
	v_add_f64 v[232:233], v[232:233], v[236:237]
	v_add_f64 v[232:233], v[232:233], v[238:239]
	v_add_f64 v[232:233], v[232:233], v[246:247]
	v_add_f64 v[4:5], v[232:233], v[4:5]
	v_add_f64 v[4:5], v[4:5], v[6:7]
	v_mul_f64 v[6:7], v[130:131], v[14:15]
	v_fma_f64 v[6:7], v[128:129], v[12:13], -v[6:7]
	v_add_f64 v[4:5], v[4:5], v[6:7]
	v_mul_f64 v[6:7], v[126:127], v[18:19]
	v_fma_f64 v[6:7], v[124:125], v[16:17], -v[6:7]
	v_add_f64 v[4:5], v[4:5], v[6:7]
	;; [unrolled: 3-line block ×26, first 2 shown]
	s_waitcnt vmcnt(0)
	v_add_f64 v[4:5], v[228:229], -v[4:5]
	v_add_f64 v[6:7], v[230:231], -v[250:251]
	scratch_store_dwordx4 off, v[4:7], off offset:128
	s_and_saveexec_b64 s[0:1], vcc
	s_cbranch_execz .LBB108_271
; %bb.270:
	scratch_load_dwordx4 v[6:9], off, s55
	v_mov_b32_e32 v3, v2
	v_mov_b32_e32 v4, v2
	;; [unrolled: 1-line block ×3, first 2 shown]
	v_accvgpr_read_b32 v0, a91
	scratch_store_dwordx4 off, v[2:5], off offset:112
	s_waitcnt vmcnt(1)
	ds_write_b128 v0, v[6:9]
.LBB108_271:
	s_or_b64 exec, exec, s[0:1]
	s_waitcnt lgkmcnt(0)
	; wave barrier
	scratch_load_dwordx4 v[168:171], off, off offset:128
	scratch_load_dwordx4 v[172:175], off, off offset:144
	;; [unrolled: 1-line block ×16, first 2 shown]
	ds_read_b128 v[232:235], v2 offset:832
	ds_read_b128 v[176:179], v2 offset:848
	scratch_load_dwordx4 v[32:35], off, off offset:384
	ds_read_b128 v[236:239], v2 offset:864
	ds_read_b128 v[188:191], v2 offset:880
	;; [unrolled: 1-line block ×5, first 2 shown]
	scratch_load_dwordx4 v[36:39], off, off offset:400
	ds_read_b128 v[224:227], v2 offset:944
	ds_read_b128 v[220:223], v2 offset:960
	;; [unrolled: 1-line block ×3, first 2 shown]
	scratch_load_dwordx4 v[40:43], off, off offset:416
	ds_read_b128 v[64:67], v2 offset:992
	ds_read_b128 v[60:63], v2 offset:1008
	;; [unrolled: 1-line block ×4, first 2 shown]
	scratch_load_dwordx4 v[48:51], off, off offset:432
	ds_read_b128 v[80:83], v2 offset:1056
	ds_read_b128 v[72:75], v2 offset:1072
	;; [unrolled: 1-line block ×3, first 2 shown]
	scratch_load_dwordx4 v[76:79], off, off offset:448
	scratch_load_dwordx4 v[84:87], off, off offset:464
	;; [unrolled: 1-line block ×12, first 2 shown]
	v_accvgpr_read_b32 v0, a90
	v_cmp_lt_u32_e32 vcc, 5, v0
	s_waitcnt vmcnt(31) lgkmcnt(14)
	v_mul_f64 v[128:129], v[232:233], v[170:171]
	s_waitcnt vmcnt(30)
	v_mul_f64 v[130:131], v[176:177], v[174:175]
	v_fmac_f64_e32 v[128:129], v[234:235], v[168:169]
	s_waitcnt vmcnt(29)
	v_mul_f64 v[132:133], v[236:237], v[182:183]
	v_fmac_f64_e32 v[130:131], v[178:179], v[172:173]
	v_add_f64 v[128:129], v[128:129], 0
	s_waitcnt vmcnt(28) lgkmcnt(13)
	v_mul_f64 v[134:135], v[188:189], v[186:187]
	v_fmac_f64_e32 v[132:133], v[238:239], v[180:181]
	v_add_f64 v[128:129], v[128:129], v[130:131]
	s_waitcnt vmcnt(27) lgkmcnt(12)
	;; [unrolled: 4-line block ×13, first 2 shown]
	v_mul_f64 v[158:159], v[72:73], v[30:31]
	v_fmac_f64_e32 v[156:157], v[82:83], v[24:25]
	v_add_f64 v[128:129], v[128:129], v[154:155]
	v_add_f64 v[128:129], v[128:129], v[156:157]
	v_fmac_f64_e32 v[158:159], v[74:75], v[28:29]
	v_add_f64 v[132:133], v[128:129], v[158:159]
	ds_read_b128 v[144:147], v2 offset:1104
	ds_read_b128 v[148:151], v2 offset:1120
	scratch_load_dwordx4 v[128:131], off, off offset:640
	s_waitcnt vmcnt(16) lgkmcnt(2)
	v_mul_f64 v[134:135], v[68:69], v[34:35]
	v_fmac_f64_e32 v[134:135], v[70:71], v[32:33]
	s_waitcnt vmcnt(15) lgkmcnt(1)
	v_mul_f64 v[138:139], v[144:145], v[38:39]
	v_add_f64 v[136:137], v[132:133], v[134:135]
	scratch_load_dwordx4 v[132:135], off, off offset:656
	v_fmac_f64_e32 v[138:139], v[146:147], v[36:37]
	v_add_f64 v[140:141], v[136:137], v[138:139]
	s_waitcnt vmcnt(15) lgkmcnt(0)
	v_mul_f64 v[142:143], v[148:149], v[42:43]
	scratch_load_dwordx4 v[136:139], off, off offset:672
	v_fmac_f64_e32 v[142:143], v[150:151], v[40:41]
	v_add_f64 v[160:161], v[140:141], v[142:143]
	scratch_load_dwordx4 v[140:143], off, off offset:688
	ds_read_b128 v[152:155], v2 offset:1136
	ds_read_b128 v[156:159], v2 offset:1152
	v_mul_f64 v[170:171], v[234:235], v[170:171]
	v_mul_f64 v[174:175], v[178:179], v[174:175]
	;; [unrolled: 1-line block ×3, first 2 shown]
	s_waitcnt vmcnt(16) lgkmcnt(1)
	v_mul_f64 v[162:163], v[152:153], v[50:51]
	v_fmac_f64_e32 v[162:163], v[154:155], v[48:49]
	v_add_f64 v[164:165], v[160:161], v[162:163]
	ds_read_b128 v[160:163], v2 offset:1168
	s_waitcnt vmcnt(15) lgkmcnt(1)
	v_mul_f64 v[166:167], v[156:157], v[78:79]
	v_fmac_f64_e32 v[166:167], v[158:159], v[76:77]
	v_add_f64 v[240:241], v[164:165], v[166:167]
	ds_read_b128 v[164:167], v2 offset:1184
	s_waitcnt vmcnt(14) lgkmcnt(1)
	v_mul_f64 v[242:243], v[160:161], v[86:87]
	v_fmac_f64_e32 v[242:243], v[162:163], v[84:85]
	v_add_f64 v[240:241], v[240:241], v[242:243]
	v_fma_f64 v[242:243], v[232:233], v[168:169], -v[170:171]
	ds_read_b128 v[168:171], v2 offset:1200
	s_waitcnt vmcnt(13) lgkmcnt(1)
	v_mul_f64 v[232:233], v[164:165], v[90:91]
	v_fmac_f64_e32 v[232:233], v[166:167], v[88:89]
	v_add_f64 v[232:233], v[240:241], v[232:233]
	v_fma_f64 v[240:241], v[176:177], v[172:173], -v[174:175]
	ds_read_b128 v[172:175], v2 offset:1216
	s_waitcnt vmcnt(12) lgkmcnt(1)
	v_mul_f64 v[176:177], v[168:169], v[94:95]
	v_fmac_f64_e32 v[176:177], v[170:171], v[92:93]
	v_add_f64 v[232:233], v[232:233], v[176:177]
	ds_read_b128 v[176:179], v2 offset:1232
	v_fma_f64 v[236:237], v[236:237], v[180:181], -v[182:183]
	ds_read_b128 v[180:183], v2 offset:1248
	s_waitcnt vmcnt(11) lgkmcnt(2)
	v_mul_f64 v[234:235], v[172:173], v[98:99]
	v_fmac_f64_e32 v[234:235], v[174:175], v[96:97]
	v_add_f64 v[232:233], v[232:233], v[234:235]
	s_waitcnt vmcnt(10) lgkmcnt(1)
	v_mul_f64 v[234:235], v[176:177], v[102:103]
	v_fmac_f64_e32 v[234:235], v[178:179], v[100:101]
	v_mul_f64 v[186:187], v[190:191], v[186:187]
	s_waitcnt vmcnt(9) lgkmcnt(0)
	v_mul_f64 v[190:191], v[180:181], v[106:107]
	v_fma_f64 v[238:239], v[188:189], v[184:185], -v[186:187]
	ds_read_b128 v[184:187], v2 offset:1264
	v_add_f64 v[188:189], v[232:233], v[234:235]
	v_fmac_f64_e32 v[190:191], v[182:183], v[104:105]
	v_add_f64 v[232:233], v[188:189], v[190:191]
	ds_read_b128 v[188:191], v2 offset:1280
	v_mul_f64 v[194:195], v[230:231], v[194:195]
	v_fma_f64 v[244:245], v[228:229], v[192:193], -v[194:195]
	ds_read_b128 v[192:195], v2 offset:1296
	s_waitcnt vmcnt(8) lgkmcnt(2)
	v_mul_f64 v[234:235], v[184:185], v[110:111]
	v_fmac_f64_e32 v[234:235], v[186:187], v[108:109]
	s_waitcnt vmcnt(7) lgkmcnt(1)
	v_mul_f64 v[228:229], v[188:189], v[114:115]
	v_mul_f64 v[198:199], v[202:203], v[198:199]
	v_add_f64 v[232:233], v[232:233], v[234:235]
	v_fmac_f64_e32 v[228:229], v[190:191], v[112:113]
	v_fma_f64 v[250:251], v[200:201], v[196:197], -v[198:199]
	ds_read_b128 v[196:199], v2 offset:1312
	s_waitcnt vmcnt(6) lgkmcnt(1)
	v_mul_f64 v[200:201], v[192:193], v[118:119]
	v_add_f64 v[228:229], v[232:233], v[228:229]
	v_fmac_f64_e32 v[200:201], v[194:195], v[116:117]
	v_add_f64 v[228:229], v[228:229], v[200:201]
	ds_read_b128 v[200:203], v2 offset:1328
	v_mul_f64 v[206:207], v[214:215], v[206:207]
	v_add_f64 v[242:243], v[242:243], 0
	v_fma_f64 v[252:253], v[212:213], v[204:205], -v[206:207]
	ds_read_b128 v[204:207], v2 offset:1344
	v_add_f64 v[240:241], v[242:243], v[240:241]
	v_add_f64 v[236:237], v[240:241], v[236:237]
	;; [unrolled: 1-line block ×3, first 2 shown]
	s_waitcnt vmcnt(5) lgkmcnt(2)
	v_mul_f64 v[230:231], v[196:197], v[126:127]
	v_add_f64 v[236:237], v[236:237], v[244:245]
	v_fmac_f64_e32 v[230:231], v[198:199], v[124:125]
	s_waitcnt vmcnt(4) lgkmcnt(1)
	v_mul_f64 v[212:213], v[200:201], v[122:123]
	v_add_f64 v[236:237], v[236:237], v[250:251]
	v_add_f64 v[228:229], v[228:229], v[230:231]
	v_fmac_f64_e32 v[212:213], v[202:203], v[120:121]
	v_mul_f64 v[210:211], v[226:227], v[210:211]
	v_add_f64 v[250:251], v[236:237], v[252:253]
	scratch_load_dwordx4 v[236:239], off, off offset:112
	s_waitcnt vmcnt(4) lgkmcnt(0)
	v_mul_f64 v[214:215], v[204:205], v[130:131]
	v_fma_f64 v[246:247], v[224:225], v[208:209], -v[210:211]
	ds_read_b128 v[208:211], v2 offset:1360
	v_add_f64 v[212:213], v[228:229], v[212:213]
	v_fmac_f64_e32 v[214:215], v[206:207], v[128:129]
	v_add_f64 v[224:225], v[212:213], v[214:215]
	ds_read_b128 v[212:215], v2 offset:1376
	v_mul_f64 v[218:219], v[222:223], v[218:219]
	v_fma_f64 v[248:249], v[220:221], v[216:217], -v[218:219]
	ds_read_b128 v[216:219], v2 offset:1392
	s_waitcnt vmcnt(3) lgkmcnt(2)
	v_mul_f64 v[220:221], v[208:209], v[134:135]
	v_fmac_f64_e32 v[220:221], v[210:211], v[132:133]
	s_waitcnt vmcnt(2) lgkmcnt(1)
	v_mul_f64 v[222:223], v[212:213], v[138:139]
	v_add_f64 v[220:221], v[224:225], v[220:221]
	v_fmac_f64_e32 v[222:223], v[214:215], v[136:137]
	v_add_f64 v[220:221], v[220:221], v[222:223]
	ds_read_b128 v[224:227], v2 offset:1408
	scratch_load_dwordx4 v[232:235], off, off offset:720
	s_waitcnt vmcnt(2) lgkmcnt(1)
	v_mul_f64 v[222:223], v[216:217], v[142:143]
	v_fmac_f64_e32 v[222:223], v[218:219], v[140:141]
	v_add_f64 v[228:229], v[220:221], v[222:223]
	scratch_load_dwordx4 v[220:223], off, off offset:704
	v_add_f64 v[240:241], v[250:251], v[246:247]
	v_mul_f64 v[6:7], v[46:47], v[6:7]
	v_add_f64 v[240:241], v[240:241], v[248:249]
	v_fma_f64 v[4:5], v[44:45], v[4:5], -v[6:7]
	v_mul_f64 v[6:7], v[66:67], v[10:11]
	v_add_f64 v[4:5], v[240:241], v[4:5]
	v_fma_f64 v[6:7], v[64:65], v[8:9], -v[6:7]
	v_add_f64 v[4:5], v[4:5], v[6:7]
	v_mul_f64 v[6:7], v[62:63], v[14:15]
	v_fma_f64 v[6:7], v[60:61], v[12:13], -v[6:7]
	v_add_f64 v[4:5], v[4:5], v[6:7]
	v_mul_f64 v[6:7], v[58:59], v[18:19]
	v_fma_f64 v[6:7], v[56:57], v[16:17], -v[6:7]
	v_add_f64 v[4:5], v[4:5], v[6:7]
	v_mul_f64 v[6:7], v[54:55], v[22:23]
	v_fma_f64 v[6:7], v[52:53], v[20:21], -v[6:7]
	v_add_f64 v[4:5], v[4:5], v[6:7]
	v_mul_f64 v[6:7], v[82:83], v[26:27]
	v_fma_f64 v[6:7], v[80:81], v[24:25], -v[6:7]
	v_add_f64 v[4:5], v[4:5], v[6:7]
	v_mul_f64 v[6:7], v[74:75], v[30:31]
	v_fma_f64 v[6:7], v[72:73], v[28:29], -v[6:7]
	v_add_f64 v[4:5], v[4:5], v[6:7]
	v_mul_f64 v[6:7], v[70:71], v[34:35]
	v_fma_f64 v[6:7], v[68:69], v[32:33], -v[6:7]
	v_add_f64 v[4:5], v[4:5], v[6:7]
	v_mul_f64 v[6:7], v[146:147], v[38:39]
	v_fma_f64 v[6:7], v[144:145], v[36:37], -v[6:7]
	v_add_f64 v[4:5], v[4:5], v[6:7]
	v_mul_f64 v[6:7], v[150:151], v[42:43]
	v_fma_f64 v[6:7], v[148:149], v[40:41], -v[6:7]
	v_add_f64 v[4:5], v[4:5], v[6:7]
	v_mul_f64 v[6:7], v[154:155], v[50:51]
	v_fma_f64 v[6:7], v[152:153], v[48:49], -v[6:7]
	v_add_f64 v[4:5], v[4:5], v[6:7]
	v_mul_f64 v[6:7], v[158:159], v[78:79]
	v_fma_f64 v[6:7], v[156:157], v[76:77], -v[6:7]
	v_add_f64 v[4:5], v[4:5], v[6:7]
	v_mul_f64 v[6:7], v[162:163], v[86:87]
	v_fma_f64 v[6:7], v[160:161], v[84:85], -v[6:7]
	v_add_f64 v[4:5], v[4:5], v[6:7]
	v_mul_f64 v[6:7], v[166:167], v[90:91]
	v_fma_f64 v[6:7], v[164:165], v[88:89], -v[6:7]
	v_add_f64 v[4:5], v[4:5], v[6:7]
	v_mul_f64 v[6:7], v[170:171], v[94:95]
	v_fma_f64 v[6:7], v[168:169], v[92:93], -v[6:7]
	v_add_f64 v[4:5], v[4:5], v[6:7]
	v_mul_f64 v[6:7], v[174:175], v[98:99]
	v_fma_f64 v[6:7], v[172:173], v[96:97], -v[6:7]
	v_add_f64 v[4:5], v[4:5], v[6:7]
	v_mul_f64 v[6:7], v[178:179], v[102:103]
	v_fma_f64 v[6:7], v[176:177], v[100:101], -v[6:7]
	v_add_f64 v[4:5], v[4:5], v[6:7]
	v_mul_f64 v[6:7], v[182:183], v[106:107]
	v_fma_f64 v[6:7], v[180:181], v[104:105], -v[6:7]
	v_add_f64 v[4:5], v[4:5], v[6:7]
	v_mul_f64 v[6:7], v[186:187], v[110:111]
	v_fma_f64 v[6:7], v[184:185], v[108:109], -v[6:7]
	v_add_f64 v[4:5], v[4:5], v[6:7]
	v_mul_f64 v[6:7], v[190:191], v[114:115]
	v_fma_f64 v[6:7], v[188:189], v[112:113], -v[6:7]
	v_add_f64 v[4:5], v[4:5], v[6:7]
	v_mul_f64 v[6:7], v[194:195], v[118:119]
	v_fma_f64 v[6:7], v[192:193], v[116:117], -v[6:7]
	v_add_f64 v[4:5], v[4:5], v[6:7]
	v_mul_f64 v[6:7], v[198:199], v[126:127]
	v_fma_f64 v[6:7], v[196:197], v[124:125], -v[6:7]
	v_add_f64 v[4:5], v[4:5], v[6:7]
	v_mul_f64 v[6:7], v[202:203], v[122:123]
	v_fma_f64 v[6:7], v[200:201], v[120:121], -v[6:7]
	v_add_f64 v[4:5], v[4:5], v[6:7]
	v_mul_f64 v[6:7], v[206:207], v[130:131]
	v_fma_f64 v[6:7], v[204:205], v[128:129], -v[6:7]
	v_add_f64 v[4:5], v[4:5], v[6:7]
	v_mul_f64 v[6:7], v[210:211], v[134:135]
	v_fma_f64 v[6:7], v[208:209], v[132:133], -v[6:7]
	v_add_f64 v[4:5], v[4:5], v[6:7]
	v_mul_f64 v[6:7], v[214:215], v[138:139]
	v_fma_f64 v[6:7], v[212:213], v[136:137], -v[6:7]
	s_waitcnt vmcnt(0) lgkmcnt(0)
	v_mul_f64 v[230:231], v[224:225], v[222:223]
	v_fmac_f64_e32 v[230:231], v[226:227], v[220:221]
	v_add_f64 v[254:255], v[228:229], v[230:231]
	ds_read_b128 v[228:231], v2 offset:1424
	v_add_f64 v[4:5], v[4:5], v[6:7]
	v_mul_f64 v[6:7], v[218:219], v[142:143]
	v_fma_f64 v[6:7], v[216:217], v[140:141], -v[6:7]
	v_add_f64 v[4:5], v[4:5], v[6:7]
	v_mul_f64 v[6:7], v[226:227], v[222:223]
	v_fma_f64 v[6:7], v[224:225], v[220:221], -v[6:7]
	s_waitcnt lgkmcnt(0)
	v_mul_f64 v[2:3], v[228:229], v[234:235]
	v_add_f64 v[4:5], v[4:5], v[6:7]
	v_mul_f64 v[6:7], v[230:231], v[234:235]
	v_fmac_f64_e32 v[2:3], v[230:231], v[232:233]
	v_fma_f64 v[6:7], v[228:229], v[232:233], -v[6:7]
	v_add_f64 v[2:3], v[254:255], v[2:3]
	v_add_f64 v[4:5], v[4:5], v[6:7]
	v_add_f64 v[4:5], v[236:237], -v[4:5]
	v_add_f64 v[6:7], v[238:239], -v[2:3]
	scratch_store_dwordx4 off, v[4:7], off offset:112
	s_and_saveexec_b64 s[0:1], vcc
	s_cbranch_execz .LBB108_273
; %bb.272:
	scratch_load_dwordx4 v[2:5], off, s56
	v_mov_b32_e32 v6, 0
	v_mov_b32_e32 v7, v6
	;; [unrolled: 1-line block ×4, first 2 shown]
	v_accvgpr_read_b32 v0, a91
	scratch_store_dwordx4 off, v[6:9], off offset:96
	s_waitcnt vmcnt(1)
	ds_write_b128 v0, v[2:5]
.LBB108_273:
	s_or_b64 exec, exec, s[0:1]
	s_waitcnt lgkmcnt(0)
	; wave barrier
	scratch_load_dwordx4 v[80:83], off, off offset:112
	scratch_load_dwordx4 v[84:87], off, off offset:128
	;; [unrolled: 1-line block ×31, first 2 shown]
	v_mov_b32_e32 v2, 0
	ds_read_b128 v[196:199], v2 offset:816
	ds_read_b128 v[200:203], v2 offset:832
	;; [unrolled: 1-line block ×20, first 2 shown]
	s_waitcnt vmcnt(30) lgkmcnt(14)
	v_mul_f64 v[140:141], v[196:197], v[82:83]
	s_waitcnt vmcnt(29)
	v_mul_f64 v[142:143], v[200:201], v[86:87]
	v_fmac_f64_e32 v[140:141], v[198:199], v[80:81]
	s_waitcnt vmcnt(28)
	v_mul_f64 v[152:153], v[204:205], v[90:91]
	v_fmac_f64_e32 v[142:143], v[202:203], v[84:85]
	v_add_f64 v[140:141], v[140:141], 0
	s_waitcnt vmcnt(27)
	v_mul_f64 v[154:155], v[208:209], v[94:95]
	v_fmac_f64_e32 v[152:153], v[206:207], v[88:89]
	v_add_f64 v[140:141], v[140:141], v[142:143]
	;; [unrolled: 4-line block ×4, first 2 shown]
	s_waitcnt vmcnt(24) lgkmcnt(13)
	v_mul_f64 v[164:165], v[220:221], v[106:107]
	v_fmac_f64_e32 v[162:163], v[218:219], v[100:101]
	v_add_f64 v[140:141], v[140:141], v[160:161]
	s_waitcnt vmcnt(23) lgkmcnt(12)
	v_mul_f64 v[166:167], v[224:225], v[110:111]
	v_fmac_f64_e32 v[164:165], v[222:223], v[104:105]
	v_add_f64 v[140:141], v[140:141], v[162:163]
	;; [unrolled: 4-line block ×8, first 2 shown]
	v_fmac_f64_e32 v[178:179], v[146:147], v[12:13]
	v_add_f64 v[140:141], v[140:141], v[176:177]
	v_add_f64 v[140:141], v[140:141], v[178:179]
	ds_read_b128 v[176:179], v2 offset:1088
	s_waitcnt vmcnt(16) lgkmcnt(6)
	v_mul_f64 v[180:181], v[136:137], v[18:19]
	s_waitcnt vmcnt(15) lgkmcnt(5)
	v_mul_f64 v[182:183], v[132:133], v[22:23]
	v_fmac_f64_e32 v[180:181], v[138:139], v[16:17]
	v_add_f64 v[152:153], v[140:141], v[180:181]
	v_fmac_f64_e32 v[182:183], v[134:135], v[20:21]
	scratch_load_dwordx4 v[140:143], off, off offset:608
	s_waitcnt vmcnt(15) lgkmcnt(4)
	v_mul_f64 v[154:155], v[128:129], v[26:27]
	v_add_f64 v[152:153], v[152:153], v[182:183]
	v_fmac_f64_e32 v[154:155], v[130:131], v[24:25]
	v_add_f64 v[160:161], v[152:153], v[154:155]
	ds_read_b128 v[180:183], v2 offset:1104
	s_waitcnt vmcnt(14) lgkmcnt(1)
	v_mul_f64 v[162:163], v[176:177], v[30:31]
	scratch_load_dwordx4 v[152:155], off, off offset:624
	v_fmac_f64_e32 v[162:163], v[178:179], v[28:29]
	v_add_f64 v[164:165], v[160:161], v[162:163]
	scratch_load_dwordx4 v[160:163], off, off offset:640
	s_waitcnt vmcnt(15) lgkmcnt(0)
	v_mul_f64 v[166:167], v[180:181], v[34:35]
	v_fmac_f64_e32 v[166:167], v[182:183], v[32:33]
	v_add_f64 v[168:169], v[164:165], v[166:167]
	s_waitcnt vmcnt(14)
	v_mul_f64 v[170:171], v[184:185], v[38:39]
	scratch_load_dwordx4 v[164:167], off, off offset:656
	v_fmac_f64_e32 v[170:171], v[186:187], v[36:37]
	v_add_f64 v[168:169], v[168:169], v[170:171]
	s_waitcnt vmcnt(14)
	v_mul_f64 v[170:171], v[188:189], v[42:43]
	scratch_load_dwordx4 v[172:175], off, off offset:672
	v_fmac_f64_e32 v[170:171], v[190:191], v[40:41]
	v_add_f64 v[232:233], v[168:169], v[170:171]
	scratch_load_dwordx4 v[168:171], off, off offset:688
	v_mul_f64 v[82:83], v[198:199], v[82:83]
	v_fma_f64 v[240:241], v[196:197], v[80:81], -v[82:83]
	ds_read_b128 v[196:199], v2 offset:1168
	s_waitcnt vmcnt(15)
	v_mul_f64 v[80:81], v[192:193], v[46:47]
	v_fmac_f64_e32 v[80:81], v[194:195], v[44:45]
	v_add_f64 v[232:233], v[232:233], v[80:81]
	v_mul_f64 v[80:81], v[202:203], v[86:87]
	v_fma_f64 v[242:243], v[200:201], v[84:85], -v[80:81]
	scratch_load_dwordx4 v[80:83], off, off offset:704
	ds_read_b128 v[84:87], v2 offset:1184
	v_mul_f64 v[90:91], v[206:207], v[90:91]
	v_fma_f64 v[244:245], v[204:205], v[88:89], -v[90:91]
	ds_read_b128 v[88:91], v2 offset:1200
	s_waitcnt vmcnt(15) lgkmcnt(2)
	v_mul_f64 v[200:201], v[196:197], v[50:51]
	v_fmac_f64_e32 v[200:201], v[198:199], v[48:49]
	s_waitcnt vmcnt(14) lgkmcnt(1)
	v_mul_f64 v[202:203], v[84:85], v[54:55]
	v_add_f64 v[200:201], v[232:233], v[200:201]
	v_fmac_f64_e32 v[202:203], v[86:87], v[52:53]
	v_mul_f64 v[94:95], v[210:211], v[94:95]
	v_fma_f64 v[254:255], v[208:209], v[92:93], -v[94:95]
	ds_read_b128 v[92:95], v2 offset:1216
	v_add_f64 v[200:201], v[200:201], v[202:203]
	s_waitcnt vmcnt(13) lgkmcnt(1)
	v_mul_f64 v[202:203], v[88:89], v[58:59]
	v_fmac_f64_e32 v[202:203], v[90:91], v[56:57]
	v_add_f64 v[204:205], v[200:201], v[202:203]
	ds_read_b128 v[200:203], v2 offset:1232
	v_mul_f64 v[98:99], v[214:215], v[98:99]
	v_fma_f64 v[232:233], v[212:213], v[96:97], -v[98:99]
	ds_read_b128 v[96:99], v2 offset:1248
	s_waitcnt vmcnt(12) lgkmcnt(2)
	v_mul_f64 v[206:207], v[92:93], v[62:63]
	v_fmac_f64_e32 v[206:207], v[94:95], v[60:61]
	v_add_f64 v[204:205], v[204:205], v[206:207]
	s_waitcnt vmcnt(11) lgkmcnt(1)
	v_mul_f64 v[206:207], v[200:201], v[66:67]
	v_fmac_f64_e32 v[206:207], v[202:203], v[64:65]
	v_mul_f64 v[102:103], v[218:219], v[102:103]
	v_add_f64 v[204:205], v[204:205], v[206:207]
	v_fma_f64 v[4:5], v[216:217], v[100:101], -v[102:103]
	ds_read_b128 v[100:103], v2 offset:1264
	s_waitcnt vmcnt(10) lgkmcnt(1)
	v_mul_f64 v[206:207], v[96:97], v[70:71]
	v_fmac_f64_e32 v[206:207], v[98:99], v[68:69]
	v_add_f64 v[208:209], v[204:205], v[206:207]
	ds_read_b128 v[204:207], v2 offset:1280
	v_mul_f64 v[106:107], v[222:223], v[106:107]
	v_fma_f64 v[0:1], v[220:221], v[104:105], -v[106:107]
	ds_read_b128 v[104:107], v2 offset:1296
	s_waitcnt vmcnt(9) lgkmcnt(2)
	v_mul_f64 v[210:211], v[100:101], v[74:75]
	v_fmac_f64_e32 v[210:211], v[102:103], v[72:73]
	v_add_f64 v[208:209], v[208:209], v[210:211]
	s_waitcnt vmcnt(8) lgkmcnt(1)
	v_mul_f64 v[210:211], v[204:205], v[78:79]
	v_fmac_f64_e32 v[210:211], v[206:207], v[76:77]
	v_mul_f64 v[6:7], v[226:227], v[110:111]
	v_fma_f64 v[6:7], v[224:225], v[108:109], -v[6:7]
	ds_read_b128 v[108:111], v2 offset:1312
	v_add_f64 v[208:209], v[208:209], v[210:211]
	s_waitcnt vmcnt(7) lgkmcnt(1)
	v_mul_f64 v[210:211], v[104:105], v[126:127]
	v_fmac_f64_e32 v[210:211], v[106:107], v[124:125]
	v_mul_f64 v[114:115], v[230:231], v[114:115]
	v_add_f64 v[212:213], v[208:209], v[210:211]
	ds_read_b128 v[208:211], v2 offset:1328
	v_fma_f64 v[112:113], v[228:229], v[112:113], -v[114:115]
	v_accvgpr_write_b32 a92, v112
	v_accvgpr_write_b32 a93, v113
	ds_read_b128 v[112:115], v2 offset:1344
	s_waitcnt vmcnt(6) lgkmcnt(2)
	v_mul_f64 v[214:215], v[108:109], v[142:143]
	v_fmac_f64_e32 v[214:215], v[110:111], v[140:141]
	v_add_f64 v[212:213], v[212:213], v[214:215]
	s_waitcnt vmcnt(5) lgkmcnt(1)
	v_mul_f64 v[214:215], v[208:209], v[154:155]
	v_fmac_f64_e32 v[214:215], v[210:211], v[152:153]
	v_mul_f64 v[118:119], v[248:249], v[118:119]
	v_add_f64 v[212:213], v[212:213], v[214:215]
	v_fma_f64 v[238:239], v[246:247], v[116:117], -v[118:119]
	ds_read_b128 v[116:119], v2 offset:1360
	s_waitcnt vmcnt(4) lgkmcnt(1)
	v_mul_f64 v[214:215], v[112:113], v[162:163]
	v_fmac_f64_e32 v[214:215], v[114:115], v[160:161]
	v_add_f64 v[216:217], v[212:213], v[214:215]
	ds_read_b128 v[212:215], v2 offset:1376
	v_mul_f64 v[122:123], v[252:253], v[122:123]
	v_fma_f64 v[246:247], v[250:251], v[120:121], -v[122:123]
	ds_read_b128 v[120:123], v2 offset:1392
	s_waitcnt vmcnt(3) lgkmcnt(2)
	v_mul_f64 v[218:219], v[116:117], v[166:167]
	v_fmac_f64_e32 v[218:219], v[118:119], v[164:165]
	v_add_f64 v[216:217], v[216:217], v[218:219]
	s_waitcnt vmcnt(2) lgkmcnt(1)
	v_mul_f64 v[218:219], v[212:213], v[174:175]
	v_fmac_f64_e32 v[218:219], v[214:215], v[172:173]
	v_add_f64 v[216:217], v[216:217], v[218:219]
	;; [unrolled: 4-line block ×3, first 2 shown]
	ds_read_b128 v[216:219], v2 offset:1408
	ds_read_b128 v[224:227], v2 offset:1424
	s_waitcnt vmcnt(0) lgkmcnt(1)
	v_mul_f64 v[222:223], v[216:217], v[82:83]
	v_fmac_f64_e32 v[222:223], v[218:219], v[80:81]
	v_add_f64 v[228:229], v[220:221], v[222:223]
	scratch_load_dwordx4 v[220:223], off, off offset:720
	s_waitcnt vmcnt(0) lgkmcnt(0)
	v_mul_f64 v[230:231], v[224:225], v[222:223]
	v_fmac_f64_e32 v[230:231], v[226:227], v[220:221]
	v_add_f64 v[250:251], v[228:229], v[230:231]
	v_add_f64 v[228:229], v[240:241], 0
	;; [unrolled: 1-line block ×7, first 2 shown]
	scratch_load_dwordx4 v[228:231], off, off offset:96
	v_add_f64 v[248:249], v[4:5], v[0:1]
	v_accvgpr_read_b32 v4, a92
	v_add_f64 v[0:1], v[248:249], v[6:7]
	v_accvgpr_read_b32 v5, a93
	v_add_f64 v[0:1], v[0:1], v[4:5]
	v_add_f64 v[0:1], v[0:1], v[238:239]
	v_mul_f64 v[4:5], v[158:159], v[236:237]
	v_add_f64 v[0:1], v[0:1], v[246:247]
	v_fma_f64 v[4:5], v[156:157], v[234:235], -v[4:5]
	v_add_f64 v[0:1], v[0:1], v[4:5]
	v_mul_f64 v[4:5], v[150:151], v[10:11]
	v_fma_f64 v[4:5], v[148:149], v[8:9], -v[4:5]
	v_add_f64 v[0:1], v[0:1], v[4:5]
	v_mul_f64 v[4:5], v[146:147], v[14:15]
	;; [unrolled: 3-line block ×27, first 2 shown]
	v_fma_f64 v[4:5], v[224:225], v[220:221], -v[4:5]
	v_add_f64 v[0:1], v[0:1], v[4:5]
	s_waitcnt vmcnt(0)
	v_add_f64 v[4:5], v[228:229], -v[0:1]
	v_accvgpr_read_b32 v0, a90
	v_add_f64 v[6:7], v[230:231], -v[250:251]
	v_cmp_lt_u32_e32 vcc, 4, v0
	scratch_store_dwordx4 off, v[4:7], off offset:96
	s_and_saveexec_b64 s[0:1], vcc
	s_cbranch_execz .LBB108_275
; %bb.274:
	scratch_load_dwordx4 v[6:9], off, s57
	v_mov_b32_e32 v3, v2
	v_mov_b32_e32 v4, v2
	;; [unrolled: 1-line block ×3, first 2 shown]
	v_accvgpr_read_b32 v0, a91
	scratch_store_dwordx4 off, v[2:5], off offset:80
	s_waitcnt vmcnt(1)
	ds_write_b128 v0, v[6:9]
.LBB108_275:
	s_or_b64 exec, exec, s[0:1]
	s_waitcnt lgkmcnt(0)
	; wave barrier
	scratch_load_dwordx4 v[132:135], off, off offset:96
	scratch_load_dwordx4 v[160:163], off, off offset:112
	;; [unrolled: 1-line block ×16, first 2 shown]
	ds_read_b128 v[156:159], v2 offset:800
	ds_read_b128 v[172:175], v2 offset:816
	scratch_load_dwordx4 v[24:27], off, off offset:352
	ds_read_b128 v[232:235], v2 offset:832
	ds_read_b128 v[228:231], v2 offset:848
	scratch_load_dwordx4 v[28:31], off, off offset:368
	ds_read_b128 v[236:239], v2 offset:864
	ds_read_b128 v[184:187], v2 offset:880
	;; [unrolled: 1-line block ×5, first 2 shown]
	scratch_load_dwordx4 v[32:35], off, off offset:384
	ds_read_b128 v[220:223], v2 offset:944
	ds_read_b128 v[216:219], v2 offset:960
	;; [unrolled: 1-line block ×3, first 2 shown]
	scratch_load_dwordx4 v[36:39], off, off offset:400
	ds_read_b128 v[64:67], v2 offset:992
	ds_read_b128 v[60:63], v2 offset:1008
	;; [unrolled: 1-line block ×5, first 2 shown]
	scratch_load_dwordx4 v[52:55], off, off offset:416
	scratch_load_dwordx4 v[68:71], off, off offset:432
	;; [unrolled: 1-line block ×11, first 2 shown]
	ds_read_b128 v[144:147], v2 offset:1104
	ds_read_b128 v[148:151], v2 offset:1120
	;; [unrolled: 1-line block ×3, first 2 shown]
	s_waitcnt vmcnt(30) lgkmcnt(14)
	v_mul_f64 v[0:1], v[156:157], v[134:135]
	s_waitcnt vmcnt(29)
	v_mul_f64 v[108:109], v[172:173], v[162:163]
	v_fmac_f64_e32 v[0:1], v[158:159], v[132:133]
	s_waitcnt vmcnt(28)
	v_mul_f64 v[110:111], v[232:233], v[166:167]
	v_fmac_f64_e32 v[108:109], v[174:175], v[160:161]
	v_add_f64 v[0:1], v[0:1], 0
	s_waitcnt vmcnt(27)
	v_mul_f64 v[112:113], v[228:229], v[170:171]
	v_fmac_f64_e32 v[110:111], v[234:235], v[164:165]
	v_add_f64 v[0:1], v[0:1], v[108:109]
	s_waitcnt vmcnt(26)
	v_mul_f64 v[114:115], v[236:237], v[178:179]
	v_fmac_f64_e32 v[112:113], v[230:231], v[168:169]
	v_add_f64 v[0:1], v[0:1], v[110:111]
	s_waitcnt vmcnt(25)
	v_mul_f64 v[116:117], v[184:185], v[182:183]
	v_fmac_f64_e32 v[114:115], v[238:239], v[176:177]
	v_add_f64 v[0:1], v[0:1], v[112:113]
	s_waitcnt vmcnt(24) lgkmcnt(13)
	v_mul_f64 v[118:119], v[224:225], v[190:191]
	v_fmac_f64_e32 v[116:117], v[186:187], v[180:181]
	v_add_f64 v[0:1], v[0:1], v[114:115]
	s_waitcnt vmcnt(23) lgkmcnt(12)
	v_mul_f64 v[120:121], v[196:197], v[194:195]
	v_fmac_f64_e32 v[118:119], v[226:227], v[188:189]
	v_add_f64 v[0:1], v[0:1], v[116:117]
	;; [unrolled: 4-line block ×9, first 2 shown]
	v_fmac_f64_e32 v[138:139], v[58:59], v[16:17]
	v_add_f64 v[0:1], v[0:1], v[136:137]
	v_add_f64 v[0:1], v[0:1], v[138:139]
	ds_read_b128 v[136:139], v2 offset:1072
	s_waitcnt vmcnt(15) lgkmcnt(5)
	v_mul_f64 v[140:141], v[48:49], v[22:23]
	v_fmac_f64_e32 v[140:141], v[50:51], v[20:21]
	s_waitcnt vmcnt(14) lgkmcnt(4)
	v_mul_f64 v[112:113], v[44:45], v[26:27]
	scratch_load_dwordx4 v[108:111], off, off offset:592
	v_add_f64 v[0:1], v[0:1], v[140:141]
	v_fmac_f64_e32 v[112:113], v[46:47], v[24:25]
	v_add_f64 v[0:1], v[0:1], v[112:113]
	scratch_load_dwordx4 v[112:115], off, off offset:608
	ds_read_b128 v[140:143], v2 offset:1088
	s_waitcnt vmcnt(15) lgkmcnt(1)
	v_mul_f64 v[116:117], v[136:137], v[30:31]
	v_fmac_f64_e32 v[116:117], v[138:139], v[28:29]
	v_add_f64 v[0:1], v[0:1], v[116:117]
	scratch_load_dwordx4 v[116:119], off, off offset:624
	s_waitcnt vmcnt(15) lgkmcnt(0)
	v_mul_f64 v[120:121], v[140:141], v[34:35]
	v_fmac_f64_e32 v[120:121], v[142:143], v[32:33]
	s_waitcnt vmcnt(14)
	v_mul_f64 v[124:125], v[144:145], v[38:39]
	v_add_f64 v[0:1], v[0:1], v[120:121]
	scratch_load_dwordx4 v[120:123], off, off offset:640
	v_fmac_f64_e32 v[124:125], v[146:147], v[36:37]
	v_add_f64 v[0:1], v[0:1], v[124:125]
	s_waitcnt vmcnt(14)
	v_mul_f64 v[124:125], v[148:149], v[54:55]
	scratch_load_dwordx4 v[128:131], off, off offset:656
	v_fmac_f64_e32 v[124:125], v[150:151], v[52:53]
	v_add_f64 v[0:1], v[0:1], v[124:125]
	scratch_load_dwordx4 v[124:127], off, off offset:672
	v_mul_f64 v[134:135], v[158:159], v[134:135]
	v_fma_f64 v[240:241], v[156:157], v[132:133], -v[134:135]
	ds_read_b128 v[156:159], v2 offset:1152
	s_waitcnt vmcnt(15)
	v_mul_f64 v[132:133], v[152:153], v[70:71]
	v_fmac_f64_e32 v[132:133], v[154:155], v[68:69]
	v_add_f64 v[0:1], v[0:1], v[132:133]
	v_mul_f64 v[132:133], v[174:175], v[162:163]
	v_fma_f64 v[242:243], v[172:173], v[160:161], -v[132:133]
	scratch_load_dwordx4 v[132:135], off, off offset:688
	ds_read_b128 v[160:163], v2 offset:1168
	v_mul_f64 v[166:167], v[234:235], v[166:167]
	v_fma_f64 v[244:245], v[232:233], v[164:165], -v[166:167]
	ds_read_b128 v[164:167], v2 offset:1184
	s_waitcnt vmcnt(15) lgkmcnt(2)
	v_mul_f64 v[172:173], v[156:157], v[74:75]
	v_fmac_f64_e32 v[172:173], v[158:159], v[72:73]
	v_add_f64 v[0:1], v[0:1], v[172:173]
	s_waitcnt vmcnt(14) lgkmcnt(1)
	v_mul_f64 v[172:173], v[160:161], v[78:79]
	v_fmac_f64_e32 v[172:173], v[162:163], v[76:77]
	v_mul_f64 v[170:171], v[230:231], v[170:171]
	v_fma_f64 v[250:251], v[228:229], v[168:169], -v[170:171]
	ds_read_b128 v[168:171], v2 offset:1200
	v_add_f64 v[0:1], v[0:1], v[172:173]
	s_waitcnt vmcnt(13) lgkmcnt(1)
	v_mul_f64 v[172:173], v[164:165], v[82:83]
	v_fmac_f64_e32 v[172:173], v[166:167], v[80:81]
	v_add_f64 v[0:1], v[0:1], v[172:173]
	ds_read_b128 v[172:175], v2 offset:1216
	v_mul_f64 v[178:179], v[238:239], v[178:179]
	v_fma_f64 v[236:237], v[236:237], v[176:177], -v[178:179]
	ds_read_b128 v[176:179], v2 offset:1232
	s_waitcnt vmcnt(12) lgkmcnt(2)
	v_mul_f64 v[228:229], v[168:169], v[86:87]
	v_fmac_f64_e32 v[228:229], v[170:171], v[84:85]
	v_add_f64 v[0:1], v[0:1], v[228:229]
	s_waitcnt vmcnt(11) lgkmcnt(1)
	v_mul_f64 v[228:229], v[172:173], v[90:91]
	v_mul_f64 v[182:183], v[186:187], v[182:183]
	v_fmac_f64_e32 v[228:229], v[174:175], v[88:89]
	v_fma_f64 v[238:239], v[184:185], v[180:181], -v[182:183]
	ds_read_b128 v[180:183], v2 offset:1248
	s_waitcnt vmcnt(10) lgkmcnt(1)
	v_mul_f64 v[184:185], v[176:177], v[94:95]
	v_add_f64 v[0:1], v[0:1], v[228:229]
	v_fmac_f64_e32 v[184:185], v[178:179], v[92:93]
	v_add_f64 v[0:1], v[0:1], v[184:185]
	ds_read_b128 v[184:187], v2 offset:1264
	v_mul_f64 v[190:191], v[226:227], v[190:191]
	v_fma_f64 v[252:253], v[224:225], v[188:189], -v[190:191]
	ds_read_b128 v[188:191], v2 offset:1280
	s_waitcnt vmcnt(9) lgkmcnt(2)
	v_mul_f64 v[228:229], v[180:181], v[98:99]
	v_fmac_f64_e32 v[228:229], v[182:183], v[96:97]
	s_waitcnt vmcnt(8) lgkmcnt(1)
	v_mul_f64 v[224:225], v[184:185], v[102:103]
	v_mul_f64 v[194:195], v[198:199], v[194:195]
	v_add_f64 v[0:1], v[0:1], v[228:229]
	v_fmac_f64_e32 v[224:225], v[186:187], v[100:101]
	v_fma_f64 v[254:255], v[196:197], v[192:193], -v[194:195]
	s_waitcnt vmcnt(7) lgkmcnt(0)
	v_mul_f64 v[196:197], v[188:189], v[106:107]
	ds_read_b128 v[192:195], v2 offset:1296
	v_add_f64 v[0:1], v[0:1], v[224:225]
	v_fmac_f64_e32 v[196:197], v[190:191], v[104:105]
	v_add_f64 v[0:1], v[0:1], v[196:197]
	ds_read_b128 v[196:199], v2 offset:1312
	v_mul_f64 v[202:203], v[210:211], v[202:203]
	v_fma_f64 v[246:247], v[208:209], v[200:201], -v[202:203]
	ds_read_b128 v[200:203], v2 offset:1328
	s_waitcnt vmcnt(6) lgkmcnt(2)
	v_mul_f64 v[224:225], v[192:193], v[110:111]
	v_fmac_f64_e32 v[224:225], v[194:195], v[108:109]
	s_waitcnt vmcnt(5) lgkmcnt(1)
	v_mul_f64 v[208:209], v[196:197], v[114:115]
	v_add_f64 v[0:1], v[0:1], v[224:225]
	v_fmac_f64_e32 v[208:209], v[198:199], v[112:113]
	v_add_f64 v[208:209], v[0:1], v[208:209]
	v_mul_f64 v[0:1], v[222:223], v[206:207]
	v_fma_f64 v[0:1], v[220:221], v[204:205], -v[0:1]
	ds_read_b128 v[204:207], v2 offset:1344
	s_waitcnt vmcnt(4) lgkmcnt(1)
	v_mul_f64 v[210:211], v[200:201], v[118:119]
	v_fmac_f64_e32 v[210:211], v[202:203], v[116:117]
	v_add_f64 v[220:221], v[208:209], v[210:211]
	ds_read_b128 v[208:211], v2 offset:1360
	v_mul_f64 v[214:215], v[218:219], v[214:215]
	v_fma_f64 v[248:249], v[216:217], v[212:213], -v[214:215]
	ds_read_b128 v[212:215], v2 offset:1376
	s_waitcnt vmcnt(3) lgkmcnt(2)
	v_mul_f64 v[216:217], v[204:205], v[122:123]
	v_fmac_f64_e32 v[216:217], v[206:207], v[120:121]
	s_waitcnt vmcnt(2) lgkmcnt(1)
	v_mul_f64 v[218:219], v[208:209], v[130:131]
	v_add_f64 v[216:217], v[220:221], v[216:217]
	v_fmac_f64_e32 v[218:219], v[210:211], v[128:129]
	v_add_f64 v[216:217], v[216:217], v[218:219]
	s_waitcnt vmcnt(1) lgkmcnt(0)
	v_mul_f64 v[218:219], v[212:213], v[126:127]
	v_fmac_f64_e32 v[218:219], v[214:215], v[124:125]
	v_add_f64 v[220:221], v[216:217], v[218:219]
	ds_read_b128 v[216:219], v2 offset:1392
	ds_read_b128 v[224:227], v2 offset:1408
	scratch_load_dwordx4 v[232:235], off, off offset:720
	v_accvgpr_write_b32 a93, v1
	v_accvgpr_write_b32 a92, v0
	s_waitcnt vmcnt(1) lgkmcnt(1)
	v_mul_f64 v[222:223], v[216:217], v[134:135]
	v_fmac_f64_e32 v[222:223], v[218:219], v[132:133]
	v_add_f64 v[228:229], v[220:221], v[222:223]
	scratch_load_dwordx4 v[220:223], off, off offset:704
	v_mul_f64 v[6:7], v[42:43], v[6:7]
	v_fma_f64 v[4:5], v[40:41], v[4:5], -v[6:7]
	s_waitcnt vmcnt(0) lgkmcnt(0)
	v_mul_f64 v[230:231], v[224:225], v[222:223]
	v_fmac_f64_e32 v[230:231], v[226:227], v[220:221]
	v_add_f64 v[0:1], v[228:229], v[230:231]
	ds_read_b128 v[228:231], v2 offset:1424
	s_waitcnt lgkmcnt(0)
	v_mul_f64 v[2:3], v[228:229], v[234:235]
	v_fmac_f64_e32 v[2:3], v[230:231], v[232:233]
	v_add_f64 v[2:3], v[0:1], v[2:3]
	v_add_f64 v[0:1], v[240:241], 0
	;; [unrolled: 1-line block ×7, first 2 shown]
	scratch_load_dwordx4 v[236:239], off, off offset:80
	v_add_f64 v[0:1], v[0:1], v[252:253]
	v_add_f64 v[0:1], v[0:1], v[254:255]
	;; [unrolled: 1-line block ×3, first 2 shown]
	v_accvgpr_read_b32 v0, a92
	v_accvgpr_read_b32 v1, a93
	v_add_f64 v[0:1], v[250:251], v[0:1]
	v_add_f64 v[0:1], v[0:1], v[248:249]
	;; [unrolled: 1-line block ×3, first 2 shown]
	v_mul_f64 v[4:5], v[66:67], v[10:11]
	v_fma_f64 v[4:5], v[64:65], v[8:9], -v[4:5]
	v_add_f64 v[0:1], v[0:1], v[4:5]
	v_mul_f64 v[4:5], v[62:63], v[14:15]
	v_fma_f64 v[4:5], v[60:61], v[12:13], -v[4:5]
	v_add_f64 v[0:1], v[0:1], v[4:5]
	;; [unrolled: 3-line block ×28, first 2 shown]
	s_waitcnt vmcnt(0)
	v_add_f64 v[4:5], v[236:237], -v[0:1]
	v_accvgpr_read_b32 v0, a90
	v_add_f64 v[6:7], v[238:239], -v[2:3]
	v_cmp_lt_u32_e32 vcc, 3, v0
	scratch_store_dwordx4 off, v[4:7], off offset:80
	s_and_saveexec_b64 s[0:1], vcc
	s_cbranch_execz .LBB108_277
; %bb.276:
	scratch_load_dwordx4 v[2:5], off, s58
	v_mov_b32_e32 v6, 0
	v_mov_b32_e32 v7, v6
	;; [unrolled: 1-line block ×4, first 2 shown]
	v_accvgpr_read_b32 v0, a91
	scratch_store_dwordx4 off, v[6:9], off offset:64
	s_waitcnt vmcnt(1)
	ds_write_b128 v0, v[2:5]
.LBB108_277:
	s_or_b64 exec, exec, s[0:1]
	s_waitcnt lgkmcnt(0)
	; wave barrier
	scratch_load_dwordx4 v[112:115], off, off offset:80
	scratch_load_dwordx4 v[116:119], off, off offset:96
	;; [unrolled: 1-line block ×30, first 2 shown]
	v_mov_b32_e32 v2, 0
	ds_read_b128 v[144:147], v2 offset:784
	ds_read_b128 v[156:159], v2 offset:800
	;; [unrolled: 1-line block ×20, first 2 shown]
	s_waitcnt vmcnt(29) lgkmcnt(14)
	v_mul_f64 v[0:1], v[144:145], v[114:115]
	s_waitcnt vmcnt(28)
	v_mul_f64 v[88:89], v[156:157], v[118:119]
	v_fmac_f64_e32 v[0:1], v[146:147], v[112:113]
	s_waitcnt vmcnt(27)
	v_mul_f64 v[90:91], v[168:169], v[122:123]
	v_fmac_f64_e32 v[88:89], v[158:159], v[116:117]
	v_add_f64 v[0:1], v[0:1], 0
	s_waitcnt vmcnt(26)
	v_mul_f64 v[92:93], v[180:181], v[154:155]
	v_fmac_f64_e32 v[90:91], v[170:171], v[120:121]
	v_add_f64 v[0:1], v[0:1], v[88:89]
	;; [unrolled: 4-line block ×4, first 2 shown]
	s_waitcnt vmcnt(23) lgkmcnt(13)
	v_mul_f64 v[98:99], v[212:213], v[174:175]
	v_fmac_f64_e32 v[96:97], v[206:207], v[164:165]
	v_add_f64 v[0:1], v[0:1], v[94:95]
	s_waitcnt vmcnt(22) lgkmcnt(12)
	v_mul_f64 v[100:101], v[216:217], v[178:179]
	v_fmac_f64_e32 v[98:99], v[214:215], v[172:173]
	v_add_f64 v[0:1], v[0:1], v[96:97]
	s_waitcnt vmcnt(21) lgkmcnt(11)
	v_mul_f64 v[102:103], v[220:221], v[186:187]
	v_fmac_f64_e32 v[100:101], v[218:219], v[176:177]
	v_add_f64 v[0:1], v[0:1], v[98:99]
	s_waitcnt vmcnt(20) lgkmcnt(10)
	v_mul_f64 v[104:105], v[224:225], v[190:191]
	v_fmac_f64_e32 v[102:103], v[222:223], v[184:185]
	v_add_f64 v[0:1], v[0:1], v[100:101]
	s_waitcnt vmcnt(19) lgkmcnt(9)
	v_mul_f64 v[106:107], v[228:229], v[198:199]
	v_fmac_f64_e32 v[104:105], v[226:227], v[188:189]
	v_add_f64 v[0:1], v[0:1], v[102:103]
	s_waitcnt vmcnt(18) lgkmcnt(8)
	v_mul_f64 v[108:109], v[246:247], v[202:203]
	v_fmac_f64_e32 v[106:107], v[230:231], v[196:197]
	v_add_f64 v[0:1], v[0:1], v[104:105]
	s_waitcnt vmcnt(17) lgkmcnt(7)
	v_mul_f64 v[110:111], v[250:251], v[210:211]
	v_fmac_f64_e32 v[108:109], v[248:249], v[200:201]
	v_add_f64 v[0:1], v[0:1], v[106:107]
	s_waitcnt vmcnt(16) lgkmcnt(6)
	v_mul_f64 v[124:125], v[84:85], v[6:7]
	v_fmac_f64_e32 v[110:111], v[252:253], v[208:209]
	v_add_f64 v[0:1], v[0:1], v[108:109]
	s_waitcnt vmcnt(15) lgkmcnt(5)
	v_mul_f64 v[126:127], v[80:81], v[10:11]
	v_fmac_f64_e32 v[124:125], v[86:87], v[4:5]
	v_add_f64 v[0:1], v[0:1], v[110:111]
	v_fmac_f64_e32 v[126:127], v[82:83], v[8:9]
	v_add_f64 v[0:1], v[0:1], v[124:125]
	scratch_load_dwordx4 v[88:91], off, off offset:560
	s_waitcnt vmcnt(15) lgkmcnt(4)
	v_mul_f64 v[128:129], v[76:77], v[236:237]
	v_add_f64 v[0:1], v[0:1], v[126:127]
	ds_read_b128 v[124:127], v2 offset:1056
	v_fmac_f64_e32 v[128:129], v[78:79], v[234:235]
	v_add_f64 v[0:1], v[0:1], v[128:129]
	ds_read_b128 v[128:131], v2 offset:1072
	s_waitcnt vmcnt(14) lgkmcnt(5)
	v_mul_f64 v[92:93], v[72:73], v[18:19]
	v_fmac_f64_e32 v[92:93], v[74:75], v[16:17]
	v_add_f64 v[0:1], v[0:1], v[92:93]
	s_waitcnt vmcnt(13) lgkmcnt(1)
	v_mul_f64 v[96:97], v[124:125], v[22:23]
	scratch_load_dwordx4 v[92:95], off, off offset:576
	v_fmac_f64_e32 v[96:97], v[126:127], v[20:21]
	v_add_f64 v[0:1], v[0:1], v[96:97]
	s_waitcnt vmcnt(13) lgkmcnt(0)
	v_mul_f64 v[100:101], v[128:129], v[26:27]
	scratch_load_dwordx4 v[96:99], off, off offset:592
	v_fmac_f64_e32 v[100:101], v[130:131], v[24:25]
	v_add_f64 v[0:1], v[0:1], v[100:101]
	scratch_load_dwordx4 v[100:103], off, off offset:608
	s_waitcnt vmcnt(14)
	v_mul_f64 v[104:105], v[132:133], v[30:31]
	v_fmac_f64_e32 v[104:105], v[134:135], v[28:29]
	v_add_f64 v[0:1], v[0:1], v[104:105]
	s_waitcnt vmcnt(13)
	v_mul_f64 v[104:105], v[136:137], v[34:35]
	v_fmac_f64_e32 v[104:105], v[138:139], v[32:33]
	v_add_f64 v[0:1], v[0:1], v[104:105]
	scratch_load_dwordx4 v[104:107], off, off offset:624
	s_waitcnt vmcnt(13)
	v_mul_f64 v[108:109], v[140:141], v[38:39]
	v_fmac_f64_e32 v[108:109], v[142:143], v[36:37]
	v_add_f64 v[0:1], v[0:1], v[108:109]
	scratch_load_dwordx4 v[108:111], off, off offset:640
	v_mul_f64 v[114:115], v[146:147], v[114:115]
	v_fma_f64 v[240:241], v[144:145], v[112:113], -v[114:115]
	v_mul_f64 v[112:113], v[158:159], v[118:119]
	ds_read_b128 v[148:151], v2 offset:1136
	ds_read_b128 v[144:147], v2 offset:1152
	v_fma_f64 v[242:243], v[156:157], v[116:117], -v[112:113]
	scratch_load_dwordx4 v[116:119], off, off offset:656
	scratch_load_dwordx4 v[112:115], off, off offset:672
	v_mul_f64 v[122:123], v[170:171], v[122:123]
	v_fma_f64 v[244:245], v[168:169], v[120:121], -v[122:123]
	scratch_load_dwordx4 v[120:123], off, off offset:688
	s_waitcnt vmcnt(16) lgkmcnt(1)
	v_mul_f64 v[156:157], v[148:149], v[42:43]
	v_fmac_f64_e32 v[156:157], v[150:151], v[40:41]
	v_mul_f64 v[154:155], v[182:183], v[154:155]
	v_add_f64 v[0:1], v[0:1], v[156:157]
	v_fma_f64 v[254:255], v[180:181], v[152:153], -v[154:155]
	ds_read_b128 v[152:155], v2 offset:1168
	s_waitcnt vmcnt(15) lgkmcnt(1)
	v_mul_f64 v[156:157], v[144:145], v[46:47]
	v_fmac_f64_e32 v[156:157], v[146:147], v[44:45]
	v_add_f64 v[0:1], v[0:1], v[156:157]
	ds_read_b128 v[156:159], v2 offset:1184
	v_mul_f64 v[162:163], v[194:195], v[162:163]
	v_fma_f64 v[232:233], v[192:193], v[160:161], -v[162:163]
	ds_read_b128 v[160:163], v2 offset:1200
	s_waitcnt vmcnt(14) lgkmcnt(2)
	v_mul_f64 v[168:169], v[152:153], v[50:51]
	v_fmac_f64_e32 v[168:169], v[154:155], v[48:49]
	v_mul_f64 v[166:167], v[206:207], v[166:167]
	v_add_f64 v[0:1], v[0:1], v[168:169]
	s_waitcnt vmcnt(13) lgkmcnt(1)
	v_mul_f64 v[168:169], v[156:157], v[54:55]
	v_fma_f64 v[12:13], v[204:205], v[164:165], -v[166:167]
	ds_read_b128 v[164:167], v2 offset:1216
	v_accvgpr_write_b32 a95, v7
	v_fmac_f64_e32 v[168:169], v[158:159], v[52:53]
	v_accvgpr_write_b32 a94, v6
	v_accvgpr_write_b32 a93, v5
	;; [unrolled: 1-line block ×3, first 2 shown]
	v_add_f64 v[0:1], v[0:1], v[168:169]
	s_waitcnt vmcnt(12) lgkmcnt(1)
	v_mul_f64 v[6:7], v[160:161], v[58:59]
	ds_read_b128 v[168:171], v2 offset:1232
	v_fmac_f64_e32 v[6:7], v[162:163], v[56:57]
	v_accvgpr_write_b32 a99, v11
	v_add_f64 v[0:1], v[0:1], v[6:7]
	v_mul_f64 v[6:7], v[214:215], v[174:175]
	v_accvgpr_write_b32 a98, v10
	v_accvgpr_write_b32 a97, v9
	;; [unrolled: 1-line block ×3, first 2 shown]
	v_fma_f64 v[8:9], v[212:213], v[172:173], -v[6:7]
	s_waitcnt vmcnt(11) lgkmcnt(1)
	v_mul_f64 v[6:7], v[164:165], v[62:63]
	v_fmac_f64_e32 v[6:7], v[166:167], v[60:61]
	ds_read_b128 v[172:175], v2 offset:1248
	v_add_f64 v[0:1], v[0:1], v[6:7]
	s_waitcnt vmcnt(10) lgkmcnt(1)
	v_mul_f64 v[6:7], v[168:169], v[66:67]
	v_fmac_f64_e32 v[6:7], v[170:171], v[64:65]
	v_add_f64 v[0:1], v[0:1], v[6:7]
	v_mul_f64 v[6:7], v[218:219], v[178:179]
	v_fma_f64 v[10:11], v[216:217], v[176:177], -v[6:7]
	ds_read_b128 v[176:179], v2 offset:1264
	ds_read_b128 v[180:183], v2 offset:1280
	s_waitcnt vmcnt(9) lgkmcnt(2)
	v_mul_f64 v[6:7], v[172:173], v[70:71]
	v_fmac_f64_e32 v[6:7], v[174:175], v[68:69]
	v_add_f64 v[0:1], v[0:1], v[6:7]
	s_waitcnt vmcnt(8) lgkmcnt(1)
	v_mul_f64 v[6:7], v[176:177], v[90:91]
	v_fmac_f64_e32 v[6:7], v[178:179], v[88:89]
	v_add_f64 v[0:1], v[0:1], v[6:7]
	v_mul_f64 v[6:7], v[222:223], v[186:187]
	v_fma_f64 v[4:5], v[220:221], v[184:185], -v[6:7]
	ds_read_b128 v[184:187], v2 offset:1296
	v_mul_f64 v[6:7], v[226:227], v[190:191]
	v_fma_f64 v[6:7], v[224:225], v[188:189], -v[6:7]
	ds_read_b128 v[188:191], v2 offset:1312
	s_waitcnt vmcnt(7) lgkmcnt(2)
	v_mul_f64 v[14:15], v[180:181], v[94:95]
	v_fmac_f64_e32 v[14:15], v[182:183], v[92:93]
	v_add_f64 v[0:1], v[0:1], v[14:15]
	s_waitcnt vmcnt(6) lgkmcnt(1)
	v_mul_f64 v[14:15], v[184:185], v[98:99]
	v_fmac_f64_e32 v[14:15], v[186:187], v[96:97]
	v_add_f64 v[0:1], v[0:1], v[14:15]
	s_waitcnt vmcnt(5) lgkmcnt(0)
	v_mul_f64 v[14:15], v[188:189], v[102:103]
	ds_read_b128 v[192:195], v2 offset:1328
	v_fmac_f64_e32 v[14:15], v[190:191], v[100:101]
	v_add_f64 v[14:15], v[0:1], v[14:15]
	v_mul_f64 v[0:1], v[230:231], v[198:199]
	v_fma_f64 v[0:1], v[228:229], v[196:197], -v[0:1]
	ds_read_b128 v[196:199], v2 offset:1344
	v_mul_f64 v[202:203], v[248:249], v[202:203]
	s_waitcnt vmcnt(4) lgkmcnt(1)
	v_mul_f64 v[204:205], v[192:193], v[106:107]
	v_fma_f64 v[238:239], v[246:247], v[200:201], -v[202:203]
	ds_read_b128 v[200:203], v2 offset:1360
	v_fmac_f64_e32 v[204:205], v[194:195], v[104:105]
	v_add_f64 v[14:15], v[14:15], v[204:205]
	ds_read_b128 v[204:207], v2 offset:1376
	s_waitcnt vmcnt(3) lgkmcnt(2)
	v_mul_f64 v[212:213], v[196:197], v[110:111]
	v_mul_f64 v[210:211], v[252:253], v[210:211]
	v_fmac_f64_e32 v[212:213], v[198:199], v[108:109]
	v_fma_f64 v[246:247], v[250:251], v[208:209], -v[210:211]
	ds_read_b128 v[208:211], v2 offset:1392
	ds_read_b128 v[216:219], v2 offset:1408
	v_add_f64 v[14:15], v[14:15], v[212:213]
	s_waitcnt vmcnt(2) lgkmcnt(3)
	v_mul_f64 v[212:213], v[200:201], v[118:119]
	v_fmac_f64_e32 v[212:213], v[202:203], v[116:117]
	v_add_f64 v[14:15], v[14:15], v[212:213]
	s_waitcnt vmcnt(1) lgkmcnt(2)
	v_mul_f64 v[212:213], v[204:205], v[114:115]
	v_fmac_f64_e32 v[212:213], v[206:207], v[112:113]
	;; [unrolled: 4-line block ×3, first 2 shown]
	v_add_f64 v[14:15], v[14:15], v[212:213]
	scratch_load_dwordx4 v[212:215], off, off offset:704
	ds_read_b128 v[224:227], v2 offset:1424
	s_waitcnt vmcnt(0) lgkmcnt(1)
	v_mul_f64 v[220:221], v[216:217], v[214:215]
	v_fmac_f64_e32 v[220:221], v[218:219], v[212:213]
	v_add_f64 v[14:15], v[14:15], v[220:221]
	scratch_load_dwordx4 v[220:223], off, off offset:720
	s_waitcnt vmcnt(0) lgkmcnt(0)
	v_mul_f64 v[228:229], v[224:225], v[222:223]
	v_fmac_f64_e32 v[228:229], v[226:227], v[220:221]
	v_add_f64 v[250:251], v[14:15], v[228:229]
	scratch_load_dwordx4 v[228:231], off, off offset:64
	v_add_f64 v[14:15], v[240:241], 0
	v_add_f64 v[14:15], v[14:15], v[242:243]
	;; [unrolled: 1-line block ×10, first 2 shown]
	v_accvgpr_read_b32 v6, a92
	v_accvgpr_read_b32 v8, a94
	;; [unrolled: 1-line block ×3, first 2 shown]
	v_add_f64 v[0:1], v[4:5], v[0:1]
	v_accvgpr_read_b32 v7, a93
	v_mul_f64 v[4:5], v[86:87], v[8:9]
	v_add_f64 v[0:1], v[0:1], v[238:239]
	v_fma_f64 v[4:5], v[84:85], v[6:7], -v[4:5]
	v_accvgpr_read_b32 v6, a96
	v_add_f64 v[0:1], v[0:1], v[246:247]
	v_accvgpr_read_b32 v8, a98
	v_accvgpr_read_b32 v9, a99
	v_add_f64 v[0:1], v[0:1], v[4:5]
	v_accvgpr_read_b32 v7, a97
	v_mul_f64 v[4:5], v[82:83], v[8:9]
	v_fma_f64 v[4:5], v[80:81], v[6:7], -v[4:5]
	v_add_f64 v[0:1], v[0:1], v[4:5]
	v_mul_f64 v[4:5], v[78:79], v[236:237]
	v_fma_f64 v[4:5], v[76:77], v[234:235], -v[4:5]
	v_add_f64 v[0:1], v[0:1], v[4:5]
	;; [unrolled: 3-line block ×27, first 2 shown]
	s_waitcnt vmcnt(0)
	v_add_f64 v[4:5], v[228:229], -v[0:1]
	v_accvgpr_read_b32 v0, a90
	v_add_f64 v[6:7], v[230:231], -v[250:251]
	v_cmp_lt_u32_e32 vcc, 2, v0
	scratch_store_dwordx4 off, v[4:7], off offset:64
	s_and_saveexec_b64 s[0:1], vcc
	s_cbranch_execz .LBB108_279
; %bb.278:
	scratch_load_dwordx4 v[6:9], off, s59
	v_mov_b32_e32 v3, v2
	v_mov_b32_e32 v4, v2
	;; [unrolled: 1-line block ×3, first 2 shown]
	v_accvgpr_read_b32 v0, a91
	scratch_store_dwordx4 off, v[2:5], off offset:48
	s_waitcnt vmcnt(1)
	ds_write_b128 v0, v[6:9]
.LBB108_279:
	s_or_b64 exec, exec, s[0:1]
	s_waitcnt lgkmcnt(0)
	; wave barrier
	scratch_load_dwordx4 v[88:91], off, off offset:64
	scratch_load_dwordx4 v[92:95], off, off offset:80
	;; [unrolled: 1-line block ×17, first 2 shown]
	ds_read_b128 v[212:215], v2 offset:768
	ds_read_b128 v[204:207], v2 offset:784
	;; [unrolled: 1-line block ×3, first 2 shown]
	scratch_load_dwordx4 v[20:23], off, off offset:336
	ds_read_b128 v[216:219], v2 offset:816
	ds_read_b128 v[208:211], v2 offset:832
	;; [unrolled: 1-line block ×5, first 2 shown]
	scratch_load_dwordx4 v[24:27], off, off offset:352
	ds_read_b128 v[180:183], v2 offset:896
	ds_read_b128 v[160:163], v2 offset:912
	;; [unrolled: 1-line block ×3, first 2 shown]
	scratch_load_dwordx4 v[28:31], off, off offset:368
	ds_read_b128 v[172:175], v2 offset:944
	ds_read_b128 v[148:151], v2 offset:960
	;; [unrolled: 1-line block ×5, first 2 shown]
	scratch_load_dwordx4 v[36:39], off, off offset:384
	ds_read_b128 v[48:51], v2 offset:1024
	scratch_load_dwordx4 v[52:55], off, off offset:400
	scratch_load_dwordx4 v[56:59], off, off offset:416
	;; [unrolled: 1-line block ×9, first 2 shown]
	ds_read_b128 v[140:143], v2 offset:1040
	ds_read_b128 v[232:235], v2 offset:1104
	;; [unrolled: 1-line block ×3, first 2 shown]
	s_waitcnt vmcnt(29) lgkmcnt(14)
	v_mul_f64 v[0:1], v[212:213], v[90:91]
	s_waitcnt vmcnt(28)
	v_mul_f64 v[152:153], v[204:205], v[94:95]
	v_fmac_f64_e32 v[0:1], v[214:215], v[88:89]
	s_waitcnt vmcnt(27)
	v_mul_f64 v[154:155], v[196:197], v[98:99]
	v_fmac_f64_e32 v[152:153], v[206:207], v[92:93]
	v_add_f64 v[0:1], v[0:1], 0
	s_waitcnt vmcnt(26)
	v_mul_f64 v[164:165], v[216:217], v[102:103]
	v_fmac_f64_e32 v[154:155], v[198:199], v[96:97]
	v_add_f64 v[0:1], v[0:1], v[152:153]
	;; [unrolled: 4-line block ×4, first 2 shown]
	s_waitcnt vmcnt(23) lgkmcnt(13)
	v_mul_f64 v[170:171], v[184:185], v[114:115]
	v_fmac_f64_e32 v[168:169], v[202:203], v[108:109]
	v_add_f64 v[0:1], v[0:1], v[166:167]
	s_waitcnt vmcnt(22) lgkmcnt(12)
	v_mul_f64 v[176:177], v[156:157], v[118:119]
	v_fmac_f64_e32 v[170:171], v[186:187], v[112:113]
	v_add_f64 v[0:1], v[0:1], v[168:169]
	;; [unrolled: 4-line block ×10, first 2 shown]
	v_fmac_f64_e32 v[224:225], v[34:35], v[12:13]
	v_add_f64 v[0:1], v[0:1], v[222:223]
	ds_read_b128 v[220:223], v2 offset:1056
	v_add_f64 v[0:1], v[0:1], v[224:225]
	ds_read_b128 v[224:227], v2 offset:1072
	s_waitcnt vmcnt(13) lgkmcnt(5)
	v_mul_f64 v[164:165], v[48:49], v[18:19]
	scratch_load_dwordx4 v[152:155], off, off offset:544
	v_fmac_f64_e32 v[164:165], v[50:51], v[16:17]
	s_waitcnt vmcnt(13) lgkmcnt(4)
	v_mul_f64 v[168:169], v[140:141], v[22:23]
	v_add_f64 v[0:1], v[0:1], v[164:165]
	v_fmac_f64_e32 v[168:169], v[142:143], v[20:21]
	scratch_load_dwordx4 v[164:167], off, off offset:560
	v_add_f64 v[0:1], v[0:1], v[168:169]
	s_waitcnt vmcnt(13) lgkmcnt(1)
	v_mul_f64 v[176:177], v[220:221], v[26:27]
	scratch_load_dwordx4 v[168:171], off, off offset:576
	v_fmac_f64_e32 v[176:177], v[222:223], v[24:25]
	s_waitcnt vmcnt(13) lgkmcnt(0)
	v_mul_f64 v[188:189], v[224:225], v[30:31]
	v_add_f64 v[0:1], v[0:1], v[176:177]
	scratch_load_dwordx4 v[176:179], off, off offset:592
	v_fmac_f64_e32 v[188:189], v[226:227], v[28:29]
	v_add_f64 v[0:1], v[0:1], v[188:189]
	s_waitcnt vmcnt(13)
	v_mul_f64 v[188:189], v[228:229], v[38:39]
	v_fmac_f64_e32 v[188:189], v[230:231], v[36:37]
	v_add_f64 v[0:1], v[0:1], v[188:189]
	scratch_load_dwordx4 v[188:191], off, off offset:608
	s_waitcnt vmcnt(13)
	v_mul_f64 v[192:193], v[232:233], v[54:55]
	v_fmac_f64_e32 v[192:193], v[234:235], v[52:53]
	v_mul_f64 v[90:91], v[214:215], v[90:91]
	v_add_f64 v[0:1], v[0:1], v[192:193]
	scratch_load_dwordx4 v[192:195], off, off offset:624
	v_fma_f64 v[240:241], v[212:213], v[88:89], -v[90:91]
	v_mul_f64 v[88:89], v[206:207], v[94:95]
	ds_read_b128 v[236:239], v2 offset:1120
	ds_read_b128 v[212:215], v2 offset:1136
	v_fma_f64 v[242:243], v[204:205], v[92:93], -v[88:89]
	scratch_load_dwordx4 v[92:95], off, off offset:640
	scratch_load_dwordx4 v[88:91], off, off offset:656
	v_mul_f64 v[98:99], v[198:199], v[98:99]
	v_fma_f64 v[244:245], v[196:197], v[96:97], -v[98:99]
	scratch_load_dwordx4 v[96:99], off, off offset:672
	s_waitcnt vmcnt(16) lgkmcnt(1)
	v_mul_f64 v[204:205], v[236:237], v[58:59]
	v_mul_f64 v[102:103], v[218:219], v[102:103]
	v_fmac_f64_e32 v[204:205], v[238:239], v[56:57]
	v_fma_f64 v[216:217], v[216:217], v[100:101], -v[102:103]
	ds_read_b128 v[100:103], v2 offset:1152
	s_waitcnt vmcnt(15) lgkmcnt(1)
	v_mul_f64 v[196:197], v[212:213], v[62:63]
	v_add_f64 v[0:1], v[0:1], v[204:205]
	v_fmac_f64_e32 v[196:197], v[214:215], v[60:61]
	v_add_f64 v[0:1], v[0:1], v[196:197]
	ds_read_b128 v[196:199], v2 offset:1168
	v_mul_f64 v[106:107], v[210:211], v[106:107]
	v_fma_f64 v[218:219], v[208:209], v[104:105], -v[106:107]
	ds_read_b128 v[104:107], v2 offset:1184
	s_waitcnt vmcnt(14) lgkmcnt(2)
	v_mul_f64 v[204:205], v[100:101], v[66:67]
	v_fmac_f64_e32 v[204:205], v[102:103], v[64:65]
	v_add_f64 v[0:1], v[0:1], v[204:205]
	s_waitcnt vmcnt(13) lgkmcnt(1)
	v_mul_f64 v[204:205], v[196:197], v[70:71]
	v_mul_f64 v[110:111], v[202:203], v[110:111]
	v_fmac_f64_e32 v[204:205], v[198:199], v[68:69]
	v_fma_f64 v[250:251], v[200:201], v[108:109], -v[110:111]
	ds_read_b128 v[108:111], v2 offset:1200
	s_waitcnt vmcnt(12) lgkmcnt(1)
	v_mul_f64 v[200:201], v[104:105], v[74:75]
	v_add_f64 v[0:1], v[0:1], v[204:205]
	v_fmac_f64_e32 v[200:201], v[106:107], v[72:73]
	v_add_f64 v[0:1], v[0:1], v[200:201]
	ds_read_b128 v[200:203], v2 offset:1216
	v_mul_f64 v[114:115], v[186:187], v[114:115]
	v_fma_f64 v[252:253], v[184:185], v[112:113], -v[114:115]
	ds_read_b128 v[112:115], v2 offset:1232
	s_waitcnt vmcnt(11) lgkmcnt(2)
	v_mul_f64 v[184:185], v[108:109], v[78:79]
	v_fmac_f64_e32 v[184:185], v[110:111], v[76:77]
	v_add_f64 v[0:1], v[0:1], v[184:185]
	s_waitcnt vmcnt(10) lgkmcnt(1)
	v_mul_f64 v[184:185], v[200:201], v[82:83]
	v_mul_f64 v[118:119], v[158:159], v[118:119]
	v_fmac_f64_e32 v[184:185], v[202:203], v[80:81]
	v_fma_f64 v[254:255], v[156:157], v[116:117], -v[118:119]
	s_waitcnt vmcnt(9) lgkmcnt(0)
	v_mul_f64 v[156:157], v[112:113], v[86:87]
	v_add_f64 v[0:1], v[0:1], v[184:185]
	ds_read_b128 v[116:119], v2 offset:1248
	v_fmac_f64_e32 v[156:157], v[114:115], v[84:85]
	v_add_f64 v[0:1], v[0:1], v[156:157]
	ds_read_b128 v[156:159], v2 offset:1264
	v_mul_f64 v[122:123], v[182:183], v[122:123]
	v_fma_f64 v[246:247], v[180:181], v[120:121], -v[122:123]
	ds_read_b128 v[120:123], v2 offset:1280
	v_accvgpr_write_b32 a95, v7
	v_mul_f64 v[126:127], v[162:163], v[126:127]
	v_accvgpr_write_b32 a94, v6
	v_accvgpr_write_b32 a93, v5
	;; [unrolled: 1-line block ×3, first 2 shown]
	v_fma_f64 v[4:5], v[160:161], v[124:125], -v[126:127]
	ds_read_b128 v[124:127], v2 offset:1296
	s_waitcnt vmcnt(8) lgkmcnt(3)
	v_mul_f64 v[184:185], v[116:117], v[154:155]
	v_fmac_f64_e32 v[184:185], v[118:119], v[152:153]
	s_waitcnt vmcnt(7) lgkmcnt(2)
	v_mul_f64 v[180:181], v[156:157], v[166:167]
	v_add_f64 v[0:1], v[0:1], v[184:185]
	v_fmac_f64_e32 v[180:181], v[158:159], v[164:165]
	s_waitcnt vmcnt(6) lgkmcnt(1)
	v_mul_f64 v[6:7], v[120:121], v[170:171]
	ds_read_b128 v[160:163], v2 offset:1312
	v_add_f64 v[0:1], v[0:1], v[180:181]
	v_fmac_f64_e32 v[6:7], v[122:123], v[168:169]
	v_add_f64 v[0:1], v[0:1], v[6:7]
	s_waitcnt vmcnt(5) lgkmcnt(1)
	v_mul_f64 v[6:7], v[124:125], v[178:179]
	v_fmac_f64_e32 v[6:7], v[126:127], v[176:177]
	v_add_f64 v[0:1], v[0:1], v[6:7]
	v_mul_f64 v[6:7], v[146:147], v[130:131]
	v_fma_f64 v[6:7], v[144:145], v[128:129], -v[6:7]
	ds_read_b128 v[128:131], v2 offset:1328
	s_waitcnt vmcnt(4) lgkmcnt(1)
	v_mul_f64 v[144:145], v[160:161], v[190:191]
	v_fmac_f64_e32 v[144:145], v[162:163], v[188:189]
	v_add_f64 v[180:181], v[0:1], v[144:145]
	v_mul_f64 v[0:1], v[174:175], v[134:135]
	v_fma_f64 v[0:1], v[172:173], v[132:133], -v[0:1]
	ds_read_b128 v[132:135], v2 offset:1344
	ds_read_b128 v[144:147], v2 offset:1360
	v_mul_f64 v[138:139], v[150:151], v[138:139]
	v_fma_f64 v[248:249], v[148:149], v[136:137], -v[138:139]
	ds_read_b128 v[136:139], v2 offset:1376
	s_waitcnt vmcnt(3) lgkmcnt(3)
	v_mul_f64 v[172:173], v[128:129], v[194:195]
	v_fmac_f64_e32 v[172:173], v[130:131], v[192:193]
	s_waitcnt vmcnt(2) lgkmcnt(2)
	v_mul_f64 v[148:149], v[132:133], v[94:95]
	v_add_f64 v[172:173], v[180:181], v[172:173]
	v_fmac_f64_e32 v[148:149], v[134:135], v[92:93]
	s_waitcnt vmcnt(1) lgkmcnt(1)
	v_mul_f64 v[150:151], v[144:145], v[90:91]
	v_add_f64 v[148:149], v[172:173], v[148:149]
	v_fmac_f64_e32 v[150:151], v[146:147], v[88:89]
	v_add_f64 v[148:149], v[148:149], v[150:151]
	ds_read_b128 v[172:175], v2 offset:1392
	scratch_load_dwordx4 v[208:211], off, off offset:720
	s_waitcnt vmcnt(1) lgkmcnt(1)
	v_mul_f64 v[150:151], v[136:137], v[98:99]
	v_fmac_f64_e32 v[150:151], v[138:139], v[96:97]
	v_add_f64 v[180:181], v[148:149], v[150:151]
	scratch_load_dwordx4 v[148:151], off, off offset:688
	ds_read_b128 v[184:187], v2 offset:1408
	v_accvgpr_write_b32 a97, v1
	v_accvgpr_write_b32 a96, v0
	s_waitcnt vmcnt(0) lgkmcnt(1)
	v_mul_f64 v[182:183], v[172:173], v[150:151]
	v_fmac_f64_e32 v[182:183], v[174:175], v[148:149]
	v_add_f64 v[204:205], v[180:181], v[182:183]
	scratch_load_dwordx4 v[180:183], off, off offset:704
	s_waitcnt vmcnt(0) lgkmcnt(0)
	v_mul_f64 v[206:207], v[184:185], v[182:183]
	v_fmac_f64_e32 v[206:207], v[186:187], v[180:181]
	v_add_f64 v[0:1], v[204:205], v[206:207]
	ds_read_b128 v[204:207], v2 offset:1424
	s_waitcnt lgkmcnt(0)
	v_mul_f64 v[2:3], v[204:205], v[210:211]
	v_fmac_f64_e32 v[2:3], v[206:207], v[208:209]
	v_add_f64 v[2:3], v[0:1], v[2:3]
	v_add_f64 v[0:1], v[240:241], 0
	;; [unrolled: 1-line block ×6, first 2 shown]
	scratch_load_dwordx4 v[216:219], off, off offset:48
	v_add_f64 v[0:1], v[0:1], v[250:251]
	v_add_f64 v[0:1], v[0:1], v[252:253]
	;; [unrolled: 1-line block ×6, first 2 shown]
	v_accvgpr_read_b32 v0, a96
	v_accvgpr_read_b32 v243, a95
	;; [unrolled: 1-line block ×4, first 2 shown]
	v_add_f64 v[0:1], v[250:251], v[0:1]
	v_accvgpr_read_b32 v241, a93
	v_accvgpr_read_b32 v240, a92
	v_mul_f64 v[4:5], v[46:47], v[242:243]
	v_add_f64 v[0:1], v[0:1], v[248:249]
	v_fma_f64 v[4:5], v[44:45], v[240:241], -v[4:5]
	v_add_f64 v[0:1], v[0:1], v[4:5]
	v_mul_f64 v[4:5], v[42:43], v[10:11]
	v_fma_f64 v[4:5], v[40:41], v[8:9], -v[4:5]
	v_add_f64 v[0:1], v[0:1], v[4:5]
	v_mul_f64 v[4:5], v[34:35], v[14:15]
	;; [unrolled: 3-line block ×28, first 2 shown]
	v_fma_f64 v[4:5], v[204:205], v[208:209], -v[4:5]
	v_add_f64 v[0:1], v[0:1], v[4:5]
	s_waitcnt vmcnt(0)
	v_add_f64 v[4:5], v[216:217], -v[0:1]
	v_accvgpr_read_b32 v0, a90
	v_add_f64 v[6:7], v[218:219], -v[2:3]
	v_cmp_lt_u32_e32 vcc, 1, v0
	scratch_store_dwordx4 off, v[4:7], off offset:48
	s_and_saveexec_b64 s[0:1], vcc
	s_cbranch_execz .LBB108_281
; %bb.280:
	scratch_load_dwordx4 v[2:5], off, s60
	v_mov_b32_e32 v6, 0
	v_mov_b32_e32 v7, v6
	;; [unrolled: 1-line block ×4, first 2 shown]
	v_accvgpr_read_b32 v0, a91
	scratch_store_dwordx4 off, v[6:9], off offset:32
	s_waitcnt vmcnt(1)
	ds_write_b128 v0, v[2:5]
.LBB108_281:
	s_or_b64 exec, exec, s[0:1]
	s_waitcnt lgkmcnt(0)
	; wave barrier
	scratch_load_dwordx4 v[96:99], off, off offset:48
	scratch_load_dwordx4 v[100:103], off, off offset:64
	;; [unrolled: 1-line block ×30, first 2 shown]
	v_mov_b32_e32 v2, 0
	ds_read_b128 v[136:139], v2 offset:752
	ds_read_b128 v[144:147], v2 offset:768
	;; [unrolled: 1-line block ×20, first 2 shown]
	s_waitcnt vmcnt(29) lgkmcnt(14)
	v_mul_f64 v[0:1], v[136:137], v[98:99]
	s_waitcnt vmcnt(28)
	v_mul_f64 v[72:73], v[144:145], v[102:103]
	v_fmac_f64_e32 v[0:1], v[138:139], v[96:97]
	s_waitcnt vmcnt(27)
	v_mul_f64 v[74:75], v[148:149], v[106:107]
	v_fmac_f64_e32 v[72:73], v[146:147], v[100:101]
	v_add_f64 v[0:1], v[0:1], 0
	s_waitcnt vmcnt(26)
	v_mul_f64 v[76:77], v[164:165], v[110:111]
	v_fmac_f64_e32 v[74:75], v[150:151], v[104:105]
	v_add_f64 v[0:1], v[0:1], v[72:73]
	;; [unrolled: 4-line block ×4, first 2 shown]
	s_waitcnt vmcnt(23) lgkmcnt(13)
	v_mul_f64 v[82:83], v[200:201], v[158:159]
	v_fmac_f64_e32 v[80:81], v[190:191], v[152:153]
	v_add_f64 v[0:1], v[0:1], v[78:79]
	s_waitcnt vmcnt(22) lgkmcnt(12)
	v_mul_f64 v[84:85], v[208:209], v[162:163]
	v_fmac_f64_e32 v[82:83], v[202:203], v[156:157]
	v_add_f64 v[0:1], v[0:1], v[80:81]
	;; [unrolled: 4-line block ×9, first 2 shown]
	s_waitcnt vmcnt(14) lgkmcnt(4)
	v_mul_f64 v[120:121], v[68:69], v[6:7]
	v_fmac_f64_e32 v[118:119], v[252:253], v[204:205]
	v_accvgpr_write_b32 a95, v7
	v_add_f64 v[0:1], v[0:1], v[116:117]
	v_fmac_f64_e32 v[120:121], v[70:71], v[4:5]
	v_accvgpr_write_b32 a94, v6
	v_accvgpr_write_b32 a93, v5
	;; [unrolled: 1-line block ×3, first 2 shown]
	v_add_f64 v[0:1], v[0:1], v[118:119]
	ds_read_b128 v[116:119], v2 offset:1024
	s_waitcnt vmcnt(13)
	v_mov_b64_e32 v[4:5], v[8:9]
	v_mov_b64_e32 v[6:7], v[10:11]
	s_waitcnt lgkmcnt(4)
	v_mul_f64 v[76:77], v[64:65], v[6:7]
	scratch_load_dwordx4 v[72:75], off, off offset:528
	v_add_f64 v[0:1], v[0:1], v[120:121]
	v_fmac_f64_e32 v[76:77], v[66:67], v[4:5]
	s_waitcnt vmcnt(13)
	v_mov_b64_e32 v[4:5], v[12:13]
	v_add_f64 v[0:1], v[0:1], v[76:77]
	v_mov_b64_e32 v[6:7], v[14:15]
	scratch_load_dwordx4 v[76:79], off, off offset:544
	ds_read_b128 v[120:123], v2 offset:1040
	s_waitcnt lgkmcnt(1)
	v_mul_f64 v[80:81], v[116:117], v[6:7]
	v_fmac_f64_e32 v[80:81], v[118:119], v[4:5]
	v_add_f64 v[0:1], v[0:1], v[80:81]
	scratch_load_dwordx4 v[80:83], off, off offset:560
	s_waitcnt vmcnt(14) lgkmcnt(0)
	v_mul_f64 v[84:85], v[120:121], v[236:237]
	v_fmac_f64_e32 v[84:85], v[122:123], v[234:235]
	s_waitcnt vmcnt(13)
	v_mul_f64 v[88:89], v[124:125], v[22:23]
	v_add_f64 v[0:1], v[0:1], v[84:85]
	v_fmac_f64_e32 v[88:89], v[126:127], v[20:21]
	scratch_load_dwordx4 v[84:87], off, off offset:576
	v_add_f64 v[0:1], v[0:1], v[88:89]
	s_waitcnt vmcnt(13)
	v_mul_f64 v[88:89], v[128:129], v[26:27]
	v_fmac_f64_e32 v[88:89], v[130:131], v[24:25]
	v_add_f64 v[0:1], v[0:1], v[88:89]
	scratch_load_dwordx4 v[88:91], off, off offset:592
	s_waitcnt vmcnt(13)
	v_mul_f64 v[92:93], v[132:133], v[30:31]
	v_fmac_f64_e32 v[92:93], v[134:135], v[28:29]
	v_add_f64 v[0:1], v[0:1], v[92:93]
	scratch_load_dwordx4 v[92:95], off, off offset:608
	v_mul_f64 v[98:99], v[138:139], v[98:99]
	v_fma_f64 v[240:241], v[136:137], v[96:97], -v[98:99]
	v_mul_f64 v[96:97], v[146:147], v[102:103]
	ds_read_b128 v[140:143], v2 offset:1104
	ds_read_b128 v[136:139], v2 offset:1120
	v_fma_f64 v[242:243], v[144:145], v[100:101], -v[96:97]
	scratch_load_dwordx4 v[100:103], off, off offset:624
	scratch_load_dwordx4 v[96:99], off, off offset:640
	s_waitcnt vmcnt(15) lgkmcnt(1)
	v_mul_f64 v[144:145], v[140:141], v[34:35]
	v_fmac_f64_e32 v[144:145], v[142:143], v[32:33]
	v_mul_f64 v[106:107], v[150:151], v[106:107]
	v_add_f64 v[0:1], v[0:1], v[144:145]
	s_waitcnt vmcnt(14) lgkmcnt(0)
	v_mul_f64 v[144:145], v[136:137], v[38:39]
	v_fma_f64 v[244:245], v[148:149], v[104:105], -v[106:107]
	v_mul_f64 v[104:105], v[166:167], v[110:111]
	v_fmac_f64_e32 v[144:145], v[138:139], v[36:37]
	v_fma_f64 v[254:255], v[164:165], v[108:109], -v[104:105]
	scratch_load_dwordx4 v[104:107], off, off offset:656
	v_add_f64 v[0:1], v[0:1], v[144:145]
	ds_read_b128 v[144:147], v2 offset:1136
	ds_read_b128 v[148:151], v2 offset:1152
	v_mul_f64 v[108:109], v[178:179], v[114:115]
	v_fma_f64 v[232:233], v[176:177], v[112:113], -v[108:109]
	scratch_load_dwordx4 v[108:111], off, off offset:672
	s_waitcnt vmcnt(15) lgkmcnt(1)
	v_mul_f64 v[112:113], v[144:145], v[42:43]
	v_fmac_f64_e32 v[112:113], v[146:147], v[40:41]
	v_add_f64 v[0:1], v[0:1], v[112:113]
	v_mul_f64 v[112:113], v[190:191], v[154:155]
	v_fma_f64 v[16:17], v[188:189], v[152:153], -v[112:113]
	scratch_load_dwordx4 v[112:115], off, off offset:688
	ds_read_b128 v[152:155], v2 offset:1168
	s_waitcnt vmcnt(15) lgkmcnt(1)
	v_mul_f64 v[6:7], v[148:149], v[46:47]
	v_fmac_f64_e32 v[6:7], v[150:151], v[44:45]
	v_accvgpr_write_b32 a103, v15
	v_add_f64 v[0:1], v[0:1], v[6:7]
	v_mul_f64 v[6:7], v[202:203], v[158:159]
	v_accvgpr_write_b32 a102, v14
	v_accvgpr_write_b32 a101, v13
	;; [unrolled: 1-line block ×3, first 2 shown]
	v_fma_f64 v[12:13], v[200:201], v[156:157], -v[6:7]
	ds_read_b128 v[156:159], v2 offset:1184
	s_waitcnt vmcnt(14) lgkmcnt(1)
	v_mul_f64 v[6:7], v[152:153], v[50:51]
	v_fmac_f64_e32 v[6:7], v[154:155], v[48:49]
	v_accvgpr_write_b32 a99, v11
	v_add_f64 v[0:1], v[0:1], v[6:7]
	v_mul_f64 v[6:7], v[210:211], v[162:163]
	v_accvgpr_write_b32 a98, v10
	v_accvgpr_write_b32 a97, v9
	;; [unrolled: 1-line block ×3, first 2 shown]
	v_fma_f64 v[10:11], v[208:209], v[160:161], -v[6:7]
	ds_read_b128 v[160:163], v2 offset:1200
	ds_read_b128 v[164:167], v2 offset:1216
	s_waitcnt vmcnt(13) lgkmcnt(2)
	v_mul_f64 v[6:7], v[156:157], v[54:55]
	v_fmac_f64_e32 v[6:7], v[158:159], v[52:53]
	v_add_f64 v[0:1], v[0:1], v[6:7]
	s_waitcnt vmcnt(12) lgkmcnt(1)
	v_mul_f64 v[6:7], v[160:161], v[62:63]
	v_fmac_f64_e32 v[6:7], v[162:163], v[60:61]
	v_add_f64 v[0:1], v[0:1], v[6:7]
	v_mul_f64 v[6:7], v[214:215], v[170:171]
	v_fma_f64 v[8:9], v[212:213], v[168:169], -v[6:7]
	s_waitcnt vmcnt(11) lgkmcnt(0)
	v_mul_f64 v[6:7], v[164:165], v[58:59]
	v_fmac_f64_e32 v[6:7], v[166:167], v[56:57]
	ds_read_b128 v[168:171], v2 offset:1232
	v_add_f64 v[0:1], v[0:1], v[6:7]
	v_mul_f64 v[6:7], v[218:219], v[174:175]
	v_fma_f64 v[14:15], v[216:217], v[172:173], -v[6:7]
	ds_read_b128 v[172:175], v2 offset:1248
	s_waitcnt vmcnt(10) lgkmcnt(1)
	v_mul_f64 v[6:7], v[168:169], v[74:75]
	ds_read_b128 v[176:179], v2 offset:1264
	v_fmac_f64_e32 v[6:7], v[170:171], v[72:73]
	v_add_f64 v[0:1], v[0:1], v[6:7]
	s_waitcnt vmcnt(9) lgkmcnt(1)
	v_mul_f64 v[6:7], v[172:173], v[78:79]
	v_fmac_f64_e32 v[6:7], v[174:175], v[76:77]
	v_add_f64 v[0:1], v[0:1], v[6:7]
	v_mul_f64 v[6:7], v[222:223], v[182:183]
	v_fma_f64 v[4:5], v[220:221], v[180:181], -v[6:7]
	ds_read_b128 v[180:183], v2 offset:1280
	s_waitcnt vmcnt(8) lgkmcnt(1)
	v_mul_f64 v[6:7], v[176:177], v[82:83]
	v_fmac_f64_e32 v[6:7], v[178:179], v[80:81]
	v_add_f64 v[0:1], v[0:1], v[6:7]
	v_mul_f64 v[6:7], v[226:227], v[186:187]
	v_fma_f64 v[6:7], v[224:225], v[184:185], -v[6:7]
	ds_read_b128 v[184:187], v2 offset:1296
	ds_read_b128 v[188:191], v2 offset:1312
	s_waitcnt vmcnt(7) lgkmcnt(2)
	v_mul_f64 v[18:19], v[180:181], v[86:87]
	v_fmac_f64_e32 v[18:19], v[182:183], v[84:85]
	v_add_f64 v[0:1], v[0:1], v[18:19]
	s_waitcnt vmcnt(6) lgkmcnt(1)
	v_mul_f64 v[18:19], v[184:185], v[90:91]
	v_fmac_f64_e32 v[18:19], v[186:187], v[88:89]
	v_add_f64 v[18:19], v[0:1], v[18:19]
	v_mul_f64 v[0:1], v[230:231], v[194:195]
	v_fma_f64 v[0:1], v[228:229], v[192:193], -v[0:1]
	ds_read_b128 v[192:195], v2 offset:1328
	s_waitcnt vmcnt(5) lgkmcnt(1)
	v_mul_f64 v[200:201], v[188:189], v[94:95]
	v_fmac_f64_e32 v[200:201], v[190:191], v[92:93]
	v_mul_f64 v[198:199], v[248:249], v[198:199]
	v_fma_f64 v[238:239], v[246:247], v[196:197], -v[198:199]
	ds_read_b128 v[196:199], v2 offset:1344
	v_add_f64 v[18:19], v[18:19], v[200:201]
	s_waitcnt vmcnt(4) lgkmcnt(1)
	v_mul_f64 v[200:201], v[192:193], v[102:103]
	v_fmac_f64_e32 v[200:201], v[194:195], v[100:101]
	v_add_f64 v[18:19], v[18:19], v[200:201]
	ds_read_b128 v[200:203], v2 offset:1360
	v_mul_f64 v[206:207], v[252:253], v[206:207]
	v_fma_f64 v[246:247], v[250:251], v[204:205], -v[206:207]
	ds_read_b128 v[204:207], v2 offset:1376
	s_waitcnt vmcnt(3) lgkmcnt(2)
	v_mul_f64 v[208:209], v[196:197], v[98:99]
	v_fmac_f64_e32 v[208:209], v[198:199], v[96:97]
	v_add_f64 v[18:19], v[18:19], v[208:209]
	s_waitcnt vmcnt(2) lgkmcnt(1)
	v_mul_f64 v[208:209], v[200:201], v[106:107]
	v_fmac_f64_e32 v[208:209], v[202:203], v[104:105]
	v_add_f64 v[18:19], v[18:19], v[208:209]
	;; [unrolled: 4-line block ×3, first 2 shown]
	ds_read_b128 v[208:211], v2 offset:1392
	ds_read_b128 v[216:219], v2 offset:1408
	;; [unrolled: 1-line block ×3, first 2 shown]
	s_waitcnt vmcnt(0) lgkmcnt(2)
	v_mul_f64 v[212:213], v[208:209], v[114:115]
	v_fmac_f64_e32 v[212:213], v[210:211], v[112:113]
	v_add_f64 v[18:19], v[18:19], v[212:213]
	scratch_load_dwordx4 v[212:215], off, off offset:704
	s_waitcnt vmcnt(0) lgkmcnt(1)
	v_mul_f64 v[220:221], v[216:217], v[214:215]
	v_fmac_f64_e32 v[220:221], v[218:219], v[212:213]
	v_add_f64 v[18:19], v[18:19], v[220:221]
	scratch_load_dwordx4 v[220:223], off, off offset:720
	s_waitcnt vmcnt(0) lgkmcnt(0)
	v_mul_f64 v[228:229], v[224:225], v[222:223]
	v_fmac_f64_e32 v[228:229], v[226:227], v[220:221]
	v_add_f64 v[250:251], v[18:19], v[228:229]
	scratch_load_dwordx4 v[228:231], off, off offset:32
	v_add_f64 v[18:19], v[240:241], 0
	v_add_f64 v[18:19], v[18:19], v[242:243]
	;; [unrolled: 1-line block ×12, first 2 shown]
	v_accvgpr_read_b32 v6, a92
	v_accvgpr_read_b32 v8, a94
	;; [unrolled: 1-line block ×3, first 2 shown]
	v_add_f64 v[0:1], v[4:5], v[0:1]
	v_accvgpr_read_b32 v7, a93
	v_mul_f64 v[4:5], v[70:71], v[8:9]
	v_add_f64 v[0:1], v[0:1], v[238:239]
	v_fma_f64 v[4:5], v[68:69], v[6:7], -v[4:5]
	v_accvgpr_read_b32 v6, a96
	v_add_f64 v[0:1], v[0:1], v[246:247]
	v_accvgpr_read_b32 v8, a98
	v_accvgpr_read_b32 v9, a99
	v_add_f64 v[0:1], v[0:1], v[4:5]
	v_accvgpr_read_b32 v7, a97
	v_mul_f64 v[4:5], v[66:67], v[8:9]
	v_fma_f64 v[4:5], v[64:65], v[6:7], -v[4:5]
	v_accvgpr_read_b32 v6, a100
	v_accvgpr_read_b32 v8, a102
	;; [unrolled: 1-line block ×3, first 2 shown]
	v_add_f64 v[0:1], v[0:1], v[4:5]
	v_accvgpr_read_b32 v7, a101
	v_mul_f64 v[4:5], v[118:119], v[8:9]
	v_fma_f64 v[4:5], v[116:117], v[6:7], -v[4:5]
	v_add_f64 v[0:1], v[0:1], v[4:5]
	v_mul_f64 v[4:5], v[122:123], v[236:237]
	v_fma_f64 v[4:5], v[120:121], v[234:235], -v[4:5]
	v_add_f64 v[0:1], v[0:1], v[4:5]
	v_mul_f64 v[4:5], v[126:127], v[22:23]
	v_fma_f64 v[4:5], v[124:125], v[20:21], -v[4:5]
	v_add_f64 v[0:1], v[0:1], v[4:5]
	v_mul_f64 v[4:5], v[130:131], v[26:27]
	v_fma_f64 v[4:5], v[128:129], v[24:25], -v[4:5]
	v_add_f64 v[0:1], v[0:1], v[4:5]
	v_mul_f64 v[4:5], v[134:135], v[30:31]
	v_fma_f64 v[4:5], v[132:133], v[28:29], -v[4:5]
	v_add_f64 v[0:1], v[0:1], v[4:5]
	v_mul_f64 v[4:5], v[142:143], v[34:35]
	v_fma_f64 v[4:5], v[140:141], v[32:33], -v[4:5]
	v_add_f64 v[0:1], v[0:1], v[4:5]
	v_mul_f64 v[4:5], v[138:139], v[38:39]
	v_fma_f64 v[4:5], v[136:137], v[36:37], -v[4:5]
	v_add_f64 v[0:1], v[0:1], v[4:5]
	v_mul_f64 v[4:5], v[146:147], v[42:43]
	v_fma_f64 v[4:5], v[144:145], v[40:41], -v[4:5]
	v_add_f64 v[0:1], v[0:1], v[4:5]
	v_mul_f64 v[4:5], v[150:151], v[46:47]
	v_fma_f64 v[4:5], v[148:149], v[44:45], -v[4:5]
	v_add_f64 v[0:1], v[0:1], v[4:5]
	v_mul_f64 v[4:5], v[154:155], v[50:51]
	v_fma_f64 v[4:5], v[152:153], v[48:49], -v[4:5]
	v_add_f64 v[0:1], v[0:1], v[4:5]
	v_mul_f64 v[4:5], v[158:159], v[54:55]
	v_fma_f64 v[4:5], v[156:157], v[52:53], -v[4:5]
	v_add_f64 v[0:1], v[0:1], v[4:5]
	v_mul_f64 v[4:5], v[162:163], v[62:63]
	v_fma_f64 v[4:5], v[160:161], v[60:61], -v[4:5]
	v_add_f64 v[0:1], v[0:1], v[4:5]
	v_mul_f64 v[4:5], v[166:167], v[58:59]
	v_fma_f64 v[4:5], v[164:165], v[56:57], -v[4:5]
	v_add_f64 v[0:1], v[0:1], v[4:5]
	v_mul_f64 v[4:5], v[170:171], v[74:75]
	v_fma_f64 v[4:5], v[168:169], v[72:73], -v[4:5]
	v_add_f64 v[0:1], v[0:1], v[4:5]
	v_mul_f64 v[4:5], v[174:175], v[78:79]
	v_fma_f64 v[4:5], v[172:173], v[76:77], -v[4:5]
	v_add_f64 v[0:1], v[0:1], v[4:5]
	v_mul_f64 v[4:5], v[178:179], v[82:83]
	v_fma_f64 v[4:5], v[176:177], v[80:81], -v[4:5]
	v_add_f64 v[0:1], v[0:1], v[4:5]
	v_mul_f64 v[4:5], v[182:183], v[86:87]
	v_fma_f64 v[4:5], v[180:181], v[84:85], -v[4:5]
	v_add_f64 v[0:1], v[0:1], v[4:5]
	v_mul_f64 v[4:5], v[186:187], v[90:91]
	v_fma_f64 v[4:5], v[184:185], v[88:89], -v[4:5]
	v_add_f64 v[0:1], v[0:1], v[4:5]
	v_mul_f64 v[4:5], v[190:191], v[94:95]
	v_fma_f64 v[4:5], v[188:189], v[92:93], -v[4:5]
	v_add_f64 v[0:1], v[0:1], v[4:5]
	v_mul_f64 v[4:5], v[194:195], v[102:103]
	v_fma_f64 v[4:5], v[192:193], v[100:101], -v[4:5]
	v_add_f64 v[0:1], v[0:1], v[4:5]
	v_mul_f64 v[4:5], v[198:199], v[98:99]
	v_fma_f64 v[4:5], v[196:197], v[96:97], -v[4:5]
	v_add_f64 v[0:1], v[0:1], v[4:5]
	v_mul_f64 v[4:5], v[202:203], v[106:107]
	v_fma_f64 v[4:5], v[200:201], v[104:105], -v[4:5]
	v_add_f64 v[0:1], v[0:1], v[4:5]
	v_mul_f64 v[4:5], v[206:207], v[110:111]
	v_fma_f64 v[4:5], v[204:205], v[108:109], -v[4:5]
	v_add_f64 v[0:1], v[0:1], v[4:5]
	v_mul_f64 v[4:5], v[210:211], v[114:115]
	v_fma_f64 v[4:5], v[208:209], v[112:113], -v[4:5]
	v_add_f64 v[0:1], v[0:1], v[4:5]
	v_mul_f64 v[4:5], v[218:219], v[214:215]
	v_fma_f64 v[4:5], v[216:217], v[212:213], -v[4:5]
	v_add_f64 v[0:1], v[0:1], v[4:5]
	v_mul_f64 v[4:5], v[226:227], v[222:223]
	v_fma_f64 v[4:5], v[224:225], v[220:221], -v[4:5]
	v_add_f64 v[0:1], v[0:1], v[4:5]
	s_waitcnt vmcnt(0)
	v_add_f64 v[4:5], v[228:229], -v[0:1]
	v_accvgpr_read_b32 v0, a90
	v_add_f64 v[6:7], v[230:231], -v[250:251]
	v_cmp_ne_u32_e32 vcc, 0, v0
	scratch_store_dwordx4 off, v[4:7], off offset:32
	s_and_saveexec_b64 s[0:1], vcc
	s_cbranch_execz .LBB108_283
; %bb.282:
	scratch_load_dwordx4 v[6:9], off, off offset:16
	v_mov_b32_e32 v3, v2
	v_mov_b32_e32 v4, v2
	;; [unrolled: 1-line block ×3, first 2 shown]
	v_accvgpr_read_b32 v0, a91
	scratch_store_dwordx4 off, v[2:5], off offset:16
	s_waitcnt vmcnt(1)
	ds_write_b128 v0, v[6:9]
.LBB108_283:
	s_or_b64 exec, exec, s[0:1]
	s_waitcnt lgkmcnt(0)
	; wave barrier
	scratch_load_dwordx4 v[72:75], off, off offset:32
	scratch_load_dwordx4 v[76:79], off, off offset:48
	;; [unrolled: 1-line block ×17, first 2 shown]
	ds_read_b128 v[228:231], v2 offset:736
	ds_read_b128 v[212:215], v2 offset:752
	scratch_load_dwordx4 v[28:31], off, off offset:304
	ds_read_b128 v[236:239], v2 offset:768
	ds_read_b128 v[232:235], v2 offset:784
	;; [unrolled: 1-line block ×5, first 2 shown]
	scratch_load_dwordx4 v[178:181], off, off offset:320
	ds_read_b128 v[224:227], v2 offset:848
	ds_read_b128 v[204:207], v2 offset:864
	;; [unrolled: 1-line block ×3, first 2 shown]
	scratch_load_dwordx4 v[20:23], off, off offset:336
	ds_read_b128 v[208:211], v2 offset:896
	ds_read_b128 v[188:191], v2 offset:912
	;; [unrolled: 1-line block ×5, first 2 shown]
	scratch_load_dwordx4 v[16:19], off, off offset:352
	ds_read_b128 v[24:27], v2 offset:976
	ds_read_b128 v[40:43], v2 offset:992
	;; [unrolled: 1-line block ×3, first 2 shown]
	scratch_load_dwordx4 v[12:15], off, off offset:368
	scratch_load_dwordx4 v[44:47], off, off offset:384
	;; [unrolled: 1-line block ×9, first 2 shown]
	ds_read_b128 v[192:195], v2 offset:1088
	ds_read_b128 v[196:199], v2 offset:1104
	s_waitcnt lgkmcnt(4)
	v_accvgpr_write_b32 a97, v27
	v_accvgpr_write_b32 a96, v26
	;; [unrolled: 1-line block ×4, first 2 shown]
	s_and_b64 vcc, exec, s[10:11]
	s_waitcnt vmcnt(29)
	v_mul_f64 v[0:1], v[228:229], v[74:75]
	s_waitcnt vmcnt(28)
	v_mul_f64 v[136:137], v[212:213], v[78:79]
	v_fmac_f64_e32 v[0:1], v[230:231], v[72:73]
	s_waitcnt vmcnt(27)
	v_mul_f64 v[138:139], v[236:237], v[82:83]
	v_fmac_f64_e32 v[136:137], v[214:215], v[76:77]
	v_add_f64 v[0:1], v[0:1], 0
	s_waitcnt vmcnt(26)
	v_mul_f64 v[140:141], v[232:233], v[86:87]
	v_fmac_f64_e32 v[138:139], v[238:239], v[80:81]
	v_add_f64 v[0:1], v[0:1], v[136:137]
	;; [unrolled: 4-line block ×14, first 2 shown]
	v_fmac_f64_e32 v[176:177], v[26:27], v[4:5]
	v_add_f64 v[0:1], v[0:1], v[174:175]
	s_waitcnt vmcnt(13) lgkmcnt(3)
	v_mul_f64 v[136:137], v[40:41], v[38:39]
	v_add_f64 v[0:1], v[0:1], v[176:177]
	v_fmac_f64_e32 v[136:137], v[42:43], v[36:37]
	v_add_f64 v[0:1], v[0:1], v[136:137]
	s_waitcnt vmcnt(12) lgkmcnt(2)
	v_mul_f64 v[140:141], v[32:33], v[30:31]
	scratch_load_dwordx4 v[136:139], off, off offset:512
	ds_read_b128 v[168:171], v2 offset:1024
	ds_read_b128 v[172:175], v2 offset:1040
	v_fmac_f64_e32 v[140:141], v[34:35], v[28:29]
	v_add_f64 v[0:1], v[0:1], v[140:141]
	s_waitcnt vmcnt(12)
	v_mov_b64_e32 v[24:25], v[178:179]
	scratch_load_dwordx4 v[140:143], off, off offset:528
	v_mov_b64_e32 v[26:27], v[180:181]
	ds_read_b128 v[176:179], v2 offset:1056
	ds_read_b128 v[180:183], v2 offset:1072
	s_waitcnt lgkmcnt(3)
	v_mul_f64 v[144:145], v[168:169], v[26:27]
	v_fmac_f64_e32 v[144:145], v[170:171], v[24:25]
	s_waitcnt vmcnt(12) lgkmcnt(2)
	v_mul_f64 v[148:149], v[172:173], v[22:23]
	v_add_f64 v[0:1], v[0:1], v[144:145]
	v_fmac_f64_e32 v[148:149], v[174:175], v[20:21]
	s_waitcnt vmcnt(11) lgkmcnt(1)
	v_mul_f64 v[152:153], v[176:177], v[18:19]
	scratch_load_dwordx4 v[144:147], off, off offset:544
	v_add_f64 v[0:1], v[0:1], v[148:149]
	v_fmac_f64_e32 v[152:153], v[178:179], v[16:17]
	scratch_load_dwordx4 v[148:151], off, off offset:560
	v_add_f64 v[0:1], v[0:1], v[152:153]
	s_waitcnt vmcnt(12) lgkmcnt(0)
	v_mul_f64 v[152:153], v[180:181], v[14:15]
	v_fmac_f64_e32 v[152:153], v[182:183], v[12:13]
	v_add_f64 v[0:1], v[0:1], v[152:153]
	scratch_load_dwordx4 v[152:155], off, off offset:576
	v_mul_f64 v[74:75], v[230:231], v[74:75]
	v_fma_f64 v[240:241], v[228:229], v[72:73], -v[74:75]
	scratch_load_dwordx4 v[72:75], off, off offset:592
	v_mul_f64 v[78:79], v[214:215], v[78:79]
	v_fma_f64 v[242:243], v[212:213], v[76:77], -v[78:79]
	;; [unrolled: 3-line block ×6, first 2 shown]
	scratch_load_dwordx4 v[92:95], off, off offset:672
	s_waitcnt vmcnt(18)
	v_mul_f64 v[228:229], v[192:193], v[46:47]
	v_fmac_f64_e32 v[228:229], v[194:195], v[44:45]
	v_add_f64 v[0:1], v[0:1], v[228:229]
	s_waitcnt vmcnt(17)
	v_mul_f64 v[228:229], v[196:197], v[50:51]
	ds_read_b128 v[212:215], v2 offset:1120
	v_fmac_f64_e32 v[228:229], v[198:199], v[48:49]
	v_add_f64 v[0:1], v[0:1], v[228:229]
	ds_read_b128 v[228:231], v2 offset:1136
	ds_read_b128 v[216:219], v2 offset:1152
	s_waitcnt vmcnt(16) lgkmcnt(2)
	v_mul_f64 v[220:221], v[212:213], v[54:55]
	v_fmac_f64_e32 v[220:221], v[214:215], v[52:53]
	v_mul_f64 v[98:99], v[202:203], v[98:99]
	v_add_f64 v[0:1], v[0:1], v[220:221]
	s_waitcnt vmcnt(15) lgkmcnt(1)
	v_mul_f64 v[220:221], v[228:229], v[58:59]
	v_fma_f64 v[250:251], v[200:201], v[96:97], -v[98:99]
	ds_read_b128 v[96:99], v2 offset:1168
	v_fmac_f64_e32 v[220:221], v[230:231], v[56:57]
	s_waitcnt vmcnt(14) lgkmcnt(1)
	v_mul_f64 v[200:201], v[216:217], v[62:63]
	v_mul_f64 v[102:103], v[226:227], v[102:103]
	v_add_f64 v[0:1], v[0:1], v[220:221]
	v_fmac_f64_e32 v[200:201], v[218:219], v[60:61]
	v_fma_f64 v[252:253], v[224:225], v[100:101], -v[102:103]
	ds_read_b128 v[100:103], v2 offset:1184
	v_add_f64 v[0:1], v[0:1], v[200:201]
	ds_read_b128 v[200:203], v2 offset:1200
	v_mul_f64 v[106:107], v[206:207], v[106:107]
	v_fma_f64 v[254:255], v[204:205], v[104:105], -v[106:107]
	ds_read_b128 v[104:107], v2 offset:1216
	s_waitcnt vmcnt(13) lgkmcnt(3)
	v_mul_f64 v[220:221], v[96:97], v[66:67]
	v_mul_f64 v[110:111], v[186:187], v[110:111]
	v_fmac_f64_e32 v[220:221], v[98:99], v[64:65]
	v_fma_f64 v[8:9], v[184:185], v[108:109], -v[110:111]
	ds_read_b128 v[108:111], v2 offset:1232
	v_add_f64 v[0:1], v[0:1], v[220:221]
	s_waitcnt vmcnt(12) lgkmcnt(3)
	v_mul_f64 v[220:221], v[100:101], v[70:71]
	v_accvgpr_write_b32 a93, v7
	v_fmac_f64_e32 v[220:221], v[102:103], v[68:69]
	s_waitcnt vmcnt(11) lgkmcnt(2)
	v_mul_f64 v[204:205], v[200:201], v[134:135]
	v_accvgpr_write_b32 a92, v6
	v_accvgpr_write_b32 a91, v5
	;; [unrolled: 1-line block ×3, first 2 shown]
	v_add_f64 v[0:1], v[0:1], v[220:221]
	v_fmac_f64_e32 v[204:205], v[202:203], v[132:133]
	s_waitcnt vmcnt(10) lgkmcnt(1)
	v_mul_f64 v[6:7], v[104:105], v[138:139]
	v_add_f64 v[0:1], v[0:1], v[204:205]
	v_fmac_f64_e32 v[6:7], v[106:107], v[136:137]
	v_add_f64 v[0:1], v[0:1], v[6:7]
	s_waitcnt vmcnt(9) lgkmcnt(0)
	v_mul_f64 v[6:7], v[108:109], v[142:143]
	v_fmac_f64_e32 v[6:7], v[110:111], v[140:141]
	ds_read_b128 v[184:187], v2 offset:1248
	v_add_f64 v[0:1], v[0:1], v[6:7]
	v_mul_f64 v[6:7], v[210:211], v[114:115]
	v_fma_f64 v[6:7], v[208:209], v[112:113], -v[6:7]
	ds_read_b128 v[112:115], v2 offset:1264
	v_mul_f64 v[118:119], v[190:191], v[118:119]
	v_fma_f64 v[4:5], v[188:189], v[116:117], -v[118:119]
	ds_read_b128 v[116:119], v2 offset:1280
	ds_read_b128 v[188:191], v2 offset:1296
	s_waitcnt vmcnt(8) lgkmcnt(3)
	v_mul_f64 v[204:205], v[184:185], v[146:147]
	v_fmac_f64_e32 v[204:205], v[186:187], v[144:145]
	s_waitcnt vmcnt(7) lgkmcnt(2)
	v_mul_f64 v[10:11], v[112:113], v[150:151]
	v_add_f64 v[0:1], v[0:1], v[204:205]
	v_fmac_f64_e32 v[10:11], v[114:115], v[148:149]
	v_add_f64 v[0:1], v[0:1], v[10:11]
	s_waitcnt vmcnt(6) lgkmcnt(1)
	v_mul_f64 v[10:11], v[116:117], v[154:155]
	v_fmac_f64_e32 v[10:11], v[118:119], v[152:153]
	v_add_f64 v[0:1], v[0:1], v[10:11]
	v_mul_f64 v[10:11], v[166:167], v[122:123]
	v_fma_f64 v[10:11], v[164:165], v[120:121], -v[10:11]
	ds_read_b128 v[120:123], v2 offset:1312
	v_mul_f64 v[126:127], v[162:163], v[126:127]
	v_fma_f64 v[124:125], v[160:161], v[124:125], -v[126:127]
	s_waitcnt vmcnt(5) lgkmcnt(1)
	v_mul_f64 v[164:165], v[188:189], v[74:75]
	v_accvgpr_write_b32 a98, v124
	v_fmac_f64_e32 v[164:165], v[190:191], v[72:73]
	v_accvgpr_write_b32 a99, v125
	ds_read_b128 v[124:127], v2 offset:1328
	s_waitcnt vmcnt(4) lgkmcnt(1)
	v_mul_f64 v[160:161], v[120:121], v[78:79]
	v_add_f64 v[0:1], v[0:1], v[164:165]
	v_fmac_f64_e32 v[160:161], v[122:123], v[76:77]
	v_add_f64 v[0:1], v[0:1], v[160:161]
	ds_read_b128 v[160:163], v2 offset:1344
	v_mul_f64 v[130:131], v[158:159], v[130:131]
	v_fma_f64 v[246:247], v[156:157], v[128:129], -v[130:131]
	ds_read_b128 v[128:131], v2 offset:1360
	s_waitcnt vmcnt(3) lgkmcnt(2)
	v_mul_f64 v[156:157], v[124:125], v[82:83]
	v_fmac_f64_e32 v[156:157], v[126:127], v[80:81]
	v_add_f64 v[0:1], v[0:1], v[156:157]
	s_waitcnt vmcnt(2) lgkmcnt(1)
	v_mul_f64 v[156:157], v[160:161], v[86:87]
	v_fmac_f64_e32 v[156:157], v[162:163], v[84:85]
	v_add_f64 v[0:1], v[0:1], v[156:157]
	;; [unrolled: 4-line block ×3, first 2 shown]
	ds_read_b128 v[156:159], v2 offset:1376
	ds_read_b128 v[204:207], v2 offset:1392
	;; [unrolled: 1-line block ×3, first 2 shown]
	s_waitcnt vmcnt(0) lgkmcnt(2)
	v_mul_f64 v[164:165], v[156:157], v[94:95]
	v_fmac_f64_e32 v[164:165], v[158:159], v[92:93]
	v_add_f64 v[0:1], v[0:1], v[164:165]
	scratch_load_dwordx4 v[164:167], off, off offset:688
	s_waitcnt vmcnt(0) lgkmcnt(1)
	v_mul_f64 v[208:209], v[204:205], v[166:167]
	v_fmac_f64_e32 v[208:209], v[206:207], v[164:165]
	v_add_f64 v[0:1], v[0:1], v[208:209]
	scratch_load_dwordx4 v[208:211], off, off offset:704
	;; [unrolled: 5-line block ×3, first 2 shown]
	ds_read_b128 v[0:3], v2 offset:1424
	s_waitcnt vmcnt(0) lgkmcnt(0)
	v_mul_f64 v[238:239], v[0:1], v[226:227]
	v_fmac_f64_e32 v[238:239], v[2:3], v[224:225]
	v_add_f64 v[236:237], v[236:237], v[238:239]
	v_add_f64 v[238:239], v[240:241], 0
	;; [unrolled: 1-line block ×11, first 2 shown]
	scratch_load_dwordx4 v[232:235], off, off offset:16
	v_add_f64 v[6:7], v[8:9], v[6:7]
	v_add_f64 v[4:5], v[6:7], v[4:5]
	;; [unrolled: 1-line block ×3, first 2 shown]
	v_accvgpr_read_b32 v4, a98
	v_accvgpr_read_b32 v8, a90
	;; [unrolled: 1-line block ×7, first 2 shown]
	v_add_f64 v[4:5], v[248:249], v[4:5]
	v_accvgpr_read_b32 v9, a91
	v_accvgpr_read_b32 v239, a95
	;; [unrolled: 1-line block ×3, first 2 shown]
	v_mul_f64 v[6:7], v[240:241], v[10:11]
	v_add_f64 v[4:5], v[4:5], v[246:247]
	v_fma_f64 v[6:7], v[238:239], v[8:9], -v[6:7]
	v_add_f64 v[4:5], v[4:5], v[6:7]
	v_mul_f64 v[6:7], v[42:43], v[38:39]
	v_fma_f64 v[6:7], v[40:41], v[36:37], -v[6:7]
	v_add_f64 v[4:5], v[4:5], v[6:7]
	v_mul_f64 v[6:7], v[34:35], v[30:31]
	;; [unrolled: 3-line block ×27, first 2 shown]
	v_fma_f64 v[6:7], v[220:221], v[208:209], -v[6:7]
	v_mul_f64 v[2:3], v[2:3], v[226:227]
	v_add_f64 v[4:5], v[4:5], v[6:7]
	v_fma_f64 v[0:1], v[0:1], v[224:225], -v[2:3]
	v_add_f64 v[0:1], v[4:5], v[0:1]
	s_waitcnt vmcnt(0)
	v_add_f64 v[0:1], v[232:233], -v[0:1]
	v_add_f64 v[2:3], v[234:235], -v[236:237]
	scratch_store_dwordx4 off, v[0:3], off offset:16
	s_cbranch_vccz .LBB108_372
; %bb.284:
	s_nop 0
	v_mov_b32_e32 v0, 0
	global_load_dword v1, v0, s[8:9] offset:172
	s_waitcnt vmcnt(0)
	v_readfirstlane_b32 s0, v1
	s_add_i32 s0, s0, -1
	s_cmp_lg_u32 s0, 43
	s_cbranch_scc0 .LBB108_286
; %bb.285:
	s_lshl_b32 s0, s0, 4
	s_add_i32 s0, s0, 16
	scratch_load_dwordx4 v[2:5], off, s0
	scratch_load_dwordx4 v[6:9], off, s17
	s_waitcnt vmcnt(1)
	scratch_store_dwordx4 off, v[2:5], s17
	s_waitcnt vmcnt(1)
	scratch_store_dwordx4 off, v[6:9], s0
.LBB108_286:
	global_load_dword v0, v0, s[8:9] offset:168
	s_waitcnt vmcnt(0)
	v_readfirstlane_b32 s0, v0
	s_add_i32 s0, s0, -1
	s_cmp_eq_u32 s0, 42
	s_cbranch_scc1 .LBB108_288
; %bb.287:
	s_lshl_b32 s0, s0, 4
	s_add_i32 s0, s0, 16
	scratch_load_dwordx4 v[0:3], off, s0
	scratch_load_dwordx4 v[4:7], off, s18
	s_waitcnt vmcnt(1)
	scratch_store_dwordx4 off, v[0:3], s18
	s_waitcnt vmcnt(1)
	scratch_store_dwordx4 off, v[4:7], s0
.LBB108_288:
	v_mov_b32_e32 v0, 0
	global_load_dword v1, v0, s[8:9] offset:164
	s_waitcnt vmcnt(0)
	v_readfirstlane_b32 s0, v1
	s_add_i32 s0, s0, -1
	s_cmp_eq_u32 s0, 41
	s_cbranch_scc1 .LBB108_290
; %bb.289:
	s_lshl_b32 s0, s0, 4
	s_add_i32 s0, s0, 16
	scratch_load_dwordx4 v[2:5], off, s0
	scratch_load_dwordx4 v[6:9], off, s19
	s_waitcnt vmcnt(1)
	scratch_store_dwordx4 off, v[2:5], s19
	s_waitcnt vmcnt(1)
	scratch_store_dwordx4 off, v[6:9], s0
.LBB108_290:
	global_load_dword v0, v0, s[8:9] offset:160
	s_waitcnt vmcnt(0)
	v_readfirstlane_b32 s0, v0
	s_add_i32 s0, s0, -1
	s_cmp_eq_u32 s0, 40
	s_cbranch_scc1 .LBB108_292
; %bb.291:
	s_lshl_b32 s0, s0, 4
	s_add_i32 s0, s0, 16
	scratch_load_dwordx4 v[0:3], off, s0
	scratch_load_dwordx4 v[4:7], off, s20
	s_waitcnt vmcnt(1)
	scratch_store_dwordx4 off, v[0:3], s20
	s_waitcnt vmcnt(1)
	scratch_store_dwordx4 off, v[4:7], s0
.LBB108_292:
	v_mov_b32_e32 v0, 0
	global_load_dword v1, v0, s[8:9] offset:156
	s_waitcnt vmcnt(0)
	v_readfirstlane_b32 s0, v1
	s_add_i32 s0, s0, -1
	s_cmp_eq_u32 s0, 39
	s_cbranch_scc1 .LBB108_294
; %bb.293:
	s_lshl_b32 s0, s0, 4
	s_add_i32 s0, s0, 16
	scratch_load_dwordx4 v[2:5], off, s0
	scratch_load_dwordx4 v[6:9], off, s21
	s_waitcnt vmcnt(1)
	scratch_store_dwordx4 off, v[2:5], s21
	s_waitcnt vmcnt(1)
	scratch_store_dwordx4 off, v[6:9], s0
.LBB108_294:
	;; [unrolled: 33-line block ×21, first 2 shown]
	global_load_dword v0, v0, s[8:9]
	s_waitcnt vmcnt(0)
	v_readfirstlane_b32 s0, v0
	s_add_i32 s0, s0, -1
	s_cmp_eq_u32 s0, 0
	s_cbranch_scc1 .LBB108_372
; %bb.371:
	s_lshl_b32 s0, s0, 4
	s_add_i32 s0, s0, 16
	scratch_load_dwordx4 v[0:3], off, s0
	scratch_load_dwordx4 v[4:7], off, off offset:16
	s_waitcnt vmcnt(1)
	scratch_store_dwordx4 off, v[0:3], off offset:16
	s_waitcnt vmcnt(1)
	scratch_store_dwordx4 off, v[4:7], s0
.LBB108_372:
	scratch_load_dwordx4 v[0:3], off, off offset:16
	s_nop 0
	v_accvgpr_read_b32 v5, a1
	v_accvgpr_read_b32 v4, a0
	s_waitcnt vmcnt(0)
	flat_store_dwordx4 v[4:5], v[0:3]
	scratch_load_dwordx4 v[0:3], off, s60
	v_accvgpr_read_b32 v5, a3
	v_accvgpr_read_b32 v4, a2
	s_waitcnt vmcnt(0)
	flat_store_dwordx4 v[4:5], v[0:3]
	scratch_load_dwordx4 v[0:3], off, s59
	;; [unrolled: 5-line block ×44, first 2 shown]
	v_accvgpr_read_b32 v4, a88
	v_accvgpr_read_b32 v5, a89
	s_waitcnt vmcnt(0)
	flat_store_dwordx4 v[4:5], v[0:3]
	s_endpgm
	.section	.rodata,"a",@progbits
	.p2align	6, 0x0
	.amdhsa_kernel _ZN9rocsolver6v33100L18getri_kernel_smallILi45E19rocblas_complex_numIdEPKPS3_EEvT1_iilPiilS8_bb
		.amdhsa_group_segment_fixed_size 1448
		.amdhsa_private_segment_fixed_size 752
		.amdhsa_kernarg_size 60
		.amdhsa_user_sgpr_count 2
		.amdhsa_user_sgpr_dispatch_ptr 0
		.amdhsa_user_sgpr_queue_ptr 0
		.amdhsa_user_sgpr_kernarg_segment_ptr 1
		.amdhsa_user_sgpr_dispatch_id 0
		.amdhsa_user_sgpr_kernarg_preload_length 0
		.amdhsa_user_sgpr_kernarg_preload_offset 0
		.amdhsa_user_sgpr_private_segment_size 0
		.amdhsa_uses_dynamic_stack 0
		.amdhsa_enable_private_segment 1
		.amdhsa_system_sgpr_workgroup_id_x 1
		.amdhsa_system_sgpr_workgroup_id_y 0
		.amdhsa_system_sgpr_workgroup_id_z 0
		.amdhsa_system_sgpr_workgroup_info 0
		.amdhsa_system_vgpr_workitem_id 0
		.amdhsa_next_free_vgpr 360
		.amdhsa_next_free_sgpr 77
		.amdhsa_accum_offset 256
		.amdhsa_reserve_vcc 1
		.amdhsa_float_round_mode_32 0
		.amdhsa_float_round_mode_16_64 0
		.amdhsa_float_denorm_mode_32 3
		.amdhsa_float_denorm_mode_16_64 3
		.amdhsa_dx10_clamp 1
		.amdhsa_ieee_mode 1
		.amdhsa_fp16_overflow 0
		.amdhsa_tg_split 0
		.amdhsa_exception_fp_ieee_invalid_op 0
		.amdhsa_exception_fp_denorm_src 0
		.amdhsa_exception_fp_ieee_div_zero 0
		.amdhsa_exception_fp_ieee_overflow 0
		.amdhsa_exception_fp_ieee_underflow 0
		.amdhsa_exception_fp_ieee_inexact 0
		.amdhsa_exception_int_div_zero 0
	.end_amdhsa_kernel
	.section	.text._ZN9rocsolver6v33100L18getri_kernel_smallILi45E19rocblas_complex_numIdEPKPS3_EEvT1_iilPiilS8_bb,"axG",@progbits,_ZN9rocsolver6v33100L18getri_kernel_smallILi45E19rocblas_complex_numIdEPKPS3_EEvT1_iilPiilS8_bb,comdat
.Lfunc_end108:
	.size	_ZN9rocsolver6v33100L18getri_kernel_smallILi45E19rocblas_complex_numIdEPKPS3_EEvT1_iilPiilS8_bb, .Lfunc_end108-_ZN9rocsolver6v33100L18getri_kernel_smallILi45E19rocblas_complex_numIdEPKPS3_EEvT1_iilPiilS8_bb
                                        ; -- End function
	.set _ZN9rocsolver6v33100L18getri_kernel_smallILi45E19rocblas_complex_numIdEPKPS3_EEvT1_iilPiilS8_bb.num_vgpr, 256
	.set _ZN9rocsolver6v33100L18getri_kernel_smallILi45E19rocblas_complex_numIdEPKPS3_EEvT1_iilPiilS8_bb.num_agpr, 104
	.set _ZN9rocsolver6v33100L18getri_kernel_smallILi45E19rocblas_complex_numIdEPKPS3_EEvT1_iilPiilS8_bb.numbered_sgpr, 77
	.set _ZN9rocsolver6v33100L18getri_kernel_smallILi45E19rocblas_complex_numIdEPKPS3_EEvT1_iilPiilS8_bb.num_named_barrier, 0
	.set _ZN9rocsolver6v33100L18getri_kernel_smallILi45E19rocblas_complex_numIdEPKPS3_EEvT1_iilPiilS8_bb.private_seg_size, 752
	.set _ZN9rocsolver6v33100L18getri_kernel_smallILi45E19rocblas_complex_numIdEPKPS3_EEvT1_iilPiilS8_bb.uses_vcc, 1
	.set _ZN9rocsolver6v33100L18getri_kernel_smallILi45E19rocblas_complex_numIdEPKPS3_EEvT1_iilPiilS8_bb.uses_flat_scratch, 0
	.set _ZN9rocsolver6v33100L18getri_kernel_smallILi45E19rocblas_complex_numIdEPKPS3_EEvT1_iilPiilS8_bb.has_dyn_sized_stack, 0
	.set _ZN9rocsolver6v33100L18getri_kernel_smallILi45E19rocblas_complex_numIdEPKPS3_EEvT1_iilPiilS8_bb.has_recursion, 0
	.set _ZN9rocsolver6v33100L18getri_kernel_smallILi45E19rocblas_complex_numIdEPKPS3_EEvT1_iilPiilS8_bb.has_indirect_call, 0
	.section	.AMDGPU.csdata,"",@progbits
; Kernel info:
; codeLenInByte = 87036
; TotalNumSgprs: 83
; NumVgprs: 256
; NumAgprs: 104
; TotalNumVgprs: 360
; ScratchSize: 752
; MemoryBound: 0
; FloatMode: 240
; IeeeMode: 1
; LDSByteSize: 1448 bytes/workgroup (compile time only)
; SGPRBlocks: 10
; VGPRBlocks: 44
; NumSGPRsForWavesPerEU: 83
; NumVGPRsForWavesPerEU: 360
; AccumOffset: 256
; Occupancy: 1
; WaveLimiterHint : 1
; COMPUTE_PGM_RSRC2:SCRATCH_EN: 1
; COMPUTE_PGM_RSRC2:USER_SGPR: 2
; COMPUTE_PGM_RSRC2:TRAP_HANDLER: 0
; COMPUTE_PGM_RSRC2:TGID_X_EN: 1
; COMPUTE_PGM_RSRC2:TGID_Y_EN: 0
; COMPUTE_PGM_RSRC2:TGID_Z_EN: 0
; COMPUTE_PGM_RSRC2:TIDIG_COMP_CNT: 0
; COMPUTE_PGM_RSRC3_GFX90A:ACCUM_OFFSET: 63
; COMPUTE_PGM_RSRC3_GFX90A:TG_SPLIT: 0
	.section	.text._ZN9rocsolver6v33100L18getri_kernel_smallILi46E19rocblas_complex_numIdEPKPS3_EEvT1_iilPiilS8_bb,"axG",@progbits,_ZN9rocsolver6v33100L18getri_kernel_smallILi46E19rocblas_complex_numIdEPKPS3_EEvT1_iilPiilS8_bb,comdat
	.globl	_ZN9rocsolver6v33100L18getri_kernel_smallILi46E19rocblas_complex_numIdEPKPS3_EEvT1_iilPiilS8_bb ; -- Begin function _ZN9rocsolver6v33100L18getri_kernel_smallILi46E19rocblas_complex_numIdEPKPS3_EEvT1_iilPiilS8_bb
	.p2align	8
	.type	_ZN9rocsolver6v33100L18getri_kernel_smallILi46E19rocblas_complex_numIdEPKPS3_EEvT1_iilPiilS8_bb,@function
_ZN9rocsolver6v33100L18getri_kernel_smallILi46E19rocblas_complex_numIdEPKPS3_EEvT1_iilPiilS8_bb: ; @_ZN9rocsolver6v33100L18getri_kernel_smallILi46E19rocblas_complex_numIdEPKPS3_EEvT1_iilPiilS8_bb
; %bb.0:
	v_mov_b32_e32 v240, v0
	v_cmp_gt_u32_e32 vcc, 46, v240
	s_and_saveexec_b64 s[4:5], vcc
	s_cbranch_execz .LBB109_198
; %bb.1:
	s_load_dword s14, s[0:1], 0x38
	s_load_dwordx2 s[8:9], s[0:1], 0x0
	s_load_dwordx4 s[4:7], s[0:1], 0x28
	s_waitcnt lgkmcnt(0)
	s_bitcmp1_b32 s14, 8
	s_cselect_b64 s[10:11], -1, 0
	s_ashr_i32 s3, s2, 31
	s_lshl_b64 s[12:13], s[2:3], 3
	s_add_u32 s8, s8, s12
	s_addc_u32 s9, s9, s13
	s_load_dwordx2 s[12:13], s[8:9], 0x0
	s_bfe_u32 s8, s14, 0x10008
	s_cmp_eq_u32 s8, 0
                                        ; implicit-def: $sgpr8_sgpr9
	s_cbranch_scc1 .LBB109_3
; %bb.2:
	s_load_dword s8, s[0:1], 0x20
	s_load_dwordx2 s[14:15], s[0:1], 0x18
	s_mul_i32 s9, s4, s3
	s_mul_hi_u32 s16, s4, s2
	s_add_i32 s16, s16, s9
	s_mul_i32 s5, s5, s2
	s_add_i32 s5, s16, s5
	s_mul_i32 s4, s4, s2
	s_waitcnt lgkmcnt(0)
	s_ashr_i32 s9, s8, 31
	s_lshl_b64 s[4:5], s[4:5], 2
	s_add_u32 s14, s14, s4
	s_addc_u32 s15, s15, s5
	s_lshl_b64 s[4:5], s[8:9], 2
	s_add_u32 s8, s14, s4
	s_addc_u32 s9, s15, s5
.LBB109_3:
	s_load_dwordx2 s[4:5], s[0:1], 0x8
	s_load_dword s14, s[0:1], 0x38
	v_lshlrev_b32_e32 v14, 4, v240
	v_mov_b32_e32 v15, 0
	s_movk_i32 s15, 0x80
	s_waitcnt lgkmcnt(0)
	s_ashr_i32 s1, s4, 31
	s_mov_b32 s0, s4
	s_lshl_b64 s[0:1], s[0:1], 4
	s_add_u32 s0, s12, s0
	s_addc_u32 s1, s13, s1
	v_lshl_add_u64 v[0:1], s[0:1], 0, v[14:15]
	flat_load_dwordx4 v[2:5], v[0:1]
	s_mov_b32 s12, s5
	s_ashr_i32 s13, s5, 31
	v_accvgpr_write_b32 a0, v0
	v_accvgpr_write_b32 a1, v1
	v_lshl_add_u64 v[0:1], s[12:13], 4, v[0:1]
	s_add_i32 s4, s5, s5
	v_add_u32_e32 v6, s4, v240
	v_accvgpr_write_b32 a3, v1
	v_ashrrev_i32_e32 v7, 31, v6
	v_accvgpr_write_b32 a2, v0
	s_movk_i32 s4, 0x50
	s_movk_i32 s12, 0x60
	;; [unrolled: 1-line block ×37, first 2 shown]
	s_add_i32 s57, s4, 16
	s_add_i32 s56, s12, 16
	;; [unrolled: 1-line block ×32, first 2 shown]
	s_waitcnt vmcnt(0) lgkmcnt(0)
	scratch_store_dwordx4 off, v[2:5], off offset:16
	flat_load_dwordx4 v[2:5], v[0:1]
	v_lshl_add_u64 v[0:1], v[6:7], 4, s[0:1]
	v_add_u32_e32 v6, s5, v6
	v_accvgpr_write_b32 a5, v1
	v_ashrrev_i32_e32 v7, 31, v6
	v_accvgpr_write_b32 a4, v0
	s_add_i32 s21, s73, 16
	s_add_i32 s20, s74, 16
	;; [unrolled: 1-line block ×6, first 2 shown]
	s_mov_b32 s61, 32
	s_mov_b32 s60, 48
	;; [unrolled: 1-line block ×3, first 2 shown]
	s_movk_i32 s58, 0x50
	s_waitcnt vmcnt(0) lgkmcnt(0)
	scratch_store_dwordx4 off, v[2:5], off offset:32
	flat_load_dwordx4 v[2:5], v[0:1]
	v_lshl_add_u64 v[0:1], v[6:7], 4, s[0:1]
	v_add_u32_e32 v6, s5, v6
	v_accvgpr_write_b32 a7, v1
	v_ashrrev_i32_e32 v7, 31, v6
	v_accvgpr_write_b32 a6, v0
	s_waitcnt vmcnt(0) lgkmcnt(0)
	scratch_store_dwordx4 off, v[2:5], off offset:48
	flat_load_dwordx4 v[2:5], v[0:1]
	v_lshl_add_u64 v[0:1], v[6:7], 4, s[0:1]
	v_add_u32_e32 v6, s5, v6
	v_accvgpr_write_b32 a9, v1
	v_ashrrev_i32_e32 v7, 31, v6
	v_accvgpr_write_b32 a8, v0
	;; [unrolled: 8-line block ×42, first 2 shown]
	s_movk_i32 s5, 0xf0
	s_add_i32 s47, s5, 16
	s_mov_b64 s[4:5], -1
	s_waitcnt vmcnt(0) lgkmcnt(0)
	scratch_store_dwordx4 off, v[2:5], off offset:704
	flat_load_dwordx4 v[2:5], v[0:1]
	v_lshl_add_u64 v[0:1], v[6:7], 4, s[0:1]
	s_movk_i32 s0, 0xd0
	s_movk_i32 s1, 0xe0
	v_accvgpr_write_b32 a91, v1
	s_add_i32 s49, s0, 16
	s_add_i32 s48, s1, 16
	v_accvgpr_write_b32 a90, v0
	s_bitcmp0_b32 s14, 0
	s_waitcnt vmcnt(0) lgkmcnt(0)
	scratch_store_dwordx4 off, v[2:5], off offset:720
	flat_load_dwordx4 v[2:5], v[0:1]
	s_waitcnt vmcnt(0) lgkmcnt(0)
	scratch_store_dwordx4 off, v[2:5], off offset:736
	s_cbranch_scc1 .LBB109_196
; %bb.4:
	v_cmp_eq_u32_e64 s[0:1], 0, v240
	s_and_saveexec_b64 s[4:5], s[0:1]
; %bb.5:
	v_mov_b32_e32 v0, 0
	ds_write_b32 v0, v0 offset:1472
; %bb.6:
	s_or_b64 exec, exec, s[4:5]
	s_waitcnt lgkmcnt(0)
	; wave barrier
	scratch_load_dwordx4 v[2:5], v14, off offset:16
	s_waitcnt vmcnt(0)
	v_cmp_eq_f64_e32 vcc, 0, v[2:3]
	v_cmp_eq_f64_e64 s[4:5], 0, v[4:5]
	s_and_b64 s[4:5], vcc, s[4:5]
	s_and_saveexec_b64 s[12:13], s[4:5]
	s_cbranch_execz .LBB109_10
; %bb.7:
	v_mov_b32_e32 v1, 0
	ds_read_b32 v0, v1 offset:1472
	v_add_u32_e32 v2, 1, v240
	s_waitcnt lgkmcnt(0)
	v_readfirstlane_b32 s4, v0
	s_cmp_eq_u32 s4, 0
	s_cselect_b64 s[14:15], -1, 0
	v_cmp_gt_i32_e32 vcc, s4, v2
	s_or_b64 s[14:15], s[14:15], vcc
	s_and_b64 exec, exec, s[14:15]
	s_cbranch_execz .LBB109_10
; %bb.8:
	s_mov_b64 s[14:15], 0
	v_mov_b32_e32 v3, s4
.LBB109_9:                              ; =>This Inner Loop Header: Depth=1
	ds_cmpst_rtn_b32 v3, v1, v3, v2 offset:1472
	s_waitcnt lgkmcnt(0)
	v_cmp_ne_u32_e32 vcc, 0, v3
	v_cmp_le_i32_e64 s[4:5], v3, v2
	s_and_b64 s[4:5], vcc, s[4:5]
	s_and_b64 s[4:5], exec, s[4:5]
	s_or_b64 s[14:15], s[4:5], s[14:15]
	s_andn2_b64 exec, exec, s[14:15]
	s_cbranch_execnz .LBB109_9
.LBB109_10:
	s_or_b64 exec, exec, s[12:13]
	v_mov_b32_e32 v2, 0
	; wave barrier
	ds_read_b32 v1, v2 offset:1472
	s_and_saveexec_b64 s[4:5], s[0:1]
	s_cbranch_execz .LBB109_12
; %bb.11:
	s_lshl_b64 s[12:13], s[2:3], 2
	s_add_u32 s12, s6, s12
	s_addc_u32 s13, s7, s13
	s_waitcnt lgkmcnt(0)
	global_store_dword v2, v1, s[12:13]
.LBB109_12:
	s_or_b64 exec, exec, s[4:5]
	s_waitcnt lgkmcnt(0)
	v_cmp_ne_u32_e32 vcc, 0, v1
	s_mov_b64 s[4:5], 0
	s_cbranch_vccnz .LBB109_196
; %bb.13:
	v_add_u32_e32 v15, 16, v14
	scratch_load_dwordx4 v[2:5], v15, off
                                        ; implicit-def: $vgpr6_vgpr7
                                        ; implicit-def: $vgpr10_vgpr11
	s_waitcnt vmcnt(0)
	v_cmp_ngt_f64_e64 s[4:5], |v[2:3]|, |v[4:5]|
	s_and_saveexec_b64 s[12:13], s[4:5]
	s_xor_b64 s[4:5], exec, s[12:13]
	s_cbranch_execz .LBB109_15
; %bb.14:
	v_div_scale_f64 v[6:7], s[12:13], v[4:5], v[4:5], v[2:3]
	v_rcp_f64_e32 v[8:9], v[6:7]
	v_div_scale_f64 v[10:11], vcc, v[2:3], v[4:5], v[2:3]
	v_fma_f64 v[12:13], -v[6:7], v[8:9], 1.0
	v_fmac_f64_e32 v[8:9], v[8:9], v[12:13]
	v_fma_f64 v[12:13], -v[6:7], v[8:9], 1.0
	v_fmac_f64_e32 v[8:9], v[8:9], v[12:13]
	v_mul_f64 v[12:13], v[10:11], v[8:9]
	v_fma_f64 v[6:7], -v[6:7], v[12:13], v[10:11]
	v_div_fmas_f64 v[6:7], v[6:7], v[8:9], v[12:13]
	v_div_fixup_f64 v[6:7], v[6:7], v[4:5], v[2:3]
	v_fmac_f64_e32 v[4:5], v[2:3], v[6:7]
	v_div_scale_f64 v[2:3], s[12:13], v[4:5], v[4:5], 1.0
	v_rcp_f64_e32 v[8:9], v[2:3]
	s_nop 0
	v_fma_f64 v[10:11], -v[2:3], v[8:9], 1.0
	v_fmac_f64_e32 v[8:9], v[8:9], v[10:11]
	v_fma_f64 v[10:11], -v[2:3], v[8:9], 1.0
	v_fmac_f64_e32 v[8:9], v[8:9], v[10:11]
	v_div_scale_f64 v[10:11], vcc, 1.0, v[4:5], 1.0
	v_mul_f64 v[12:13], v[10:11], v[8:9]
	v_fma_f64 v[2:3], -v[2:3], v[12:13], v[10:11]
	s_nop 1
	v_div_fmas_f64 v[2:3], v[2:3], v[8:9], v[12:13]
	v_div_fixup_f64 v[8:9], v[2:3], v[4:5], 1.0
	v_mul_f64 v[6:7], v[6:7], v[8:9]
	v_xor_b32_e32 v9, 0x80000000, v9
	v_xor_b32_e32 v11, 0x80000000, v7
	v_mov_b32_e32 v10, v6
                                        ; implicit-def: $vgpr2_vgpr3
.LBB109_15:
	s_andn2_saveexec_b64 s[4:5], s[4:5]
	s_cbranch_execz .LBB109_17
; %bb.16:
	v_div_scale_f64 v[6:7], s[12:13], v[2:3], v[2:3], v[4:5]
	v_rcp_f64_e32 v[8:9], v[6:7]
	v_div_scale_f64 v[10:11], vcc, v[4:5], v[2:3], v[4:5]
	v_fma_f64 v[12:13], -v[6:7], v[8:9], 1.0
	v_fmac_f64_e32 v[8:9], v[8:9], v[12:13]
	v_fma_f64 v[12:13], -v[6:7], v[8:9], 1.0
	v_fmac_f64_e32 v[8:9], v[8:9], v[12:13]
	v_mul_f64 v[12:13], v[10:11], v[8:9]
	v_fma_f64 v[6:7], -v[6:7], v[12:13], v[10:11]
	v_div_fmas_f64 v[6:7], v[6:7], v[8:9], v[12:13]
	v_div_fixup_f64 v[8:9], v[6:7], v[2:3], v[4:5]
	v_fmac_f64_e32 v[2:3], v[4:5], v[8:9]
	v_div_scale_f64 v[4:5], s[12:13], v[2:3], v[2:3], 1.0
	v_rcp_f64_e32 v[6:7], v[4:5]
	s_nop 0
	v_fma_f64 v[10:11], -v[4:5], v[6:7], 1.0
	v_fmac_f64_e32 v[6:7], v[6:7], v[10:11]
	v_fma_f64 v[10:11], -v[4:5], v[6:7], 1.0
	v_fmac_f64_e32 v[6:7], v[6:7], v[10:11]
	v_div_scale_f64 v[10:11], vcc, 1.0, v[2:3], 1.0
	v_mul_f64 v[12:13], v[10:11], v[6:7]
	v_fma_f64 v[4:5], -v[4:5], v[12:13], v[10:11]
	s_nop 1
	v_div_fmas_f64 v[4:5], v[4:5], v[6:7], v[12:13]
	v_div_fixup_f64 v[6:7], v[4:5], v[2:3], 1.0
	v_xor_b32_e32 v11, 0x80000000, v7
	v_mov_b32_e32 v10, v6
	v_mul_f64 v[8:9], v[8:9], -v[6:7]
.LBB109_17:
	s_or_b64 exec, exec, s[4:5]
	scratch_store_dwordx4 v15, v[6:9], off
	scratch_load_dwordx4 v[2:5], off, s61
	v_xor_b32_e32 v13, 0x80000000, v9
	v_mov_b32_e32 v12, v8
	v_add_u32_e32 v1, 0x2e0, v14
	ds_write_b128 v14, v[10:13]
	s_waitcnt vmcnt(0)
	ds_write_b128 v14, v[2:5] offset:736
	s_waitcnt lgkmcnt(0)
	; wave barrier
	s_and_saveexec_b64 s[4:5], s[0:1]
	s_cbranch_execz .LBB109_19
; %bb.18:
	scratch_load_dwordx4 v[2:5], v15, off
	ds_read_b128 v[6:9], v1
	v_mov_b32_e32 v0, 0
	ds_read_b128 v[10:13], v0 offset:16
	s_waitcnt vmcnt(0) lgkmcnt(1)
	v_mul_f64 v[16:17], v[8:9], v[4:5]
	v_mul_f64 v[4:5], v[6:7], v[4:5]
	v_fma_f64 v[6:7], v[6:7], v[2:3], -v[16:17]
	v_fmac_f64_e32 v[4:5], v[8:9], v[2:3]
	v_add_f64 v[2:3], v[6:7], 0
	v_add_f64 v[6:7], v[4:5], 0
	s_waitcnt lgkmcnt(0)
	v_mul_f64 v[8:9], v[6:7], v[12:13]
	v_mul_f64 v[4:5], v[2:3], v[12:13]
	v_fma_f64 v[2:3], v[2:3], v[10:11], -v[8:9]
	v_fmac_f64_e32 v[4:5], v[6:7], v[10:11]
	scratch_store_dwordx4 off, v[2:5], off offset:32
.LBB109_19:
	s_or_b64 exec, exec, s[4:5]
	; wave barrier
	scratch_load_dwordx4 v[2:5], off, s60
	v_cmp_gt_u32_e32 vcc, 2, v240
	s_waitcnt vmcnt(0)
	ds_write_b128 v1, v[2:5]
	s_waitcnt lgkmcnt(0)
	; wave barrier
	s_and_saveexec_b64 s[4:5], vcc
	s_cbranch_execz .LBB109_23
; %bb.20:
	scratch_load_dwordx4 v[2:5], v15, off
	ds_read_b128 v[6:9], v1
	s_waitcnt vmcnt(0) lgkmcnt(0)
	v_mul_f64 v[10:11], v[8:9], v[4:5]
	v_mul_f64 v[12:13], v[6:7], v[4:5]
	v_fma_f64 v[4:5], v[6:7], v[2:3], -v[10:11]
	v_fmac_f64_e32 v[12:13], v[8:9], v[2:3]
	v_add_f64 v[4:5], v[4:5], 0
	v_add_f64 v[2:3], v[12:13], 0
	s_and_saveexec_b64 s[12:13], s[0:1]
	s_cbranch_execz .LBB109_22
; %bb.21:
	scratch_load_dwordx4 v[6:9], off, off offset:32
	v_mov_b32_e32 v0, 0
	ds_read_b128 v[10:13], v0 offset:752
	s_waitcnt vmcnt(0) lgkmcnt(0)
	v_mul_f64 v[16:17], v[10:11], v[8:9]
	v_mul_f64 v[8:9], v[12:13], v[8:9]
	v_fmac_f64_e32 v[16:17], v[12:13], v[6:7]
	v_fma_f64 v[6:7], v[10:11], v[6:7], -v[8:9]
	v_add_f64 v[2:3], v[2:3], v[16:17]
	v_add_f64 v[4:5], v[4:5], v[6:7]
.LBB109_22:
	s_or_b64 exec, exec, s[12:13]
	v_mov_b32_e32 v0, 0
	ds_read_b128 v[6:9], v0 offset:32
	s_waitcnt lgkmcnt(0)
	v_mul_f64 v[12:13], v[2:3], v[8:9]
	v_mul_f64 v[10:11], v[4:5], v[8:9]
	v_fma_f64 v[8:9], v[4:5], v[6:7], -v[12:13]
	v_fmac_f64_e32 v[10:11], v[2:3], v[6:7]
	scratch_store_dwordx4 off, v[8:11], off offset:48
.LBB109_23:
	s_or_b64 exec, exec, s[4:5]
	; wave barrier
	scratch_load_dwordx4 v[2:5], off, s59
	v_cmp_gt_u32_e32 vcc, 3, v240
	v_add_u32_e32 v6, -1, v240
	s_waitcnt vmcnt(0)
	ds_write_b128 v1, v[2:5]
	s_waitcnt lgkmcnt(0)
	; wave barrier
	s_and_saveexec_b64 s[0:1], vcc
	s_cbranch_execz .LBB109_27
; %bb.24:
	v_add_u32_e32 v7, -1, v240
	v_add_u32_e32 v8, 0x2e0, v14
	v_add_u32_e32 v9, 16, v14
	v_mov_b64_e32 v[2:3], 0
	s_mov_b64 s[4:5], 0
	v_mov_b64_e32 v[4:5], 0
.LBB109_25:                             ; =>This Inner Loop Header: Depth=1
	scratch_load_dwordx4 v[10:13], v9, off
	ds_read_b128 v[16:19], v8
	v_add_u32_e32 v7, 1, v7
	v_cmp_lt_u32_e32 vcc, 1, v7
	v_add_u32_e32 v8, 16, v8
	v_add_u32_e32 v9, 16, v9
	s_or_b64 s[4:5], vcc, s[4:5]
	s_waitcnt vmcnt(0) lgkmcnt(0)
	v_mul_f64 v[20:21], v[18:19], v[12:13]
	v_mul_f64 v[12:13], v[16:17], v[12:13]
	v_fma_f64 v[16:17], v[16:17], v[10:11], -v[20:21]
	v_fmac_f64_e32 v[12:13], v[18:19], v[10:11]
	v_add_f64 v[4:5], v[4:5], v[16:17]
	v_add_f64 v[2:3], v[2:3], v[12:13]
	s_andn2_b64 exec, exec, s[4:5]
	s_cbranch_execnz .LBB109_25
; %bb.26:
	s_or_b64 exec, exec, s[4:5]
	v_mov_b32_e32 v0, 0
	ds_read_b128 v[8:11], v0 offset:48
	s_waitcnt lgkmcnt(0)
	v_mul_f64 v[16:17], v[2:3], v[10:11]
	v_mul_f64 v[12:13], v[4:5], v[10:11]
	v_fma_f64 v[10:11], v[4:5], v[8:9], -v[16:17]
	v_fmac_f64_e32 v[12:13], v[2:3], v[8:9]
	scratch_store_dwordx4 off, v[10:13], off offset:64
.LBB109_27:
	s_or_b64 exec, exec, s[0:1]
	; wave barrier
	scratch_load_dwordx4 v[2:5], off, s58
	v_cmp_gt_u32_e32 vcc, 4, v240
	s_waitcnt vmcnt(0)
	ds_write_b128 v1, v[2:5]
	s_waitcnt lgkmcnt(0)
	; wave barrier
	s_and_saveexec_b64 s[0:1], vcc
	s_cbranch_execz .LBB109_31
; %bb.28:
	v_add_u32_e32 v7, -1, v240
	v_add_u32_e32 v8, 0x2e0, v14
	v_add_u32_e32 v9, 16, v14
	v_mov_b64_e32 v[2:3], 0
	s_mov_b64 s[4:5], 0
	v_mov_b64_e32 v[4:5], 0
.LBB109_29:                             ; =>This Inner Loop Header: Depth=1
	scratch_load_dwordx4 v[10:13], v9, off
	ds_read_b128 v[16:19], v8
	v_add_u32_e32 v7, 1, v7
	v_cmp_lt_u32_e32 vcc, 2, v7
	v_add_u32_e32 v8, 16, v8
	v_add_u32_e32 v9, 16, v9
	s_or_b64 s[4:5], vcc, s[4:5]
	s_waitcnt vmcnt(0) lgkmcnt(0)
	v_mul_f64 v[20:21], v[18:19], v[12:13]
	v_mul_f64 v[12:13], v[16:17], v[12:13]
	v_fma_f64 v[16:17], v[16:17], v[10:11], -v[20:21]
	v_fmac_f64_e32 v[12:13], v[18:19], v[10:11]
	v_add_f64 v[4:5], v[4:5], v[16:17]
	v_add_f64 v[2:3], v[2:3], v[12:13]
	s_andn2_b64 exec, exec, s[4:5]
	s_cbranch_execnz .LBB109_29
; %bb.30:
	s_or_b64 exec, exec, s[4:5]
	v_mov_b32_e32 v0, 0
	ds_read_b128 v[8:11], v0 offset:64
	s_waitcnt lgkmcnt(0)
	v_mul_f64 v[16:17], v[2:3], v[10:11]
	v_mul_f64 v[12:13], v[4:5], v[10:11]
	v_fma_f64 v[10:11], v[4:5], v[8:9], -v[16:17]
	v_fmac_f64_e32 v[12:13], v[2:3], v[8:9]
	scratch_store_dwordx4 off, v[10:13], off offset:80
.LBB109_31:
	s_or_b64 exec, exec, s[0:1]
	; wave barrier
	scratch_load_dwordx4 v[2:5], off, s57
	v_cmp_gt_u32_e32 vcc, 5, v240
	;; [unrolled: 45-line block ×19, first 2 shown]
	s_waitcnt vmcnt(0)
	ds_write_b128 v1, v[2:5]
	s_waitcnt lgkmcnt(0)
	; wave barrier
	s_and_saveexec_b64 s[0:1], vcc
	s_cbranch_execz .LBB109_103
; %bb.100:
	v_add_u32_e32 v7, -1, v240
	v_add_u32_e32 v8, 0x2e0, v14
	v_add_u32_e32 v9, 16, v14
	v_mov_b64_e32 v[2:3], 0
	s_mov_b64 s[4:5], 0
	v_mov_b64_e32 v[4:5], 0
.LBB109_101:                            ; =>This Inner Loop Header: Depth=1
	scratch_load_dwordx4 v[10:13], v9, off
	ds_read_b128 v[16:19], v8
	v_add_u32_e32 v7, 1, v7
	v_cmp_lt_u32_e32 vcc, 20, v7
	v_add_u32_e32 v8, 16, v8
	v_add_u32_e32 v9, 16, v9
	s_or_b64 s[4:5], vcc, s[4:5]
	s_waitcnt vmcnt(0) lgkmcnt(0)
	v_mul_f64 v[20:21], v[18:19], v[12:13]
	v_mul_f64 v[12:13], v[16:17], v[12:13]
	v_fma_f64 v[16:17], v[16:17], v[10:11], -v[20:21]
	v_fmac_f64_e32 v[12:13], v[18:19], v[10:11]
	v_add_f64 v[4:5], v[4:5], v[16:17]
	v_add_f64 v[2:3], v[2:3], v[12:13]
	s_andn2_b64 exec, exec, s[4:5]
	s_cbranch_execnz .LBB109_101
; %bb.102:
	s_or_b64 exec, exec, s[4:5]
	v_mov_b32_e32 v0, 0
	ds_read_b128 v[8:11], v0 offset:352
	s_waitcnt lgkmcnt(0)
	v_mul_f64 v[16:17], v[2:3], v[10:11]
	v_mul_f64 v[12:13], v[4:5], v[10:11]
	v_fma_f64 v[10:11], v[4:5], v[8:9], -v[16:17]
	v_fmac_f64_e32 v[12:13], v[2:3], v[8:9]
	scratch_store_dwordx4 off, v[10:13], off offset:368
.LBB109_103:
	s_or_b64 exec, exec, s[0:1]
	; wave barrier
	scratch_load_dwordx4 v[2:5], off, s39
	v_cmp_gt_u32_e32 vcc, 23, v240
	s_waitcnt vmcnt(0)
	ds_write_b128 v1, v[2:5]
	s_waitcnt lgkmcnt(0)
	; wave barrier
	s_and_saveexec_b64 s[0:1], vcc
	s_cbranch_execz .LBB109_107
; %bb.104:
	v_add_u32_e32 v7, -1, v240
	v_add_u32_e32 v8, 0x2e0, v14
	v_add_u32_e32 v9, 16, v14
	v_mov_b64_e32 v[2:3], 0
	s_mov_b64 s[4:5], 0
	v_mov_b64_e32 v[4:5], 0
.LBB109_105:                            ; =>This Inner Loop Header: Depth=1
	scratch_load_dwordx4 v[10:13], v9, off
	ds_read_b128 v[16:19], v8
	v_add_u32_e32 v7, 1, v7
	v_cmp_lt_u32_e32 vcc, 21, v7
	v_add_u32_e32 v8, 16, v8
	v_add_u32_e32 v9, 16, v9
	s_or_b64 s[4:5], vcc, s[4:5]
	s_waitcnt vmcnt(0) lgkmcnt(0)
	v_mul_f64 v[20:21], v[18:19], v[12:13]
	v_mul_f64 v[12:13], v[16:17], v[12:13]
	v_fma_f64 v[16:17], v[16:17], v[10:11], -v[20:21]
	v_fmac_f64_e32 v[12:13], v[18:19], v[10:11]
	v_add_f64 v[4:5], v[4:5], v[16:17]
	v_add_f64 v[2:3], v[2:3], v[12:13]
	s_andn2_b64 exec, exec, s[4:5]
	s_cbranch_execnz .LBB109_105
; %bb.106:
	s_or_b64 exec, exec, s[4:5]
	v_mov_b32_e32 v0, 0
	ds_read_b128 v[8:11], v0 offset:368
	s_waitcnt lgkmcnt(0)
	v_mul_f64 v[16:17], v[2:3], v[10:11]
	v_mul_f64 v[12:13], v[4:5], v[10:11]
	v_fma_f64 v[10:11], v[4:5], v[8:9], -v[16:17]
	v_fmac_f64_e32 v[12:13], v[2:3], v[8:9]
	scratch_store_dwordx4 off, v[10:13], off offset:384
.LBB109_107:
	s_or_b64 exec, exec, s[0:1]
	; wave barrier
	scratch_load_dwordx4 v[2:5], off, s38
	v_cmp_gt_u32_e32 vcc, 24, v240
	;; [unrolled: 45-line block ×22, first 2 shown]
	s_waitcnt vmcnt(0)
	ds_write_b128 v1, v[2:5]
	s_waitcnt lgkmcnt(0)
	; wave barrier
	s_and_saveexec_b64 s[0:1], vcc
	s_cbranch_execz .LBB109_191
; %bb.188:
	v_add_u32_e32 v7, -1, v240
	v_add_u32_e32 v8, 0x2e0, v14
	v_add_u32_e32 v9, 16, v14
	v_mov_b64_e32 v[2:3], 0
	s_mov_b64 s[4:5], 0
	v_mov_b64_e32 v[4:5], 0
.LBB109_189:                            ; =>This Inner Loop Header: Depth=1
	scratch_load_dwordx4 v[10:13], v9, off
	ds_read_b128 v[16:19], v8
	v_add_u32_e32 v7, 1, v7
	v_cmp_lt_u32_e32 vcc, 42, v7
	v_add_u32_e32 v8, 16, v8
	v_add_u32_e32 v9, 16, v9
	s_or_b64 s[4:5], vcc, s[4:5]
	s_waitcnt vmcnt(0) lgkmcnt(0)
	v_mul_f64 v[20:21], v[18:19], v[12:13]
	v_mul_f64 v[12:13], v[16:17], v[12:13]
	v_fma_f64 v[16:17], v[16:17], v[10:11], -v[20:21]
	v_fmac_f64_e32 v[12:13], v[18:19], v[10:11]
	v_add_f64 v[4:5], v[4:5], v[16:17]
	v_add_f64 v[2:3], v[2:3], v[12:13]
	s_andn2_b64 exec, exec, s[4:5]
	s_cbranch_execnz .LBB109_189
; %bb.190:
	s_or_b64 exec, exec, s[4:5]
	v_mov_b32_e32 v0, 0
	ds_read_b128 v[8:11], v0 offset:704
	s_waitcnt lgkmcnt(0)
	v_mul_f64 v[16:17], v[2:3], v[10:11]
	v_mul_f64 v[12:13], v[4:5], v[10:11]
	v_fma_f64 v[10:11], v[4:5], v[8:9], -v[16:17]
	v_fmac_f64_e32 v[12:13], v[2:3], v[8:9]
	scratch_store_dwordx4 off, v[10:13], off offset:720
.LBB109_191:
	s_or_b64 exec, exec, s[0:1]
	; wave barrier
	scratch_load_dwordx4 v[2:5], off, s16
	v_cmp_ne_u32_e32 vcc, 45, v240
	s_waitcnt vmcnt(0)
	ds_write_b128 v1, v[2:5]
	s_waitcnt lgkmcnt(0)
	; wave barrier
	s_and_saveexec_b64 s[0:1], vcc
	s_cbranch_execz .LBB109_195
; %bb.192:
	v_add_u32_e32 v1, 0x2e0, v14
	v_add_u32_e32 v7, 16, v14
	v_mov_b64_e32 v[2:3], 0
	s_mov_b64 s[4:5], 0
	v_mov_b64_e32 v[4:5], 0
.LBB109_193:                            ; =>This Inner Loop Header: Depth=1
	scratch_load_dwordx4 v[8:11], v7, off
	ds_read_b128 v[12:15], v1
	v_add_u32_e32 v6, 1, v6
	v_cmp_lt_u32_e32 vcc, 43, v6
	v_add_u32_e32 v1, 16, v1
	v_add_u32_e32 v7, 16, v7
	s_or_b64 s[4:5], vcc, s[4:5]
	s_waitcnt vmcnt(0) lgkmcnt(0)
	v_mul_f64 v[16:17], v[14:15], v[10:11]
	v_mul_f64 v[10:11], v[12:13], v[10:11]
	v_fma_f64 v[12:13], v[12:13], v[8:9], -v[16:17]
	v_fmac_f64_e32 v[10:11], v[14:15], v[8:9]
	v_add_f64 v[4:5], v[4:5], v[12:13]
	v_add_f64 v[2:3], v[2:3], v[10:11]
	s_andn2_b64 exec, exec, s[4:5]
	s_cbranch_execnz .LBB109_193
; %bb.194:
	s_or_b64 exec, exec, s[4:5]
	v_mov_b32_e32 v0, 0
	ds_read_b128 v[6:9], v0 offset:720
	s_waitcnt lgkmcnt(0)
	v_mul_f64 v[12:13], v[2:3], v[8:9]
	v_mul_f64 v[10:11], v[4:5], v[8:9]
	v_fma_f64 v[8:9], v[4:5], v[6:7], -v[12:13]
	v_fmac_f64_e32 v[10:11], v[2:3], v[6:7]
	scratch_store_dwordx4 off, v[8:11], off offset:736
.LBB109_195:
	s_or_b64 exec, exec, s[0:1]
	s_mov_b64 s[4:5], -1
	; wave barrier
.LBB109_196:
	s_and_b64 vcc, exec, s[4:5]
	s_cbranch_vccz .LBB109_198
; %bb.197:
	s_lshl_b64 s[0:1], s[2:3], 2
	s_add_u32 s0, s6, s0
	s_addc_u32 s1, s7, s1
	v_mov_b32_e32 v0, 0
	global_load_dword v0, v0, s[0:1]
	s_waitcnt vmcnt(0)
	v_cmp_ne_u32_e32 vcc, 0, v0
	s_cbranch_vccz .LBB109_199
.LBB109_198:
	s_endpgm
.LBB109_199:
	v_mov_b32_e32 v0, 0x2e0
	v_lshl_add_u32 v0, v240, 4, v0
	v_accvgpr_write_b32 a93, v0
	v_cmp_eq_u32_e32 vcc, 45, v240
	s_and_saveexec_b64 s[0:1], vcc
	s_cbranch_execz .LBB109_201
; %bb.200:
	scratch_load_dwordx4 v[2:5], off, s17
	v_mov_b32_e32 v6, 0
	v_mov_b32_e32 v7, v6
	;; [unrolled: 1-line block ×4, first 2 shown]
	v_accvgpr_read_b32 v0, a93
	scratch_store_dwordx4 off, v[6:9], off offset:720
	s_waitcnt vmcnt(1)
	ds_write_b128 v0, v[2:5]
.LBB109_201:
	s_or_b64 exec, exec, s[0:1]
	s_waitcnt lgkmcnt(0)
	; wave barrier
	scratch_load_dwordx4 v[4:7], off, off offset:736
	scratch_load_dwordx4 v[8:11], off, off offset:720
	v_mov_b32_e32 v2, 0
	ds_read_b128 v[12:15], v2 offset:1456
	v_cmp_lt_u32_e32 vcc, 43, v240
	s_waitcnt vmcnt(1) lgkmcnt(0)
	v_mul_f64 v[16:17], v[12:13], v[6:7]
	v_mul_f64 v[6:7], v[14:15], v[6:7]
	v_fmac_f64_e32 v[16:17], v[14:15], v[4:5]
	v_fma_f64 v[4:5], v[12:13], v[4:5], -v[6:7]
	v_add_f64 v[6:7], v[16:17], 0
	v_add_f64 v[4:5], v[4:5], 0
	s_waitcnt vmcnt(0)
	v_add_f64 v[4:5], v[8:9], -v[4:5]
	v_add_f64 v[6:7], v[10:11], -v[6:7]
	scratch_store_dwordx4 off, v[4:7], off offset:720
	s_and_saveexec_b64 s[0:1], vcc
	s_cbranch_execz .LBB109_203
; %bb.202:
	scratch_load_dwordx4 v[6:9], off, s18
	v_mov_b32_e32 v3, v2
	v_mov_b32_e32 v4, v2
	;; [unrolled: 1-line block ×3, first 2 shown]
	v_accvgpr_read_b32 v0, a93
	scratch_store_dwordx4 off, v[2:5], off offset:704
	s_waitcnt vmcnt(1)
	ds_write_b128 v0, v[6:9]
.LBB109_203:
	s_or_b64 exec, exec, s[0:1]
	s_waitcnt lgkmcnt(0)
	; wave barrier
	scratch_load_dwordx4 v[4:7], off, off offset:720
	scratch_load_dwordx4 v[8:11], off, off offset:736
	;; [unrolled: 1-line block ×3, first 2 shown]
	ds_read_b128 v[16:19], v2 offset:1440
	ds_read_b128 v[20:23], v2 offset:1456
	v_cmp_lt_u32_e32 vcc, 42, v240
	s_waitcnt vmcnt(2) lgkmcnt(1)
	v_mul_f64 v[2:3], v[16:17], v[6:7]
	v_mul_f64 v[6:7], v[18:19], v[6:7]
	s_waitcnt vmcnt(1) lgkmcnt(0)
	v_mul_f64 v[24:25], v[20:21], v[10:11]
	v_mul_f64 v[10:11], v[22:23], v[10:11]
	v_fmac_f64_e32 v[2:3], v[18:19], v[4:5]
	v_fma_f64 v[4:5], v[16:17], v[4:5], -v[6:7]
	v_fmac_f64_e32 v[24:25], v[22:23], v[8:9]
	v_fma_f64 v[6:7], v[20:21], v[8:9], -v[10:11]
	v_add_f64 v[2:3], v[2:3], 0
	v_add_f64 v[4:5], v[4:5], 0
	;; [unrolled: 1-line block ×4, first 2 shown]
	s_waitcnt vmcnt(0)
	v_add_f64 v[2:3], v[12:13], -v[2:3]
	v_add_f64 v[4:5], v[14:15], -v[8:9]
	scratch_store_dwordx4 off, v[2:5], off offset:704
	s_and_saveexec_b64 s[0:1], vcc
	s_cbranch_execz .LBB109_205
; %bb.204:
	scratch_load_dwordx4 v[2:5], off, s19
	v_mov_b32_e32 v6, 0
	v_mov_b32_e32 v7, v6
	;; [unrolled: 1-line block ×4, first 2 shown]
	v_accvgpr_read_b32 v0, a93
	scratch_store_dwordx4 off, v[6:9], off offset:688
	s_waitcnt vmcnt(1)
	ds_write_b128 v0, v[2:5]
.LBB109_205:
	s_or_b64 exec, exec, s[0:1]
	v_mov_b32_e32 v2, 0
	s_waitcnt lgkmcnt(0)
	; wave barrier
	ds_read_b128 v[4:7], v2 offset:1424
	ds_read_b128 v[8:11], v2 offset:1440
	;; [unrolled: 1-line block ×3, first 2 shown]
	scratch_load_dwordx4 v[16:19], off, off offset:704
	v_cmp_lt_u32_e32 vcc, 41, v240
	s_waitcnt vmcnt(0) lgkmcnt(2)
	v_mul_f64 v[20:21], v[4:5], v[18:19]
	v_fmac_f64_e32 v[20:21], v[6:7], v[16:17]
	v_add_f64 v[24:25], v[20:21], 0
	scratch_load_dwordx4 v[20:23], off, off offset:720
	v_mul_f64 v[6:7], v[6:7], v[18:19]
	v_fma_f64 v[4:5], v[4:5], v[16:17], -v[6:7]
	v_add_f64 v[4:5], v[4:5], 0
	s_waitcnt vmcnt(0) lgkmcnt(1)
	v_mul_f64 v[26:27], v[8:9], v[22:23]
	v_fmac_f64_e32 v[26:27], v[10:11], v[20:21]
	v_add_f64 v[28:29], v[24:25], v[26:27]
	scratch_load_dwordx4 v[24:27], off, off offset:736
	v_mul_f64 v[6:7], v[10:11], v[22:23]
	v_fma_f64 v[6:7], v[8:9], v[20:21], -v[6:7]
	v_add_f64 v[4:5], v[4:5], v[6:7]
	s_waitcnt vmcnt(0) lgkmcnt(0)
	v_mul_f64 v[6:7], v[14:15], v[26:27]
	v_fma_f64 v[6:7], v[12:13], v[24:25], -v[6:7]
	v_add_f64 v[8:9], v[4:5], v[6:7]
	scratch_load_dwordx4 v[4:7], off, off offset:688
	v_mul_f64 v[30:31], v[12:13], v[26:27]
	v_fmac_f64_e32 v[30:31], v[14:15], v[24:25]
	v_add_f64 v[28:29], v[28:29], v[30:31]
	s_waitcnt vmcnt(0)
	v_add_f64 v[4:5], v[4:5], -v[8:9]
	v_add_f64 v[6:7], v[6:7], -v[28:29]
	scratch_store_dwordx4 off, v[4:7], off offset:688
	s_and_saveexec_b64 s[0:1], vcc
	s_cbranch_execz .LBB109_207
; %bb.206:
	scratch_load_dwordx4 v[6:9], off, s20
	v_mov_b32_e32 v3, v2
	v_mov_b32_e32 v4, v2
	;; [unrolled: 1-line block ×3, first 2 shown]
	v_accvgpr_read_b32 v0, a93
	scratch_store_dwordx4 off, v[2:5], off offset:672
	s_waitcnt vmcnt(1)
	ds_write_b128 v0, v[6:9]
.LBB109_207:
	s_or_b64 exec, exec, s[0:1]
	s_waitcnt lgkmcnt(0)
	; wave barrier
	scratch_load_dwordx4 v[4:7], off, off offset:688
	scratch_load_dwordx4 v[8:11], off, off offset:704
	;; [unrolled: 1-line block ×5, first 2 shown]
	ds_read_b128 v[24:27], v2 offset:1408
	ds_read_b128 v[28:31], v2 offset:1424
	;; [unrolled: 1-line block ×4, first 2 shown]
	v_cmp_lt_u32_e32 vcc, 40, v240
	s_waitcnt vmcnt(4) lgkmcnt(3)
	v_mul_f64 v[2:3], v[24:25], v[6:7]
	v_mul_f64 v[6:7], v[26:27], v[6:7]
	s_waitcnt vmcnt(3) lgkmcnt(2)
	v_mul_f64 v[40:41], v[28:29], v[10:11]
	v_mul_f64 v[10:11], v[30:31], v[10:11]
	v_fmac_f64_e32 v[2:3], v[26:27], v[4:5]
	v_fma_f64 v[4:5], v[24:25], v[4:5], -v[6:7]
	s_waitcnt vmcnt(2) lgkmcnt(1)
	v_mul_f64 v[42:43], v[32:33], v[14:15]
	v_mul_f64 v[14:15], v[34:35], v[14:15]
	v_fmac_f64_e32 v[40:41], v[30:31], v[8:9]
	v_fma_f64 v[6:7], v[28:29], v[8:9], -v[10:11]
	v_add_f64 v[2:3], v[2:3], 0
	v_add_f64 v[4:5], v[4:5], 0
	s_waitcnt vmcnt(1) lgkmcnt(0)
	v_mul_f64 v[44:45], v[36:37], v[18:19]
	v_mul_f64 v[18:19], v[38:39], v[18:19]
	v_fmac_f64_e32 v[42:43], v[34:35], v[12:13]
	v_fma_f64 v[8:9], v[32:33], v[12:13], -v[14:15]
	v_add_f64 v[2:3], v[2:3], v[40:41]
	v_add_f64 v[4:5], v[4:5], v[6:7]
	v_fmac_f64_e32 v[44:45], v[38:39], v[16:17]
	v_fma_f64 v[10:11], v[36:37], v[16:17], -v[18:19]
	v_add_f64 v[2:3], v[2:3], v[42:43]
	v_add_f64 v[4:5], v[4:5], v[8:9]
	;; [unrolled: 1-line block ×4, first 2 shown]
	s_waitcnt vmcnt(0)
	v_add_f64 v[2:3], v[20:21], -v[2:3]
	v_add_f64 v[4:5], v[22:23], -v[6:7]
	scratch_store_dwordx4 off, v[2:5], off offset:672
	s_and_saveexec_b64 s[0:1], vcc
	s_cbranch_execz .LBB109_209
; %bb.208:
	scratch_load_dwordx4 v[2:5], off, s21
	v_mov_b32_e32 v6, 0
	v_mov_b32_e32 v7, v6
	;; [unrolled: 1-line block ×4, first 2 shown]
	v_accvgpr_read_b32 v0, a93
	scratch_store_dwordx4 off, v[6:9], off offset:656
	s_waitcnt vmcnt(1)
	ds_write_b128 v0, v[2:5]
.LBB109_209:
	s_or_b64 exec, exec, s[0:1]
	s_waitcnt lgkmcnt(0)
	; wave barrier
	scratch_load_dwordx4 v[4:7], off, off offset:672
	scratch_load_dwordx4 v[8:11], off, off offset:688
	scratch_load_dwordx4 v[12:15], off, off offset:704
	scratch_load_dwordx4 v[16:19], off, off offset:720
	scratch_load_dwordx4 v[20:23], off, off offset:736
	scratch_load_dwordx4 v[24:27], off, off offset:656
	v_mov_b32_e32 v2, 0
	ds_read_b128 v[28:31], v2 offset:1392
	ds_read_b128 v[32:35], v2 offset:1408
	;; [unrolled: 1-line block ×5, first 2 shown]
	v_cmp_lt_u32_e32 vcc, 39, v240
	s_waitcnt vmcnt(5) lgkmcnt(4)
	v_mul_f64 v[48:49], v[28:29], v[6:7]
	v_mul_f64 v[6:7], v[30:31], v[6:7]
	s_waitcnt vmcnt(4) lgkmcnt(3)
	v_mul_f64 v[50:51], v[32:33], v[10:11]
	s_waitcnt vmcnt(3) lgkmcnt(2)
	v_mul_f64 v[52:53], v[36:37], v[14:15]
	v_mul_f64 v[10:11], v[34:35], v[10:11]
	;; [unrolled: 1-line block ×3, first 2 shown]
	v_fmac_f64_e32 v[48:49], v[30:31], v[4:5]
	v_fma_f64 v[4:5], v[28:29], v[4:5], -v[6:7]
	v_fmac_f64_e32 v[50:51], v[34:35], v[8:9]
	v_fma_f64 v[6:7], v[32:33], v[8:9], -v[10:11]
	v_fma_f64 v[8:9], v[36:37], v[12:13], -v[14:15]
	v_add_f64 v[14:15], v[48:49], 0
	v_add_f64 v[4:5], v[4:5], 0
	s_waitcnt vmcnt(2) lgkmcnt(1)
	v_mul_f64 v[54:55], v[40:41], v[18:19]
	v_mul_f64 v[18:19], v[42:43], v[18:19]
	v_fmac_f64_e32 v[52:53], v[38:39], v[12:13]
	v_add_f64 v[14:15], v[14:15], v[50:51]
	v_add_f64 v[4:5], v[4:5], v[6:7]
	s_waitcnt vmcnt(1) lgkmcnt(0)
	v_mul_f64 v[56:57], v[44:45], v[22:23]
	v_mul_f64 v[22:23], v[46:47], v[22:23]
	v_fmac_f64_e32 v[54:55], v[42:43], v[16:17]
	v_fma_f64 v[10:11], v[40:41], v[16:17], -v[18:19]
	v_add_f64 v[6:7], v[14:15], v[52:53]
	v_add_f64 v[4:5], v[4:5], v[8:9]
	v_fmac_f64_e32 v[56:57], v[46:47], v[20:21]
	v_fma_f64 v[12:13], v[44:45], v[20:21], -v[22:23]
	v_add_f64 v[6:7], v[6:7], v[54:55]
	v_add_f64 v[4:5], v[4:5], v[10:11]
	;; [unrolled: 1-line block ×4, first 2 shown]
	s_waitcnt vmcnt(0)
	v_add_f64 v[4:5], v[24:25], -v[4:5]
	v_add_f64 v[6:7], v[26:27], -v[6:7]
	scratch_store_dwordx4 off, v[4:7], off offset:656
	s_and_saveexec_b64 s[0:1], vcc
	s_cbranch_execz .LBB109_211
; %bb.210:
	scratch_load_dwordx4 v[6:9], off, s22
	v_mov_b32_e32 v3, v2
	v_mov_b32_e32 v4, v2
	;; [unrolled: 1-line block ×3, first 2 shown]
	v_accvgpr_read_b32 v0, a93
	scratch_store_dwordx4 off, v[2:5], off offset:640
	s_waitcnt vmcnt(1)
	ds_write_b128 v0, v[6:9]
.LBB109_211:
	s_or_b64 exec, exec, s[0:1]
	s_waitcnt lgkmcnt(0)
	; wave barrier
	scratch_load_dwordx4 v[4:7], off, off offset:656
	scratch_load_dwordx4 v[8:11], off, off offset:672
	;; [unrolled: 1-line block ×7, first 2 shown]
	ds_read_b128 v[32:35], v2 offset:1376
	ds_read_b128 v[36:39], v2 offset:1392
	;; [unrolled: 1-line block ×6, first 2 shown]
	v_cmp_lt_u32_e32 vcc, 38, v240
	s_waitcnt vmcnt(6) lgkmcnt(5)
	v_mul_f64 v[2:3], v[32:33], v[6:7]
	v_mul_f64 v[6:7], v[34:35], v[6:7]
	s_waitcnt vmcnt(5) lgkmcnt(4)
	v_mul_f64 v[56:57], v[36:37], v[10:11]
	v_mul_f64 v[10:11], v[38:39], v[10:11]
	v_fmac_f64_e32 v[2:3], v[34:35], v[4:5]
	v_fma_f64 v[4:5], v[32:33], v[4:5], -v[6:7]
	s_waitcnt vmcnt(4) lgkmcnt(3)
	v_mul_f64 v[58:59], v[40:41], v[14:15]
	v_mul_f64 v[14:15], v[42:43], v[14:15]
	v_fmac_f64_e32 v[56:57], v[38:39], v[8:9]
	v_fma_f64 v[6:7], v[36:37], v[8:9], -v[10:11]
	v_add_f64 v[2:3], v[2:3], 0
	v_add_f64 v[4:5], v[4:5], 0
	s_waitcnt vmcnt(3) lgkmcnt(2)
	v_mul_f64 v[60:61], v[44:45], v[18:19]
	v_mul_f64 v[18:19], v[46:47], v[18:19]
	v_fmac_f64_e32 v[58:59], v[42:43], v[12:13]
	v_fma_f64 v[8:9], v[40:41], v[12:13], -v[14:15]
	v_add_f64 v[2:3], v[2:3], v[56:57]
	v_add_f64 v[4:5], v[4:5], v[6:7]
	;; [unrolled: 7-line block ×4, first 2 shown]
	v_fmac_f64_e32 v[64:65], v[54:55], v[24:25]
	v_fma_f64 v[14:15], v[52:53], v[24:25], -v[26:27]
	v_add_f64 v[2:3], v[2:3], v[62:63]
	v_add_f64 v[4:5], v[4:5], v[12:13]
	;; [unrolled: 1-line block ×4, first 2 shown]
	s_waitcnt vmcnt(0)
	v_add_f64 v[2:3], v[28:29], -v[2:3]
	v_add_f64 v[4:5], v[30:31], -v[6:7]
	scratch_store_dwordx4 off, v[2:5], off offset:640
	s_and_saveexec_b64 s[0:1], vcc
	s_cbranch_execz .LBB109_213
; %bb.212:
	scratch_load_dwordx4 v[2:5], off, s23
	v_mov_b32_e32 v6, 0
	v_mov_b32_e32 v7, v6
	;; [unrolled: 1-line block ×4, first 2 shown]
	v_accvgpr_read_b32 v0, a93
	scratch_store_dwordx4 off, v[6:9], off offset:624
	s_waitcnt vmcnt(1)
	ds_write_b128 v0, v[2:5]
.LBB109_213:
	s_or_b64 exec, exec, s[0:1]
	v_mov_b32_e32 v2, 0
	s_waitcnt lgkmcnt(0)
	; wave barrier
	ds_read_b128 v[4:7], v2 offset:1360
	ds_read_b128 v[8:11], v2 offset:1376
	;; [unrolled: 1-line block ×4, first 2 shown]
	scratch_load_dwordx4 v[20:23], off, off offset:640
	scratch_load_dwordx4 v[40:43], off, off offset:704
	v_cmp_lt_u32_e32 vcc, 37, v240
	scratch_load_dwordx4 v[48:51], off, off offset:720
	scratch_load_dwordx4 v[56:59], off, off offset:736
	s_waitcnt vmcnt(3) lgkmcnt(3)
	v_mul_f64 v[24:25], v[4:5], v[22:23]
	v_fmac_f64_e32 v[24:25], v[6:7], v[20:21]
	v_add_f64 v[28:29], v[24:25], 0
	scratch_load_dwordx4 v[24:27], off, off offset:656
	v_mul_f64 v[6:7], v[6:7], v[22:23]
	v_fma_f64 v[4:5], v[4:5], v[20:21], -v[6:7]
	v_add_f64 v[4:5], v[4:5], 0
	s_waitcnt vmcnt(0) lgkmcnt(2)
	v_mul_f64 v[30:31], v[8:9], v[26:27]
	v_fmac_f64_e32 v[30:31], v[10:11], v[24:25]
	v_add_f64 v[32:33], v[28:29], v[30:31]
	scratch_load_dwordx4 v[28:31], off, off offset:672
	v_mul_f64 v[6:7], v[10:11], v[26:27]
	v_fma_f64 v[6:7], v[8:9], v[24:25], -v[6:7]
	v_add_f64 v[4:5], v[4:5], v[6:7]
	;; [unrolled: 8-line block ×3, first 2 shown]
	s_waitcnt vmcnt(0) lgkmcnt(0)
	v_mul_f64 v[38:39], v[16:17], v[34:35]
	v_fmac_f64_e32 v[38:39], v[18:19], v[32:33]
	v_add_f64 v[44:45], v[36:37], v[38:39]
	ds_read_b128 v[36:39], v2 offset:1424
	v_mul_f64 v[6:7], v[18:19], v[34:35]
	v_fma_f64 v[6:7], v[16:17], v[32:33], -v[6:7]
	v_add_f64 v[4:5], v[4:5], v[6:7]
	s_waitcnt lgkmcnt(0)
	v_mul_f64 v[46:47], v[36:37], v[42:43]
	v_fmac_f64_e32 v[46:47], v[38:39], v[40:41]
	v_add_f64 v[52:53], v[44:45], v[46:47]
	ds_read_b128 v[44:47], v2 offset:1440
	v_mul_f64 v[6:7], v[38:39], v[42:43]
	v_fma_f64 v[6:7], v[36:37], v[40:41], -v[6:7]
	v_add_f64 v[4:5], v[4:5], v[6:7]
	s_waitcnt lgkmcnt(0)
	;; [unrolled: 8-line block ×3, first 2 shown]
	v_mul_f64 v[6:7], v[54:55], v[58:59]
	v_fma_f64 v[6:7], v[52:53], v[56:57], -v[6:7]
	v_add_f64 v[8:9], v[4:5], v[6:7]
	scratch_load_dwordx4 v[4:7], off, off offset:624
	v_mul_f64 v[62:63], v[52:53], v[58:59]
	v_fmac_f64_e32 v[62:63], v[54:55], v[56:57]
	v_add_f64 v[60:61], v[60:61], v[62:63]
	s_waitcnt vmcnt(0)
	v_add_f64 v[4:5], v[4:5], -v[8:9]
	v_add_f64 v[6:7], v[6:7], -v[60:61]
	scratch_store_dwordx4 off, v[4:7], off offset:624
	s_and_saveexec_b64 s[0:1], vcc
	s_cbranch_execz .LBB109_215
; %bb.214:
	scratch_load_dwordx4 v[6:9], off, s24
	v_mov_b32_e32 v3, v2
	v_mov_b32_e32 v4, v2
	;; [unrolled: 1-line block ×3, first 2 shown]
	v_accvgpr_read_b32 v0, a93
	scratch_store_dwordx4 off, v[2:5], off offset:608
	s_waitcnt vmcnt(1)
	ds_write_b128 v0, v[6:9]
.LBB109_215:
	s_or_b64 exec, exec, s[0:1]
	s_waitcnt lgkmcnt(0)
	; wave barrier
	ds_read_b128 v[4:7], v2 offset:1344
	ds_read_b128 v[8:11], v2 offset:1360
	;; [unrolled: 1-line block ×4, first 2 shown]
	scratch_load_dwordx4 v[20:23], off, off offset:624
	scratch_load_dwordx4 v[40:43], off, off offset:688
	v_cmp_lt_u32_e32 vcc, 36, v240
	scratch_load_dwordx4 v[48:51], off, off offset:704
	scratch_load_dwordx4 v[56:59], off, off offset:720
	;; [unrolled: 1-line block ×3, first 2 shown]
	s_waitcnt vmcnt(4) lgkmcnt(3)
	v_mul_f64 v[24:25], v[4:5], v[22:23]
	v_fmac_f64_e32 v[24:25], v[6:7], v[20:21]
	v_add_f64 v[28:29], v[24:25], 0
	scratch_load_dwordx4 v[24:27], off, off offset:640
	s_waitcnt vmcnt(0) lgkmcnt(2)
	v_mul_f64 v[30:31], v[8:9], v[26:27]
	v_fmac_f64_e32 v[30:31], v[10:11], v[24:25]
	v_add_f64 v[32:33], v[28:29], v[30:31]
	scratch_load_dwordx4 v[28:31], off, off offset:656
	;; [unrolled: 5-line block ×3, first 2 shown]
	s_waitcnt vmcnt(0) lgkmcnt(0)
	v_mul_f64 v[38:39], v[16:17], v[34:35]
	v_fmac_f64_e32 v[38:39], v[18:19], v[32:33]
	v_add_f64 v[44:45], v[36:37], v[38:39]
	ds_read_b128 v[36:39], v2 offset:1408
	s_waitcnt lgkmcnt(0)
	v_mul_f64 v[46:47], v[36:37], v[42:43]
	v_fmac_f64_e32 v[46:47], v[38:39], v[40:41]
	v_add_f64 v[52:53], v[44:45], v[46:47]
	ds_read_b128 v[44:47], v2 offset:1424
	s_waitcnt lgkmcnt(0)
	v_mul_f64 v[54:55], v[44:45], v[50:51]
	v_fmac_f64_e32 v[54:55], v[46:47], v[48:49]
	v_add_f64 v[60:61], v[52:53], v[54:55]
	ds_read_b128 v[52:55], v2 offset:1440
	s_waitcnt lgkmcnt(0)
	v_mul_f64 v[62:63], v[52:53], v[58:59]
	v_fmac_f64_e32 v[62:63], v[54:55], v[56:57]
	v_add_f64 v[68:69], v[60:61], v[62:63]
	ds_read_b128 v[60:63], v2 offset:1456
	s_waitcnt lgkmcnt(0)
	v_mul_f64 v[2:3], v[60:61], v[66:67]
	v_fmac_f64_e32 v[2:3], v[62:63], v[64:65]
	v_add_f64 v[68:69], v[68:69], v[2:3]
	v_mul_f64 v[2:3], v[6:7], v[22:23]
	v_fma_f64 v[2:3], v[4:5], v[20:21], -v[2:3]
	v_mul_f64 v[4:5], v[10:11], v[26:27]
	v_add_f64 v[2:3], v[2:3], 0
	v_fma_f64 v[4:5], v[8:9], v[24:25], -v[4:5]
	v_add_f64 v[2:3], v[2:3], v[4:5]
	v_mul_f64 v[4:5], v[14:15], v[30:31]
	v_fma_f64 v[4:5], v[12:13], v[28:29], -v[4:5]
	v_add_f64 v[2:3], v[2:3], v[4:5]
	v_mul_f64 v[4:5], v[18:19], v[34:35]
	;; [unrolled: 3-line block ×6, first 2 shown]
	v_fma_f64 v[4:5], v[60:61], v[64:65], -v[4:5]
	v_add_f64 v[6:7], v[2:3], v[4:5]
	scratch_load_dwordx4 v[2:5], off, off offset:608
	s_waitcnt vmcnt(0)
	v_add_f64 v[2:3], v[2:3], -v[6:7]
	v_add_f64 v[4:5], v[4:5], -v[68:69]
	scratch_store_dwordx4 off, v[2:5], off offset:608
	s_and_saveexec_b64 s[0:1], vcc
	s_cbranch_execz .LBB109_217
; %bb.216:
	scratch_load_dwordx4 v[2:5], off, s25
	v_mov_b32_e32 v6, 0
	v_mov_b32_e32 v7, v6
	;; [unrolled: 1-line block ×4, first 2 shown]
	v_accvgpr_read_b32 v0, a93
	scratch_store_dwordx4 off, v[6:9], off offset:592
	s_waitcnt vmcnt(1)
	ds_write_b128 v0, v[2:5]
.LBB109_217:
	s_or_b64 exec, exec, s[0:1]
	s_waitcnt lgkmcnt(0)
	; wave barrier
	scratch_load_dwordx4 v[4:7], off, off offset:608
	scratch_load_dwordx4 v[8:11], off, off offset:624
	scratch_load_dwordx4 v[12:15], off, off offset:640
	scratch_load_dwordx4 v[16:19], off, off offset:656
	scratch_load_dwordx4 v[20:23], off, off offset:672
	scratch_load_dwordx4 v[24:27], off, off offset:688
	scratch_load_dwordx4 v[28:31], off, off offset:704
	scratch_load_dwordx4 v[32:35], off, off offset:720
	scratch_load_dwordx4 v[36:39], off, off offset:736
	scratch_load_dwordx4 v[40:43], off, off offset:592
	v_mov_b32_e32 v2, 0
	ds_read_b128 v[44:47], v2 offset:1328
	ds_read_b128 v[48:51], v2 offset:1344
	ds_read_b128 v[52:55], v2 offset:1360
	ds_read_b128 v[56:59], v2 offset:1376
	ds_read_b128 v[60:63], v2 offset:1392
	ds_read_b128 v[64:67], v2 offset:1408
	ds_read_b128 v[68:71], v2 offset:1424
	ds_read_b128 v[72:75], v2 offset:1440
	ds_read_b128 v[76:79], v2 offset:1456
	v_cmp_lt_u32_e32 vcc, 35, v240
	s_waitcnt vmcnt(9) lgkmcnt(8)
	v_mul_f64 v[80:81], v[44:45], v[6:7]
	v_mul_f64 v[6:7], v[46:47], v[6:7]
	s_waitcnt vmcnt(8) lgkmcnt(7)
	v_mul_f64 v[82:83], v[48:49], v[10:11]
	s_waitcnt vmcnt(7) lgkmcnt(6)
	;; [unrolled: 2-line block ×3, first 2 shown]
	v_mul_f64 v[88:89], v[60:61], v[22:23]
	v_mul_f64 v[10:11], v[50:51], v[10:11]
	;; [unrolled: 1-line block ×4, first 2 shown]
	v_fmac_f64_e32 v[80:81], v[46:47], v[4:5]
	v_fma_f64 v[4:5], v[44:45], v[4:5], -v[6:7]
	v_fmac_f64_e32 v[82:83], v[50:51], v[8:9]
	v_fmac_f64_e32 v[84:85], v[54:55], v[12:13]
	v_fma_f64 v[6:7], v[48:49], v[8:9], -v[10:11]
	v_fma_f64 v[8:9], v[52:53], v[12:13], -v[14:15]
	;; [unrolled: 1-line block ×3, first 2 shown]
	v_add_f64 v[22:23], v[80:81], 0
	v_add_f64 v[4:5], v[4:5], 0
	v_mul_f64 v[86:87], v[56:57], v[18:19]
	v_mul_f64 v[18:19], v[58:59], v[18:19]
	v_add_f64 v[22:23], v[22:23], v[82:83]
	v_add_f64 v[4:5], v[4:5], v[6:7]
	v_fmac_f64_e32 v[86:87], v[58:59], v[16:17]
	v_fma_f64 v[10:11], v[56:57], v[16:17], -v[18:19]
	v_add_f64 v[6:7], v[22:23], v[84:85]
	v_add_f64 v[4:5], v[4:5], v[8:9]
	s_waitcnt vmcnt(4) lgkmcnt(3)
	v_mul_f64 v[90:91], v[64:65], v[26:27]
	v_mul_f64 v[26:27], v[66:67], v[26:27]
	v_fmac_f64_e32 v[88:89], v[62:63], v[20:21]
	v_add_f64 v[6:7], v[6:7], v[86:87]
	v_add_f64 v[4:5], v[4:5], v[10:11]
	s_waitcnt vmcnt(3) lgkmcnt(2)
	v_mul_f64 v[92:93], v[68:69], v[30:31]
	v_mul_f64 v[30:31], v[70:71], v[30:31]
	v_fmac_f64_e32 v[90:91], v[66:67], v[24:25]
	v_fma_f64 v[14:15], v[64:65], v[24:25], -v[26:27]
	v_add_f64 v[6:7], v[6:7], v[88:89]
	v_add_f64 v[4:5], v[4:5], v[12:13]
	s_waitcnt vmcnt(2) lgkmcnt(1)
	v_mul_f64 v[94:95], v[72:73], v[34:35]
	v_mul_f64 v[34:35], v[74:75], v[34:35]
	v_fmac_f64_e32 v[92:93], v[70:71], v[28:29]
	v_fma_f64 v[16:17], v[68:69], v[28:29], -v[30:31]
	;; [unrolled: 7-line block ×3, first 2 shown]
	v_add_f64 v[6:7], v[6:7], v[92:93]
	v_add_f64 v[4:5], v[4:5], v[16:17]
	v_fmac_f64_e32 v[96:97], v[78:79], v[36:37]
	v_fma_f64 v[20:21], v[76:77], v[36:37], -v[38:39]
	v_add_f64 v[6:7], v[6:7], v[94:95]
	v_add_f64 v[4:5], v[4:5], v[18:19]
	;; [unrolled: 1-line block ×4, first 2 shown]
	s_waitcnt vmcnt(0)
	v_add_f64 v[4:5], v[40:41], -v[4:5]
	v_add_f64 v[6:7], v[42:43], -v[6:7]
	scratch_store_dwordx4 off, v[4:7], off offset:592
	s_and_saveexec_b64 s[0:1], vcc
	s_cbranch_execz .LBB109_219
; %bb.218:
	scratch_load_dwordx4 v[6:9], off, s26
	v_mov_b32_e32 v3, v2
	v_mov_b32_e32 v4, v2
	;; [unrolled: 1-line block ×3, first 2 shown]
	v_accvgpr_read_b32 v0, a93
	scratch_store_dwordx4 off, v[2:5], off offset:576
	s_waitcnt vmcnt(1)
	ds_write_b128 v0, v[6:9]
.LBB109_219:
	s_or_b64 exec, exec, s[0:1]
	s_waitcnt lgkmcnt(0)
	; wave barrier
	scratch_load_dwordx4 v[4:7], off, off offset:592
	scratch_load_dwordx4 v[8:11], off, off offset:608
	;; [unrolled: 1-line block ×11, first 2 shown]
	ds_read_b128 v[48:51], v2 offset:1312
	ds_read_b128 v[52:55], v2 offset:1328
	;; [unrolled: 1-line block ×10, first 2 shown]
	v_cmp_lt_u32_e32 vcc, 34, v240
	s_waitcnt vmcnt(10) lgkmcnt(9)
	v_mul_f64 v[2:3], v[48:49], v[6:7]
	v_mul_f64 v[6:7], v[50:51], v[6:7]
	s_waitcnt vmcnt(9) lgkmcnt(8)
	v_mul_f64 v[88:89], v[52:53], v[10:11]
	v_mul_f64 v[10:11], v[54:55], v[10:11]
	v_fmac_f64_e32 v[2:3], v[50:51], v[4:5]
	v_fma_f64 v[4:5], v[48:49], v[4:5], -v[6:7]
	s_waitcnt vmcnt(8) lgkmcnt(7)
	v_mul_f64 v[90:91], v[56:57], v[14:15]
	v_mul_f64 v[14:15], v[58:59], v[14:15]
	v_fmac_f64_e32 v[88:89], v[54:55], v[8:9]
	v_fma_f64 v[6:7], v[52:53], v[8:9], -v[10:11]
	v_add_f64 v[2:3], v[2:3], 0
	v_add_f64 v[4:5], v[4:5], 0
	s_waitcnt vmcnt(7) lgkmcnt(6)
	v_mul_f64 v[92:93], v[60:61], v[18:19]
	v_mul_f64 v[18:19], v[62:63], v[18:19]
	v_fmac_f64_e32 v[90:91], v[58:59], v[12:13]
	v_fma_f64 v[8:9], v[56:57], v[12:13], -v[14:15]
	v_add_f64 v[2:3], v[2:3], v[88:89]
	v_add_f64 v[4:5], v[4:5], v[6:7]
	;; [unrolled: 7-line block ×8, first 2 shown]
	v_fmac_f64_e32 v[104:105], v[86:87], v[40:41]
	v_fma_f64 v[22:23], v[84:85], v[40:41], -v[42:43]
	v_add_f64 v[2:3], v[2:3], v[102:103]
	v_add_f64 v[4:5], v[4:5], v[20:21]
	;; [unrolled: 1-line block ×4, first 2 shown]
	s_waitcnt vmcnt(0)
	v_add_f64 v[2:3], v[44:45], -v[2:3]
	v_add_f64 v[4:5], v[46:47], -v[6:7]
	scratch_store_dwordx4 off, v[2:5], off offset:576
	s_and_saveexec_b64 s[0:1], vcc
	s_cbranch_execz .LBB109_221
; %bb.220:
	scratch_load_dwordx4 v[2:5], off, s27
	v_mov_b32_e32 v6, 0
	v_mov_b32_e32 v7, v6
	;; [unrolled: 1-line block ×4, first 2 shown]
	v_accvgpr_read_b32 v0, a93
	scratch_store_dwordx4 off, v[6:9], off offset:560
	s_waitcnt vmcnt(1)
	ds_write_b128 v0, v[2:5]
.LBB109_221:
	s_or_b64 exec, exec, s[0:1]
	s_waitcnt lgkmcnt(0)
	; wave barrier
	scratch_load_dwordx4 v[4:7], off, off offset:576
	scratch_load_dwordx4 v[8:11], off, off offset:592
	;; [unrolled: 1-line block ×12, first 2 shown]
	v_mov_b32_e32 v2, 0
	ds_read_b128 v[52:55], v2 offset:1296
	ds_read_b128 v[56:59], v2 offset:1312
	;; [unrolled: 1-line block ×11, first 2 shown]
	v_cmp_lt_u32_e32 vcc, 33, v240
	s_waitcnt vmcnt(11) lgkmcnt(10)
	v_mul_f64 v[96:97], v[52:53], v[6:7]
	v_mul_f64 v[6:7], v[54:55], v[6:7]
	s_waitcnt vmcnt(10) lgkmcnt(9)
	v_mul_f64 v[98:99], v[56:57], v[10:11]
	s_waitcnt vmcnt(9) lgkmcnt(8)
	v_mul_f64 v[100:101], v[60:61], v[14:15]
	v_mul_f64 v[10:11], v[58:59], v[10:11]
	s_waitcnt vmcnt(6) lgkmcnt(5)
	v_mul_f64 v[106:107], v[72:73], v[26:27]
	v_mul_f64 v[14:15], v[62:63], v[14:15]
	;; [unrolled: 1-line block ×3, first 2 shown]
	v_fmac_f64_e32 v[96:97], v[54:55], v[4:5]
	v_fma_f64 v[4:5], v[52:53], v[4:5], -v[6:7]
	v_fmac_f64_e32 v[98:99], v[58:59], v[8:9]
	v_fma_f64 v[6:7], v[56:57], v[8:9], -v[10:11]
	v_fma_f64 v[8:9], v[60:61], v[12:13], -v[14:15]
	;; [unrolled: 1-line block ×3, first 2 shown]
	v_add_f64 v[26:27], v[96:97], 0
	v_add_f64 v[4:5], v[4:5], 0
	v_mul_f64 v[102:103], v[64:65], v[18:19]
	v_mul_f64 v[18:19], v[66:67], v[18:19]
	v_fmac_f64_e32 v[100:101], v[62:63], v[12:13]
	v_add_f64 v[26:27], v[26:27], v[98:99]
	v_add_f64 v[4:5], v[4:5], v[6:7]
	v_mul_f64 v[104:105], v[68:69], v[22:23]
	v_mul_f64 v[22:23], v[70:71], v[22:23]
	v_fmac_f64_e32 v[102:103], v[66:67], v[16:17]
	v_fma_f64 v[10:11], v[64:65], v[16:17], -v[18:19]
	v_add_f64 v[6:7], v[26:27], v[100:101]
	v_add_f64 v[4:5], v[4:5], v[8:9]
	v_fmac_f64_e32 v[104:105], v[70:71], v[20:21]
	v_fma_f64 v[12:13], v[68:69], v[20:21], -v[22:23]
	v_add_f64 v[6:7], v[6:7], v[102:103]
	v_add_f64 v[4:5], v[4:5], v[10:11]
	s_waitcnt vmcnt(5) lgkmcnt(4)
	v_mul_f64 v[108:109], v[76:77], v[30:31]
	v_mul_f64 v[30:31], v[78:79], v[30:31]
	v_fmac_f64_e32 v[106:107], v[74:75], v[24:25]
	v_add_f64 v[6:7], v[6:7], v[104:105]
	v_add_f64 v[4:5], v[4:5], v[12:13]
	s_waitcnt vmcnt(4) lgkmcnt(3)
	v_mul_f64 v[110:111], v[80:81], v[34:35]
	v_mul_f64 v[34:35], v[82:83], v[34:35]
	v_fmac_f64_e32 v[108:109], v[78:79], v[28:29]
	v_fma_f64 v[16:17], v[76:77], v[28:29], -v[30:31]
	v_add_f64 v[6:7], v[6:7], v[106:107]
	v_add_f64 v[4:5], v[4:5], v[14:15]
	s_waitcnt vmcnt(3) lgkmcnt(2)
	v_mul_f64 v[112:113], v[84:85], v[38:39]
	v_mul_f64 v[38:39], v[86:87], v[38:39]
	v_fmac_f64_e32 v[110:111], v[82:83], v[32:33]
	v_fma_f64 v[18:19], v[80:81], v[32:33], -v[34:35]
	;; [unrolled: 7-line block ×4, first 2 shown]
	v_add_f64 v[6:7], v[6:7], v[112:113]
	v_add_f64 v[4:5], v[4:5], v[20:21]
	v_fmac_f64_e32 v[116:117], v[94:95], v[44:45]
	v_fma_f64 v[24:25], v[92:93], v[44:45], -v[46:47]
	v_add_f64 v[6:7], v[6:7], v[114:115]
	v_add_f64 v[4:5], v[4:5], v[22:23]
	;; [unrolled: 1-line block ×4, first 2 shown]
	s_waitcnt vmcnt(0)
	v_add_f64 v[4:5], v[48:49], -v[4:5]
	v_add_f64 v[6:7], v[50:51], -v[6:7]
	scratch_store_dwordx4 off, v[4:7], off offset:560
	s_and_saveexec_b64 s[0:1], vcc
	s_cbranch_execz .LBB109_223
; %bb.222:
	scratch_load_dwordx4 v[6:9], off, s28
	v_mov_b32_e32 v3, v2
	v_mov_b32_e32 v4, v2
	;; [unrolled: 1-line block ×3, first 2 shown]
	v_accvgpr_read_b32 v0, a93
	scratch_store_dwordx4 off, v[2:5], off offset:544
	s_waitcnt vmcnt(1)
	ds_write_b128 v0, v[6:9]
.LBB109_223:
	s_or_b64 exec, exec, s[0:1]
	s_waitcnt lgkmcnt(0)
	; wave barrier
	scratch_load_dwordx4 v[4:7], off, off offset:560
	scratch_load_dwordx4 v[8:11], off, off offset:576
	;; [unrolled: 1-line block ×12, first 2 shown]
	ds_read_b128 v[52:55], v2 offset:1280
	ds_read_b128 v[56:59], v2 offset:1296
	;; [unrolled: 1-line block ×4, first 2 shown]
	scratch_load_dwordx4 v[68:71], off, off offset:544
	ds_read_b128 v[72:75], v2 offset:1344
	ds_read_b128 v[76:79], v2 offset:1360
	;; [unrolled: 1-line block ×8, first 2 shown]
	v_cmp_lt_u32_e32 vcc, 32, v240
	s_waitcnt vmcnt(12) lgkmcnt(11)
	v_mul_f64 v[2:3], v[52:53], v[6:7]
	s_waitcnt vmcnt(11) lgkmcnt(10)
	v_mul_f64 v[104:105], v[56:57], v[10:11]
	v_fmac_f64_e32 v[2:3], v[54:55], v[4:5]
	s_waitcnt vmcnt(10) lgkmcnt(9)
	v_mul_f64 v[106:107], v[60:61], v[14:15]
	v_mul_f64 v[6:7], v[54:55], v[6:7]
	v_fmac_f64_e32 v[104:105], v[58:59], v[8:9]
	v_add_f64 v[2:3], v[2:3], 0
	s_waitcnt vmcnt(9) lgkmcnt(8)
	v_mul_f64 v[108:109], v[64:65], v[18:19]
	v_mul_f64 v[10:11], v[58:59], v[10:11]
	v_fmac_f64_e32 v[106:107], v[62:63], v[12:13]
	v_fma_f64 v[4:5], v[52:53], v[4:5], -v[6:7]
	v_add_f64 v[2:3], v[2:3], v[104:105]
	s_waitcnt vmcnt(8) lgkmcnt(7)
	v_mul_f64 v[110:111], v[72:73], v[22:23]
	v_mul_f64 v[14:15], v[62:63], v[14:15]
	v_fmac_f64_e32 v[108:109], v[66:67], v[16:17]
	v_fma_f64 v[6:7], v[56:57], v[8:9], -v[10:11]
	v_add_f64 v[4:5], v[4:5], 0
	v_add_f64 v[2:3], v[2:3], v[106:107]
	s_waitcnt vmcnt(7) lgkmcnt(6)
	v_mul_f64 v[112:113], v[76:77], v[26:27]
	v_mul_f64 v[18:19], v[66:67], v[18:19]
	v_fmac_f64_e32 v[110:111], v[74:75], v[20:21]
	v_fma_f64 v[8:9], v[60:61], v[12:13], -v[14:15]
	v_add_f64 v[4:5], v[4:5], v[6:7]
	;; [unrolled: 7-line block ×8, first 2 shown]
	v_add_f64 v[2:3], v[2:3], v[120:121]
	v_mul_f64 v[46:47], v[98:99], v[46:47]
	v_fmac_f64_e32 v[124:125], v[102:103], v[48:49]
	v_fma_f64 v[22:23], v[92:93], v[40:41], -v[42:43]
	v_add_f64 v[4:5], v[4:5], v[20:21]
	v_add_f64 v[2:3], v[2:3], v[122:123]
	;; [unrolled: 1-line block ×4, first 2 shown]
	v_fma_f64 v[2:3], v[96:97], v[44:45], -v[46:47]
	v_add_f64 v[2:3], v[4:5], v[2:3]
	v_mul_f64 v[4:5], v[102:103], v[50:51]
	v_fma_f64 v[4:5], v[100:101], v[48:49], -v[4:5]
	v_add_f64 v[2:3], v[2:3], v[4:5]
	s_waitcnt vmcnt(0)
	v_add_f64 v[2:3], v[68:69], -v[2:3]
	v_add_f64 v[4:5], v[70:71], -v[6:7]
	scratch_store_dwordx4 off, v[2:5], off offset:544
	s_and_saveexec_b64 s[0:1], vcc
	s_cbranch_execz .LBB109_225
; %bb.224:
	scratch_load_dwordx4 v[2:5], off, s29
	v_mov_b32_e32 v6, 0
	v_mov_b32_e32 v7, v6
	;; [unrolled: 1-line block ×4, first 2 shown]
	v_accvgpr_read_b32 v0, a93
	scratch_store_dwordx4 off, v[6:9], off offset:528
	s_waitcnt vmcnt(1)
	ds_write_b128 v0, v[2:5]
.LBB109_225:
	s_or_b64 exec, exec, s[0:1]
	s_waitcnt lgkmcnt(0)
	; wave barrier
	scratch_load_dwordx4 v[4:7], off, off offset:544
	scratch_load_dwordx4 v[8:11], off, off offset:560
	;; [unrolled: 1-line block ×14, first 2 shown]
	v_mov_b32_e32 v2, 0
	ds_read_b128 v[60:63], v2 offset:1264
	ds_read_b128 v[64:67], v2 offset:1280
	;; [unrolled: 1-line block ×13, first 2 shown]
	v_cmp_lt_u32_e32 vcc, 31, v240
	s_waitcnt vmcnt(13) lgkmcnt(12)
	v_mul_f64 v[112:113], v[60:61], v[6:7]
	v_mul_f64 v[6:7], v[62:63], v[6:7]
	s_waitcnt vmcnt(12) lgkmcnt(11)
	v_mul_f64 v[114:115], v[64:65], v[10:11]
	v_mul_f64 v[10:11], v[66:67], v[10:11]
	v_fmac_f64_e32 v[112:113], v[62:63], v[4:5]
	v_fma_f64 v[4:5], v[60:61], v[4:5], -v[6:7]
	s_waitcnt vmcnt(11) lgkmcnt(10)
	v_mul_f64 v[116:117], v[68:69], v[14:15]
	v_mul_f64 v[14:15], v[70:71], v[14:15]
	v_fma_f64 v[6:7], v[64:65], v[8:9], -v[10:11]
	v_add_f64 v[4:5], v[4:5], 0
	s_waitcnt vmcnt(10) lgkmcnt(9)
	v_mul_f64 v[118:119], v[72:73], v[18:19]
	v_mul_f64 v[18:19], v[74:75], v[18:19]
	v_fmac_f64_e32 v[114:115], v[66:67], v[8:9]
	v_fma_f64 v[8:9], v[68:69], v[12:13], -v[14:15]
	v_add_f64 v[4:5], v[4:5], v[6:7]
	s_waitcnt vmcnt(9) lgkmcnt(8)
	v_mul_f64 v[120:121], v[76:77], v[22:23]
	v_mul_f64 v[22:23], v[78:79], v[22:23]
	v_fma_f64 v[10:11], v[72:73], v[16:17], -v[18:19]
	v_add_f64 v[4:5], v[4:5], v[8:9]
	s_waitcnt vmcnt(8) lgkmcnt(7)
	v_mul_f64 v[122:123], v[80:81], v[26:27]
	v_mul_f64 v[26:27], v[82:83], v[26:27]
	v_fmac_f64_e32 v[116:117], v[70:71], v[12:13]
	v_fma_f64 v[12:13], v[76:77], v[20:21], -v[22:23]
	v_add_f64 v[22:23], v[112:113], 0
	v_add_f64 v[4:5], v[4:5], v[10:11]
	s_waitcnt vmcnt(7) lgkmcnt(6)
	v_mul_f64 v[124:125], v[84:85], v[30:31]
	v_mul_f64 v[30:31], v[86:87], v[30:31]
	v_fma_f64 v[14:15], v[80:81], v[24:25], -v[26:27]
	v_add_f64 v[22:23], v[22:23], v[114:115]
	v_add_f64 v[4:5], v[4:5], v[12:13]
	s_waitcnt vmcnt(6) lgkmcnt(5)
	v_mul_f64 v[126:127], v[88:89], v[34:35]
	v_mul_f64 v[34:35], v[90:91], v[34:35]
	v_fmac_f64_e32 v[118:119], v[74:75], v[16:17]
	v_fma_f64 v[16:17], v[84:85], v[28:29], -v[30:31]
	v_add_f64 v[6:7], v[22:23], v[116:117]
	v_add_f64 v[4:5], v[4:5], v[14:15]
	s_waitcnt vmcnt(5) lgkmcnt(4)
	v_mul_f64 v[128:129], v[92:93], v[38:39]
	v_mul_f64 v[38:39], v[94:95], v[38:39]
	v_fmac_f64_e32 v[120:121], v[78:79], v[20:21]
	v_fma_f64 v[18:19], v[88:89], v[32:33], -v[34:35]
	v_add_f64 v[6:7], v[6:7], v[118:119]
	v_add_f64 v[4:5], v[4:5], v[16:17]
	v_fmac_f64_e32 v[122:123], v[82:83], v[24:25]
	v_fma_f64 v[20:21], v[92:93], v[36:37], -v[38:39]
	v_add_f64 v[6:7], v[6:7], v[120:121]
	v_add_f64 v[4:5], v[4:5], v[18:19]
	s_waitcnt vmcnt(4) lgkmcnt(3)
	v_mul_f64 v[8:9], v[98:99], v[42:43]
	v_fmac_f64_e32 v[124:125], v[86:87], v[28:29]
	v_add_f64 v[6:7], v[6:7], v[122:123]
	v_add_f64 v[4:5], v[4:5], v[20:21]
	v_fma_f64 v[8:9], v[96:97], v[40:41], -v[8:9]
	v_fmac_f64_e32 v[126:127], v[90:91], v[32:33]
	v_add_f64 v[6:7], v[6:7], v[124:125]
	v_add_f64 v[4:5], v[4:5], v[8:9]
	s_waitcnt vmcnt(3) lgkmcnt(2)
	v_mul_f64 v[8:9], v[102:103], v[46:47]
	v_mul_f64 v[130:131], v[96:97], v[42:43]
	v_fmac_f64_e32 v[128:129], v[94:95], v[36:37]
	v_add_f64 v[6:7], v[6:7], v[126:127]
	v_fma_f64 v[8:9], v[100:101], v[44:45], -v[8:9]
	v_mul_f64 v[132:133], v[100:101], v[46:47]
	v_fmac_f64_e32 v[130:131], v[98:99], v[40:41]
	v_add_f64 v[6:7], v[6:7], v[128:129]
	v_add_f64 v[4:5], v[4:5], v[8:9]
	s_waitcnt vmcnt(2) lgkmcnt(1)
	v_mul_f64 v[8:9], v[106:107], v[50:51]
	v_mul_f64 v[134:135], v[104:105], v[50:51]
	v_fmac_f64_e32 v[132:133], v[102:103], v[44:45]
	v_add_f64 v[6:7], v[6:7], v[130:131]
	v_fma_f64 v[8:9], v[104:105], v[48:49], -v[8:9]
	s_waitcnt vmcnt(1) lgkmcnt(0)
	v_mul_f64 v[136:137], v[108:109], v[54:55]
	v_fmac_f64_e32 v[134:135], v[106:107], v[48:49]
	v_add_f64 v[6:7], v[6:7], v[132:133]
	v_add_f64 v[4:5], v[4:5], v[8:9]
	v_mul_f64 v[8:9], v[110:111], v[54:55]
	v_fmac_f64_e32 v[136:137], v[110:111], v[52:53]
	v_add_f64 v[6:7], v[6:7], v[134:135]
	v_fma_f64 v[8:9], v[108:109], v[52:53], -v[8:9]
	v_add_f64 v[6:7], v[6:7], v[136:137]
	v_add_f64 v[4:5], v[4:5], v[8:9]
	s_waitcnt vmcnt(0)
	v_add_f64 v[4:5], v[56:57], -v[4:5]
	v_add_f64 v[6:7], v[58:59], -v[6:7]
	scratch_store_dwordx4 off, v[4:7], off offset:528
	s_and_saveexec_b64 s[0:1], vcc
	s_cbranch_execz .LBB109_227
; %bb.226:
	scratch_load_dwordx4 v[6:9], off, s30
	v_mov_b32_e32 v3, v2
	v_mov_b32_e32 v4, v2
	;; [unrolled: 1-line block ×3, first 2 shown]
	v_accvgpr_read_b32 v0, a93
	scratch_store_dwordx4 off, v[2:5], off offset:512
	s_waitcnt vmcnt(1)
	ds_write_b128 v0, v[6:9]
.LBB109_227:
	s_or_b64 exec, exec, s[0:1]
	s_waitcnt lgkmcnt(0)
	; wave barrier
	scratch_load_dwordx4 v[4:7], off, off offset:528
	scratch_load_dwordx4 v[8:11], off, off offset:544
	;; [unrolled: 1-line block ×14, first 2 shown]
	ds_read_b128 v[60:63], v2 offset:1248
	ds_read_b128 v[64:67], v2 offset:1264
	ds_read_b128 v[68:71], v2 offset:1280
	ds_read_b128 v[72:75], v2 offset:1296
	ds_read_b128 v[76:79], v2 offset:1312
	ds_read_b128 v[80:83], v2 offset:1328
	ds_read_b128 v[84:87], v2 offset:1344
	ds_read_b128 v[88:91], v2 offset:1360
	ds_read_b128 v[92:95], v2 offset:1376
	ds_read_b128 v[96:99], v2 offset:1392
	ds_read_b128 v[100:103], v2 offset:1408
	ds_read_b128 v[104:107], v2 offset:1424
	ds_read_b128 v[108:111], v2 offset:1440
	ds_read_b128 v[112:115], v2 offset:1456
	scratch_load_dwordx4 v[116:119], off, off offset:512
	v_cmp_lt_u32_e32 vcc, 30, v240
	s_waitcnt vmcnt(14) lgkmcnt(13)
	v_mul_f64 v[2:3], v[60:61], v[6:7]
	s_waitcnt vmcnt(13) lgkmcnt(12)
	v_mul_f64 v[120:121], v[64:65], v[10:11]
	v_fmac_f64_e32 v[2:3], v[62:63], v[4:5]
	s_waitcnt vmcnt(12) lgkmcnt(11)
	v_mul_f64 v[122:123], v[68:69], v[14:15]
	v_fmac_f64_e32 v[120:121], v[66:67], v[8:9]
	v_add_f64 v[2:3], v[2:3], 0
	s_waitcnt vmcnt(11) lgkmcnt(10)
	v_mul_f64 v[124:125], v[72:73], v[18:19]
	v_fmac_f64_e32 v[122:123], v[70:71], v[12:13]
	v_add_f64 v[2:3], v[2:3], v[120:121]
	;; [unrolled: 4-line block ×4, first 2 shown]
	s_waitcnt vmcnt(8) lgkmcnt(7)
	v_mul_f64 v[130:131], v[84:85], v[30:31]
	v_mul_f64 v[6:7], v[62:63], v[6:7]
	v_fmac_f64_e32 v[128:129], v[82:83], v[24:25]
	v_add_f64 v[2:3], v[2:3], v[126:127]
	s_waitcnt vmcnt(7) lgkmcnt(6)
	v_mul_f64 v[132:133], v[88:89], v[34:35]
	v_mul_f64 v[10:11], v[66:67], v[10:11]
	v_fmac_f64_e32 v[130:131], v[86:87], v[28:29]
	v_fma_f64 v[4:5], v[60:61], v[4:5], -v[6:7]
	v_add_f64 v[2:3], v[2:3], v[128:129]
	s_waitcnt vmcnt(6) lgkmcnt(5)
	v_mul_f64 v[134:135], v[92:93], v[38:39]
	v_mul_f64 v[14:15], v[70:71], v[14:15]
	v_fmac_f64_e32 v[132:133], v[90:91], v[32:33]
	v_fma_f64 v[6:7], v[64:65], v[8:9], -v[10:11]
	v_add_f64 v[4:5], v[4:5], 0
	v_add_f64 v[2:3], v[2:3], v[130:131]
	s_waitcnt vmcnt(5) lgkmcnt(4)
	v_mul_f64 v[136:137], v[96:97], v[42:43]
	v_mul_f64 v[18:19], v[74:75], v[18:19]
	v_fmac_f64_e32 v[134:135], v[94:95], v[36:37]
	v_fma_f64 v[8:9], v[68:69], v[12:13], -v[14:15]
	v_add_f64 v[4:5], v[4:5], v[6:7]
	;; [unrolled: 7-line block ×6, first 2 shown]
	v_add_f64 v[2:3], v[2:3], v[140:141]
	v_fmac_f64_e32 v[144:145], v[114:115], v[56:57]
	v_fma_f64 v[18:19], v[88:89], v[32:33], -v[34:35]
	v_add_f64 v[4:5], v[4:5], v[16:17]
	v_add_f64 v[2:3], v[2:3], v[142:143]
	;; [unrolled: 1-line block ×4, first 2 shown]
	v_mul_f64 v[4:5], v[94:95], v[38:39]
	v_fma_f64 v[4:5], v[92:93], v[36:37], -v[4:5]
	v_add_f64 v[2:3], v[2:3], v[4:5]
	v_mul_f64 v[4:5], v[98:99], v[42:43]
	v_fma_f64 v[4:5], v[96:97], v[40:41], -v[4:5]
	v_add_f64 v[2:3], v[2:3], v[4:5]
	;; [unrolled: 3-line block ×6, first 2 shown]
	s_waitcnt vmcnt(0)
	v_add_f64 v[2:3], v[116:117], -v[2:3]
	v_add_f64 v[4:5], v[118:119], -v[6:7]
	scratch_store_dwordx4 off, v[2:5], off offset:512
	s_and_saveexec_b64 s[0:1], vcc
	s_cbranch_execz .LBB109_229
; %bb.228:
	scratch_load_dwordx4 v[2:5], off, s31
	v_mov_b32_e32 v6, 0
	v_mov_b32_e32 v7, v6
	;; [unrolled: 1-line block ×4, first 2 shown]
	v_accvgpr_read_b32 v0, a93
	scratch_store_dwordx4 off, v[6:9], off offset:496
	s_waitcnt vmcnt(1)
	ds_write_b128 v0, v[2:5]
.LBB109_229:
	s_or_b64 exec, exec, s[0:1]
	s_waitcnt lgkmcnt(0)
	; wave barrier
	scratch_load_dwordx4 v[4:7], off, off offset:512
	scratch_load_dwordx4 v[8:11], off, off offset:528
	;; [unrolled: 1-line block ×16, first 2 shown]
	v_mov_b32_e32 v2, 0
	ds_read_b128 v[68:71], v2 offset:1232
	ds_read_b128 v[72:75], v2 offset:1248
	;; [unrolled: 1-line block ×15, first 2 shown]
	v_cmp_lt_u32_e32 vcc, 29, v240
	s_waitcnt vmcnt(15) lgkmcnt(14)
	v_mul_f64 v[128:129], v[68:69], v[6:7]
	v_mul_f64 v[6:7], v[70:71], v[6:7]
	s_waitcnt vmcnt(14) lgkmcnt(13)
	v_mul_f64 v[130:131], v[72:73], v[10:11]
	v_mul_f64 v[10:11], v[74:75], v[10:11]
	v_fmac_f64_e32 v[128:129], v[70:71], v[4:5]
	v_fma_f64 v[4:5], v[68:69], v[4:5], -v[6:7]
	s_waitcnt vmcnt(13) lgkmcnt(12)
	v_mul_f64 v[132:133], v[76:77], v[14:15]
	v_mul_f64 v[14:15], v[78:79], v[14:15]
	v_fma_f64 v[6:7], v[72:73], v[8:9], -v[10:11]
	v_add_f64 v[4:5], v[4:5], 0
	s_waitcnt vmcnt(12) lgkmcnt(11)
	v_mul_f64 v[134:135], v[80:81], v[18:19]
	v_mul_f64 v[18:19], v[82:83], v[18:19]
	v_fmac_f64_e32 v[130:131], v[74:75], v[8:9]
	v_fma_f64 v[8:9], v[76:77], v[12:13], -v[14:15]
	v_add_f64 v[4:5], v[4:5], v[6:7]
	s_waitcnt vmcnt(11) lgkmcnt(10)
	v_mul_f64 v[136:137], v[84:85], v[22:23]
	v_mul_f64 v[22:23], v[86:87], v[22:23]
	v_fma_f64 v[10:11], v[80:81], v[16:17], -v[18:19]
	v_add_f64 v[4:5], v[4:5], v[8:9]
	s_waitcnt vmcnt(10) lgkmcnt(9)
	v_mul_f64 v[138:139], v[88:89], v[26:27]
	v_mul_f64 v[26:27], v[90:91], v[26:27]
	v_fmac_f64_e32 v[132:133], v[78:79], v[12:13]
	v_fma_f64 v[12:13], v[84:85], v[20:21], -v[22:23]
	v_add_f64 v[4:5], v[4:5], v[10:11]
	v_fma_f64 v[14:15], v[88:89], v[24:25], -v[26:27]
	v_add_f64 v[4:5], v[4:5], v[12:13]
	s_waitcnt vmcnt(9) lgkmcnt(8)
	v_mul_f64 v[8:9], v[94:95], v[30:31]
	v_add_f64 v[4:5], v[4:5], v[14:15]
	v_fma_f64 v[8:9], v[92:93], v[28:29], -v[8:9]
	v_add_f64 v[4:5], v[4:5], v[8:9]
	s_waitcnt vmcnt(8) lgkmcnt(7)
	v_mul_f64 v[8:9], v[98:99], v[34:35]
	v_fma_f64 v[8:9], v[96:97], v[32:33], -v[8:9]
	v_fmac_f64_e32 v[134:135], v[82:83], v[16:17]
	v_add_f64 v[16:17], v[128:129], 0
	v_add_f64 v[4:5], v[4:5], v[8:9]
	s_waitcnt vmcnt(7) lgkmcnt(6)
	v_mul_f64 v[8:9], v[102:103], v[38:39]
	v_add_f64 v[16:17], v[16:17], v[130:131]
	v_fma_f64 v[8:9], v[100:101], v[36:37], -v[8:9]
	v_add_f64 v[6:7], v[16:17], v[132:133]
	v_add_f64 v[4:5], v[4:5], v[8:9]
	s_waitcnt vmcnt(6) lgkmcnt(5)
	v_mul_f64 v[8:9], v[106:107], v[42:43]
	v_fmac_f64_e32 v[136:137], v[86:87], v[20:21]
	v_add_f64 v[6:7], v[6:7], v[134:135]
	v_fma_f64 v[8:9], v[104:105], v[40:41], -v[8:9]
	v_mul_f64 v[140:141], v[92:93], v[30:31]
	v_fmac_f64_e32 v[138:139], v[90:91], v[24:25]
	v_add_f64 v[6:7], v[6:7], v[136:137]
	v_add_f64 v[4:5], v[4:5], v[8:9]
	s_waitcnt vmcnt(5) lgkmcnt(4)
	v_mul_f64 v[8:9], v[110:111], v[46:47]
	v_mul_f64 v[142:143], v[96:97], v[34:35]
	v_fmac_f64_e32 v[140:141], v[94:95], v[28:29]
	v_add_f64 v[6:7], v[6:7], v[138:139]
	v_fma_f64 v[8:9], v[108:109], v[44:45], -v[8:9]
	v_mul_f64 v[144:145], v[100:101], v[38:39]
	v_fmac_f64_e32 v[142:143], v[98:99], v[32:33]
	v_add_f64 v[6:7], v[6:7], v[140:141]
	v_add_f64 v[4:5], v[4:5], v[8:9]
	s_waitcnt vmcnt(4) lgkmcnt(3)
	v_mul_f64 v[8:9], v[114:115], v[50:51]
	;; [unrolled: 10-line block ×4, first 2 shown]
	v_mul_f64 v[154:155], v[120:121], v[58:59]
	v_fmac_f64_e32 v[152:153], v[118:119], v[52:53]
	v_add_f64 v[6:7], v[6:7], v[150:151]
	v_fma_f64 v[8:9], v[120:121], v[56:57], -v[8:9]
	s_waitcnt vmcnt(1) lgkmcnt(0)
	v_mul_f64 v[156:157], v[124:125], v[62:63]
	v_fmac_f64_e32 v[154:155], v[122:123], v[56:57]
	v_add_f64 v[6:7], v[6:7], v[152:153]
	v_add_f64 v[4:5], v[4:5], v[8:9]
	v_mul_f64 v[8:9], v[126:127], v[62:63]
	v_fmac_f64_e32 v[156:157], v[126:127], v[60:61]
	v_add_f64 v[6:7], v[6:7], v[154:155]
	v_fma_f64 v[8:9], v[124:125], v[60:61], -v[8:9]
	v_add_f64 v[6:7], v[6:7], v[156:157]
	v_add_f64 v[4:5], v[4:5], v[8:9]
	s_waitcnt vmcnt(0)
	v_add_f64 v[4:5], v[64:65], -v[4:5]
	v_add_f64 v[6:7], v[66:67], -v[6:7]
	scratch_store_dwordx4 off, v[4:7], off offset:496
	s_and_saveexec_b64 s[0:1], vcc
	s_cbranch_execz .LBB109_231
; %bb.230:
	scratch_load_dwordx4 v[6:9], off, s33
	v_mov_b32_e32 v3, v2
	v_mov_b32_e32 v4, v2
	v_mov_b32_e32 v5, v2
	v_accvgpr_read_b32 v0, a93
	scratch_store_dwordx4 off, v[2:5], off offset:480
	s_waitcnt vmcnt(1)
	ds_write_b128 v0, v[6:9]
.LBB109_231:
	s_or_b64 exec, exec, s[0:1]
	s_waitcnt lgkmcnt(0)
	; wave barrier
	ds_read_b128 v[16:19], v2 offset:1216
	ds_read_b128 v[12:15], v2 offset:1232
	;; [unrolled: 1-line block ×4, first 2 shown]
	scratch_load_dwordx4 v[20:23], off, off offset:496
	scratch_load_dwordx4 v[40:43], off, off offset:560
	;; [unrolled: 1-line block ×10, first 2 shown]
	v_cmp_lt_u32_e32 vcc, 28, v240
	scratch_load_dwordx4 v[48:51], off, off offset:576
	scratch_load_dwordx4 v[56:59], off, off offset:592
	;; [unrolled: 1-line block ×3, first 2 shown]
	s_waitcnt vmcnt(12) lgkmcnt(3)
	v_mul_f64 v[24:25], v[16:17], v[22:23]
	v_fmac_f64_e32 v[24:25], v[18:19], v[20:21]
	v_add_f64 v[28:29], v[24:25], 0
	scratch_load_dwordx4 v[24:27], off, off offset:512
	s_waitcnt vmcnt(0) lgkmcnt(2)
	v_mul_f64 v[30:31], v[12:13], v[26:27]
	v_fmac_f64_e32 v[30:31], v[14:15], v[24:25]
	v_add_f64 v[32:33], v[28:29], v[30:31]
	scratch_load_dwordx4 v[28:31], off, off offset:528
	v_mul_f64 v[14:15], v[14:15], v[26:27]
	v_fma_f64 v[12:13], v[12:13], v[24:25], -v[14:15]
	s_waitcnt vmcnt(0) lgkmcnt(1)
	v_mul_f64 v[34:35], v[8:9], v[30:31]
	v_fmac_f64_e32 v[34:35], v[10:11], v[28:29]
	v_add_f64 v[36:37], v[32:33], v[34:35]
	scratch_load_dwordx4 v[32:35], off, off offset:544
	v_mul_f64 v[10:11], v[10:11], v[30:31]
	v_fma_f64 v[8:9], v[8:9], v[28:29], -v[10:11]
	s_waitcnt vmcnt(0) lgkmcnt(0)
	v_mul_f64 v[38:39], v[4:5], v[34:35]
	v_fmac_f64_e32 v[38:39], v[6:7], v[32:33]
	v_add_f64 v[44:45], v[36:37], v[38:39]
	ds_read_b128 v[36:39], v2 offset:1280
	v_mul_f64 v[6:7], v[6:7], v[34:35]
	v_fma_f64 v[4:5], v[4:5], v[32:33], -v[6:7]
	s_waitcnt lgkmcnt(0)
	v_mul_f64 v[46:47], v[36:37], v[42:43]
	v_fmac_f64_e32 v[46:47], v[38:39], v[40:41]
	v_add_f64 v[52:53], v[44:45], v[46:47]
	ds_read_b128 v[44:47], v2 offset:1296
	s_waitcnt lgkmcnt(0)
	v_mul_f64 v[54:55], v[44:45], v[50:51]
	v_fmac_f64_e32 v[54:55], v[46:47], v[48:49]
	v_add_f64 v[60:61], v[52:53], v[54:55]
	ds_read_b128 v[52:55], v2 offset:1312
	;; [unrolled: 5-line block ×11, first 2 shown]
	s_waitcnt lgkmcnt(0)
	v_mul_f64 v[2:3], v[126:127], v[132:133]
	v_fmac_f64_e32 v[2:3], v[128:129], v[130:131]
	v_add_f64 v[64:65], v[64:65], v[2:3]
	v_mul_f64 v[2:3], v[18:19], v[22:23]
	v_fma_f64 v[2:3], v[16:17], v[20:21], -v[2:3]
	v_add_f64 v[2:3], v[2:3], 0
	v_add_f64 v[2:3], v[2:3], v[12:13]
	;; [unrolled: 1-line block ×4, first 2 shown]
	v_mul_f64 v[4:5], v[38:39], v[42:43]
	v_fma_f64 v[4:5], v[36:37], v[40:41], -v[4:5]
	v_add_f64 v[2:3], v[2:3], v[4:5]
	v_mul_f64 v[4:5], v[46:47], v[50:51]
	v_fma_f64 v[4:5], v[44:45], v[48:49], -v[4:5]
	v_add_f64 v[2:3], v[2:3], v[4:5]
	;; [unrolled: 3-line block ×12, first 2 shown]
	scratch_load_dwordx4 v[2:5], off, off offset:480
	s_waitcnt vmcnt(0)
	v_add_f64 v[2:3], v[2:3], -v[6:7]
	v_add_f64 v[4:5], v[4:5], -v[64:65]
	scratch_store_dwordx4 off, v[2:5], off offset:480
	s_and_saveexec_b64 s[0:1], vcc
	s_cbranch_execz .LBB109_233
; %bb.232:
	scratch_load_dwordx4 v[2:5], off, s34
	v_mov_b32_e32 v6, 0
	v_mov_b32_e32 v7, v6
	;; [unrolled: 1-line block ×4, first 2 shown]
	v_accvgpr_read_b32 v0, a93
	scratch_store_dwordx4 off, v[6:9], off offset:464
	s_waitcnt vmcnt(1)
	ds_write_b128 v0, v[2:5]
.LBB109_233:
	s_or_b64 exec, exec, s[0:1]
	v_mov_b32_e32 v2, 0
	s_waitcnt lgkmcnt(0)
	; wave barrier
	ds_read_b128 v[16:19], v2 offset:1200
	ds_read_b128 v[12:15], v2 offset:1216
	;; [unrolled: 1-line block ×4, first 2 shown]
	scratch_load_dwordx4 v[20:23], off, off offset:480
	scratch_load_dwordx4 v[40:43], off, off offset:544
	;; [unrolled: 1-line block ×11, first 2 shown]
	v_cmp_lt_u32_e32 vcc, 27, v240
	scratch_load_dwordx4 v[48:51], off, off offset:560
	scratch_load_dwordx4 v[56:59], off, off offset:576
	;; [unrolled: 1-line block ×3, first 2 shown]
	s_waitcnt vmcnt(13) lgkmcnt(3)
	v_mul_f64 v[24:25], v[16:17], v[22:23]
	v_fmac_f64_e32 v[24:25], v[18:19], v[20:21]
	v_add_f64 v[28:29], v[24:25], 0
	scratch_load_dwordx4 v[24:27], off, off offset:496
	v_mul_f64 v[18:19], v[18:19], v[22:23]
	v_fma_f64 v[16:17], v[16:17], v[20:21], -v[18:19]
	v_add_f64 v[16:17], v[16:17], 0
	s_waitcnt vmcnt(0) lgkmcnt(2)
	v_mul_f64 v[30:31], v[12:13], v[26:27]
	v_fmac_f64_e32 v[30:31], v[14:15], v[24:25]
	v_add_f64 v[32:33], v[28:29], v[30:31]
	scratch_load_dwordx4 v[28:31], off, off offset:512
	v_mul_f64 v[14:15], v[14:15], v[26:27]
	v_fma_f64 v[12:13], v[12:13], v[24:25], -v[14:15]
	v_add_f64 v[12:13], v[16:17], v[12:13]
	;; [unrolled: 8-line block ×3, first 2 shown]
	s_waitcnt vmcnt(0) lgkmcnt(0)
	v_mul_f64 v[38:39], v[4:5], v[34:35]
	v_fmac_f64_e32 v[38:39], v[6:7], v[32:33]
	v_add_f64 v[44:45], v[36:37], v[38:39]
	ds_read_b128 v[36:39], v2 offset:1264
	v_mul_f64 v[6:7], v[6:7], v[34:35]
	v_fma_f64 v[4:5], v[4:5], v[32:33], -v[6:7]
	v_add_f64 v[4:5], v[8:9], v[4:5]
	s_waitcnt lgkmcnt(0)
	v_mul_f64 v[46:47], v[36:37], v[42:43]
	v_fmac_f64_e32 v[46:47], v[38:39], v[40:41]
	v_add_f64 v[52:53], v[44:45], v[46:47]
	ds_read_b128 v[44:47], v2 offset:1280
	v_mul_f64 v[6:7], v[38:39], v[42:43]
	v_fma_f64 v[6:7], v[36:37], v[40:41], -v[6:7]
	v_add_f64 v[4:5], v[4:5], v[6:7]
	s_waitcnt lgkmcnt(0)
	;; [unrolled: 8-line block ×13, first 2 shown]
	v_mul_f64 v[6:7], v[136:137], v[140:141]
	v_fma_f64 v[6:7], v[134:135], v[138:139], -v[6:7]
	v_add_f64 v[8:9], v[4:5], v[6:7]
	scratch_load_dwordx4 v[4:7], off, off offset:464
	v_mul_f64 v[142:143], v[134:135], v[140:141]
	v_fmac_f64_e32 v[142:143], v[136:137], v[138:139]
	v_add_f64 v[72:73], v[72:73], v[142:143]
	s_waitcnt vmcnt(0)
	v_add_f64 v[4:5], v[4:5], -v[8:9]
	v_add_f64 v[6:7], v[6:7], -v[72:73]
	scratch_store_dwordx4 off, v[4:7], off offset:464
	s_and_saveexec_b64 s[0:1], vcc
	s_cbranch_execz .LBB109_235
; %bb.234:
	scratch_load_dwordx4 v[6:9], off, s35
	v_mov_b32_e32 v3, v2
	v_mov_b32_e32 v4, v2
	;; [unrolled: 1-line block ×3, first 2 shown]
	v_accvgpr_read_b32 v0, a93
	scratch_store_dwordx4 off, v[2:5], off offset:448
	s_waitcnt vmcnt(1)
	ds_write_b128 v0, v[6:9]
.LBB109_235:
	s_or_b64 exec, exec, s[0:1]
	s_waitcnt lgkmcnt(0)
	; wave barrier
	ds_read_b128 v[16:19], v2 offset:1184
	ds_read_b128 v[12:15], v2 offset:1200
	;; [unrolled: 1-line block ×4, first 2 shown]
	scratch_load_dwordx4 v[20:23], off, off offset:464
	scratch_load_dwordx4 v[40:43], off, off offset:528
	;; [unrolled: 1-line block ×12, first 2 shown]
	v_cmp_lt_u32_e32 vcc, 26, v240
	scratch_load_dwordx4 v[48:51], off, off offset:544
	scratch_load_dwordx4 v[56:59], off, off offset:560
	;; [unrolled: 1-line block ×3, first 2 shown]
	s_waitcnt vmcnt(14) lgkmcnt(3)
	v_mul_f64 v[24:25], v[16:17], v[22:23]
	v_fmac_f64_e32 v[24:25], v[18:19], v[20:21]
	v_add_f64 v[28:29], v[24:25], 0
	scratch_load_dwordx4 v[24:27], off, off offset:480
	s_waitcnt vmcnt(0) lgkmcnt(2)
	v_mul_f64 v[30:31], v[12:13], v[26:27]
	v_fmac_f64_e32 v[30:31], v[14:15], v[24:25]
	v_add_f64 v[32:33], v[28:29], v[30:31]
	scratch_load_dwordx4 v[28:31], off, off offset:496
	v_mul_f64 v[14:15], v[14:15], v[26:27]
	v_fma_f64 v[12:13], v[12:13], v[24:25], -v[14:15]
	s_waitcnt vmcnt(0) lgkmcnt(1)
	v_mul_f64 v[34:35], v[8:9], v[30:31]
	v_fmac_f64_e32 v[34:35], v[10:11], v[28:29]
	v_add_f64 v[36:37], v[32:33], v[34:35]
	scratch_load_dwordx4 v[32:35], off, off offset:512
	v_mul_f64 v[10:11], v[10:11], v[30:31]
	v_fma_f64 v[8:9], v[8:9], v[28:29], -v[10:11]
	s_waitcnt vmcnt(0) lgkmcnt(0)
	v_mul_f64 v[38:39], v[4:5], v[34:35]
	v_fmac_f64_e32 v[38:39], v[6:7], v[32:33]
	v_add_f64 v[44:45], v[36:37], v[38:39]
	ds_read_b128 v[36:39], v2 offset:1248
	v_mul_f64 v[6:7], v[6:7], v[34:35]
	v_fma_f64 v[4:5], v[4:5], v[32:33], -v[6:7]
	s_waitcnt lgkmcnt(0)
	v_mul_f64 v[46:47], v[36:37], v[42:43]
	v_fmac_f64_e32 v[46:47], v[38:39], v[40:41]
	v_add_f64 v[52:53], v[44:45], v[46:47]
	ds_read_b128 v[44:47], v2 offset:1264
	s_waitcnt lgkmcnt(0)
	v_mul_f64 v[54:55], v[44:45], v[50:51]
	v_fmac_f64_e32 v[54:55], v[46:47], v[48:49]
	v_add_f64 v[60:61], v[52:53], v[54:55]
	ds_read_b128 v[52:55], v2 offset:1280
	;; [unrolled: 5-line block ×13, first 2 shown]
	s_waitcnt lgkmcnt(0)
	v_mul_f64 v[2:3], v[142:143], v[148:149]
	v_fmac_f64_e32 v[2:3], v[144:145], v[146:147]
	v_add_f64 v[80:81], v[80:81], v[2:3]
	v_mul_f64 v[2:3], v[18:19], v[22:23]
	v_fma_f64 v[2:3], v[16:17], v[20:21], -v[2:3]
	v_add_f64 v[2:3], v[2:3], 0
	v_add_f64 v[2:3], v[2:3], v[12:13]
	;; [unrolled: 1-line block ×4, first 2 shown]
	v_mul_f64 v[4:5], v[38:39], v[42:43]
	v_fma_f64 v[4:5], v[36:37], v[40:41], -v[4:5]
	v_add_f64 v[2:3], v[2:3], v[4:5]
	v_mul_f64 v[4:5], v[46:47], v[50:51]
	v_fma_f64 v[4:5], v[44:45], v[48:49], -v[4:5]
	v_add_f64 v[2:3], v[2:3], v[4:5]
	;; [unrolled: 3-line block ×14, first 2 shown]
	scratch_load_dwordx4 v[2:5], off, off offset:448
	s_waitcnt vmcnt(0)
	v_add_f64 v[2:3], v[2:3], -v[6:7]
	v_add_f64 v[4:5], v[4:5], -v[80:81]
	scratch_store_dwordx4 off, v[2:5], off offset:448
	s_and_saveexec_b64 s[0:1], vcc
	s_cbranch_execz .LBB109_237
; %bb.236:
	scratch_load_dwordx4 v[2:5], off, s36
	v_mov_b32_e32 v6, 0
	v_mov_b32_e32 v7, v6
	;; [unrolled: 1-line block ×4, first 2 shown]
	v_accvgpr_read_b32 v0, a93
	scratch_store_dwordx4 off, v[6:9], off offset:432
	s_waitcnt vmcnt(1)
	ds_write_b128 v0, v[2:5]
.LBB109_237:
	s_or_b64 exec, exec, s[0:1]
	v_mov_b32_e32 v2, 0
	s_waitcnt lgkmcnt(0)
	; wave barrier
	ds_read_b128 v[16:19], v2 offset:1168
	ds_read_b128 v[12:15], v2 offset:1184
	;; [unrolled: 1-line block ×4, first 2 shown]
	scratch_load_dwordx4 v[20:23], off, off offset:448
	scratch_load_dwordx4 v[40:43], off, off offset:512
	;; [unrolled: 1-line block ×13, first 2 shown]
	v_cmp_lt_u32_e32 vcc, 25, v240
	scratch_load_dwordx4 v[48:51], off, off offset:528
	scratch_load_dwordx4 v[56:59], off, off offset:544
	;; [unrolled: 1-line block ×3, first 2 shown]
	s_waitcnt vmcnt(15) lgkmcnt(3)
	v_mul_f64 v[24:25], v[16:17], v[22:23]
	v_fmac_f64_e32 v[24:25], v[18:19], v[20:21]
	v_add_f64 v[28:29], v[24:25], 0
	scratch_load_dwordx4 v[24:27], off, off offset:464
	v_mul_f64 v[18:19], v[18:19], v[22:23]
	v_fma_f64 v[16:17], v[16:17], v[20:21], -v[18:19]
	v_add_f64 v[16:17], v[16:17], 0
	s_waitcnt vmcnt(0) lgkmcnt(2)
	v_mul_f64 v[30:31], v[12:13], v[26:27]
	v_fmac_f64_e32 v[30:31], v[14:15], v[24:25]
	v_add_f64 v[32:33], v[28:29], v[30:31]
	scratch_load_dwordx4 v[28:31], off, off offset:480
	v_mul_f64 v[14:15], v[14:15], v[26:27]
	v_fma_f64 v[12:13], v[12:13], v[24:25], -v[14:15]
	v_add_f64 v[12:13], v[16:17], v[12:13]
	;; [unrolled: 8-line block ×3, first 2 shown]
	s_waitcnt vmcnt(0) lgkmcnt(0)
	v_mul_f64 v[38:39], v[4:5], v[34:35]
	v_fmac_f64_e32 v[38:39], v[6:7], v[32:33]
	v_add_f64 v[44:45], v[36:37], v[38:39]
	ds_read_b128 v[36:39], v2 offset:1232
	v_mul_f64 v[6:7], v[6:7], v[34:35]
	v_fma_f64 v[4:5], v[4:5], v[32:33], -v[6:7]
	v_add_f64 v[4:5], v[8:9], v[4:5]
	s_waitcnt lgkmcnt(0)
	v_mul_f64 v[46:47], v[36:37], v[42:43]
	v_fmac_f64_e32 v[46:47], v[38:39], v[40:41]
	v_add_f64 v[52:53], v[44:45], v[46:47]
	ds_read_b128 v[44:47], v2 offset:1248
	v_mul_f64 v[6:7], v[38:39], v[42:43]
	v_fma_f64 v[6:7], v[36:37], v[40:41], -v[6:7]
	v_add_f64 v[4:5], v[4:5], v[6:7]
	s_waitcnt lgkmcnt(0)
	;; [unrolled: 8-line block ×15, first 2 shown]
	v_mul_f64 v[6:7], v[152:153], v[156:157]
	v_fma_f64 v[6:7], v[150:151], v[154:155], -v[6:7]
	v_add_f64 v[8:9], v[4:5], v[6:7]
	scratch_load_dwordx4 v[4:7], off, off offset:432
	v_mul_f64 v[158:159], v[150:151], v[156:157]
	v_fmac_f64_e32 v[158:159], v[152:153], v[154:155]
	v_add_f64 v[88:89], v[88:89], v[158:159]
	s_waitcnt vmcnt(0)
	v_add_f64 v[4:5], v[4:5], -v[8:9]
	v_add_f64 v[6:7], v[6:7], -v[88:89]
	scratch_store_dwordx4 off, v[4:7], off offset:432
	s_and_saveexec_b64 s[0:1], vcc
	s_cbranch_execz .LBB109_239
; %bb.238:
	scratch_load_dwordx4 v[6:9], off, s37
	v_mov_b32_e32 v3, v2
	v_mov_b32_e32 v4, v2
	v_mov_b32_e32 v5, v2
	v_accvgpr_read_b32 v0, a93
	scratch_store_dwordx4 off, v[2:5], off offset:416
	s_waitcnt vmcnt(1)
	ds_write_b128 v0, v[6:9]
.LBB109_239:
	s_or_b64 exec, exec, s[0:1]
	s_waitcnt lgkmcnt(0)
	; wave barrier
	ds_read_b128 v[16:19], v2 offset:1152
	ds_read_b128 v[12:15], v2 offset:1168
	;; [unrolled: 1-line block ×4, first 2 shown]
	scratch_load_dwordx4 v[20:23], off, off offset:432
	scratch_load_dwordx4 v[40:43], off, off offset:496
	;; [unrolled: 1-line block ×14, first 2 shown]
	v_cmp_lt_u32_e32 vcc, 24, v240
	scratch_load_dwordx4 v[48:51], off, off offset:512
	scratch_load_dwordx4 v[56:59], off, off offset:528
	;; [unrolled: 1-line block ×3, first 2 shown]
	s_waitcnt vmcnt(16) lgkmcnt(3)
	v_mul_f64 v[24:25], v[16:17], v[22:23]
	v_fmac_f64_e32 v[24:25], v[18:19], v[20:21]
	v_add_f64 v[28:29], v[24:25], 0
	scratch_load_dwordx4 v[24:27], off, off offset:448
	s_waitcnt vmcnt(0) lgkmcnt(2)
	v_mul_f64 v[30:31], v[12:13], v[26:27]
	v_fmac_f64_e32 v[30:31], v[14:15], v[24:25]
	v_add_f64 v[32:33], v[28:29], v[30:31]
	scratch_load_dwordx4 v[28:31], off, off offset:464
	v_mul_f64 v[14:15], v[14:15], v[26:27]
	v_fma_f64 v[12:13], v[12:13], v[24:25], -v[14:15]
	s_waitcnt vmcnt(0) lgkmcnt(1)
	v_mul_f64 v[34:35], v[8:9], v[30:31]
	v_fmac_f64_e32 v[34:35], v[10:11], v[28:29]
	v_add_f64 v[36:37], v[32:33], v[34:35]
	scratch_load_dwordx4 v[32:35], off, off offset:480
	v_mul_f64 v[10:11], v[10:11], v[30:31]
	v_fma_f64 v[8:9], v[8:9], v[28:29], -v[10:11]
	s_waitcnt vmcnt(0) lgkmcnt(0)
	v_mul_f64 v[38:39], v[4:5], v[34:35]
	v_fmac_f64_e32 v[38:39], v[6:7], v[32:33]
	v_add_f64 v[44:45], v[36:37], v[38:39]
	ds_read_b128 v[36:39], v2 offset:1216
	v_mul_f64 v[6:7], v[6:7], v[34:35]
	v_fma_f64 v[4:5], v[4:5], v[32:33], -v[6:7]
	s_waitcnt lgkmcnt(0)
	v_mul_f64 v[46:47], v[36:37], v[42:43]
	v_fmac_f64_e32 v[46:47], v[38:39], v[40:41]
	v_add_f64 v[52:53], v[44:45], v[46:47]
	ds_read_b128 v[44:47], v2 offset:1232
	s_waitcnt lgkmcnt(0)
	v_mul_f64 v[54:55], v[44:45], v[50:51]
	v_fmac_f64_e32 v[54:55], v[46:47], v[48:49]
	v_add_f64 v[60:61], v[52:53], v[54:55]
	ds_read_b128 v[52:55], v2 offset:1248
	;; [unrolled: 5-line block ×15, first 2 shown]
	s_waitcnt lgkmcnt(0)
	v_mul_f64 v[2:3], v[158:159], v[164:165]
	v_fmac_f64_e32 v[2:3], v[160:161], v[162:163]
	v_add_f64 v[96:97], v[96:97], v[2:3]
	v_mul_f64 v[2:3], v[18:19], v[22:23]
	v_fma_f64 v[2:3], v[16:17], v[20:21], -v[2:3]
	v_add_f64 v[2:3], v[2:3], 0
	v_add_f64 v[2:3], v[2:3], v[12:13]
	;; [unrolled: 1-line block ×4, first 2 shown]
	v_mul_f64 v[4:5], v[38:39], v[42:43]
	v_fma_f64 v[4:5], v[36:37], v[40:41], -v[4:5]
	v_add_f64 v[2:3], v[2:3], v[4:5]
	v_mul_f64 v[4:5], v[46:47], v[50:51]
	v_fma_f64 v[4:5], v[44:45], v[48:49], -v[4:5]
	v_add_f64 v[2:3], v[2:3], v[4:5]
	;; [unrolled: 3-line block ×16, first 2 shown]
	scratch_load_dwordx4 v[2:5], off, off offset:416
	s_waitcnt vmcnt(0)
	v_add_f64 v[2:3], v[2:3], -v[6:7]
	v_add_f64 v[4:5], v[4:5], -v[96:97]
	scratch_store_dwordx4 off, v[2:5], off offset:416
	s_and_saveexec_b64 s[0:1], vcc
	s_cbranch_execz .LBB109_241
; %bb.240:
	scratch_load_dwordx4 v[2:5], off, s38
	v_mov_b32_e32 v6, 0
	v_mov_b32_e32 v7, v6
	;; [unrolled: 1-line block ×4, first 2 shown]
	v_accvgpr_read_b32 v0, a93
	scratch_store_dwordx4 off, v[6:9], off offset:400
	s_waitcnt vmcnt(1)
	ds_write_b128 v0, v[2:5]
.LBB109_241:
	s_or_b64 exec, exec, s[0:1]
	v_mov_b32_e32 v2, 0
	s_waitcnt lgkmcnt(0)
	; wave barrier
	ds_read_b128 v[16:19], v2 offset:1136
	ds_read_b128 v[12:15], v2 offset:1152
	;; [unrolled: 1-line block ×4, first 2 shown]
	scratch_load_dwordx4 v[20:23], off, off offset:416
	scratch_load_dwordx4 v[40:43], off, off offset:480
	;; [unrolled: 1-line block ×15, first 2 shown]
	v_cmp_lt_u32_e32 vcc, 23, v240
	scratch_load_dwordx4 v[48:51], off, off offset:496
	scratch_load_dwordx4 v[56:59], off, off offset:512
	;; [unrolled: 1-line block ×3, first 2 shown]
	s_waitcnt vmcnt(17) lgkmcnt(3)
	v_mul_f64 v[24:25], v[16:17], v[22:23]
	v_fmac_f64_e32 v[24:25], v[18:19], v[20:21]
	v_add_f64 v[28:29], v[24:25], 0
	scratch_load_dwordx4 v[24:27], off, off offset:432
	v_mul_f64 v[18:19], v[18:19], v[22:23]
	v_fma_f64 v[16:17], v[16:17], v[20:21], -v[18:19]
	v_add_f64 v[16:17], v[16:17], 0
	s_waitcnt vmcnt(0) lgkmcnt(2)
	v_mul_f64 v[30:31], v[12:13], v[26:27]
	v_fmac_f64_e32 v[30:31], v[14:15], v[24:25]
	v_add_f64 v[32:33], v[28:29], v[30:31]
	scratch_load_dwordx4 v[28:31], off, off offset:448
	v_mul_f64 v[14:15], v[14:15], v[26:27]
	v_fma_f64 v[12:13], v[12:13], v[24:25], -v[14:15]
	v_add_f64 v[12:13], v[16:17], v[12:13]
	;; [unrolled: 8-line block ×3, first 2 shown]
	s_waitcnt vmcnt(0) lgkmcnt(0)
	v_mul_f64 v[38:39], v[4:5], v[34:35]
	v_fmac_f64_e32 v[38:39], v[6:7], v[32:33]
	v_add_f64 v[44:45], v[36:37], v[38:39]
	ds_read_b128 v[36:39], v2 offset:1200
	v_mul_f64 v[6:7], v[6:7], v[34:35]
	v_fma_f64 v[4:5], v[4:5], v[32:33], -v[6:7]
	v_add_f64 v[4:5], v[8:9], v[4:5]
	s_waitcnt lgkmcnt(0)
	v_mul_f64 v[46:47], v[36:37], v[42:43]
	v_fmac_f64_e32 v[46:47], v[38:39], v[40:41]
	v_add_f64 v[52:53], v[44:45], v[46:47]
	ds_read_b128 v[44:47], v2 offset:1216
	v_mul_f64 v[6:7], v[38:39], v[42:43]
	v_fma_f64 v[6:7], v[36:37], v[40:41], -v[6:7]
	v_add_f64 v[4:5], v[4:5], v[6:7]
	s_waitcnt lgkmcnt(0)
	;; [unrolled: 8-line block ×17, first 2 shown]
	v_mul_f64 v[6:7], v[168:169], v[172:173]
	v_fma_f64 v[6:7], v[166:167], v[170:171], -v[6:7]
	v_add_f64 v[8:9], v[4:5], v[6:7]
	scratch_load_dwordx4 v[4:7], off, off offset:400
	v_mul_f64 v[174:175], v[166:167], v[172:173]
	v_fmac_f64_e32 v[174:175], v[168:169], v[170:171]
	v_add_f64 v[104:105], v[104:105], v[174:175]
	s_waitcnt vmcnt(0)
	v_add_f64 v[4:5], v[4:5], -v[8:9]
	v_add_f64 v[6:7], v[6:7], -v[104:105]
	scratch_store_dwordx4 off, v[4:7], off offset:400
	s_and_saveexec_b64 s[0:1], vcc
	s_cbranch_execz .LBB109_243
; %bb.242:
	scratch_load_dwordx4 v[6:9], off, s39
	v_mov_b32_e32 v3, v2
	v_mov_b32_e32 v4, v2
	;; [unrolled: 1-line block ×3, first 2 shown]
	v_accvgpr_read_b32 v0, a93
	scratch_store_dwordx4 off, v[2:5], off offset:384
	s_waitcnt vmcnt(1)
	ds_write_b128 v0, v[6:9]
.LBB109_243:
	s_or_b64 exec, exec, s[0:1]
	s_waitcnt lgkmcnt(0)
	; wave barrier
	ds_read_b128 v[16:19], v2 offset:1120
	ds_read_b128 v[12:15], v2 offset:1136
	;; [unrolled: 1-line block ×4, first 2 shown]
	scratch_load_dwordx4 v[20:23], off, off offset:400
	scratch_load_dwordx4 v[40:43], off, off offset:464
	;; [unrolled: 1-line block ×16, first 2 shown]
	v_cmp_lt_u32_e32 vcc, 22, v240
	scratch_load_dwordx4 v[48:51], off, off offset:480
	scratch_load_dwordx4 v[56:59], off, off offset:496
	;; [unrolled: 1-line block ×3, first 2 shown]
	s_waitcnt vmcnt(18) lgkmcnt(3)
	v_mul_f64 v[24:25], v[16:17], v[22:23]
	v_fmac_f64_e32 v[24:25], v[18:19], v[20:21]
	v_add_f64 v[28:29], v[24:25], 0
	scratch_load_dwordx4 v[24:27], off, off offset:416
	s_waitcnt vmcnt(0) lgkmcnt(2)
	v_mul_f64 v[30:31], v[12:13], v[26:27]
	v_fmac_f64_e32 v[30:31], v[14:15], v[24:25]
	v_add_f64 v[32:33], v[28:29], v[30:31]
	scratch_load_dwordx4 v[28:31], off, off offset:432
	v_mul_f64 v[14:15], v[14:15], v[26:27]
	v_fma_f64 v[12:13], v[12:13], v[24:25], -v[14:15]
	s_waitcnt vmcnt(0) lgkmcnt(1)
	v_mul_f64 v[34:35], v[8:9], v[30:31]
	v_fmac_f64_e32 v[34:35], v[10:11], v[28:29]
	v_add_f64 v[36:37], v[32:33], v[34:35]
	scratch_load_dwordx4 v[32:35], off, off offset:448
	v_mul_f64 v[10:11], v[10:11], v[30:31]
	v_fma_f64 v[8:9], v[8:9], v[28:29], -v[10:11]
	s_waitcnt vmcnt(0) lgkmcnt(0)
	v_mul_f64 v[38:39], v[4:5], v[34:35]
	v_fmac_f64_e32 v[38:39], v[6:7], v[32:33]
	v_add_f64 v[44:45], v[36:37], v[38:39]
	ds_read_b128 v[36:39], v2 offset:1184
	v_mul_f64 v[6:7], v[6:7], v[34:35]
	v_fma_f64 v[4:5], v[4:5], v[32:33], -v[6:7]
	s_waitcnt lgkmcnt(0)
	v_mul_f64 v[46:47], v[36:37], v[42:43]
	v_fmac_f64_e32 v[46:47], v[38:39], v[40:41]
	v_add_f64 v[52:53], v[44:45], v[46:47]
	ds_read_b128 v[44:47], v2 offset:1200
	s_waitcnt lgkmcnt(0)
	v_mul_f64 v[54:55], v[44:45], v[50:51]
	v_fmac_f64_e32 v[54:55], v[46:47], v[48:49]
	v_add_f64 v[60:61], v[52:53], v[54:55]
	ds_read_b128 v[52:55], v2 offset:1216
	s_waitcnt lgkmcnt(0)
	v_mul_f64 v[62:63], v[52:53], v[58:59]
	v_fmac_f64_e32 v[62:63], v[54:55], v[56:57]
	v_add_f64 v[68:69], v[60:61], v[62:63]
	ds_read_b128 v[60:63], v2 offset:1232
	s_waitcnt lgkmcnt(0)
	v_mul_f64 v[70:71], v[60:61], v[66:67]
	v_fmac_f64_e32 v[70:71], v[62:63], v[64:65]
	v_add_f64 v[76:77], v[68:69], v[70:71]
	ds_read_b128 v[68:71], v2 offset:1248
	s_waitcnt lgkmcnt(0)
	v_mul_f64 v[78:79], v[68:69], v[74:75]
	v_fmac_f64_e32 v[78:79], v[70:71], v[72:73]
	v_add_f64 v[84:85], v[76:77], v[78:79]
	ds_read_b128 v[76:79], v2 offset:1264
	s_waitcnt lgkmcnt(0)
	v_mul_f64 v[86:87], v[76:77], v[82:83]
	v_fmac_f64_e32 v[86:87], v[78:79], v[80:81]
	v_add_f64 v[92:93], v[84:85], v[86:87]
	ds_read_b128 v[84:87], v2 offset:1280
	s_waitcnt lgkmcnt(0)
	v_mul_f64 v[94:95], v[84:85], v[90:91]
	v_fmac_f64_e32 v[94:95], v[86:87], v[88:89]
	v_add_f64 v[100:101], v[92:93], v[94:95]
	ds_read_b128 v[92:95], v2 offset:1296
	s_waitcnt lgkmcnt(0)
	v_mul_f64 v[102:103], v[92:93], v[98:99]
	v_fmac_f64_e32 v[102:103], v[94:95], v[96:97]
	v_add_f64 v[108:109], v[100:101], v[102:103]
	ds_read_b128 v[100:103], v2 offset:1312
	s_waitcnt lgkmcnt(0)
	v_mul_f64 v[110:111], v[100:101], v[106:107]
	v_fmac_f64_e32 v[110:111], v[102:103], v[104:105]
	v_add_f64 v[116:117], v[108:109], v[110:111]
	ds_read_b128 v[108:111], v2 offset:1328
	s_waitcnt lgkmcnt(0)
	v_mul_f64 v[118:119], v[108:109], v[114:115]
	v_fmac_f64_e32 v[118:119], v[110:111], v[112:113]
	v_add_f64 v[120:121], v[116:117], v[118:119]
	ds_read_b128 v[116:119], v2 offset:1344
	s_waitcnt lgkmcnt(0)
	v_mul_f64 v[126:127], v[116:117], v[124:125]
	v_fmac_f64_e32 v[126:127], v[118:119], v[122:123]
	v_add_f64 v[120:121], v[120:121], v[126:127]
	ds_read_b128 v[126:129], v2 offset:1360
	s_waitcnt lgkmcnt(0)
	v_mul_f64 v[134:135], v[126:127], v[132:133]
	v_fmac_f64_e32 v[134:135], v[128:129], v[130:131]
	v_add_f64 v[120:121], v[120:121], v[134:135]
	ds_read_b128 v[134:137], v2 offset:1376
	s_waitcnt lgkmcnt(0)
	v_mul_f64 v[142:143], v[134:135], v[140:141]
	v_fmac_f64_e32 v[142:143], v[136:137], v[138:139]
	v_add_f64 v[120:121], v[120:121], v[142:143]
	ds_read_b128 v[142:145], v2 offset:1392
	s_waitcnt lgkmcnt(0)
	v_mul_f64 v[150:151], v[142:143], v[148:149]
	v_fmac_f64_e32 v[150:151], v[144:145], v[146:147]
	v_add_f64 v[120:121], v[120:121], v[150:151]
	ds_read_b128 v[150:153], v2 offset:1408
	s_waitcnt lgkmcnt(0)
	v_mul_f64 v[158:159], v[150:151], v[156:157]
	v_fmac_f64_e32 v[158:159], v[152:153], v[154:155]
	v_add_f64 v[120:121], v[120:121], v[158:159]
	ds_read_b128 v[158:161], v2 offset:1424
	s_waitcnt lgkmcnt(0)
	v_mul_f64 v[166:167], v[158:159], v[164:165]
	v_fmac_f64_e32 v[166:167], v[160:161], v[162:163]
	v_add_f64 v[120:121], v[120:121], v[166:167]
	ds_read_b128 v[166:169], v2 offset:1440
	s_waitcnt lgkmcnt(0)
	v_mul_f64 v[174:175], v[166:167], v[172:173]
	v_fmac_f64_e32 v[174:175], v[168:169], v[170:171]
	v_add_f64 v[120:121], v[120:121], v[174:175]
	ds_read_b128 v[174:177], v2 offset:1456
	s_waitcnt lgkmcnt(0)
	v_mul_f64 v[2:3], v[174:175], v[180:181]
	v_fmac_f64_e32 v[2:3], v[176:177], v[178:179]
	v_add_f64 v[120:121], v[120:121], v[2:3]
	v_mul_f64 v[2:3], v[18:19], v[22:23]
	v_fma_f64 v[2:3], v[16:17], v[20:21], -v[2:3]
	v_add_f64 v[2:3], v[2:3], 0
	v_add_f64 v[2:3], v[2:3], v[12:13]
	;; [unrolled: 1-line block ×4, first 2 shown]
	v_mul_f64 v[4:5], v[38:39], v[42:43]
	v_fma_f64 v[4:5], v[36:37], v[40:41], -v[4:5]
	v_add_f64 v[2:3], v[2:3], v[4:5]
	v_mul_f64 v[4:5], v[46:47], v[50:51]
	v_fma_f64 v[4:5], v[44:45], v[48:49], -v[4:5]
	v_add_f64 v[2:3], v[2:3], v[4:5]
	v_mul_f64 v[4:5], v[54:55], v[58:59]
	v_fma_f64 v[4:5], v[52:53], v[56:57], -v[4:5]
	v_add_f64 v[2:3], v[2:3], v[4:5]
	v_mul_f64 v[4:5], v[62:63], v[66:67]
	v_fma_f64 v[4:5], v[60:61], v[64:65], -v[4:5]
	v_add_f64 v[2:3], v[2:3], v[4:5]
	v_mul_f64 v[4:5], v[70:71], v[74:75]
	v_fma_f64 v[4:5], v[68:69], v[72:73], -v[4:5]
	v_add_f64 v[2:3], v[2:3], v[4:5]
	v_mul_f64 v[4:5], v[78:79], v[82:83]
	v_fma_f64 v[4:5], v[76:77], v[80:81], -v[4:5]
	v_add_f64 v[2:3], v[2:3], v[4:5]
	v_mul_f64 v[4:5], v[86:87], v[90:91]
	v_fma_f64 v[4:5], v[84:85], v[88:89], -v[4:5]
	v_add_f64 v[2:3], v[2:3], v[4:5]
	v_mul_f64 v[4:5], v[94:95], v[98:99]
	v_fma_f64 v[4:5], v[92:93], v[96:97], -v[4:5]
	v_add_f64 v[2:3], v[2:3], v[4:5]
	v_mul_f64 v[4:5], v[102:103], v[106:107]
	v_fma_f64 v[4:5], v[100:101], v[104:105], -v[4:5]
	v_add_f64 v[2:3], v[2:3], v[4:5]
	v_mul_f64 v[4:5], v[110:111], v[114:115]
	v_fma_f64 v[4:5], v[108:109], v[112:113], -v[4:5]
	v_add_f64 v[2:3], v[2:3], v[4:5]
	v_mul_f64 v[4:5], v[118:119], v[124:125]
	v_fma_f64 v[4:5], v[116:117], v[122:123], -v[4:5]
	v_add_f64 v[2:3], v[2:3], v[4:5]
	v_mul_f64 v[4:5], v[128:129], v[132:133]
	v_fma_f64 v[4:5], v[126:127], v[130:131], -v[4:5]
	v_add_f64 v[2:3], v[2:3], v[4:5]
	v_mul_f64 v[4:5], v[136:137], v[140:141]
	v_fma_f64 v[4:5], v[134:135], v[138:139], -v[4:5]
	v_add_f64 v[2:3], v[2:3], v[4:5]
	v_mul_f64 v[4:5], v[144:145], v[148:149]
	v_fma_f64 v[4:5], v[142:143], v[146:147], -v[4:5]
	v_add_f64 v[2:3], v[2:3], v[4:5]
	v_mul_f64 v[4:5], v[152:153], v[156:157]
	v_fma_f64 v[4:5], v[150:151], v[154:155], -v[4:5]
	v_add_f64 v[2:3], v[2:3], v[4:5]
	v_mul_f64 v[4:5], v[160:161], v[164:165]
	v_fma_f64 v[4:5], v[158:159], v[162:163], -v[4:5]
	v_add_f64 v[2:3], v[2:3], v[4:5]
	v_mul_f64 v[4:5], v[168:169], v[172:173]
	v_fma_f64 v[4:5], v[166:167], v[170:171], -v[4:5]
	v_add_f64 v[2:3], v[2:3], v[4:5]
	v_mul_f64 v[4:5], v[176:177], v[180:181]
	v_fma_f64 v[4:5], v[174:175], v[178:179], -v[4:5]
	v_add_f64 v[6:7], v[2:3], v[4:5]
	scratch_load_dwordx4 v[2:5], off, off offset:384
	s_waitcnt vmcnt(0)
	v_add_f64 v[2:3], v[2:3], -v[6:7]
	v_add_f64 v[4:5], v[4:5], -v[120:121]
	scratch_store_dwordx4 off, v[2:5], off offset:384
	s_and_saveexec_b64 s[0:1], vcc
	s_cbranch_execz .LBB109_245
; %bb.244:
	scratch_load_dwordx4 v[2:5], off, s40
	v_mov_b32_e32 v6, 0
	v_mov_b32_e32 v7, v6
	;; [unrolled: 1-line block ×4, first 2 shown]
	v_accvgpr_read_b32 v0, a93
	scratch_store_dwordx4 off, v[6:9], off offset:368
	s_waitcnt vmcnt(1)
	ds_write_b128 v0, v[2:5]
.LBB109_245:
	s_or_b64 exec, exec, s[0:1]
	v_mov_b32_e32 v2, 0
	s_waitcnt lgkmcnt(0)
	; wave barrier
	ds_read_b128 v[16:19], v2 offset:1104
	ds_read_b128 v[12:15], v2 offset:1120
	;; [unrolled: 1-line block ×4, first 2 shown]
	scratch_load_dwordx4 v[20:23], off, off offset:384
	scratch_load_dwordx4 v[40:43], off, off offset:448
	;; [unrolled: 1-line block ×17, first 2 shown]
	v_cmp_lt_u32_e32 vcc, 21, v240
	scratch_load_dwordx4 v[48:51], off, off offset:464
	scratch_load_dwordx4 v[56:59], off, off offset:480
	;; [unrolled: 1-line block ×3, first 2 shown]
	s_waitcnt vmcnt(19) lgkmcnt(3)
	v_mul_f64 v[24:25], v[16:17], v[22:23]
	v_fmac_f64_e32 v[24:25], v[18:19], v[20:21]
	v_add_f64 v[28:29], v[24:25], 0
	scratch_load_dwordx4 v[24:27], off, off offset:400
	v_mul_f64 v[18:19], v[18:19], v[22:23]
	v_fma_f64 v[16:17], v[16:17], v[20:21], -v[18:19]
	v_add_f64 v[16:17], v[16:17], 0
	s_waitcnt vmcnt(0) lgkmcnt(2)
	v_mul_f64 v[30:31], v[12:13], v[26:27]
	v_fmac_f64_e32 v[30:31], v[14:15], v[24:25]
	v_add_f64 v[32:33], v[28:29], v[30:31]
	scratch_load_dwordx4 v[28:31], off, off offset:416
	v_mul_f64 v[14:15], v[14:15], v[26:27]
	v_fma_f64 v[12:13], v[12:13], v[24:25], -v[14:15]
	v_add_f64 v[12:13], v[16:17], v[12:13]
	;; [unrolled: 8-line block ×3, first 2 shown]
	s_waitcnt vmcnt(0) lgkmcnt(0)
	v_mul_f64 v[38:39], v[4:5], v[34:35]
	v_fmac_f64_e32 v[38:39], v[6:7], v[32:33]
	v_add_f64 v[44:45], v[36:37], v[38:39]
	ds_read_b128 v[36:39], v2 offset:1168
	v_mul_f64 v[6:7], v[6:7], v[34:35]
	v_fma_f64 v[4:5], v[4:5], v[32:33], -v[6:7]
	v_add_f64 v[4:5], v[8:9], v[4:5]
	s_waitcnt lgkmcnt(0)
	v_mul_f64 v[46:47], v[36:37], v[42:43]
	v_fmac_f64_e32 v[46:47], v[38:39], v[40:41]
	v_add_f64 v[52:53], v[44:45], v[46:47]
	ds_read_b128 v[44:47], v2 offset:1184
	v_mul_f64 v[6:7], v[38:39], v[42:43]
	v_fma_f64 v[6:7], v[36:37], v[40:41], -v[6:7]
	v_add_f64 v[4:5], v[4:5], v[6:7]
	s_waitcnt lgkmcnt(0)
	;; [unrolled: 8-line block ×19, first 2 shown]
	v_mul_f64 v[6:7], v[184:185], v[188:189]
	v_fma_f64 v[6:7], v[182:183], v[186:187], -v[6:7]
	v_add_f64 v[8:9], v[4:5], v[6:7]
	scratch_load_dwordx4 v[4:7], off, off offset:368
	v_mul_f64 v[190:191], v[182:183], v[188:189]
	v_fmac_f64_e32 v[190:191], v[184:185], v[186:187]
	v_add_f64 v[128:129], v[128:129], v[190:191]
	s_waitcnt vmcnt(0)
	v_add_f64 v[4:5], v[4:5], -v[8:9]
	v_add_f64 v[6:7], v[6:7], -v[128:129]
	scratch_store_dwordx4 off, v[4:7], off offset:368
	s_and_saveexec_b64 s[0:1], vcc
	s_cbranch_execz .LBB109_247
; %bb.246:
	scratch_load_dwordx4 v[6:9], off, s41
	v_mov_b32_e32 v3, v2
	v_mov_b32_e32 v4, v2
	;; [unrolled: 1-line block ×3, first 2 shown]
	v_accvgpr_read_b32 v0, a93
	scratch_store_dwordx4 off, v[2:5], off offset:352
	s_waitcnt vmcnt(1)
	ds_write_b128 v0, v[6:9]
.LBB109_247:
	s_or_b64 exec, exec, s[0:1]
	s_waitcnt lgkmcnt(0)
	; wave barrier
	ds_read_b128 v[16:19], v2 offset:1088
	ds_read_b128 v[12:15], v2 offset:1104
	;; [unrolled: 1-line block ×4, first 2 shown]
	scratch_load_dwordx4 v[20:23], off, off offset:368
	scratch_load_dwordx4 v[40:43], off, off offset:432
	;; [unrolled: 1-line block ×18, first 2 shown]
	v_cmp_lt_u32_e32 vcc, 20, v240
	scratch_load_dwordx4 v[48:51], off, off offset:448
	scratch_load_dwordx4 v[56:59], off, off offset:464
	;; [unrolled: 1-line block ×3, first 2 shown]
	s_waitcnt vmcnt(20) lgkmcnt(3)
	v_mul_f64 v[24:25], v[16:17], v[22:23]
	v_fmac_f64_e32 v[24:25], v[18:19], v[20:21]
	v_add_f64 v[28:29], v[24:25], 0
	scratch_load_dwordx4 v[24:27], off, off offset:384
	s_waitcnt vmcnt(0) lgkmcnt(2)
	v_mul_f64 v[30:31], v[12:13], v[26:27]
	v_fmac_f64_e32 v[30:31], v[14:15], v[24:25]
	v_add_f64 v[32:33], v[28:29], v[30:31]
	scratch_load_dwordx4 v[28:31], off, off offset:400
	v_mul_f64 v[14:15], v[14:15], v[26:27]
	v_fma_f64 v[12:13], v[12:13], v[24:25], -v[14:15]
	s_waitcnt vmcnt(0) lgkmcnt(1)
	v_mul_f64 v[34:35], v[8:9], v[30:31]
	v_fmac_f64_e32 v[34:35], v[10:11], v[28:29]
	v_add_f64 v[36:37], v[32:33], v[34:35]
	scratch_load_dwordx4 v[32:35], off, off offset:416
	v_mul_f64 v[10:11], v[10:11], v[30:31]
	v_fma_f64 v[8:9], v[8:9], v[28:29], -v[10:11]
	s_waitcnt vmcnt(0) lgkmcnt(0)
	v_mul_f64 v[38:39], v[4:5], v[34:35]
	v_fmac_f64_e32 v[38:39], v[6:7], v[32:33]
	v_add_f64 v[44:45], v[36:37], v[38:39]
	ds_read_b128 v[36:39], v2 offset:1152
	v_mul_f64 v[6:7], v[6:7], v[34:35]
	v_fma_f64 v[4:5], v[4:5], v[32:33], -v[6:7]
	s_waitcnt lgkmcnt(0)
	v_mul_f64 v[46:47], v[36:37], v[42:43]
	v_fmac_f64_e32 v[46:47], v[38:39], v[40:41]
	v_add_f64 v[52:53], v[44:45], v[46:47]
	ds_read_b128 v[44:47], v2 offset:1168
	s_waitcnt lgkmcnt(0)
	v_mul_f64 v[54:55], v[44:45], v[50:51]
	v_fmac_f64_e32 v[54:55], v[46:47], v[48:49]
	v_add_f64 v[60:61], v[52:53], v[54:55]
	ds_read_b128 v[52:55], v2 offset:1184
	;; [unrolled: 5-line block ×19, first 2 shown]
	s_waitcnt lgkmcnt(0)
	v_mul_f64 v[2:3], v[190:191], v[196:197]
	v_fmac_f64_e32 v[2:3], v[192:193], v[194:195]
	v_add_f64 v[148:149], v[148:149], v[2:3]
	v_mul_f64 v[2:3], v[18:19], v[22:23]
	v_fma_f64 v[2:3], v[16:17], v[20:21], -v[2:3]
	v_add_f64 v[2:3], v[2:3], 0
	v_add_f64 v[2:3], v[2:3], v[12:13]
	;; [unrolled: 1-line block ×4, first 2 shown]
	v_mul_f64 v[4:5], v[38:39], v[42:43]
	v_fma_f64 v[4:5], v[36:37], v[40:41], -v[4:5]
	v_add_f64 v[2:3], v[2:3], v[4:5]
	v_mul_f64 v[4:5], v[46:47], v[50:51]
	v_fma_f64 v[4:5], v[44:45], v[48:49], -v[4:5]
	v_add_f64 v[2:3], v[2:3], v[4:5]
	;; [unrolled: 3-line block ×20, first 2 shown]
	scratch_load_dwordx4 v[2:5], off, off offset:352
	s_waitcnt vmcnt(0)
	v_add_f64 v[2:3], v[2:3], -v[6:7]
	v_add_f64 v[4:5], v[4:5], -v[148:149]
	scratch_store_dwordx4 off, v[2:5], off offset:352
	s_and_saveexec_b64 s[0:1], vcc
	s_cbranch_execz .LBB109_249
; %bb.248:
	scratch_load_dwordx4 v[2:5], off, s42
	v_mov_b32_e32 v6, 0
	v_mov_b32_e32 v7, v6
	;; [unrolled: 1-line block ×4, first 2 shown]
	v_accvgpr_read_b32 v0, a93
	scratch_store_dwordx4 off, v[6:9], off offset:336
	s_waitcnt vmcnt(1)
	ds_write_b128 v0, v[2:5]
.LBB109_249:
	s_or_b64 exec, exec, s[0:1]
	v_mov_b32_e32 v2, 0
	s_waitcnt lgkmcnt(0)
	; wave barrier
	ds_read_b128 v[16:19], v2 offset:1072
	ds_read_b128 v[12:15], v2 offset:1088
	;; [unrolled: 1-line block ×4, first 2 shown]
	scratch_load_dwordx4 v[20:23], off, off offset:352
	scratch_load_dwordx4 v[40:43], off, off offset:416
	;; [unrolled: 1-line block ×19, first 2 shown]
	v_cmp_lt_u32_e32 vcc, 19, v240
	scratch_load_dwordx4 v[48:51], off, off offset:432
	scratch_load_dwordx4 v[56:59], off, off offset:448
	;; [unrolled: 1-line block ×3, first 2 shown]
	s_waitcnt vmcnt(21) lgkmcnt(3)
	v_mul_f64 v[24:25], v[16:17], v[22:23]
	v_fmac_f64_e32 v[24:25], v[18:19], v[20:21]
	v_add_f64 v[28:29], v[24:25], 0
	scratch_load_dwordx4 v[24:27], off, off offset:368
	v_mul_f64 v[18:19], v[18:19], v[22:23]
	v_fma_f64 v[16:17], v[16:17], v[20:21], -v[18:19]
	v_add_f64 v[16:17], v[16:17], 0
	s_waitcnt vmcnt(0) lgkmcnt(2)
	v_mul_f64 v[30:31], v[12:13], v[26:27]
	v_fmac_f64_e32 v[30:31], v[14:15], v[24:25]
	v_add_f64 v[32:33], v[28:29], v[30:31]
	scratch_load_dwordx4 v[28:31], off, off offset:384
	v_mul_f64 v[14:15], v[14:15], v[26:27]
	v_fma_f64 v[12:13], v[12:13], v[24:25], -v[14:15]
	v_add_f64 v[12:13], v[16:17], v[12:13]
	;; [unrolled: 8-line block ×3, first 2 shown]
	s_waitcnt vmcnt(0) lgkmcnt(0)
	v_mul_f64 v[38:39], v[4:5], v[34:35]
	v_fmac_f64_e32 v[38:39], v[6:7], v[32:33]
	v_add_f64 v[44:45], v[36:37], v[38:39]
	ds_read_b128 v[36:39], v2 offset:1136
	v_mul_f64 v[6:7], v[6:7], v[34:35]
	v_fma_f64 v[4:5], v[4:5], v[32:33], -v[6:7]
	v_add_f64 v[4:5], v[8:9], v[4:5]
	s_waitcnt lgkmcnt(0)
	v_mul_f64 v[46:47], v[36:37], v[42:43]
	v_fmac_f64_e32 v[46:47], v[38:39], v[40:41]
	v_add_f64 v[52:53], v[44:45], v[46:47]
	ds_read_b128 v[44:47], v2 offset:1152
	v_mul_f64 v[6:7], v[38:39], v[42:43]
	v_fma_f64 v[6:7], v[36:37], v[40:41], -v[6:7]
	v_add_f64 v[4:5], v[4:5], v[6:7]
	s_waitcnt lgkmcnt(0)
	;; [unrolled: 8-line block ×21, first 2 shown]
	v_mul_f64 v[6:7], v[200:201], v[204:205]
	v_fma_f64 v[6:7], v[198:199], v[202:203], -v[6:7]
	v_add_f64 v[8:9], v[4:5], v[6:7]
	scratch_load_dwordx4 v[4:7], off, off offset:336
	v_mul_f64 v[206:207], v[198:199], v[204:205]
	v_fmac_f64_e32 v[206:207], v[200:201], v[202:203]
	v_add_f64 v[144:145], v[144:145], v[206:207]
	s_waitcnt vmcnt(0)
	v_add_f64 v[4:5], v[4:5], -v[8:9]
	v_add_f64 v[6:7], v[6:7], -v[144:145]
	scratch_store_dwordx4 off, v[4:7], off offset:336
	s_and_saveexec_b64 s[0:1], vcc
	s_cbranch_execz .LBB109_251
; %bb.250:
	scratch_load_dwordx4 v[6:9], off, s43
	v_mov_b32_e32 v3, v2
	v_mov_b32_e32 v4, v2
	;; [unrolled: 1-line block ×3, first 2 shown]
	v_accvgpr_read_b32 v0, a93
	scratch_store_dwordx4 off, v[2:5], off offset:320
	s_waitcnt vmcnt(1)
	ds_write_b128 v0, v[6:9]
.LBB109_251:
	s_or_b64 exec, exec, s[0:1]
	s_waitcnt lgkmcnt(0)
	; wave barrier
	ds_read_b128 v[16:19], v2 offset:1056
	ds_read_b128 v[12:15], v2 offset:1072
	;; [unrolled: 1-line block ×4, first 2 shown]
	scratch_load_dwordx4 v[20:23], off, off offset:336
	scratch_load_dwordx4 v[40:43], off, off offset:400
	;; [unrolled: 1-line block ×20, first 2 shown]
	v_cmp_lt_u32_e32 vcc, 18, v240
	scratch_load_dwordx4 v[48:51], off, off offset:416
	scratch_load_dwordx4 v[56:59], off, off offset:432
	;; [unrolled: 1-line block ×3, first 2 shown]
	s_waitcnt vmcnt(22) lgkmcnt(3)
	v_mul_f64 v[24:25], v[16:17], v[22:23]
	v_fmac_f64_e32 v[24:25], v[18:19], v[20:21]
	v_add_f64 v[28:29], v[24:25], 0
	scratch_load_dwordx4 v[24:27], off, off offset:352
	s_waitcnt vmcnt(0) lgkmcnt(2)
	v_mul_f64 v[30:31], v[12:13], v[26:27]
	v_fmac_f64_e32 v[30:31], v[14:15], v[24:25]
	v_add_f64 v[32:33], v[28:29], v[30:31]
	scratch_load_dwordx4 v[28:31], off, off offset:368
	v_mul_f64 v[14:15], v[14:15], v[26:27]
	v_fma_f64 v[12:13], v[12:13], v[24:25], -v[14:15]
	s_waitcnt vmcnt(0) lgkmcnt(1)
	v_mul_f64 v[34:35], v[8:9], v[30:31]
	v_fmac_f64_e32 v[34:35], v[10:11], v[28:29]
	v_add_f64 v[36:37], v[32:33], v[34:35]
	scratch_load_dwordx4 v[32:35], off, off offset:384
	v_mul_f64 v[10:11], v[10:11], v[30:31]
	v_fma_f64 v[8:9], v[8:9], v[28:29], -v[10:11]
	s_waitcnt vmcnt(0) lgkmcnt(0)
	v_mul_f64 v[38:39], v[4:5], v[34:35]
	v_fmac_f64_e32 v[38:39], v[6:7], v[32:33]
	v_add_f64 v[44:45], v[36:37], v[38:39]
	ds_read_b128 v[36:39], v2 offset:1120
	v_mul_f64 v[6:7], v[6:7], v[34:35]
	v_fma_f64 v[4:5], v[4:5], v[32:33], -v[6:7]
	s_waitcnt lgkmcnt(0)
	v_mul_f64 v[46:47], v[36:37], v[42:43]
	v_fmac_f64_e32 v[46:47], v[38:39], v[40:41]
	v_add_f64 v[52:53], v[44:45], v[46:47]
	ds_read_b128 v[44:47], v2 offset:1136
	s_waitcnt lgkmcnt(0)
	v_mul_f64 v[54:55], v[44:45], v[50:51]
	v_fmac_f64_e32 v[54:55], v[46:47], v[48:49]
	v_add_f64 v[60:61], v[52:53], v[54:55]
	ds_read_b128 v[52:55], v2 offset:1152
	;; [unrolled: 5-line block ×21, first 2 shown]
	s_waitcnt lgkmcnt(0)
	v_mul_f64 v[2:3], v[206:207], v[212:213]
	v_fmac_f64_e32 v[2:3], v[208:209], v[210:211]
	v_add_f64 v[168:169], v[168:169], v[2:3]
	v_mul_f64 v[2:3], v[18:19], v[22:23]
	v_fma_f64 v[2:3], v[16:17], v[20:21], -v[2:3]
	v_add_f64 v[2:3], v[2:3], 0
	v_add_f64 v[2:3], v[2:3], v[12:13]
	;; [unrolled: 1-line block ×4, first 2 shown]
	v_mul_f64 v[4:5], v[38:39], v[42:43]
	v_fma_f64 v[4:5], v[36:37], v[40:41], -v[4:5]
	v_add_f64 v[2:3], v[2:3], v[4:5]
	v_mul_f64 v[4:5], v[46:47], v[50:51]
	v_fma_f64 v[4:5], v[44:45], v[48:49], -v[4:5]
	v_add_f64 v[2:3], v[2:3], v[4:5]
	;; [unrolled: 3-line block ×22, first 2 shown]
	scratch_load_dwordx4 v[2:5], off, off offset:320
	s_waitcnt vmcnt(0)
	v_add_f64 v[2:3], v[2:3], -v[6:7]
	v_add_f64 v[4:5], v[4:5], -v[168:169]
	scratch_store_dwordx4 off, v[2:5], off offset:320
	s_and_saveexec_b64 s[0:1], vcc
	s_cbranch_execz .LBB109_253
; %bb.252:
	scratch_load_dwordx4 v[2:5], off, s44
	v_mov_b32_e32 v6, 0
	v_mov_b32_e32 v7, v6
	;; [unrolled: 1-line block ×4, first 2 shown]
	v_accvgpr_read_b32 v0, a93
	scratch_store_dwordx4 off, v[6:9], off offset:304
	s_waitcnt vmcnt(1)
	ds_write_b128 v0, v[2:5]
.LBB109_253:
	s_or_b64 exec, exec, s[0:1]
	v_mov_b32_e32 v2, 0
	s_waitcnt lgkmcnt(0)
	; wave barrier
	ds_read_b128 v[16:19], v2 offset:1040
	ds_read_b128 v[12:15], v2 offset:1056
	;; [unrolled: 1-line block ×4, first 2 shown]
	scratch_load_dwordx4 v[20:23], off, off offset:320
	scratch_load_dwordx4 v[40:43], off, off offset:384
	;; [unrolled: 1-line block ×21, first 2 shown]
	v_cmp_lt_u32_e32 vcc, 17, v240
	scratch_load_dwordx4 v[48:51], off, off offset:400
	scratch_load_dwordx4 v[56:59], off, off offset:416
	;; [unrolled: 1-line block ×3, first 2 shown]
	s_waitcnt vmcnt(23) lgkmcnt(3)
	v_mul_f64 v[24:25], v[16:17], v[22:23]
	v_fmac_f64_e32 v[24:25], v[18:19], v[20:21]
	v_add_f64 v[28:29], v[24:25], 0
	scratch_load_dwordx4 v[24:27], off, off offset:336
	v_mul_f64 v[18:19], v[18:19], v[22:23]
	v_fma_f64 v[16:17], v[16:17], v[20:21], -v[18:19]
	v_add_f64 v[16:17], v[16:17], 0
	s_waitcnt vmcnt(0) lgkmcnt(2)
	v_mul_f64 v[30:31], v[12:13], v[26:27]
	v_fmac_f64_e32 v[30:31], v[14:15], v[24:25]
	v_add_f64 v[32:33], v[28:29], v[30:31]
	scratch_load_dwordx4 v[28:31], off, off offset:352
	v_mul_f64 v[14:15], v[14:15], v[26:27]
	v_fma_f64 v[12:13], v[12:13], v[24:25], -v[14:15]
	v_add_f64 v[12:13], v[16:17], v[12:13]
	;; [unrolled: 8-line block ×3, first 2 shown]
	s_waitcnt vmcnt(0) lgkmcnt(0)
	v_mul_f64 v[38:39], v[4:5], v[34:35]
	v_fmac_f64_e32 v[38:39], v[6:7], v[32:33]
	v_add_f64 v[44:45], v[36:37], v[38:39]
	ds_read_b128 v[36:39], v2 offset:1104
	v_mul_f64 v[6:7], v[6:7], v[34:35]
	v_fma_f64 v[4:5], v[4:5], v[32:33], -v[6:7]
	v_add_f64 v[4:5], v[8:9], v[4:5]
	s_waitcnt lgkmcnt(0)
	v_mul_f64 v[46:47], v[36:37], v[42:43]
	v_fmac_f64_e32 v[46:47], v[38:39], v[40:41]
	v_add_f64 v[52:53], v[44:45], v[46:47]
	ds_read_b128 v[44:47], v2 offset:1120
	v_mul_f64 v[6:7], v[38:39], v[42:43]
	v_fma_f64 v[6:7], v[36:37], v[40:41], -v[6:7]
	v_add_f64 v[4:5], v[4:5], v[6:7]
	s_waitcnt lgkmcnt(0)
	;; [unrolled: 8-line block ×23, first 2 shown]
	v_mul_f64 v[6:7], v[216:217], v[220:221]
	v_fma_f64 v[6:7], v[214:215], v[218:219], -v[6:7]
	v_add_f64 v[8:9], v[4:5], v[6:7]
	scratch_load_dwordx4 v[4:7], off, off offset:304
	v_mul_f64 v[222:223], v[214:215], v[220:221]
	v_fmac_f64_e32 v[222:223], v[216:217], v[218:219]
	v_add_f64 v[160:161], v[160:161], v[222:223]
	s_waitcnt vmcnt(0)
	v_add_f64 v[4:5], v[4:5], -v[8:9]
	v_add_f64 v[6:7], v[6:7], -v[160:161]
	scratch_store_dwordx4 off, v[4:7], off offset:304
	s_and_saveexec_b64 s[0:1], vcc
	s_cbranch_execz .LBB109_255
; %bb.254:
	scratch_load_dwordx4 v[6:9], off, s45
	v_mov_b32_e32 v3, v2
	v_mov_b32_e32 v4, v2
	;; [unrolled: 1-line block ×3, first 2 shown]
	v_accvgpr_read_b32 v0, a93
	scratch_store_dwordx4 off, v[2:5], off offset:288
	s_waitcnt vmcnt(1)
	ds_write_b128 v0, v[6:9]
.LBB109_255:
	s_or_b64 exec, exec, s[0:1]
	s_waitcnt lgkmcnt(0)
	; wave barrier
	ds_read_b128 v[16:19], v2 offset:1024
	ds_read_b128 v[12:15], v2 offset:1040
	;; [unrolled: 1-line block ×4, first 2 shown]
	scratch_load_dwordx4 v[20:23], off, off offset:304
	scratch_load_dwordx4 v[40:43], off, off offset:368
	;; [unrolled: 1-line block ×22, first 2 shown]
	v_cmp_lt_u32_e32 vcc, 16, v240
	scratch_load_dwordx4 v[48:51], off, off offset:384
	scratch_load_dwordx4 v[56:59], off, off offset:400
	;; [unrolled: 1-line block ×3, first 2 shown]
	s_waitcnt vmcnt(24) lgkmcnt(3)
	v_mul_f64 v[24:25], v[16:17], v[22:23]
	v_fmac_f64_e32 v[24:25], v[18:19], v[20:21]
	v_add_f64 v[28:29], v[24:25], 0
	scratch_load_dwordx4 v[24:27], off, off offset:320
	s_waitcnt vmcnt(0) lgkmcnt(2)
	v_mul_f64 v[30:31], v[12:13], v[26:27]
	v_fmac_f64_e32 v[30:31], v[14:15], v[24:25]
	v_add_f64 v[32:33], v[28:29], v[30:31]
	scratch_load_dwordx4 v[28:31], off, off offset:336
	v_mul_f64 v[14:15], v[14:15], v[26:27]
	v_fma_f64 v[12:13], v[12:13], v[24:25], -v[14:15]
	s_waitcnt vmcnt(0) lgkmcnt(1)
	v_mul_f64 v[34:35], v[8:9], v[30:31]
	v_fmac_f64_e32 v[34:35], v[10:11], v[28:29]
	v_add_f64 v[36:37], v[32:33], v[34:35]
	scratch_load_dwordx4 v[32:35], off, off offset:352
	v_mul_f64 v[10:11], v[10:11], v[30:31]
	v_fma_f64 v[8:9], v[8:9], v[28:29], -v[10:11]
	s_waitcnt vmcnt(0) lgkmcnt(0)
	v_mul_f64 v[38:39], v[4:5], v[34:35]
	v_fmac_f64_e32 v[38:39], v[6:7], v[32:33]
	v_add_f64 v[44:45], v[36:37], v[38:39]
	ds_read_b128 v[36:39], v2 offset:1088
	v_mul_f64 v[6:7], v[6:7], v[34:35]
	v_fma_f64 v[4:5], v[4:5], v[32:33], -v[6:7]
	s_waitcnt lgkmcnt(0)
	v_mul_f64 v[46:47], v[36:37], v[42:43]
	v_fmac_f64_e32 v[46:47], v[38:39], v[40:41]
	v_add_f64 v[52:53], v[44:45], v[46:47]
	ds_read_b128 v[44:47], v2 offset:1104
	s_waitcnt lgkmcnt(0)
	v_mul_f64 v[54:55], v[44:45], v[50:51]
	v_fmac_f64_e32 v[54:55], v[46:47], v[48:49]
	v_add_f64 v[60:61], v[52:53], v[54:55]
	ds_read_b128 v[52:55], v2 offset:1120
	;; [unrolled: 5-line block ×23, first 2 shown]
	s_waitcnt lgkmcnt(0)
	v_mul_f64 v[2:3], v[222:223], v[228:229]
	v_fmac_f64_e32 v[2:3], v[224:225], v[226:227]
	v_add_f64 v[176:177], v[176:177], v[2:3]
	v_mul_f64 v[2:3], v[18:19], v[22:23]
	v_fma_f64 v[2:3], v[16:17], v[20:21], -v[2:3]
	v_add_f64 v[2:3], v[2:3], 0
	v_add_f64 v[2:3], v[2:3], v[12:13]
	;; [unrolled: 1-line block ×4, first 2 shown]
	v_mul_f64 v[4:5], v[38:39], v[42:43]
	v_fma_f64 v[4:5], v[36:37], v[40:41], -v[4:5]
	v_add_f64 v[2:3], v[2:3], v[4:5]
	v_mul_f64 v[4:5], v[46:47], v[50:51]
	v_fma_f64 v[4:5], v[44:45], v[48:49], -v[4:5]
	v_add_f64 v[2:3], v[2:3], v[4:5]
	;; [unrolled: 3-line block ×24, first 2 shown]
	scratch_load_dwordx4 v[2:5], off, off offset:288
	s_waitcnt vmcnt(0)
	v_add_f64 v[2:3], v[2:3], -v[6:7]
	v_add_f64 v[4:5], v[4:5], -v[176:177]
	scratch_store_dwordx4 off, v[2:5], off offset:288
	s_and_saveexec_b64 s[0:1], vcc
	s_cbranch_execz .LBB109_257
; %bb.256:
	scratch_load_dwordx4 v[2:5], off, s46
	v_mov_b32_e32 v6, 0
	v_mov_b32_e32 v7, v6
	;; [unrolled: 1-line block ×4, first 2 shown]
	v_accvgpr_read_b32 v0, a93
	scratch_store_dwordx4 off, v[6:9], off offset:272
	s_waitcnt vmcnt(1)
	ds_write_b128 v0, v[2:5]
.LBB109_257:
	s_or_b64 exec, exec, s[0:1]
	v_mov_b32_e32 v2, 0
	s_waitcnt lgkmcnt(0)
	; wave barrier
	ds_read_b128 v[16:19], v2 offset:1008
	ds_read_b128 v[12:15], v2 offset:1024
	;; [unrolled: 1-line block ×4, first 2 shown]
	scratch_load_dwordx4 v[20:23], off, off offset:288
	scratch_load_dwordx4 v[40:43], off, off offset:352
	scratch_load_dwordx4 v[72:75], off, off offset:416
	scratch_load_dwordx4 v[80:83], off, off offset:432
	scratch_load_dwordx4 v[88:91], off, off offset:448
	scratch_load_dwordx4 v[96:99], off, off offset:464
	scratch_load_dwordx4 v[104:107], off, off offset:480
	scratch_load_dwordx4 v[112:115], off, off offset:496
	scratch_load_dwordx4 v[120:123], off, off offset:512
	scratch_load_dwordx4 v[128:131], off, off offset:528
	scratch_load_dwordx4 v[136:139], off, off offset:544
	scratch_load_dwordx4 v[144:147], off, off offset:560
	scratch_load_dwordx4 v[152:155], off, off offset:576
	scratch_load_dwordx4 v[160:163], off, off offset:592
	scratch_load_dwordx4 v[168:171], off, off offset:608
	scratch_load_dwordx4 v[178:181], off, off offset:624
	scratch_load_dwordx4 v[186:189], off, off offset:640
	scratch_load_dwordx4 v[194:197], off, off offset:656
	scratch_load_dwordx4 v[202:205], off, off offset:672
	scratch_load_dwordx4 v[210:213], off, off offset:688
	scratch_load_dwordx4 v[218:221], off, off offset:704
	scratch_load_dwordx4 v[226:229], off, off offset:720
	scratch_load_dwordx4 v[234:237], off, off offset:736
	v_cmp_lt_u32_e32 vcc, 15, v240
	scratch_load_dwordx4 v[48:51], off, off offset:368
	scratch_load_dwordx4 v[56:59], off, off offset:384
	;; [unrolled: 1-line block ×3, first 2 shown]
	s_waitcnt vmcnt(25) lgkmcnt(3)
	v_mul_f64 v[24:25], v[16:17], v[22:23]
	v_fmac_f64_e32 v[24:25], v[18:19], v[20:21]
	v_add_f64 v[28:29], v[24:25], 0
	scratch_load_dwordx4 v[24:27], off, off offset:304
	v_mul_f64 v[18:19], v[18:19], v[22:23]
	v_fma_f64 v[16:17], v[16:17], v[20:21], -v[18:19]
	v_add_f64 v[16:17], v[16:17], 0
	s_waitcnt vmcnt(0) lgkmcnt(2)
	v_mul_f64 v[30:31], v[12:13], v[26:27]
	v_fmac_f64_e32 v[30:31], v[14:15], v[24:25]
	v_add_f64 v[32:33], v[28:29], v[30:31]
	scratch_load_dwordx4 v[28:31], off, off offset:320
	v_mul_f64 v[14:15], v[14:15], v[26:27]
	v_fma_f64 v[12:13], v[12:13], v[24:25], -v[14:15]
	v_add_f64 v[12:13], v[16:17], v[12:13]
	;; [unrolled: 8-line block ×3, first 2 shown]
	s_waitcnt vmcnt(0) lgkmcnt(0)
	v_mul_f64 v[38:39], v[4:5], v[34:35]
	v_fmac_f64_e32 v[38:39], v[6:7], v[32:33]
	v_add_f64 v[44:45], v[36:37], v[38:39]
	ds_read_b128 v[36:39], v2 offset:1072
	v_mul_f64 v[6:7], v[6:7], v[34:35]
	v_fma_f64 v[4:5], v[4:5], v[32:33], -v[6:7]
	v_add_f64 v[4:5], v[8:9], v[4:5]
	s_waitcnt lgkmcnt(0)
	v_mul_f64 v[46:47], v[36:37], v[42:43]
	v_fmac_f64_e32 v[46:47], v[38:39], v[40:41]
	v_add_f64 v[52:53], v[44:45], v[46:47]
	ds_read_b128 v[44:47], v2 offset:1088
	v_mul_f64 v[6:7], v[38:39], v[42:43]
	v_fma_f64 v[6:7], v[36:37], v[40:41], -v[6:7]
	v_add_f64 v[4:5], v[4:5], v[6:7]
	s_waitcnt lgkmcnt(0)
	;; [unrolled: 8-line block ×25, first 2 shown]
	v_mul_f64 v[6:7], v[232:233], v[236:237]
	v_fma_f64 v[6:7], v[230:231], v[234:235], -v[6:7]
	v_add_f64 v[8:9], v[4:5], v[6:7]
	scratch_load_dwordx4 v[4:7], off, off offset:272
	v_mul_f64 v[238:239], v[230:231], v[236:237]
	v_fmac_f64_e32 v[238:239], v[232:233], v[234:235]
	v_add_f64 v[176:177], v[176:177], v[238:239]
	s_waitcnt vmcnt(0)
	v_add_f64 v[4:5], v[4:5], -v[8:9]
	v_add_f64 v[6:7], v[6:7], -v[176:177]
	scratch_store_dwordx4 off, v[4:7], off offset:272
	s_and_saveexec_b64 s[0:1], vcc
	s_cbranch_execz .LBB109_259
; %bb.258:
	scratch_load_dwordx4 v[6:9], off, s47
	v_mov_b32_e32 v3, v2
	v_mov_b32_e32 v4, v2
	;; [unrolled: 1-line block ×3, first 2 shown]
	v_accvgpr_read_b32 v0, a93
	scratch_store_dwordx4 off, v[2:5], off offset:256
	s_waitcnt vmcnt(1)
	ds_write_b128 v0, v[6:9]
.LBB109_259:
	s_or_b64 exec, exec, s[0:1]
	s_waitcnt lgkmcnt(0)
	; wave barrier
	ds_read_b128 v[16:19], v2 offset:992
	ds_read_b128 v[12:15], v2 offset:1008
	;; [unrolled: 1-line block ×4, first 2 shown]
	scratch_load_dwordx4 v[20:23], off, off offset:272
	scratch_load_dwordx4 v[40:43], off, off offset:336
	scratch_load_dwordx4 v[72:75], off, off offset:400
	scratch_load_dwordx4 v[80:83], off, off offset:416
	scratch_load_dwordx4 v[88:91], off, off offset:432
	scratch_load_dwordx4 v[96:99], off, off offset:448
	scratch_load_dwordx4 v[104:107], off, off offset:464
	scratch_load_dwordx4 v[112:115], off, off offset:480
	scratch_load_dwordx4 v[120:123], off, off offset:496
	scratch_load_dwordx4 v[128:131], off, off offset:512
	scratch_load_dwordx4 v[136:139], off, off offset:528
	scratch_load_dwordx4 v[144:147], off, off offset:544
	scratch_load_dwordx4 v[152:155], off, off offset:560
	scratch_load_dwordx4 v[160:163], off, off offset:576
	scratch_load_dwordx4 v[168:171], off, off offset:592
	scratch_load_dwordx4 v[176:179], off, off offset:608
	scratch_load_dwordx4 v[186:189], off, off offset:624
	scratch_load_dwordx4 v[194:197], off, off offset:640
	scratch_load_dwordx4 v[202:205], off, off offset:656
	scratch_load_dwordx4 v[210:213], off, off offset:672
	scratch_load_dwordx4 v[218:221], off, off offset:688
	scratch_load_dwordx4 v[226:229], off, off offset:704
	scratch_load_dwordx4 v[234:237], off, off offset:720
	scratch_load_dwordx4 v[252:255], off, off offset:736
	v_cmp_lt_u32_e32 vcc, 14, v240
	scratch_load_dwordx4 v[48:51], off, off offset:352
	scratch_load_dwordx4 v[56:59], off, off offset:368
	;; [unrolled: 1-line block ×3, first 2 shown]
	ds_read_b128 v[248:251], v2 offset:1456
	s_waitcnt vmcnt(26) lgkmcnt(4)
	v_mul_f64 v[24:25], v[16:17], v[22:23]
	v_fmac_f64_e32 v[24:25], v[18:19], v[20:21]
	v_add_f64 v[28:29], v[24:25], 0
	scratch_load_dwordx4 v[24:27], off, off offset:288
	s_waitcnt vmcnt(0) lgkmcnt(3)
	v_mul_f64 v[30:31], v[12:13], v[26:27]
	v_fmac_f64_e32 v[30:31], v[14:15], v[24:25]
	v_add_f64 v[32:33], v[28:29], v[30:31]
	scratch_load_dwordx4 v[28:31], off, off offset:304
	v_mul_f64 v[14:15], v[14:15], v[26:27]
	v_fma_f64 v[12:13], v[12:13], v[24:25], -v[14:15]
	s_waitcnt vmcnt(0) lgkmcnt(2)
	v_mul_f64 v[34:35], v[8:9], v[30:31]
	v_fmac_f64_e32 v[34:35], v[10:11], v[28:29]
	v_add_f64 v[36:37], v[32:33], v[34:35]
	scratch_load_dwordx4 v[32:35], off, off offset:320
	v_mul_f64 v[10:11], v[10:11], v[30:31]
	v_fma_f64 v[8:9], v[8:9], v[28:29], -v[10:11]
	s_waitcnt vmcnt(0) lgkmcnt(1)
	v_mul_f64 v[38:39], v[4:5], v[34:35]
	v_fmac_f64_e32 v[38:39], v[6:7], v[32:33]
	v_add_f64 v[44:45], v[36:37], v[38:39]
	ds_read_b128 v[36:39], v2 offset:1056
	v_mul_f64 v[6:7], v[6:7], v[34:35]
	v_fma_f64 v[4:5], v[4:5], v[32:33], -v[6:7]
	s_waitcnt lgkmcnt(0)
	v_mul_f64 v[46:47], v[36:37], v[42:43]
	v_fmac_f64_e32 v[46:47], v[38:39], v[40:41]
	v_add_f64 v[52:53], v[44:45], v[46:47]
	ds_read_b128 v[44:47], v2 offset:1072
	s_waitcnt lgkmcnt(0)
	v_mul_f64 v[54:55], v[44:45], v[50:51]
	v_fmac_f64_e32 v[54:55], v[46:47], v[48:49]
	v_add_f64 v[60:61], v[52:53], v[54:55]
	ds_read_b128 v[52:55], v2 offset:1088
	;; [unrolled: 5-line block ×24, first 2 shown]
	v_mul_f64 v[2:3], v[248:249], v[254:255]
	v_fmac_f64_e32 v[2:3], v[250:251], v[252:253]
	s_waitcnt lgkmcnt(0)
	v_mul_f64 v[238:239], v[230:231], v[236:237]
	v_fmac_f64_e32 v[238:239], v[232:233], v[234:235]
	v_add_f64 v[184:185], v[184:185], v[238:239]
	v_add_f64 v[184:185], v[184:185], v[2:3]
	v_mul_f64 v[2:3], v[18:19], v[22:23]
	v_fma_f64 v[2:3], v[16:17], v[20:21], -v[2:3]
	v_add_f64 v[2:3], v[2:3], 0
	v_add_f64 v[2:3], v[2:3], v[12:13]
	;; [unrolled: 1-line block ×4, first 2 shown]
	v_mul_f64 v[4:5], v[38:39], v[42:43]
	v_fma_f64 v[4:5], v[36:37], v[40:41], -v[4:5]
	v_add_f64 v[2:3], v[2:3], v[4:5]
	v_mul_f64 v[4:5], v[46:47], v[50:51]
	v_fma_f64 v[4:5], v[44:45], v[48:49], -v[4:5]
	v_add_f64 v[2:3], v[2:3], v[4:5]
	;; [unrolled: 3-line block ×26, first 2 shown]
	scratch_load_dwordx4 v[2:5], off, off offset:256
	s_waitcnt vmcnt(0)
	v_add_f64 v[2:3], v[2:3], -v[6:7]
	v_add_f64 v[4:5], v[4:5], -v[184:185]
	scratch_store_dwordx4 off, v[2:5], off offset:256
	s_and_saveexec_b64 s[0:1], vcc
	s_cbranch_execz .LBB109_261
; %bb.260:
	scratch_load_dwordx4 v[2:5], off, s48
	v_mov_b32_e32 v6, 0
	v_mov_b32_e32 v7, v6
	;; [unrolled: 1-line block ×4, first 2 shown]
	v_accvgpr_read_b32 v0, a93
	scratch_store_dwordx4 off, v[6:9], off offset:240
	s_waitcnt vmcnt(1)
	ds_write_b128 v0, v[2:5]
.LBB109_261:
	s_or_b64 exec, exec, s[0:1]
	s_waitcnt lgkmcnt(0)
	; wave barrier
	scratch_load_dwordx4 v[16:19], off, off offset:256
	scratch_load_dwordx4 v[12:15], off, off offset:272
	;; [unrolled: 1-line block ×32, first 2 shown]
	v_mov_b32_e32 v2, 0
	ds_read_b128 v[132:135], v2 offset:976
	ds_read_b128 v[136:139], v2 offset:992
	ds_read_b128 v[140:143], v2 offset:1008
	ds_read_b128 v[144:147], v2 offset:1024
	ds_read_b128 v[148:151], v2 offset:1040
	ds_read_b128 v[152:155], v2 offset:1056
	ds_read_b128 v[156:159], v2 offset:1072
	ds_read_b128 v[160:163], v2 offset:1088
	ds_read_b128 v[164:167], v2 offset:1104
	ds_read_b128 v[168:171], v2 offset:1120
	ds_read_b128 v[172:175], v2 offset:1136
	ds_read_b128 v[176:179], v2 offset:1152
	ds_read_b128 v[180:183], v2 offset:1168
	ds_read_b128 v[184:187], v2 offset:1184
	ds_read_b128 v[188:191], v2 offset:1200
	ds_read_b128 v[192:195], v2 offset:1216
	ds_read_b128 v[196:199], v2 offset:1232
	v_cmp_lt_u32_e32 vcc, 13, v240
	s_waitcnt vmcnt(31) lgkmcnt(14)
	v_mul_f64 v[200:201], v[132:133], v[18:19]
	s_waitcnt vmcnt(30)
	v_mul_f64 v[202:203], v[136:137], v[14:15]
	v_fmac_f64_e32 v[200:201], v[134:135], v[16:17]
	s_waitcnt vmcnt(29)
	v_mul_f64 v[204:205], v[140:141], v[10:11]
	v_fmac_f64_e32 v[202:203], v[138:139], v[12:13]
	v_add_f64 v[200:201], v[200:201], 0
	s_waitcnt vmcnt(28) lgkmcnt(13)
	v_mul_f64 v[206:207], v[144:145], v[6:7]
	v_fmac_f64_e32 v[204:205], v[142:143], v[8:9]
	v_add_f64 v[200:201], v[200:201], v[202:203]
	s_waitcnt vmcnt(27) lgkmcnt(12)
	;; [unrolled: 4-line block ×12, first 2 shown]
	v_mul_f64 v[228:229], v[188:189], v[62:63]
	v_fmac_f64_e32 v[226:227], v[186:187], v[56:57]
	v_add_f64 v[200:201], v[200:201], v[224:225]
	v_fmac_f64_e32 v[228:229], v[190:191], v[60:61]
	v_add_f64 v[200:201], v[200:201], v[226:227]
	s_waitcnt vmcnt(16) lgkmcnt(1)
	v_mul_f64 v[202:203], v[192:193], v[66:67]
	v_add_f64 v[200:201], v[200:201], v[228:229]
	v_fmac_f64_e32 v[202:203], v[194:195], v[64:65]
	s_waitcnt vmcnt(15) lgkmcnt(0)
	v_mul_f64 v[206:207], v[196:197], v[70:71]
	v_add_f64 v[204:205], v[200:201], v[202:203]
	ds_read_b128 v[200:203], v2 offset:1248
	v_fmac_f64_e32 v[206:207], v[198:199], v[68:69]
	v_add_f64 v[208:209], v[204:205], v[206:207]
	ds_read_b128 v[204:207], v2 offset:1264
	v_mul_f64 v[18:19], v[134:135], v[18:19]
	s_waitcnt vmcnt(14) lgkmcnt(1)
	v_mul_f64 v[210:211], v[200:201], v[74:75]
	v_fmac_f64_e32 v[210:211], v[202:203], v[72:73]
	v_add_f64 v[212:213], v[208:209], v[210:211]
	s_waitcnt vmcnt(13) lgkmcnt(0)
	v_mul_f64 v[214:215], v[204:205], v[78:79]
	ds_read_b128 v[208:211], v2 offset:1280
	v_fmac_f64_e32 v[214:215], v[206:207], v[76:77]
	v_add_f64 v[216:217], v[212:213], v[214:215]
	ds_read_b128 v[212:215], v2 offset:1296
	v_fma_f64 v[250:251], v[132:133], v[16:17], -v[18:19]
	s_waitcnt vmcnt(12) lgkmcnt(1)
	v_mul_f64 v[218:219], v[208:209], v[82:83]
	v_fmac_f64_e32 v[218:219], v[210:211], v[80:81]
	v_add_f64 v[220:221], v[216:217], v[218:219]
	s_waitcnt vmcnt(11) lgkmcnt(0)
	v_mul_f64 v[222:223], v[212:213], v[86:87]
	ds_read_b128 v[216:219], v2 offset:1312
	v_fmac_f64_e32 v[222:223], v[214:215], v[84:85]
	v_add_f64 v[224:225], v[220:221], v[222:223]
	ds_read_b128 v[220:223], v2 offset:1328
	ds_read_b128 v[16:19], v2 offset:1408
	s_waitcnt vmcnt(10) lgkmcnt(2)
	v_mul_f64 v[226:227], v[216:217], v[90:91]
	v_fmac_f64_e32 v[226:227], v[218:219], v[88:89]
	v_add_f64 v[228:229], v[224:225], v[226:227]
	s_waitcnt vmcnt(9) lgkmcnt(1)
	v_mul_f64 v[230:231], v[220:221], v[94:95]
	ds_read_b128 v[224:227], v2 offset:1344
	v_fmac_f64_e32 v[230:231], v[222:223], v[92:93]
	v_add_f64 v[232:233], v[228:229], v[230:231]
	ds_read_b128 v[228:231], v2 offset:1360
	v_mul_f64 v[14:15], v[138:139], v[14:15]
	s_waitcnt vmcnt(8) lgkmcnt(1)
	v_mul_f64 v[234:235], v[224:225], v[98:99]
	v_fmac_f64_e32 v[234:235], v[226:227], v[96:97]
	v_add_f64 v[236:237], v[232:233], v[234:235]
	s_waitcnt vmcnt(7) lgkmcnt(0)
	v_mul_f64 v[238:239], v[228:229], v[102:103]
	ds_read_b128 v[232:235], v2 offset:1376
	v_fmac_f64_e32 v[238:239], v[230:231], v[100:101]
	v_add_f64 v[248:249], v[236:237], v[238:239]
	ds_read_b128 v[236:239], v2 offset:1392
	v_fma_f64 v[136:137], v[136:137], v[12:13], -v[14:15]
	s_waitcnt vmcnt(6) lgkmcnt(1)
	v_mul_f64 v[132:133], v[232:233], v[106:107]
	v_fmac_f64_e32 v[132:133], v[234:235], v[104:105]
	v_add_f64 v[132:133], v[248:249], v[132:133]
	s_waitcnt vmcnt(5) lgkmcnt(0)
	v_mul_f64 v[134:135], v[236:237], v[110:111]
	v_fmac_f64_e32 v[134:135], v[238:239], v[108:109]
	v_add_f64 v[132:133], v[132:133], v[134:135]
	ds_read_b128 v[12:15], v2 offset:1424
	s_waitcnt vmcnt(4)
	v_mul_f64 v[134:135], v[16:17], v[114:115]
	v_fmac_f64_e32 v[134:135], v[18:19], v[112:113]
	v_add_f64 v[138:139], v[132:133], v[134:135]
	ds_read_b128 v[132:135], v2 offset:1440
	v_mul_f64 v[10:11], v[142:143], v[10:11]
	v_fma_f64 v[140:141], v[140:141], v[8:9], -v[10:11]
	ds_read_b128 v[8:11], v2 offset:1456
	s_waitcnt vmcnt(3) lgkmcnt(2)
	v_mul_f64 v[142:143], v[12:13], v[118:119]
	v_fmac_f64_e32 v[142:143], v[14:15], v[116:117]
	v_add_f64 v[138:139], v[138:139], v[142:143]
	s_waitcnt vmcnt(2) lgkmcnt(1)
	v_mul_f64 v[142:143], v[132:133], v[122:123]
	v_fmac_f64_e32 v[142:143], v[134:135], v[120:121]
	v_add_f64 v[138:139], v[138:139], v[142:143]
	;; [unrolled: 4-line block ×3, first 2 shown]
	v_add_f64 v[142:143], v[250:251], 0
	v_add_f64 v[136:137], v[142:143], v[136:137]
	v_mul_f64 v[6:7], v[146:147], v[6:7]
	v_add_f64 v[136:137], v[136:137], v[140:141]
	v_fma_f64 v[4:5], v[144:145], v[4:5], -v[6:7]
	v_mul_f64 v[6:7], v[150:151], v[22:23]
	v_add_f64 v[4:5], v[136:137], v[4:5]
	v_fma_f64 v[6:7], v[148:149], v[20:21], -v[6:7]
	v_add_f64 v[4:5], v[4:5], v[6:7]
	v_mul_f64 v[6:7], v[154:155], v[26:27]
	v_fma_f64 v[6:7], v[152:153], v[24:25], -v[6:7]
	v_add_f64 v[4:5], v[4:5], v[6:7]
	v_mul_f64 v[6:7], v[158:159], v[30:31]
	;; [unrolled: 3-line block ×26, first 2 shown]
	v_fma_f64 v[6:7], v[8:9], v[124:125], -v[6:7]
	v_add_f64 v[4:5], v[4:5], v[6:7]
	s_waitcnt vmcnt(0)
	v_add_f64 v[4:5], v[128:129], -v[4:5]
	v_add_f64 v[6:7], v[130:131], -v[138:139]
	scratch_store_dwordx4 off, v[4:7], off offset:240
	s_and_saveexec_b64 s[0:1], vcc
	s_cbranch_execz .LBB109_263
; %bb.262:
	scratch_load_dwordx4 v[6:9], off, s49
	v_mov_b32_e32 v3, v2
	v_mov_b32_e32 v4, v2
	v_mov_b32_e32 v5, v2
	v_accvgpr_read_b32 v0, a93
	scratch_store_dwordx4 off, v[2:5], off offset:224
	s_waitcnt vmcnt(1)
	ds_write_b128 v0, v[6:9]
.LBB109_263:
	s_or_b64 exec, exec, s[0:1]
	s_waitcnt lgkmcnt(0)
	; wave barrier
	scratch_load_dwordx4 v[140:143], off, off offset:240
	scratch_load_dwordx4 v[148:151], off, off offset:256
	;; [unrolled: 1-line block ×16, first 2 shown]
	ds_read_b128 v[188:191], v2 offset:960
	ds_read_b128 v[184:187], v2 offset:976
	scratch_load_dwordx4 v[56:59], off, off offset:496
	ds_read_b128 v[192:195], v2 offset:992
	ds_read_b128 v[68:71], v2 offset:1008
	scratch_load_dwordx4 v[60:63], off, off offset:512
	ds_read_b128 v[88:91], v2 offset:1024
	ds_read_b128 v[84:87], v2 offset:1040
	;; [unrolled: 1-line block ×4, first 2 shown]
	scratch_load_dwordx4 v[64:67], off, off offset:528
	ds_read_b128 v[100:103], v2 offset:1088
	ds_read_b128 v[96:99], v2 offset:1104
	scratch_load_dwordx4 v[72:75], off, off offset:544
	ds_read_b128 v[116:119], v2 offset:1120
	ds_read_b128 v[112:115], v2 offset:1136
	;; [unrolled: 1-line block ×4, first 2 shown]
	scratch_load_dwordx4 v[92:95], off, off offset:560
	ds_read_b128 v[132:135], v2 offset:1184
	ds_read_b128 v[128:131], v2 offset:1200
	;; [unrolled: 1-line block ×3, first 2 shown]
	scratch_load_dwordx4 v[120:123], off, off offset:576
	scratch_load_dwordx4 v[136:139], off, off offset:592
	;; [unrolled: 1-line block ×11, first 2 shown]
	v_cmp_lt_u32_e32 vcc, 12, v240
	s_waitcnt vmcnt(31) lgkmcnt(14)
	v_mul_f64 v[200:201], v[188:189], v[142:143]
	s_waitcnt vmcnt(30)
	v_mul_f64 v[202:203], v[184:185], v[150:151]
	v_fmac_f64_e32 v[200:201], v[190:191], v[140:141]
	s_waitcnt vmcnt(29)
	v_mul_f64 v[204:205], v[192:193], v[154:155]
	v_fmac_f64_e32 v[202:203], v[186:187], v[148:149]
	v_add_f64 v[200:201], v[200:201], 0
	s_waitcnt vmcnt(28) lgkmcnt(13)
	v_mul_f64 v[206:207], v[68:69], v[6:7]
	v_fmac_f64_e32 v[204:205], v[194:195], v[152:153]
	v_add_f64 v[200:201], v[200:201], v[202:203]
	s_waitcnt vmcnt(27) lgkmcnt(12)
	v_mul_f64 v[208:209], v[88:89], v[10:11]
	v_fmac_f64_e32 v[206:207], v[70:71], v[4:5]
	v_add_f64 v[200:201], v[200:201], v[204:205]
	s_waitcnt vmcnt(26) lgkmcnt(11)
	v_mul_f64 v[210:211], v[84:85], v[14:15]
	v_fmac_f64_e32 v[208:209], v[90:91], v[8:9]
	v_add_f64 v[200:201], v[200:201], v[206:207]
	s_waitcnt vmcnt(25) lgkmcnt(10)
	v_mul_f64 v[212:213], v[80:81], v[18:19]
	v_fmac_f64_e32 v[210:211], v[86:87], v[12:13]
	v_add_f64 v[200:201], v[200:201], v[208:209]
	s_waitcnt vmcnt(24) lgkmcnt(9)
	v_mul_f64 v[214:215], v[76:77], v[22:23]
	v_fmac_f64_e32 v[212:213], v[82:83], v[16:17]
	v_add_f64 v[200:201], v[200:201], v[210:211]
	s_waitcnt vmcnt(23) lgkmcnt(8)
	v_mul_f64 v[216:217], v[100:101], v[26:27]
	v_fmac_f64_e32 v[214:215], v[78:79], v[20:21]
	v_add_f64 v[200:201], v[200:201], v[212:213]
	s_waitcnt vmcnt(22) lgkmcnt(7)
	v_mul_f64 v[218:219], v[96:97], v[30:31]
	v_fmac_f64_e32 v[216:217], v[102:103], v[24:25]
	v_add_f64 v[200:201], v[200:201], v[214:215]
	s_waitcnt vmcnt(21) lgkmcnt(6)
	v_mul_f64 v[220:221], v[116:117], v[34:35]
	v_fmac_f64_e32 v[218:219], v[98:99], v[28:29]
	v_add_f64 v[200:201], v[200:201], v[216:217]
	s_waitcnt vmcnt(20) lgkmcnt(5)
	v_mul_f64 v[222:223], v[112:113], v[38:39]
	v_fmac_f64_e32 v[220:221], v[118:119], v[32:33]
	v_add_f64 v[200:201], v[200:201], v[218:219]
	s_waitcnt vmcnt(19) lgkmcnt(4)
	v_mul_f64 v[224:225], v[108:109], v[42:43]
	v_fmac_f64_e32 v[222:223], v[114:115], v[36:37]
	v_add_f64 v[200:201], v[200:201], v[220:221]
	s_waitcnt vmcnt(18) lgkmcnt(3)
	v_mul_f64 v[226:227], v[104:105], v[46:47]
	v_fmac_f64_e32 v[224:225], v[110:111], v[40:41]
	v_add_f64 v[200:201], v[200:201], v[222:223]
	s_waitcnt vmcnt(17) lgkmcnt(2)
	v_mul_f64 v[228:229], v[132:133], v[50:51]
	v_fmac_f64_e32 v[226:227], v[106:107], v[44:45]
	v_add_f64 v[200:201], v[200:201], v[224:225]
	s_waitcnt vmcnt(16) lgkmcnt(1)
	v_mul_f64 v[230:231], v[128:129], v[54:55]
	v_fmac_f64_e32 v[228:229], v[134:135], v[48:49]
	v_add_f64 v[200:201], v[200:201], v[226:227]
	v_add_f64 v[200:201], v[200:201], v[228:229]
	v_fmac_f64_e32 v[230:231], v[130:131], v[52:53]
	v_add_f64 v[204:205], v[200:201], v[230:231]
	ds_read_b128 v[200:203], v2 offset:1232
	s_waitcnt vmcnt(15) lgkmcnt(1)
	v_mul_f64 v[206:207], v[124:125], v[58:59]
	v_fmac_f64_e32 v[206:207], v[126:127], v[56:57]
	v_add_f64 v[208:209], v[204:205], v[206:207]
	ds_read_b128 v[204:207], v2 offset:1248
	s_waitcnt vmcnt(14) lgkmcnt(1)
	v_mul_f64 v[210:211], v[200:201], v[62:63]
	;; [unrolled: 5-line block ×10, first 2 shown]
	v_fmac_f64_e32 v[250:251], v[234:235], v[160:161]
	v_mul_f64 v[142:143], v[190:191], v[142:143]
	v_add_f64 v[250:251], v[248:249], v[250:251]
	v_fma_f64 v[248:249], v[188:189], v[140:141], -v[142:143]
	ds_read_b128 v[140:143], v2 offset:1392
	s_waitcnt vmcnt(5) lgkmcnt(1)
	v_mul_f64 v[188:189], v[236:237], v[166:167]
	v_fmac_f64_e32 v[188:189], v[238:239], v[164:165]
	v_mul_f64 v[150:151], v[186:187], v[150:151]
	v_add_f64 v[188:189], v[250:251], v[188:189]
	v_fma_f64 v[250:251], v[184:185], v[148:149], -v[150:151]
	ds_read_b128 v[148:151], v2 offset:1408
	s_waitcnt vmcnt(4) lgkmcnt(1)
	v_mul_f64 v[184:185], v[140:141], v[170:171]
	v_fmac_f64_e32 v[184:185], v[142:143], v[168:169]
	v_add_f64 v[188:189], v[188:189], v[184:185]
	ds_read_b128 v[184:187], v2 offset:1424
	v_mul_f64 v[154:155], v[194:195], v[154:155]
	s_waitcnt vmcnt(3) lgkmcnt(1)
	v_mul_f64 v[190:191], v[148:149], v[174:175]
	v_fma_f64 v[254:255], v[192:193], v[152:153], -v[154:155]
	ds_read_b128 v[152:155], v2 offset:1440
	v_fmac_f64_e32 v[190:191], v[150:151], v[172:173]
	v_add_f64 v[252:253], v[188:189], v[190:191]
	ds_read_b128 v[188:191], v2 offset:1456
	s_waitcnt vmcnt(2) lgkmcnt(2)
	v_mul_f64 v[192:193], v[184:185], v[178:179]
	v_fmac_f64_e32 v[192:193], v[186:187], v[176:177]
	v_add_f64 v[2:3], v[252:253], v[192:193]
	s_waitcnt vmcnt(1) lgkmcnt(1)
	v_mul_f64 v[192:193], v[152:153], v[182:183]
	v_fmac_f64_e32 v[192:193], v[154:155], v[180:181]
	v_add_f64 v[2:3], v[2:3], v[192:193]
	;; [unrolled: 4-line block ×3, first 2 shown]
	scratch_load_dwordx4 v[192:195], off, off offset:224
	v_add_f64 v[248:249], v[248:249], 0
	v_add_f64 v[248:249], v[248:249], v[250:251]
	v_mul_f64 v[6:7], v[70:71], v[6:7]
	v_add_f64 v[248:249], v[248:249], v[254:255]
	v_fma_f64 v[4:5], v[68:69], v[4:5], -v[6:7]
	v_mul_f64 v[6:7], v[90:91], v[10:11]
	v_add_f64 v[4:5], v[248:249], v[4:5]
	v_fma_f64 v[6:7], v[88:89], v[8:9], -v[6:7]
	v_add_f64 v[4:5], v[4:5], v[6:7]
	v_mul_f64 v[6:7], v[86:87], v[14:15]
	v_fma_f64 v[6:7], v[84:85], v[12:13], -v[6:7]
	v_add_f64 v[4:5], v[4:5], v[6:7]
	v_mul_f64 v[6:7], v[82:83], v[18:19]
	;; [unrolled: 3-line block ×27, first 2 shown]
	v_fma_f64 v[6:7], v[188:189], v[196:197], -v[6:7]
	v_add_f64 v[4:5], v[4:5], v[6:7]
	s_waitcnt vmcnt(0)
	v_add_f64 v[4:5], v[192:193], -v[4:5]
	v_add_f64 v[6:7], v[194:195], -v[2:3]
	scratch_store_dwordx4 off, v[4:7], off offset:224
	s_and_saveexec_b64 s[0:1], vcc
	s_cbranch_execz .LBB109_265
; %bb.264:
	scratch_load_dwordx4 v[2:5], off, s50
	v_mov_b32_e32 v6, 0
	v_mov_b32_e32 v7, v6
	;; [unrolled: 1-line block ×4, first 2 shown]
	v_accvgpr_read_b32 v0, a93
	scratch_store_dwordx4 off, v[6:9], off offset:208
	s_waitcnt vmcnt(1)
	ds_write_b128 v0, v[2:5]
.LBB109_265:
	s_or_b64 exec, exec, s[0:1]
	s_waitcnt lgkmcnt(0)
	; wave barrier
	scratch_load_dwordx4 v[108:111], off, off offset:224
	scratch_load_dwordx4 v[116:119], off, off offset:240
	;; [unrolled: 1-line block ×33, first 2 shown]
	v_mov_b32_e32 v2, 0
	ds_read_b128 v[220:223], v2 offset:944
	ds_read_b128 v[224:227], v2 offset:960
	;; [unrolled: 1-line block ×16, first 2 shown]
	v_cmp_lt_u32_e32 vcc, 11, v240
	s_waitcnt vmcnt(32) lgkmcnt(14)
	v_mul_f64 v[180:181], v[220:221], v[110:111]
	s_waitcnt vmcnt(31)
	v_mul_f64 v[182:183], v[224:225], v[118:119]
	v_fmac_f64_e32 v[180:181], v[222:223], v[108:109]
	s_waitcnt vmcnt(30) lgkmcnt(13)
	v_mul_f64 v[184:185], v[234:235], v[122:123]
	v_fmac_f64_e32 v[182:183], v[226:227], v[116:117]
	v_add_f64 v[180:181], v[180:181], 0
	s_waitcnt vmcnt(29) lgkmcnt(12)
	v_mul_f64 v[186:187], v[248:249], v[126:127]
	v_fmac_f64_e32 v[184:185], v[236:237], v[120:121]
	v_add_f64 v[180:181], v[180:181], v[182:183]
	;; [unrolled: 4-line block ×13, first 2 shown]
	v_fmac_f64_e32 v[208:209], v[142:143], v[40:41]
	v_add_f64 v[180:181], v[180:181], v[206:207]
	v_add_f64 v[184:185], v[180:181], v[208:209]
	ds_read_b128 v[180:183], v2 offset:1200
	s_waitcnt vmcnt(17) lgkmcnt(1)
	v_mul_f64 v[186:187], v[136:137], v[46:47]
	v_fmac_f64_e32 v[186:187], v[138:139], v[44:45]
	v_add_f64 v[188:189], v[184:185], v[186:187]
	ds_read_b128 v[184:187], v2 offset:1216
	s_waitcnt vmcnt(16) lgkmcnt(1)
	v_mul_f64 v[190:191], v[180:181], v[50:51]
	v_fmac_f64_e32 v[190:191], v[182:183], v[48:49]
	;; [unrolled: 5-line block ×10, first 2 shown]
	v_mul_f64 v[110:111], v[222:223], v[110:111]
	v_add_f64 v[228:229], v[228:229], v[230:231]
	v_fma_f64 v[230:231], v[220:221], v[108:109], -v[110:111]
	ds_read_b128 v[108:111], v2 offset:1360
	s_waitcnt vmcnt(7) lgkmcnt(1)
	v_mul_f64 v[220:221], v[216:217], v[86:87]
	v_mul_f64 v[118:119], v[226:227], v[118:119]
	v_fmac_f64_e32 v[220:221], v[218:219], v[84:85]
	v_fma_f64 v[232:233], v[224:225], v[116:117], -v[118:119]
	ds_read_b128 v[116:119], v2 offset:1376
	s_waitcnt vmcnt(6) lgkmcnt(1)
	v_mul_f64 v[222:223], v[108:109], v[90:91]
	v_add_f64 v[220:221], v[228:229], v[220:221]
	v_fmac_f64_e32 v[222:223], v[110:111], v[88:89]
	v_add_f64 v[224:225], v[220:221], v[222:223]
	ds_read_b128 v[220:223], v2 offset:1392
	v_mul_f64 v[122:123], v[236:237], v[122:123]
	v_fma_f64 v[234:235], v[234:235], v[120:121], -v[122:123]
	ds_read_b128 v[120:123], v2 offset:1408
	s_waitcnt vmcnt(5) lgkmcnt(2)
	v_mul_f64 v[226:227], v[116:117], v[94:95]
	v_fmac_f64_e32 v[226:227], v[118:119], v[92:93]
	v_mul_f64 v[126:127], v[250:251], v[126:127]
	v_add_f64 v[224:225], v[224:225], v[226:227]
	s_waitcnt vmcnt(4) lgkmcnt(1)
	v_mul_f64 v[226:227], v[220:221], v[98:99]
	v_fma_f64 v[236:237], v[248:249], v[124:125], -v[126:127]
	ds_read_b128 v[124:127], v2 offset:1424
	v_fmac_f64_e32 v[226:227], v[222:223], v[96:97]
	v_add_f64 v[228:229], v[224:225], v[226:227]
	s_waitcnt vmcnt(3) lgkmcnt(1)
	v_mul_f64 v[238:239], v[120:121], v[102:103]
	ds_read_b128 v[224:227], v2 offset:1440
	v_fmac_f64_e32 v[238:239], v[122:123], v[100:101]
	v_mul_f64 v[130:131], v[254:255], v[130:131]
	v_add_f64 v[228:229], v[228:229], v[238:239]
	v_fma_f64 v[238:239], v[252:253], v[128:129], -v[130:131]
	ds_read_b128 v[128:131], v2 offset:1456
	s_waitcnt vmcnt(2) lgkmcnt(2)
	v_mul_f64 v[248:249], v[124:125], v[106:107]
	v_fmac_f64_e32 v[248:249], v[126:127], v[104:105]
	v_add_f64 v[228:229], v[228:229], v[248:249]
	s_waitcnt vmcnt(1) lgkmcnt(1)
	v_mul_f64 v[248:249], v[224:225], v[114:115]
	v_fmac_f64_e32 v[248:249], v[226:227], v[112:113]
	v_add_f64 v[228:229], v[228:229], v[248:249]
	;; [unrolled: 4-line block ×3, first 2 shown]
	scratch_load_dwordx4 v[248:251], off, off offset:208
	v_add_f64 v[230:231], v[230:231], 0
	v_add_f64 v[230:231], v[230:231], v[232:233]
	;; [unrolled: 1-line block ×4, first 2 shown]
	v_mul_f64 v[6:7], v[178:179], v[6:7]
	v_add_f64 v[230:231], v[230:231], v[238:239]
	v_fma_f64 v[4:5], v[176:177], v[4:5], -v[6:7]
	v_mul_f64 v[6:7], v[174:175], v[10:11]
	v_add_f64 v[4:5], v[230:231], v[4:5]
	v_fma_f64 v[6:7], v[172:173], v[8:9], -v[6:7]
	v_add_f64 v[4:5], v[4:5], v[6:7]
	v_mul_f64 v[6:7], v[170:171], v[14:15]
	v_fma_f64 v[6:7], v[168:169], v[12:13], -v[6:7]
	v_add_f64 v[4:5], v[4:5], v[6:7]
	v_mul_f64 v[6:7], v[166:167], v[18:19]
	;; [unrolled: 3-line block ×26, first 2 shown]
	v_fma_f64 v[6:7], v[128:129], v[132:133], -v[6:7]
	v_add_f64 v[4:5], v[4:5], v[6:7]
	s_waitcnt vmcnt(0)
	v_add_f64 v[4:5], v[248:249], -v[4:5]
	v_add_f64 v[6:7], v[250:251], -v[228:229]
	scratch_store_dwordx4 off, v[4:7], off offset:208
	s_and_saveexec_b64 s[0:1], vcc
	s_cbranch_execz .LBB109_267
; %bb.266:
	scratch_load_dwordx4 v[6:9], off, s51
	v_mov_b32_e32 v3, v2
	v_mov_b32_e32 v4, v2
	;; [unrolled: 1-line block ×3, first 2 shown]
	v_accvgpr_read_b32 v0, a93
	scratch_store_dwordx4 off, v[2:5], off offset:192
	s_waitcnt vmcnt(1)
	ds_write_b128 v0, v[6:9]
.LBB109_267:
	s_or_b64 exec, exec, s[0:1]
	s_waitcnt lgkmcnt(0)
	; wave barrier
	scratch_load_dwordx4 v[144:147], off, off offset:208
	scratch_load_dwordx4 v[152:155], off, off offset:224
	scratch_load_dwordx4 v[156:159], off, off offset:240
	scratch_load_dwordx4 v[160:163], off, off offset:256
	scratch_load_dwordx4 v[168:171], off, off offset:272
	scratch_load_dwordx4 v[4:7], off, off offset:288
	scratch_load_dwordx4 v[8:11], off, off offset:304
	scratch_load_dwordx4 v[12:15], off, off offset:320
	scratch_load_dwordx4 v[16:19], off, off offset:336
	scratch_load_dwordx4 v[20:23], off, off offset:352
	scratch_load_dwordx4 v[24:27], off, off offset:368
	scratch_load_dwordx4 v[28:31], off, off offset:384
	scratch_load_dwordx4 v[32:35], off, off offset:400
	scratch_load_dwordx4 v[36:39], off, off offset:416
	scratch_load_dwordx4 v[40:43], off, off offset:432
	scratch_load_dwordx4 v[44:47], off, off offset:448
	ds_read_b128 v[196:199], v2 offset:928
	ds_read_b128 v[188:191], v2 offset:944
	ds_read_b128 v[180:183], v2 offset:960
	scratch_load_dwordx4 v[48:51], off, off offset:464
	ds_read_b128 v[192:195], v2 offset:976
	ds_read_b128 v[184:187], v2 offset:992
	ds_read_b128 v[64:67], v2 offset:1008
	scratch_load_dwordx4 v[52:55], off, off offset:480
	;; [unrolled: 4-line block ×5, first 2 shown]
	ds_read_b128 v[116:119], v2 offset:1168
	ds_read_b128 v[112:115], v2 offset:1184
	scratch_load_dwordx4 v[108:111], off, off offset:544
	scratch_load_dwordx4 v[120:123], off, off offset:560
	;; [unrolled: 1-line block ×12, first 2 shown]
	v_cmp_lt_u32_e32 vcc, 10, v240
	s_waitcnt vmcnt(32) lgkmcnt(14)
	v_mul_f64 v[204:205], v[196:197], v[146:147]
	s_waitcnt vmcnt(31)
	v_mul_f64 v[206:207], v[188:189], v[154:155]
	v_fmac_f64_e32 v[204:205], v[198:199], v[144:145]
	s_waitcnt vmcnt(30)
	v_mul_f64 v[208:209], v[180:181], v[158:159]
	v_fmac_f64_e32 v[206:207], v[190:191], v[152:153]
	v_add_f64 v[204:205], v[204:205], 0
	s_waitcnt vmcnt(29) lgkmcnt(13)
	v_mul_f64 v[210:211], v[192:193], v[162:163]
	v_fmac_f64_e32 v[208:209], v[182:183], v[156:157]
	v_add_f64 v[204:205], v[204:205], v[206:207]
	s_waitcnt vmcnt(28) lgkmcnt(12)
	;; [unrolled: 4-line block ×12, first 2 shown]
	v_mul_f64 v[232:233], v[96:97], v[42:43]
	v_fmac_f64_e32 v[230:231], v[102:103], v[36:37]
	v_add_f64 v[204:205], v[204:205], v[228:229]
	v_fmac_f64_e32 v[232:233], v[98:99], v[40:41]
	v_add_f64 v[204:205], v[204:205], v[230:231]
	s_waitcnt vmcnt(17) lgkmcnt(1)
	v_mul_f64 v[206:207], v[116:117], v[46:47]
	v_add_f64 v[204:205], v[204:205], v[232:233]
	v_fmac_f64_e32 v[206:207], v[118:119], v[44:45]
	s_waitcnt vmcnt(16) lgkmcnt(0)
	v_mul_f64 v[210:211], v[112:113], v[50:51]
	v_add_f64 v[208:209], v[204:205], v[206:207]
	ds_read_b128 v[204:207], v2 offset:1200
	v_fmac_f64_e32 v[210:211], v[114:115], v[48:49]
	v_add_f64 v[212:213], v[208:209], v[210:211]
	ds_read_b128 v[208:211], v2 offset:1216
	v_mul_f64 v[146:147], v[198:199], v[146:147]
	s_waitcnt vmcnt(15) lgkmcnt(1)
	v_mul_f64 v[214:215], v[204:205], v[54:55]
	v_fmac_f64_e32 v[214:215], v[206:207], v[52:53]
	v_add_f64 v[216:217], v[212:213], v[214:215]
	s_waitcnt vmcnt(14) lgkmcnt(0)
	v_mul_f64 v[218:219], v[208:209], v[58:59]
	ds_read_b128 v[212:215], v2 offset:1232
	v_fmac_f64_e32 v[218:219], v[210:211], v[56:57]
	v_add_f64 v[220:221], v[216:217], v[218:219]
	ds_read_b128 v[216:219], v2 offset:1248
	v_mul_f64 v[154:155], v[190:191], v[154:155]
	s_waitcnt vmcnt(13) lgkmcnt(1)
	v_mul_f64 v[222:223], v[212:213], v[62:63]
	v_fmac_f64_e32 v[222:223], v[214:215], v[60:61]
	v_add_f64 v[224:225], v[220:221], v[222:223]
	s_waitcnt vmcnt(12) lgkmcnt(0)
	v_mul_f64 v[226:227], v[216:217], v[94:95]
	ds_read_b128 v[220:223], v2 offset:1264
	v_fmac_f64_e32 v[226:227], v[218:219], v[92:93]
	v_add_f64 v[228:229], v[224:225], v[226:227]
	ds_read_b128 v[224:227], v2 offset:1280
	v_fma_f64 v[252:253], v[188:189], v[152:153], -v[154:155]
	s_waitcnt vmcnt(11) lgkmcnt(1)
	v_mul_f64 v[230:231], v[220:221], v[110:111]
	v_fmac_f64_e32 v[230:231], v[222:223], v[108:109]
	v_add_f64 v[232:233], v[228:229], v[230:231]
	s_waitcnt vmcnt(10) lgkmcnt(0)
	v_mul_f64 v[234:235], v[224:225], v[122:123]
	ds_read_b128 v[228:231], v2 offset:1296
	v_fmac_f64_e32 v[234:235], v[226:227], v[120:121]
	v_add_f64 v[236:237], v[232:233], v[234:235]
	ds_read_b128 v[232:235], v2 offset:1312
	ds_read_b128 v[152:155], v2 offset:1360
	s_waitcnt vmcnt(9) lgkmcnt(2)
	v_mul_f64 v[238:239], v[228:229], v[126:127]
	v_fmac_f64_e32 v[238:239], v[230:231], v[124:125]
	v_add_f64 v[248:249], v[236:237], v[238:239]
	s_waitcnt vmcnt(8) lgkmcnt(1)
	v_mul_f64 v[250:251], v[232:233], v[130:131]
	ds_read_b128 v[236:239], v2 offset:1328
	v_fmac_f64_e32 v[250:251], v[234:235], v[128:129]
	v_add_f64 v[248:249], v[248:249], v[250:251]
	v_fma_f64 v[250:251], v[196:197], v[144:145], -v[146:147]
	ds_read_b128 v[144:147], v2 offset:1344
	s_waitcnt vmcnt(7) lgkmcnt(1)
	v_mul_f64 v[196:197], v[236:237], v[134:135]
	v_fmac_f64_e32 v[196:197], v[238:239], v[132:133]
	v_add_f64 v[188:189], v[248:249], v[196:197]
	v_mul_f64 v[158:159], v[182:183], v[158:159]
	s_waitcnt vmcnt(6) lgkmcnt(0)
	v_mul_f64 v[190:191], v[144:145], v[138:139]
	v_fmac_f64_e32 v[190:191], v[146:147], v[136:137]
	v_add_f64 v[196:197], v[188:189], v[190:191]
	ds_read_b128 v[188:191], v2 offset:1376
	v_fma_f64 v[248:249], v[180:181], v[156:157], -v[158:159]
	ds_read_b128 v[156:159], v2 offset:1392
	s_waitcnt vmcnt(5)
	v_mul_f64 v[198:199], v[152:153], v[142:143]
	v_fmac_f64_e32 v[198:199], v[154:155], v[140:141]
	s_waitcnt vmcnt(4) lgkmcnt(1)
	v_mul_f64 v[180:181], v[188:189], v[150:151]
	v_add_f64 v[196:197], v[196:197], v[198:199]
	v_fmac_f64_e32 v[180:181], v[190:191], v[148:149]
	v_mul_f64 v[162:163], v[194:195], v[162:163]
	v_add_f64 v[198:199], v[196:197], v[180:181]
	v_fma_f64 v[196:197], v[192:193], v[160:161], -v[162:163]
	ds_read_b128 v[160:163], v2 offset:1408
	s_waitcnt vmcnt(3) lgkmcnt(1)
	v_mul_f64 v[192:193], v[156:157], v[166:167]
	ds_read_b128 v[180:183], v2 offset:1424
	v_fmac_f64_e32 v[192:193], v[158:159], v[164:165]
	v_mul_f64 v[170:171], v[186:187], v[170:171]
	v_add_f64 v[192:193], v[198:199], v[192:193]
	v_fma_f64 v[198:199], v[184:185], v[168:169], -v[170:171]
	ds_read_b128 v[168:171], v2 offset:1440
	s_waitcnt vmcnt(2) lgkmcnt(2)
	v_mul_f64 v[184:185], v[160:161], v[174:175]
	v_fmac_f64_e32 v[184:185], v[162:163], v[172:173]
	s_waitcnt vmcnt(1) lgkmcnt(1)
	v_mul_f64 v[186:187], v[180:181], v[178:179]
	v_add_f64 v[184:185], v[192:193], v[184:185]
	v_fmac_f64_e32 v[186:187], v[182:183], v[176:177]
	v_add_f64 v[184:185], v[184:185], v[186:187]
	s_waitcnt vmcnt(0) lgkmcnt(0)
	v_mul_f64 v[186:187], v[168:169], v[202:203]
	v_fmac_f64_e32 v[186:187], v[170:171], v[200:201]
	v_add_f64 v[254:255], v[184:185], v[186:187]
	scratch_load_dwordx4 v[184:187], off, off offset:736
	v_add_f64 v[250:251], v[250:251], 0
	v_add_f64 v[250:251], v[250:251], v[252:253]
	v_add_f64 v[248:249], v[250:251], v[248:249]
	scratch_load_dwordx4 v[250:253], off, off offset:192
	v_add_f64 v[196:197], v[248:249], v[196:197]
	v_mul_f64 v[6:7], v[66:67], v[6:7]
	v_add_f64 v[196:197], v[196:197], v[198:199]
	v_fma_f64 v[4:5], v[64:65], v[4:5], -v[6:7]
	v_mul_f64 v[6:7], v[78:79], v[10:11]
	v_add_f64 v[4:5], v[196:197], v[4:5]
	v_fma_f64 v[6:7], v[76:77], v[8:9], -v[6:7]
	v_add_f64 v[4:5], v[4:5], v[6:7]
	v_mul_f64 v[6:7], v[74:75], v[14:15]
	v_fma_f64 v[6:7], v[72:73], v[12:13], -v[6:7]
	v_add_f64 v[4:5], v[4:5], v[6:7]
	v_mul_f64 v[6:7], v[70:71], v[18:19]
	;; [unrolled: 3-line block ×24, first 2 shown]
	ds_read_b128 v[192:195], v2 offset:1456
	v_fma_f64 v[6:7], v[160:161], v[172:173], -v[6:7]
	v_add_f64 v[4:5], v[4:5], v[6:7]
	v_mul_f64 v[6:7], v[182:183], v[178:179]
	v_fma_f64 v[6:7], v[180:181], v[176:177], -v[6:7]
	v_add_f64 v[4:5], v[4:5], v[6:7]
	v_mul_f64 v[6:7], v[170:171], v[202:203]
	v_fma_f64 v[6:7], v[168:169], v[200:201], -v[6:7]
	s_waitcnt vmcnt(1) lgkmcnt(0)
	v_mul_f64 v[2:3], v[192:193], v[186:187]
	v_add_f64 v[4:5], v[4:5], v[6:7]
	v_mul_f64 v[6:7], v[194:195], v[186:187]
	v_fmac_f64_e32 v[2:3], v[194:195], v[184:185]
	v_fma_f64 v[6:7], v[192:193], v[184:185], -v[6:7]
	v_add_f64 v[2:3], v[254:255], v[2:3]
	v_add_f64 v[4:5], v[4:5], v[6:7]
	s_waitcnt vmcnt(0)
	v_add_f64 v[4:5], v[250:251], -v[4:5]
	v_add_f64 v[6:7], v[252:253], -v[2:3]
	scratch_store_dwordx4 off, v[4:7], off offset:192
	s_and_saveexec_b64 s[0:1], vcc
	s_cbranch_execz .LBB109_269
; %bb.268:
	scratch_load_dwordx4 v[2:5], off, s52
	v_mov_b32_e32 v6, 0
	v_mov_b32_e32 v7, v6
	;; [unrolled: 1-line block ×4, first 2 shown]
	v_accvgpr_read_b32 v0, a93
	scratch_store_dwordx4 off, v[6:9], off offset:176
	s_waitcnt vmcnt(1)
	ds_write_b128 v0, v[2:5]
.LBB109_269:
	s_or_b64 exec, exec, s[0:1]
	s_waitcnt lgkmcnt(0)
	; wave barrier
	scratch_load_dwordx4 v[184:187], off, off offset:192
	scratch_load_dwordx4 v[188:191], off, off offset:208
	;; [unrolled: 1-line block ×32, first 2 shown]
	v_mov_b32_e32 v2, 0
	ds_read_b128 v[192:195], v2 offset:912
	ds_read_b128 v[204:207], v2 offset:928
	;; [unrolled: 1-line block ×16, first 2 shown]
	v_cmp_lt_u32_e32 vcc, 9, v240
	s_waitcnt vmcnt(31) lgkmcnt(14)
	v_mul_f64 v[104:105], v[192:193], v[186:187]
	s_waitcnt vmcnt(30)
	v_mul_f64 v[106:107], v[204:205], v[190:191]
	v_fmac_f64_e32 v[104:105], v[194:195], v[184:185]
	s_waitcnt vmcnt(29) lgkmcnt(13)
	v_mul_f64 v[112:113], v[216:217], v[198:199]
	v_fmac_f64_e32 v[106:107], v[206:207], v[188:189]
	v_add_f64 v[104:105], v[104:105], 0
	s_waitcnt vmcnt(28) lgkmcnt(12)
	v_mul_f64 v[114:115], v[224:225], v[202:203]
	v_fmac_f64_e32 v[112:113], v[218:219], v[196:197]
	v_add_f64 v[104:105], v[104:105], v[106:107]
	;; [unrolled: 4-line block ×10, first 2 shown]
	ds_read_b128 v[152:155], v2 offset:1168
	ds_read_b128 v[156:159], v2 offset:1184
	s_waitcnt vmcnt(19) lgkmcnt(5)
	v_mul_f64 v[164:165], v[124:125], v[26:27]
	v_fmac_f64_e32 v[162:163], v[134:135], v[20:21]
	v_add_f64 v[104:105], v[104:105], v[160:161]
	s_waitcnt vmcnt(18) lgkmcnt(4)
	v_mul_f64 v[166:167], v[120:121], v[30:31]
	v_fmac_f64_e32 v[164:165], v[126:127], v[24:25]
	v_add_f64 v[104:105], v[104:105], v[162:163]
	;; [unrolled: 4-line block ×4, first 2 shown]
	v_add_f64 v[112:113], v[104:105], v[168:169]
	v_fmac_f64_e32 v[170:171], v[110:111], v[36:37]
	scratch_load_dwordx4 v[104:107], off, off offset:704
	s_waitcnt vmcnt(16) lgkmcnt(1)
	v_mul_f64 v[114:115], v[152:153], v[42:43]
	v_add_f64 v[112:113], v[112:113], v[170:171]
	v_fmac_f64_e32 v[114:115], v[154:155], v[40:41]
	v_add_f64 v[128:129], v[112:113], v[114:115]
	scratch_load_dwordx4 v[112:115], off, off offset:720
	s_waitcnt vmcnt(16) lgkmcnt(0)
	v_mul_f64 v[130:131], v[156:157], v[46:47]
	v_fmac_f64_e32 v[130:131], v[158:159], v[44:45]
	v_add_f64 v[168:169], v[128:129], v[130:131]
	scratch_load_dwordx4 v[128:131], off, off offset:736
	ds_read_b128 v[160:163], v2 offset:1200
	ds_read_b128 v[164:167], v2 offset:1216
	v_mul_f64 v[186:187], v[194:195], v[186:187]
	v_fma_f64 v[242:243], v[192:193], v[184:185], -v[186:187]
	ds_read_b128 v[184:187], v2 offset:1296
	s_waitcnt vmcnt(16) lgkmcnt(2)
	v_mul_f64 v[170:171], v[160:161], v[50:51]
	v_fmac_f64_e32 v[170:171], v[162:163], v[48:49]
	s_waitcnt vmcnt(15) lgkmcnt(1)
	v_mul_f64 v[174:175], v[164:165], v[54:55]
	v_add_f64 v[172:173], v[168:169], v[170:171]
	ds_read_b128 v[168:171], v2 offset:1232
	v_fmac_f64_e32 v[174:175], v[166:167], v[52:53]
	v_add_f64 v[176:177], v[172:173], v[174:175]
	ds_read_b128 v[172:175], v2 offset:1248
	v_mul_f64 v[190:191], v[206:207], v[190:191]
	s_waitcnt vmcnt(14) lgkmcnt(1)
	v_mul_f64 v[178:179], v[168:169], v[58:59]
	v_fmac_f64_e32 v[178:179], v[170:171], v[56:57]
	v_add_f64 v[180:181], v[176:177], v[178:179]
	s_waitcnt vmcnt(13) lgkmcnt(0)
	v_mul_f64 v[182:183], v[172:173], v[62:63]
	ds_read_b128 v[176:179], v2 offset:1264
	v_fmac_f64_e32 v[182:183], v[174:175], v[60:61]
	v_add_f64 v[232:233], v[180:181], v[182:183]
	ds_read_b128 v[180:183], v2 offset:1280
	v_fma_f64 v[244:245], v[204:205], v[188:189], -v[190:191]
	s_waitcnt vmcnt(12) lgkmcnt(1)
	v_mul_f64 v[234:235], v[176:177], v[66:67]
	v_fmac_f64_e32 v[234:235], v[178:179], v[64:65]
	v_add_f64 v[232:233], v[232:233], v[234:235]
	s_waitcnt vmcnt(11) lgkmcnt(0)
	v_mul_f64 v[192:193], v[180:181], v[70:71]
	v_fmac_f64_e32 v[192:193], v[182:183], v[68:69]
	ds_read_b128 v[188:191], v2 offset:1312
	s_waitcnt vmcnt(10)
	v_mul_f64 v[194:195], v[184:185], v[74:75]
	v_add_f64 v[192:193], v[232:233], v[192:193]
	v_fmac_f64_e32 v[194:195], v[186:187], v[72:73]
	v_add_f64 v[204:205], v[192:193], v[194:195]
	ds_read_b128 v[192:195], v2 offset:1328
	v_mul_f64 v[198:199], v[218:219], v[198:199]
	v_fma_f64 v[246:247], v[216:217], v[196:197], -v[198:199]
	ds_read_b128 v[196:199], v2 offset:1344
	s_waitcnt vmcnt(9) lgkmcnt(2)
	v_mul_f64 v[206:207], v[188:189], v[78:79]
	v_fmac_f64_e32 v[206:207], v[190:191], v[76:77]
	v_add_f64 v[204:205], v[204:205], v[206:207]
	s_waitcnt vmcnt(8) lgkmcnt(1)
	v_mul_f64 v[206:207], v[192:193], v[82:83]
	v_fmac_f64_e32 v[206:207], v[194:195], v[80:81]
	v_mul_f64 v[202:203], v[226:227], v[202:203]
	v_add_f64 v[204:205], v[204:205], v[206:207]
	v_fma_f64 v[234:235], v[224:225], v[200:201], -v[202:203]
	ds_read_b128 v[200:203], v2 offset:1360
	s_waitcnt vmcnt(7) lgkmcnt(1)
	v_mul_f64 v[206:207], v[196:197], v[86:87]
	v_fmac_f64_e32 v[206:207], v[198:199], v[84:85]
	v_add_f64 v[216:217], v[204:205], v[206:207]
	ds_read_b128 v[204:207], v2 offset:1376
	v_mul_f64 v[210:211], v[230:231], v[210:211]
	v_fma_f64 v[236:237], v[228:229], v[208:209], -v[210:211]
	ds_read_b128 v[208:211], v2 offset:1392
	s_waitcnt vmcnt(6) lgkmcnt(2)
	v_mul_f64 v[218:219], v[200:201], v[90:91]
	v_fmac_f64_e32 v[218:219], v[202:203], v[88:89]
	v_add_f64 v[216:217], v[216:217], v[218:219]
	s_waitcnt vmcnt(5) lgkmcnt(1)
	v_mul_f64 v[218:219], v[204:205], v[94:95]
	v_fmac_f64_e32 v[218:219], v[206:207], v[92:93]
	v_mul_f64 v[214:215], v[250:251], v[214:215]
	v_fma_f64 v[238:239], v[248:249], v[212:213], -v[214:215]
	ds_read_b128 v[212:215], v2 offset:1408
	v_add_f64 v[216:217], v[216:217], v[218:219]
	s_waitcnt vmcnt(4) lgkmcnt(1)
	v_mul_f64 v[218:219], v[208:209], v[102:103]
	v_fmac_f64_e32 v[218:219], v[210:211], v[100:101]
	v_add_f64 v[224:225], v[216:217], v[218:219]
	ds_read_b128 v[216:219], v2 offset:1424
	v_mul_f64 v[222:223], v[254:255], v[222:223]
	v_fma_f64 v[248:249], v[252:253], v[220:221], -v[222:223]
	ds_read_b128 v[220:223], v2 offset:1440
	s_waitcnt vmcnt(3) lgkmcnt(2)
	v_mul_f64 v[226:227], v[212:213], v[98:99]
	v_fmac_f64_e32 v[226:227], v[214:215], v[96:97]
	v_add_f64 v[224:225], v[224:225], v[226:227]
	s_waitcnt vmcnt(2) lgkmcnt(1)
	v_mul_f64 v[226:227], v[216:217], v[106:107]
	v_fmac_f64_e32 v[226:227], v[218:219], v[104:105]
	v_add_f64 v[224:225], v[224:225], v[226:227]
	;; [unrolled: 4-line block ×3, first 2 shown]
	ds_read_b128 v[224:227], v2 offset:1456
	v_mul_f64 v[6:7], v[150:151], v[6:7]
	v_fma_f64 v[4:5], v[148:149], v[4:5], -v[6:7]
	v_mul_f64 v[6:7], v[146:147], v[10:11]
	v_fma_f64 v[6:7], v[144:145], v[8:9], -v[6:7]
	s_waitcnt vmcnt(0) lgkmcnt(0)
	v_mul_f64 v[230:231], v[224:225], v[130:131]
	v_fmac_f64_e32 v[230:231], v[226:227], v[128:129]
	v_add_f64 v[232:233], v[228:229], v[230:231]
	v_add_f64 v[228:229], v[242:243], 0
	;; [unrolled: 1-line block ×4, first 2 shown]
	scratch_load_dwordx4 v[228:231], off, off offset:176
	v_add_f64 v[234:235], v[250:251], v[234:235]
	v_add_f64 v[234:235], v[234:235], v[236:237]
	;; [unrolled: 1-line block ×6, first 2 shown]
	v_mul_f64 v[6:7], v[142:143], v[14:15]
	v_fma_f64 v[6:7], v[140:141], v[12:13], -v[6:7]
	v_add_f64 v[4:5], v[4:5], v[6:7]
	v_mul_f64 v[6:7], v[138:139], v[18:19]
	v_fma_f64 v[6:7], v[136:137], v[16:17], -v[6:7]
	v_add_f64 v[4:5], v[4:5], v[6:7]
	;; [unrolled: 3-line block ×26, first 2 shown]
	s_waitcnt vmcnt(0)
	v_add_f64 v[4:5], v[228:229], -v[4:5]
	v_add_f64 v[6:7], v[230:231], -v[232:233]
	scratch_store_dwordx4 off, v[4:7], off offset:176
	s_and_saveexec_b64 s[0:1], vcc
	s_cbranch_execz .LBB109_271
; %bb.270:
	scratch_load_dwordx4 v[6:9], off, s53
	v_mov_b32_e32 v3, v2
	v_mov_b32_e32 v4, v2
	;; [unrolled: 1-line block ×3, first 2 shown]
	v_accvgpr_read_b32 v0, a93
	scratch_store_dwordx4 off, v[2:5], off offset:160
	s_waitcnt vmcnt(1)
	ds_write_b128 v0, v[6:9]
.LBB109_271:
	s_or_b64 exec, exec, s[0:1]
	s_waitcnt lgkmcnt(0)
	; wave barrier
	scratch_load_dwordx4 v[140:143], off, off offset:176
	scratch_load_dwordx4 v[144:147], off, off offset:192
	;; [unrolled: 1-line block ×16, first 2 shown]
	ds_read_b128 v[208:211], v2 offset:896
	ds_read_b128 v[200:203], v2 offset:912
	;; [unrolled: 1-line block ×3, first 2 shown]
	scratch_load_dwordx4 v[40:43], off, off offset:432
	ds_read_b128 v[204:207], v2 offset:944
	ds_read_b128 v[192:195], v2 offset:960
	;; [unrolled: 1-line block ×3, first 2 shown]
	scratch_load_dwordx4 v[44:47], off, off offset:448
	ds_read_b128 v[196:199], v2 offset:992
	ds_read_b128 v[64:67], v2 offset:1008
	;; [unrolled: 1-line block ×4, first 2 shown]
	scratch_load_dwordx4 v[48:51], off, off offset:464
	ds_read_b128 v[72:75], v2 offset:1056
	ds_read_b128 v[68:71], v2 offset:1072
	scratch_load_dwordx4 v[56:59], off, off offset:480
	ds_read_b128 v[92:95], v2 offset:1088
	ds_read_b128 v[88:91], v2 offset:1104
	;; [unrolled: 1-line block ×4, first 2 shown]
	scratch_load_dwordx4 v[76:79], off, off offset:496
	scratch_load_dwordx4 v[96:99], off, off offset:512
	;; [unrolled: 1-line block ×12, first 2 shown]
	ds_read_b128 v[168:171], v2 offset:1152
	v_accvgpr_write_b32 a92, v240
	v_cmp_lt_u32_e32 vcc, 8, v240
	s_waitcnt vmcnt(31) lgkmcnt(14)
	v_mul_f64 v[172:173], v[208:209], v[142:143]
	s_waitcnt vmcnt(30)
	v_mul_f64 v[174:175], v[200:201], v[146:147]
	v_fmac_f64_e32 v[172:173], v[210:211], v[140:141]
	s_waitcnt vmcnt(29)
	v_mul_f64 v[176:177], v[188:189], v[150:151]
	v_fmac_f64_e32 v[174:175], v[202:203], v[144:145]
	v_add_f64 v[172:173], v[172:173], 0
	s_waitcnt vmcnt(28) lgkmcnt(13)
	v_mul_f64 v[178:179], v[204:205], v[154:155]
	v_fmac_f64_e32 v[176:177], v[190:191], v[148:149]
	v_add_f64 v[172:173], v[172:173], v[174:175]
	s_waitcnt vmcnt(27) lgkmcnt(12)
	;; [unrolled: 4-line block ×10, first 2 shown]
	v_mul_f64 v[224:225], v[92:93], v[26:27]
	v_fmac_f64_e32 v[222:223], v[70:71], v[20:21]
	v_add_f64 v[172:173], v[172:173], v[220:221]
	ds_read_b128 v[212:215], v2 offset:1168
	s_waitcnt vmcnt(18) lgkmcnt(4)
	v_mul_f64 v[226:227], v[88:89], v[30:31]
	v_fmac_f64_e32 v[224:225], v[94:95], v[24:25]
	v_add_f64 v[172:173], v[172:173], v[222:223]
	ds_read_b128 v[216:219], v2 offset:1184
	ds_read_b128 v[220:223], v2 offset:1200
	s_waitcnt vmcnt(17) lgkmcnt(5)
	v_mul_f64 v[228:229], v[84:85], v[34:35]
	v_fmac_f64_e32 v[226:227], v[90:91], v[28:29]
	v_add_f64 v[172:173], v[172:173], v[224:225]
	s_waitcnt vmcnt(16) lgkmcnt(4)
	v_mul_f64 v[230:231], v[80:81], v[38:39]
	v_fmac_f64_e32 v[228:229], v[86:87], v[32:33]
	v_add_f64 v[172:173], v[172:173], v[226:227]
	v_add_f64 v[176:177], v[172:173], v[228:229]
	v_fmac_f64_e32 v[230:231], v[82:83], v[36:37]
	s_waitcnt vmcnt(15) lgkmcnt(3)
	v_mul_f64 v[178:179], v[168:169], v[42:43]
	v_add_f64 v[176:177], v[176:177], v[230:231]
	v_fmac_f64_e32 v[178:179], v[170:171], v[40:41]
	s_waitcnt vmcnt(14) lgkmcnt(2)
	v_mul_f64 v[182:183], v[212:213], v[46:47]
	;; [unrolled: 4-line block ×3, first 2 shown]
	v_add_f64 v[224:225], v[180:181], v[182:183]
	v_fmac_f64_e32 v[226:227], v[218:219], v[48:49]
	v_add_f64 v[228:229], v[224:225], v[226:227]
	ds_read_b128 v[224:227], v2 offset:1216
	s_waitcnt vmcnt(12) lgkmcnt(1)
	v_mul_f64 v[230:231], v[220:221], v[58:59]
	v_fmac_f64_e32 v[230:231], v[222:223], v[56:57]
	v_add_f64 v[232:233], v[228:229], v[230:231]
	ds_read_b128 v[228:231], v2 offset:1232
	s_waitcnt vmcnt(11) lgkmcnt(1)
	v_mul_f64 v[234:235], v[224:225], v[78:79]
	;; [unrolled: 5-line block ×4, first 2 shown]
	v_fmac_f64_e32 v[244:245], v[234:235], v[100:101]
	v_mul_f64 v[142:143], v[210:211], v[142:143]
	v_add_f64 v[242:243], v[242:243], v[244:245]
	v_fma_f64 v[244:245], v[208:209], v[140:141], -v[142:143]
	ds_read_b128 v[140:143], v2 offset:1280
	s_waitcnt vmcnt(8) lgkmcnt(1)
	v_mul_f64 v[208:209], v[236:237], v[106:107]
	v_fmac_f64_e32 v[208:209], v[238:239], v[104:105]
	v_mul_f64 v[146:147], v[202:203], v[146:147]
	v_add_f64 v[208:209], v[242:243], v[208:209]
	v_fma_f64 v[242:243], v[200:201], v[144:145], -v[146:147]
	ds_read_b128 v[144:147], v2 offset:1296
	s_waitcnt vmcnt(7) lgkmcnt(1)
	v_mul_f64 v[200:201], v[140:141], v[110:111]
	scratch_load_dwordx4 v[172:175], off, off offset:688
	scratch_load_dwordx4 v[176:179], off, off offset:704
	v_fmac_f64_e32 v[200:201], v[142:143], v[108:109]
	v_add_f64 v[208:209], v[208:209], v[200:201]
	ds_read_b128 v[200:203], v2 offset:1312
	v_mul_f64 v[150:151], v[190:191], v[150:151]
	v_fma_f64 v[246:247], v[188:189], v[148:149], -v[150:151]
	ds_read_b128 v[148:151], v2 offset:1328
	s_waitcnt vmcnt(8) lgkmcnt(2)
	v_mul_f64 v[210:211], v[144:145], v[114:115]
	v_fmac_f64_e32 v[210:211], v[146:147], v[112:113]
	s_waitcnt vmcnt(7) lgkmcnt(1)
	v_mul_f64 v[188:189], v[200:201], v[118:119]
	v_add_f64 v[208:209], v[208:209], v[210:211]
	v_fmac_f64_e32 v[188:189], v[202:203], v[116:117]
	v_mul_f64 v[154:155], v[206:207], v[154:155]
	s_waitcnt vmcnt(6) lgkmcnt(0)
	v_mul_f64 v[190:191], v[148:149], v[122:123]
	v_add_f64 v[188:189], v[208:209], v[188:189]
	v_fma_f64 v[248:249], v[204:205], v[152:153], -v[154:155]
	ds_read_b128 v[152:155], v2 offset:1344
	v_fmac_f64_e32 v[190:191], v[150:151], v[120:121]
	scratch_load_dwordx4 v[180:183], off, off offset:720
	v_add_f64 v[204:205], v[188:189], v[190:191]
	ds_read_b128 v[188:191], v2 offset:1360
	s_waitcnt vmcnt(6) lgkmcnt(1)
	v_mul_f64 v[206:207], v[152:153], v[126:127]
	v_mul_f64 v[158:159], v[194:195], v[158:159]
	v_fmac_f64_e32 v[206:207], v[154:155], v[124:125]
	v_fma_f64 v[250:251], v[192:193], v[156:157], -v[158:159]
	s_waitcnt vmcnt(5) lgkmcnt(0)
	v_mul_f64 v[192:193], v[188:189], v[130:131]
	v_add_f64 v[204:205], v[204:205], v[206:207]
	v_fmac_f64_e32 v[192:193], v[190:191], v[128:129]
	v_mul_f64 v[162:163], v[186:187], v[162:163]
	v_fma_f64 v[208:209], v[184:185], v[160:161], -v[162:163]
	v_add_f64 v[184:185], v[204:205], v[192:193]
	scratch_load_dwordx4 v[204:207], off, off offset:736
	ds_read_b128 v[156:159], v2 offset:1376
	ds_read_b128 v[160:163], v2 offset:1392
	v_mul_f64 v[166:167], v[198:199], v[166:167]
	v_fma_f64 v[210:211], v[196:197], v[164:165], -v[166:167]
	ds_read_b128 v[164:167], v2 offset:1424
	s_waitcnt vmcnt(5) lgkmcnt(2)
	v_mul_f64 v[186:187], v[156:157], v[138:139]
	v_fmac_f64_e32 v[186:187], v[158:159], v[136:137]
	v_add_f64 v[192:193], v[184:185], v[186:187]
	ds_read_b128 v[184:187], v2 offset:1408
	s_waitcnt vmcnt(4) lgkmcnt(2)
	v_mul_f64 v[194:195], v[160:161], v[134:135]
	v_fmac_f64_e32 v[194:195], v[162:163], v[132:133]
	v_add_f64 v[192:193], v[192:193], v[194:195]
	v_add_f64 v[244:245], v[244:245], 0
	;; [unrolled: 1-line block ×7, first 2 shown]
	v_mul_f64 v[6:7], v[66:67], v[6:7]
	v_add_f64 v[208:209], v[208:209], v[210:211]
	v_fma_f64 v[4:5], v[64:65], v[4:5], -v[6:7]
	v_mul_f64 v[6:7], v[62:63], v[10:11]
	v_add_f64 v[4:5], v[208:209], v[4:5]
	v_fma_f64 v[6:7], v[60:61], v[8:9], -v[6:7]
	v_add_f64 v[4:5], v[4:5], v[6:7]
	v_mul_f64 v[6:7], v[54:55], v[14:15]
	v_fma_f64 v[6:7], v[52:53], v[12:13], -v[6:7]
	v_add_f64 v[4:5], v[4:5], v[6:7]
	v_mul_f64 v[6:7], v[74:75], v[18:19]
	;; [unrolled: 3-line block ×8, first 2 shown]
	s_waitcnt vmcnt(3) lgkmcnt(0)
	v_mul_f64 v[194:195], v[184:185], v[174:175]
	v_fmac_f64_e32 v[194:195], v[186:187], v[172:173]
	v_add_f64 v[192:193], v[192:193], v[194:195]
	s_waitcnt vmcnt(2)
	v_mul_f64 v[194:195], v[164:165], v[178:179]
	v_fmac_f64_e32 v[194:195], v[166:167], v[176:177]
	v_add_f64 v[196:197], v[192:193], v[194:195]
	ds_read_b128 v[192:195], v2 offset:1440
	v_fma_f64 v[6:7], v[168:169], v[40:41], -v[6:7]
	v_add_f64 v[4:5], v[4:5], v[6:7]
	v_mul_f64 v[6:7], v[214:215], v[46:47]
	v_fma_f64 v[6:7], v[212:213], v[44:45], -v[6:7]
	v_add_f64 v[4:5], v[4:5], v[6:7]
	v_mul_f64 v[6:7], v[218:219], v[50:51]
	;; [unrolled: 3-line block ×4, first 2 shown]
	s_waitcnt vmcnt(1) lgkmcnt(0)
	v_mul_f64 v[198:199], v[192:193], v[182:183]
	v_fmac_f64_e32 v[198:199], v[194:195], v[180:181]
	v_add_f64 v[252:253], v[196:197], v[198:199]
	ds_read_b128 v[196:199], v2 offset:1456
	v_fma_f64 v[6:7], v[224:225], v[76:77], -v[6:7]
	v_add_f64 v[4:5], v[4:5], v[6:7]
	v_mul_f64 v[6:7], v[230:231], v[98:99]
	v_fma_f64 v[6:7], v[228:229], v[96:97], -v[6:7]
	v_add_f64 v[4:5], v[4:5], v[6:7]
	v_mul_f64 v[6:7], v[234:235], v[102:103]
	;; [unrolled: 3-line block ×3, first 2 shown]
	s_waitcnt vmcnt(0) lgkmcnt(0)
	v_mul_f64 v[2:3], v[196:197], v[206:207]
	v_fmac_f64_e32 v[2:3], v[198:199], v[204:205]
	v_add_f64 v[2:3], v[252:253], v[2:3]
	scratch_load_dwordx4 v[250:253], off, off offset:160
	v_fma_f64 v[6:7], v[236:237], v[104:105], -v[6:7]
	v_add_f64 v[4:5], v[4:5], v[6:7]
	v_mul_f64 v[6:7], v[142:143], v[110:111]
	v_fma_f64 v[6:7], v[140:141], v[108:109], -v[6:7]
	v_add_f64 v[4:5], v[4:5], v[6:7]
	v_mul_f64 v[6:7], v[146:147], v[114:115]
	;; [unrolled: 3-line block ×12, first 2 shown]
	v_fma_f64 v[6:7], v[196:197], v[204:205], -v[6:7]
	v_add_f64 v[4:5], v[4:5], v[6:7]
	s_waitcnt vmcnt(0)
	v_add_f64 v[4:5], v[250:251], -v[4:5]
	v_add_f64 v[6:7], v[252:253], -v[2:3]
	scratch_store_dwordx4 off, v[4:7], off offset:160
	s_and_saveexec_b64 s[0:1], vcc
	s_cbranch_execz .LBB109_273
; %bb.272:
	scratch_load_dwordx4 v[2:5], off, s54
	v_mov_b32_e32 v6, 0
	v_mov_b32_e32 v7, v6
	v_mov_b32_e32 v8, v6
	v_mov_b32_e32 v9, v6
	v_accvgpr_read_b32 v0, a93
	scratch_store_dwordx4 off, v[6:9], off offset:144
	s_waitcnt vmcnt(1)
	ds_write_b128 v0, v[2:5]
.LBB109_273:
	s_or_b64 exec, exec, s[0:1]
	s_waitcnt lgkmcnt(0)
	; wave barrier
	scratch_load_dwordx4 v[168:171], off, off offset:160
	scratch_load_dwordx4 v[172:175], off, off offset:176
	;; [unrolled: 1-line block ×32, first 2 shown]
	v_mov_b32_e32 v2, 0
	ds_read_b128 v[176:179], v2 offset:880
	ds_read_b128 v[188:191], v2 offset:896
	;; [unrolled: 1-line block ×17, first 2 shown]
	v_accvgpr_read_b32 v0, a92
	v_cmp_lt_u32_e32 vcc, 7, v0
	s_waitcnt vmcnt(31) lgkmcnt(14)
	v_mul_f64 v[104:105], v[176:177], v[170:171]
	s_waitcnt vmcnt(30)
	v_mul_f64 v[106:107], v[188:189], v[174:175]
	v_fmac_f64_e32 v[104:105], v[178:179], v[168:169]
	s_waitcnt vmcnt(29)
	v_mul_f64 v[108:109], v[200:201], v[182:183]
	v_fmac_f64_e32 v[106:107], v[190:191], v[172:173]
	v_add_f64 v[104:105], v[104:105], 0
	s_waitcnt vmcnt(28) lgkmcnt(13)
	v_mul_f64 v[110:111], v[212:213], v[186:187]
	v_fmac_f64_e32 v[108:109], v[202:203], v[180:181]
	v_add_f64 v[104:105], v[104:105], v[106:107]
	s_waitcnt vmcnt(27) lgkmcnt(12)
	v_mul_f64 v[120:121], v[220:221], v[194:195]
	v_fmac_f64_e32 v[110:111], v[214:215], v[184:185]
	v_add_f64 v[104:105], v[104:105], v[108:109]
	s_waitcnt vmcnt(26) lgkmcnt(11)
	v_mul_f64 v[122:123], v[224:225], v[198:199]
	v_fmac_f64_e32 v[120:121], v[222:223], v[192:193]
	v_add_f64 v[104:105], v[104:105], v[110:111]
	s_waitcnt vmcnt(25) lgkmcnt(10)
	v_mul_f64 v[132:133], v[228:229], v[206:207]
	v_fmac_f64_e32 v[122:123], v[226:227], v[196:197]
	v_add_f64 v[104:105], v[104:105], v[120:121]
	s_waitcnt vmcnt(24) lgkmcnt(9)
	v_mul_f64 v[134:135], v[248:249], v[210:211]
	v_fmac_f64_e32 v[132:133], v[230:231], v[204:205]
	v_add_f64 v[104:105], v[104:105], v[122:123]
	s_waitcnt vmcnt(23) lgkmcnt(8)
	v_mul_f64 v[144:145], v[252:253], v[218:219]
	v_fmac_f64_e32 v[134:135], v[250:251], v[208:209]
	v_add_f64 v[104:105], v[104:105], v[132:133]
	s_waitcnt vmcnt(22) lgkmcnt(7)
	v_mul_f64 v[146:147], v[140:141], v[6:7]
	v_fmac_f64_e32 v[144:145], v[254:255], v[216:217]
	v_add_f64 v[104:105], v[104:105], v[134:135]
	s_waitcnt vmcnt(21) lgkmcnt(6)
	v_mul_f64 v[148:149], v[136:137], v[10:11]
	v_fmac_f64_e32 v[146:147], v[142:143], v[4:5]
	v_add_f64 v[104:105], v[104:105], v[144:145]
	s_waitcnt vmcnt(20) lgkmcnt(5)
	v_mul_f64 v[150:151], v[128:129], v[14:15]
	v_fmac_f64_e32 v[148:149], v[138:139], v[8:9]
	v_add_f64 v[104:105], v[104:105], v[146:147]
	s_waitcnt vmcnt(19) lgkmcnt(4)
	v_mul_f64 v[152:153], v[124:125], v[18:19]
	v_fmac_f64_e32 v[150:151], v[130:131], v[12:13]
	v_add_f64 v[104:105], v[104:105], v[148:149]
	s_waitcnt vmcnt(18) lgkmcnt(3)
	v_mul_f64 v[154:155], v[116:117], v[22:23]
	v_fmac_f64_e32 v[152:153], v[126:127], v[16:17]
	v_add_f64 v[104:105], v[104:105], v[150:151]
	s_waitcnt vmcnt(17) lgkmcnt(2)
	v_mul_f64 v[156:157], v[112:113], v[26:27]
	v_fmac_f64_e32 v[154:155], v[118:119], v[20:21]
	v_add_f64 v[104:105], v[104:105], v[152:153]
	v_fmac_f64_e32 v[156:157], v[114:115], v[24:25]
	v_add_f64 v[104:105], v[104:105], v[154:155]
	s_waitcnt vmcnt(16) lgkmcnt(1)
	v_mul_f64 v[106:107], v[100:101], v[30:31]
	v_add_f64 v[104:105], v[104:105], v[156:157]
	v_fmac_f64_e32 v[106:107], v[102:103], v[28:29]
	v_add_f64 v[108:109], v[104:105], v[106:107]
	ds_read_b128 v[144:147], v2 offset:1152
	ds_read_b128 v[148:151], v2 offset:1168
	scratch_load_dwordx4 v[104:107], off, off offset:672
	s_waitcnt vmcnt(16) lgkmcnt(2)
	v_mul_f64 v[110:111], v[96:97], v[34:35]
	v_fmac_f64_e32 v[110:111], v[98:99], v[32:33]
	v_add_f64 v[120:121], v[108:109], v[110:111]
	scratch_load_dwordx4 v[108:111], off, off offset:688
	s_waitcnt vmcnt(16) lgkmcnt(1)
	v_mul_f64 v[122:123], v[144:145], v[38:39]
	v_fmac_f64_e32 v[122:123], v[146:147], v[36:37]
	v_add_f64 v[132:133], v[120:121], v[122:123]
	s_waitcnt vmcnt(15) lgkmcnt(0)
	v_mul_f64 v[134:135], v[148:149], v[42:43]
	scratch_load_dwordx4 v[120:123], off, off offset:704
	v_fmac_f64_e32 v[134:135], v[150:151], v[40:41]
	v_add_f64 v[160:161], v[132:133], v[134:135]
	scratch_load_dwordx4 v[132:135], off, off offset:720
	ds_read_b128 v[152:155], v2 offset:1184
	ds_read_b128 v[156:159], v2 offset:1200
	v_mul_f64 v[170:171], v[178:179], v[170:171]
	v_fma_f64 v[242:243], v[176:177], v[168:169], -v[170:171]
	ds_read_b128 v[168:171], v2 offset:1248
	s_waitcnt vmcnt(16) lgkmcnt(2)
	v_mul_f64 v[162:163], v[152:153], v[46:47]
	v_fmac_f64_e32 v[162:163], v[154:155], v[44:45]
	s_waitcnt vmcnt(15) lgkmcnt(1)
	v_mul_f64 v[166:167], v[156:157], v[50:51]
	v_add_f64 v[164:165], v[160:161], v[162:163]
	ds_read_b128 v[160:163], v2 offset:1216
	v_fmac_f64_e32 v[166:167], v[158:159], v[48:49]
	v_add_f64 v[232:233], v[164:165], v[166:167]
	ds_read_b128 v[164:167], v2 offset:1232
	v_mul_f64 v[174:175], v[190:191], v[174:175]
	s_waitcnt vmcnt(14) lgkmcnt(1)
	v_mul_f64 v[234:235], v[160:161], v[54:55]
	v_fmac_f64_e32 v[234:235], v[162:163], v[52:53]
	v_add_f64 v[232:233], v[232:233], v[234:235]
	s_waitcnt vmcnt(13) lgkmcnt(0)
	v_mul_f64 v[176:177], v[164:165], v[58:59]
	v_fmac_f64_e32 v[176:177], v[166:167], v[56:57]
	v_fma_f64 v[244:245], v[188:189], v[172:173], -v[174:175]
	ds_read_b128 v[172:175], v2 offset:1264
	s_waitcnt vmcnt(12)
	v_mul_f64 v[178:179], v[168:169], v[62:63]
	v_add_f64 v[176:177], v[232:233], v[176:177]
	v_fmac_f64_e32 v[178:179], v[170:171], v[60:61]
	v_add_f64 v[188:189], v[176:177], v[178:179]
	ds_read_b128 v[176:179], v2 offset:1280
	v_mul_f64 v[182:183], v[202:203], v[182:183]
	v_fma_f64 v[246:247], v[200:201], v[180:181], -v[182:183]
	ds_read_b128 v[180:183], v2 offset:1296
	s_waitcnt vmcnt(11) lgkmcnt(2)
	v_mul_f64 v[190:191], v[172:173], v[66:67]
	v_fmac_f64_e32 v[190:191], v[174:175], v[64:65]
	v_add_f64 v[188:189], v[188:189], v[190:191]
	s_waitcnt vmcnt(10) lgkmcnt(1)
	v_mul_f64 v[190:191], v[176:177], v[70:71]
	v_fmac_f64_e32 v[190:191], v[178:179], v[68:69]
	v_mul_f64 v[186:187], v[214:215], v[186:187]
	v_fma_f64 v[240:241], v[212:213], v[184:185], -v[186:187]
	ds_read_b128 v[184:187], v2 offset:1312
	v_add_f64 v[188:189], v[188:189], v[190:191]
	s_waitcnt vmcnt(9) lgkmcnt(1)
	v_mul_f64 v[190:191], v[180:181], v[74:75]
	v_fmac_f64_e32 v[190:191], v[182:183], v[72:73]
	v_add_f64 v[200:201], v[188:189], v[190:191]
	ds_read_b128 v[188:191], v2 offset:1328
	v_mul_f64 v[194:195], v[222:223], v[194:195]
	v_fma_f64 v[232:233], v[220:221], v[192:193], -v[194:195]
	ds_read_b128 v[192:195], v2 offset:1344
	s_waitcnt vmcnt(8) lgkmcnt(2)
	v_mul_f64 v[202:203], v[184:185], v[78:79]
	v_fmac_f64_e32 v[202:203], v[186:187], v[76:77]
	v_add_f64 v[200:201], v[200:201], v[202:203]
	s_waitcnt vmcnt(7) lgkmcnt(1)
	v_mul_f64 v[202:203], v[188:189], v[82:83]
	v_fmac_f64_e32 v[202:203], v[190:191], v[80:81]
	v_mul_f64 v[198:199], v[226:227], v[198:199]
	v_add_f64 v[200:201], v[200:201], v[202:203]
	v_fma_f64 v[234:235], v[224:225], v[196:197], -v[198:199]
	ds_read_b128 v[196:199], v2 offset:1360
	s_waitcnt vmcnt(6) lgkmcnt(1)
	v_mul_f64 v[202:203], v[192:193], v[86:87]
	v_fmac_f64_e32 v[202:203], v[194:195], v[84:85]
	v_add_f64 v[212:213], v[200:201], v[202:203]
	ds_read_b128 v[200:203], v2 offset:1376
	v_mul_f64 v[206:207], v[230:231], v[206:207]
	v_fma_f64 v[236:237], v[228:229], v[204:205], -v[206:207]
	ds_read_b128 v[204:207], v2 offset:1392
	s_waitcnt vmcnt(5) lgkmcnt(2)
	v_mul_f64 v[214:215], v[196:197], v[94:95]
	v_fmac_f64_e32 v[214:215], v[198:199], v[92:93]
	v_add_f64 v[212:213], v[212:213], v[214:215]
	s_waitcnt vmcnt(4) lgkmcnt(1)
	v_mul_f64 v[214:215], v[200:201], v[90:91]
	v_fmac_f64_e32 v[214:215], v[202:203], v[88:89]
	v_mul_f64 v[210:211], v[250:251], v[210:211]
	v_fma_f64 v[238:239], v[248:249], v[208:209], -v[210:211]
	ds_read_b128 v[208:211], v2 offset:1408
	v_add_f64 v[212:213], v[212:213], v[214:215]
	s_waitcnt vmcnt(3) lgkmcnt(1)
	v_mul_f64 v[214:215], v[204:205], v[106:107]
	v_fmac_f64_e32 v[214:215], v[206:207], v[104:105]
	v_add_f64 v[220:221], v[212:213], v[214:215]
	ds_read_b128 v[212:215], v2 offset:1424
	v_mul_f64 v[218:219], v[254:255], v[218:219]
	v_fma_f64 v[248:249], v[252:253], v[216:217], -v[218:219]
	ds_read_b128 v[216:219], v2 offset:1440
	ds_read_b128 v[224:227], v2 offset:1456
	s_waitcnt vmcnt(2) lgkmcnt(3)
	v_mul_f64 v[222:223], v[208:209], v[110:111]
	v_fmac_f64_e32 v[222:223], v[210:211], v[108:109]
	v_add_f64 v[220:221], v[220:221], v[222:223]
	s_waitcnt vmcnt(1) lgkmcnt(2)
	v_mul_f64 v[222:223], v[212:213], v[122:123]
	v_fmac_f64_e32 v[222:223], v[214:215], v[120:121]
	v_add_f64 v[220:221], v[220:221], v[222:223]
	;; [unrolled: 4-line block ×3, first 2 shown]
	scratch_load_dwordx4 v[220:223], off, off offset:736
	v_mul_f64 v[6:7], v[142:143], v[6:7]
	v_fma_f64 v[4:5], v[140:141], v[4:5], -v[6:7]
	v_mul_f64 v[6:7], v[138:139], v[10:11]
	v_fma_f64 v[6:7], v[136:137], v[8:9], -v[6:7]
	s_waitcnt vmcnt(0) lgkmcnt(0)
	v_mul_f64 v[230:231], v[224:225], v[222:223]
	v_fmac_f64_e32 v[230:231], v[226:227], v[220:221]
	v_add_f64 v[252:253], v[228:229], v[230:231]
	v_add_f64 v[228:229], v[242:243], 0
	;; [unrolled: 1-line block ×6, first 2 shown]
	scratch_load_dwordx4 v[228:231], off, off offset:144
	v_add_f64 v[232:233], v[250:251], v[234:235]
	v_add_f64 v[232:233], v[232:233], v[236:237]
	v_add_f64 v[232:233], v[232:233], v[238:239]
	v_add_f64 v[232:233], v[232:233], v[248:249]
	v_add_f64 v[4:5], v[232:233], v[4:5]
	v_add_f64 v[4:5], v[4:5], v[6:7]
	v_mul_f64 v[6:7], v[130:131], v[14:15]
	v_fma_f64 v[6:7], v[128:129], v[12:13], -v[6:7]
	v_add_f64 v[4:5], v[4:5], v[6:7]
	v_mul_f64 v[6:7], v[126:127], v[18:19]
	v_fma_f64 v[6:7], v[124:125], v[16:17], -v[6:7]
	v_add_f64 v[4:5], v[4:5], v[6:7]
	;; [unrolled: 3-line block ×26, first 2 shown]
	s_waitcnt vmcnt(0)
	v_add_f64 v[4:5], v[228:229], -v[4:5]
	v_add_f64 v[6:7], v[230:231], -v[252:253]
	scratch_store_dwordx4 off, v[4:7], off offset:144
	s_and_saveexec_b64 s[0:1], vcc
	s_cbranch_execz .LBB109_275
; %bb.274:
	scratch_load_dwordx4 v[6:9], off, s55
	v_mov_b32_e32 v3, v2
	v_mov_b32_e32 v4, v2
	;; [unrolled: 1-line block ×3, first 2 shown]
	v_accvgpr_read_b32 v0, a93
	scratch_store_dwordx4 off, v[2:5], off offset:128
	s_waitcnt vmcnt(1)
	ds_write_b128 v0, v[6:9]
.LBB109_275:
	s_or_b64 exec, exec, s[0:1]
	s_waitcnt lgkmcnt(0)
	; wave barrier
	scratch_load_dwordx4 v[168:171], off, off offset:144
	scratch_load_dwordx4 v[172:175], off, off offset:160
	;; [unrolled: 1-line block ×16, first 2 shown]
	ds_read_b128 v[232:235], v2 offset:864
	ds_read_b128 v[176:179], v2 offset:880
	scratch_load_dwordx4 v[32:35], off, off offset:400
	ds_read_b128 v[236:239], v2 offset:896
	ds_read_b128 v[188:191], v2 offset:912
	;; [unrolled: 1-line block ×5, first 2 shown]
	scratch_load_dwordx4 v[36:39], off, off offset:416
	ds_read_b128 v[224:227], v2 offset:976
	ds_read_b128 v[220:223], v2 offset:992
	;; [unrolled: 1-line block ×3, first 2 shown]
	scratch_load_dwordx4 v[40:43], off, off offset:432
	ds_read_b128 v[64:67], v2 offset:1024
	ds_read_b128 v[60:63], v2 offset:1040
	;; [unrolled: 1-line block ×4, first 2 shown]
	scratch_load_dwordx4 v[48:51], off, off offset:448
	ds_read_b128 v[80:83], v2 offset:1088
	ds_read_b128 v[72:75], v2 offset:1104
	;; [unrolled: 1-line block ×3, first 2 shown]
	scratch_load_dwordx4 v[76:79], off, off offset:464
	scratch_load_dwordx4 v[84:87], off, off offset:480
	;; [unrolled: 1-line block ×12, first 2 shown]
	v_accvgpr_read_b32 v0, a92
	v_cmp_lt_u32_e32 vcc, 6, v0
	s_waitcnt vmcnt(31) lgkmcnt(14)
	v_mul_f64 v[128:129], v[232:233], v[170:171]
	s_waitcnt vmcnt(30)
	v_mul_f64 v[130:131], v[176:177], v[174:175]
	v_fmac_f64_e32 v[128:129], v[234:235], v[168:169]
	s_waitcnt vmcnt(29)
	v_mul_f64 v[132:133], v[236:237], v[182:183]
	v_fmac_f64_e32 v[130:131], v[178:179], v[172:173]
	v_add_f64 v[128:129], v[128:129], 0
	s_waitcnt vmcnt(28) lgkmcnt(13)
	v_mul_f64 v[134:135], v[188:189], v[186:187]
	v_fmac_f64_e32 v[132:133], v[238:239], v[180:181]
	v_add_f64 v[128:129], v[128:129], v[130:131]
	s_waitcnt vmcnt(27) lgkmcnt(12)
	;; [unrolled: 4-line block ×13, first 2 shown]
	v_mul_f64 v[158:159], v[72:73], v[30:31]
	v_fmac_f64_e32 v[156:157], v[82:83], v[24:25]
	v_add_f64 v[128:129], v[128:129], v[154:155]
	v_add_f64 v[128:129], v[128:129], v[156:157]
	v_fmac_f64_e32 v[158:159], v[74:75], v[28:29]
	v_add_f64 v[132:133], v[128:129], v[158:159]
	ds_read_b128 v[144:147], v2 offset:1136
	ds_read_b128 v[148:151], v2 offset:1152
	scratch_load_dwordx4 v[128:131], off, off offset:656
	s_waitcnt vmcnt(16) lgkmcnt(2)
	v_mul_f64 v[134:135], v[68:69], v[34:35]
	v_fmac_f64_e32 v[134:135], v[70:71], v[32:33]
	s_waitcnt vmcnt(15) lgkmcnt(1)
	v_mul_f64 v[138:139], v[144:145], v[38:39]
	v_add_f64 v[136:137], v[132:133], v[134:135]
	scratch_load_dwordx4 v[132:135], off, off offset:672
	v_fmac_f64_e32 v[138:139], v[146:147], v[36:37]
	v_add_f64 v[140:141], v[136:137], v[138:139]
	s_waitcnt vmcnt(15) lgkmcnt(0)
	v_mul_f64 v[142:143], v[148:149], v[42:43]
	scratch_load_dwordx4 v[136:139], off, off offset:688
	v_fmac_f64_e32 v[142:143], v[150:151], v[40:41]
	v_add_f64 v[160:161], v[140:141], v[142:143]
	scratch_load_dwordx4 v[140:143], off, off offset:704
	ds_read_b128 v[152:155], v2 offset:1168
	ds_read_b128 v[156:159], v2 offset:1184
	v_mul_f64 v[170:171], v[234:235], v[170:171]
	v_mul_f64 v[174:175], v[178:179], v[174:175]
	v_mul_f64 v[182:183], v[238:239], v[182:183]
	s_waitcnt vmcnt(16) lgkmcnt(1)
	v_mul_f64 v[162:163], v[152:153], v[50:51]
	v_fmac_f64_e32 v[162:163], v[154:155], v[48:49]
	v_add_f64 v[164:165], v[160:161], v[162:163]
	ds_read_b128 v[160:163], v2 offset:1200
	s_waitcnt vmcnt(15) lgkmcnt(1)
	v_mul_f64 v[166:167], v[156:157], v[78:79]
	v_fmac_f64_e32 v[166:167], v[158:159], v[76:77]
	v_add_f64 v[240:241], v[164:165], v[166:167]
	ds_read_b128 v[164:167], v2 offset:1216
	s_waitcnt vmcnt(14) lgkmcnt(1)
	v_mul_f64 v[242:243], v[160:161], v[86:87]
	v_fmac_f64_e32 v[242:243], v[162:163], v[84:85]
	v_add_f64 v[240:241], v[240:241], v[242:243]
	v_fma_f64 v[242:243], v[232:233], v[168:169], -v[170:171]
	ds_read_b128 v[168:171], v2 offset:1232
	s_waitcnt vmcnt(13) lgkmcnt(1)
	v_mul_f64 v[232:233], v[164:165], v[90:91]
	v_fmac_f64_e32 v[232:233], v[166:167], v[88:89]
	v_add_f64 v[232:233], v[240:241], v[232:233]
	v_fma_f64 v[240:241], v[176:177], v[172:173], -v[174:175]
	ds_read_b128 v[172:175], v2 offset:1248
	s_waitcnt vmcnt(12) lgkmcnt(1)
	v_mul_f64 v[176:177], v[168:169], v[94:95]
	v_fmac_f64_e32 v[176:177], v[170:171], v[92:93]
	v_add_f64 v[232:233], v[232:233], v[176:177]
	ds_read_b128 v[176:179], v2 offset:1264
	v_fma_f64 v[236:237], v[236:237], v[180:181], -v[182:183]
	ds_read_b128 v[180:183], v2 offset:1280
	s_waitcnt vmcnt(11) lgkmcnt(2)
	v_mul_f64 v[234:235], v[172:173], v[98:99]
	v_fmac_f64_e32 v[234:235], v[174:175], v[96:97]
	v_add_f64 v[232:233], v[232:233], v[234:235]
	s_waitcnt vmcnt(10) lgkmcnt(1)
	v_mul_f64 v[234:235], v[176:177], v[102:103]
	v_fmac_f64_e32 v[234:235], v[178:179], v[100:101]
	v_mul_f64 v[186:187], v[190:191], v[186:187]
	s_waitcnt vmcnt(9) lgkmcnt(0)
	v_mul_f64 v[190:191], v[180:181], v[106:107]
	v_fma_f64 v[238:239], v[188:189], v[184:185], -v[186:187]
	ds_read_b128 v[184:187], v2 offset:1296
	v_add_f64 v[188:189], v[232:233], v[234:235]
	v_fmac_f64_e32 v[190:191], v[182:183], v[104:105]
	v_add_f64 v[232:233], v[188:189], v[190:191]
	ds_read_b128 v[188:191], v2 offset:1312
	v_mul_f64 v[194:195], v[230:231], v[194:195]
	v_fma_f64 v[244:245], v[228:229], v[192:193], -v[194:195]
	ds_read_b128 v[192:195], v2 offset:1328
	s_waitcnt vmcnt(8) lgkmcnt(2)
	v_mul_f64 v[234:235], v[184:185], v[110:111]
	v_fmac_f64_e32 v[234:235], v[186:187], v[108:109]
	s_waitcnt vmcnt(7) lgkmcnt(1)
	v_mul_f64 v[228:229], v[188:189], v[114:115]
	v_mul_f64 v[198:199], v[202:203], v[198:199]
	v_add_f64 v[232:233], v[232:233], v[234:235]
	v_fmac_f64_e32 v[228:229], v[190:191], v[112:113]
	v_fma_f64 v[246:247], v[200:201], v[196:197], -v[198:199]
	ds_read_b128 v[196:199], v2 offset:1344
	s_waitcnt vmcnt(6) lgkmcnt(1)
	v_mul_f64 v[200:201], v[192:193], v[118:119]
	v_add_f64 v[228:229], v[232:233], v[228:229]
	v_fmac_f64_e32 v[200:201], v[194:195], v[116:117]
	v_add_f64 v[228:229], v[228:229], v[200:201]
	ds_read_b128 v[200:203], v2 offset:1360
	v_mul_f64 v[206:207], v[214:215], v[206:207]
	v_add_f64 v[242:243], v[242:243], 0
	v_fma_f64 v[252:253], v[212:213], v[204:205], -v[206:207]
	ds_read_b128 v[204:207], v2 offset:1376
	v_add_f64 v[240:241], v[242:243], v[240:241]
	v_add_f64 v[236:237], v[240:241], v[236:237]
	;; [unrolled: 1-line block ×3, first 2 shown]
	s_waitcnt vmcnt(5) lgkmcnt(2)
	v_mul_f64 v[230:231], v[196:197], v[126:127]
	v_add_f64 v[236:237], v[236:237], v[244:245]
	v_fmac_f64_e32 v[230:231], v[198:199], v[124:125]
	s_waitcnt vmcnt(4) lgkmcnt(1)
	v_mul_f64 v[212:213], v[200:201], v[122:123]
	v_add_f64 v[236:237], v[236:237], v[246:247]
	v_add_f64 v[228:229], v[228:229], v[230:231]
	v_fmac_f64_e32 v[212:213], v[202:203], v[120:121]
	v_mul_f64 v[210:211], v[226:227], v[210:211]
	v_add_f64 v[252:253], v[236:237], v[252:253]
	scratch_load_dwordx4 v[236:239], off, off offset:128
	s_waitcnt vmcnt(4) lgkmcnt(0)
	v_mul_f64 v[214:215], v[204:205], v[130:131]
	v_fma_f64 v[248:249], v[224:225], v[208:209], -v[210:211]
	ds_read_b128 v[208:211], v2 offset:1392
	v_add_f64 v[212:213], v[228:229], v[212:213]
	v_fmac_f64_e32 v[214:215], v[206:207], v[128:129]
	v_add_f64 v[224:225], v[212:213], v[214:215]
	ds_read_b128 v[212:215], v2 offset:1408
	v_mul_f64 v[218:219], v[222:223], v[218:219]
	v_fma_f64 v[250:251], v[220:221], v[216:217], -v[218:219]
	ds_read_b128 v[216:219], v2 offset:1424
	s_waitcnt vmcnt(3) lgkmcnt(2)
	v_mul_f64 v[220:221], v[208:209], v[134:135]
	v_fmac_f64_e32 v[220:221], v[210:211], v[132:133]
	s_waitcnt vmcnt(2) lgkmcnt(1)
	v_mul_f64 v[222:223], v[212:213], v[138:139]
	v_add_f64 v[220:221], v[224:225], v[220:221]
	v_fmac_f64_e32 v[222:223], v[214:215], v[136:137]
	v_add_f64 v[220:221], v[220:221], v[222:223]
	ds_read_b128 v[224:227], v2 offset:1440
	scratch_load_dwordx4 v[232:235], off, off offset:736
	s_waitcnt vmcnt(2) lgkmcnt(1)
	v_mul_f64 v[222:223], v[216:217], v[142:143]
	v_fmac_f64_e32 v[222:223], v[218:219], v[140:141]
	v_add_f64 v[228:229], v[220:221], v[222:223]
	scratch_load_dwordx4 v[220:223], off, off offset:720
	v_add_f64 v[240:241], v[252:253], v[248:249]
	v_mul_f64 v[6:7], v[46:47], v[6:7]
	v_add_f64 v[240:241], v[240:241], v[250:251]
	v_fma_f64 v[4:5], v[44:45], v[4:5], -v[6:7]
	v_mul_f64 v[6:7], v[66:67], v[10:11]
	v_add_f64 v[4:5], v[240:241], v[4:5]
	v_fma_f64 v[6:7], v[64:65], v[8:9], -v[6:7]
	v_add_f64 v[4:5], v[4:5], v[6:7]
	v_mul_f64 v[6:7], v[62:63], v[14:15]
	v_fma_f64 v[6:7], v[60:61], v[12:13], -v[6:7]
	v_add_f64 v[4:5], v[4:5], v[6:7]
	v_mul_f64 v[6:7], v[58:59], v[18:19]
	;; [unrolled: 3-line block ×24, first 2 shown]
	v_fma_f64 v[6:7], v[212:213], v[136:137], -v[6:7]
	s_waitcnt vmcnt(0) lgkmcnt(0)
	v_mul_f64 v[230:231], v[224:225], v[222:223]
	v_fmac_f64_e32 v[230:231], v[226:227], v[220:221]
	v_add_f64 v[254:255], v[228:229], v[230:231]
	ds_read_b128 v[228:231], v2 offset:1456
	v_add_f64 v[4:5], v[4:5], v[6:7]
	v_mul_f64 v[6:7], v[218:219], v[142:143]
	v_fma_f64 v[6:7], v[216:217], v[140:141], -v[6:7]
	v_add_f64 v[4:5], v[4:5], v[6:7]
	v_mul_f64 v[6:7], v[226:227], v[222:223]
	v_fma_f64 v[6:7], v[224:225], v[220:221], -v[6:7]
	s_waitcnt lgkmcnt(0)
	v_mul_f64 v[2:3], v[228:229], v[234:235]
	v_add_f64 v[4:5], v[4:5], v[6:7]
	v_mul_f64 v[6:7], v[230:231], v[234:235]
	v_fmac_f64_e32 v[2:3], v[230:231], v[232:233]
	v_fma_f64 v[6:7], v[228:229], v[232:233], -v[6:7]
	v_add_f64 v[2:3], v[254:255], v[2:3]
	v_add_f64 v[4:5], v[4:5], v[6:7]
	v_add_f64 v[4:5], v[236:237], -v[4:5]
	v_add_f64 v[6:7], v[238:239], -v[2:3]
	scratch_store_dwordx4 off, v[4:7], off offset:128
	s_and_saveexec_b64 s[0:1], vcc
	s_cbranch_execz .LBB109_277
; %bb.276:
	scratch_load_dwordx4 v[2:5], off, s56
	v_mov_b32_e32 v6, 0
	v_mov_b32_e32 v7, v6
	;; [unrolled: 1-line block ×4, first 2 shown]
	v_accvgpr_read_b32 v0, a93
	scratch_store_dwordx4 off, v[6:9], off offset:112
	s_waitcnt vmcnt(1)
	ds_write_b128 v0, v[2:5]
.LBB109_277:
	s_or_b64 exec, exec, s[0:1]
	s_waitcnt lgkmcnt(0)
	; wave barrier
	scratch_load_dwordx4 v[80:83], off, off offset:128
	scratch_load_dwordx4 v[84:87], off, off offset:144
	;; [unrolled: 1-line block ×31, first 2 shown]
	v_mov_b32_e32 v2, 0
	ds_read_b128 v[196:199], v2 offset:848
	ds_read_b128 v[200:203], v2 offset:864
	;; [unrolled: 1-line block ×20, first 2 shown]
	s_waitcnt vmcnt(30) lgkmcnt(14)
	v_mul_f64 v[140:141], v[196:197], v[82:83]
	s_waitcnt vmcnt(29)
	v_mul_f64 v[142:143], v[200:201], v[86:87]
	v_fmac_f64_e32 v[140:141], v[198:199], v[80:81]
	s_waitcnt vmcnt(28)
	v_mul_f64 v[152:153], v[204:205], v[90:91]
	v_fmac_f64_e32 v[142:143], v[202:203], v[84:85]
	v_add_f64 v[140:141], v[140:141], 0
	s_waitcnt vmcnt(27)
	v_mul_f64 v[154:155], v[208:209], v[94:95]
	v_fmac_f64_e32 v[152:153], v[206:207], v[88:89]
	v_add_f64 v[140:141], v[140:141], v[142:143]
	;; [unrolled: 4-line block ×4, first 2 shown]
	s_waitcnt vmcnt(24) lgkmcnt(13)
	v_mul_f64 v[164:165], v[220:221], v[106:107]
	v_fmac_f64_e32 v[162:163], v[218:219], v[100:101]
	v_add_f64 v[140:141], v[140:141], v[160:161]
	s_waitcnt vmcnt(23) lgkmcnt(12)
	v_mul_f64 v[166:167], v[224:225], v[110:111]
	v_fmac_f64_e32 v[164:165], v[222:223], v[104:105]
	v_add_f64 v[140:141], v[140:141], v[162:163]
	;; [unrolled: 4-line block ×8, first 2 shown]
	v_fmac_f64_e32 v[178:179], v[146:147], v[12:13]
	v_add_f64 v[140:141], v[140:141], v[176:177]
	v_add_f64 v[140:141], v[140:141], v[178:179]
	ds_read_b128 v[176:179], v2 offset:1120
	s_waitcnt vmcnt(16) lgkmcnt(6)
	v_mul_f64 v[180:181], v[136:137], v[18:19]
	s_waitcnt vmcnt(15) lgkmcnt(5)
	v_mul_f64 v[182:183], v[132:133], v[22:23]
	v_fmac_f64_e32 v[180:181], v[138:139], v[16:17]
	v_add_f64 v[152:153], v[140:141], v[180:181]
	v_fmac_f64_e32 v[182:183], v[134:135], v[20:21]
	scratch_load_dwordx4 v[140:143], off, off offset:624
	s_waitcnt vmcnt(15) lgkmcnt(4)
	v_mul_f64 v[154:155], v[128:129], v[26:27]
	v_add_f64 v[152:153], v[152:153], v[182:183]
	v_fmac_f64_e32 v[154:155], v[130:131], v[24:25]
	v_add_f64 v[160:161], v[152:153], v[154:155]
	ds_read_b128 v[180:183], v2 offset:1136
	s_waitcnt vmcnt(14) lgkmcnt(1)
	v_mul_f64 v[162:163], v[176:177], v[30:31]
	scratch_load_dwordx4 v[152:155], off, off offset:640
	v_fmac_f64_e32 v[162:163], v[178:179], v[28:29]
	v_add_f64 v[164:165], v[160:161], v[162:163]
	scratch_load_dwordx4 v[160:163], off, off offset:656
	s_waitcnt vmcnt(15) lgkmcnt(0)
	v_mul_f64 v[166:167], v[180:181], v[34:35]
	v_fmac_f64_e32 v[166:167], v[182:183], v[32:33]
	v_add_f64 v[168:169], v[164:165], v[166:167]
	s_waitcnt vmcnt(14)
	v_mul_f64 v[170:171], v[184:185], v[38:39]
	scratch_load_dwordx4 v[164:167], off, off offset:672
	v_fmac_f64_e32 v[170:171], v[186:187], v[36:37]
	v_add_f64 v[168:169], v[168:169], v[170:171]
	s_waitcnt vmcnt(14)
	v_mul_f64 v[170:171], v[188:189], v[42:43]
	scratch_load_dwordx4 v[172:175], off, off offset:688
	v_fmac_f64_e32 v[170:171], v[190:191], v[40:41]
	v_add_f64 v[232:233], v[168:169], v[170:171]
	scratch_load_dwordx4 v[168:171], off, off offset:704
	v_mul_f64 v[82:83], v[198:199], v[82:83]
	v_fma_f64 v[240:241], v[196:197], v[80:81], -v[82:83]
	ds_read_b128 v[196:199], v2 offset:1200
	s_waitcnt vmcnt(15)
	v_mul_f64 v[80:81], v[192:193], v[46:47]
	v_fmac_f64_e32 v[80:81], v[194:195], v[44:45]
	v_add_f64 v[232:233], v[232:233], v[80:81]
	v_mul_f64 v[80:81], v[202:203], v[86:87]
	v_fma_f64 v[242:243], v[200:201], v[84:85], -v[80:81]
	scratch_load_dwordx4 v[80:83], off, off offset:720
	ds_read_b128 v[84:87], v2 offset:1216
	v_mul_f64 v[90:91], v[206:207], v[90:91]
	v_fma_f64 v[244:245], v[204:205], v[88:89], -v[90:91]
	ds_read_b128 v[88:91], v2 offset:1232
	s_waitcnt vmcnt(15) lgkmcnt(2)
	v_mul_f64 v[200:201], v[196:197], v[50:51]
	v_fmac_f64_e32 v[200:201], v[198:199], v[48:49]
	s_waitcnt vmcnt(14) lgkmcnt(1)
	v_mul_f64 v[202:203], v[84:85], v[54:55]
	v_add_f64 v[200:201], v[232:233], v[200:201]
	v_fmac_f64_e32 v[202:203], v[86:87], v[52:53]
	v_mul_f64 v[94:95], v[210:211], v[94:95]
	v_fma_f64 v[246:247], v[208:209], v[92:93], -v[94:95]
	ds_read_b128 v[92:95], v2 offset:1248
	v_add_f64 v[200:201], v[200:201], v[202:203]
	s_waitcnt vmcnt(13) lgkmcnt(1)
	v_mul_f64 v[202:203], v[88:89], v[58:59]
	v_fmac_f64_e32 v[202:203], v[90:91], v[56:57]
	v_add_f64 v[204:205], v[200:201], v[202:203]
	ds_read_b128 v[200:203], v2 offset:1264
	v_mul_f64 v[98:99], v[214:215], v[98:99]
	v_fma_f64 v[232:233], v[212:213], v[96:97], -v[98:99]
	ds_read_b128 v[96:99], v2 offset:1280
	s_waitcnt vmcnt(12) lgkmcnt(2)
	v_mul_f64 v[206:207], v[92:93], v[62:63]
	v_fmac_f64_e32 v[206:207], v[94:95], v[60:61]
	v_add_f64 v[204:205], v[204:205], v[206:207]
	s_waitcnt vmcnt(11) lgkmcnt(1)
	v_mul_f64 v[206:207], v[200:201], v[66:67]
	v_fmac_f64_e32 v[206:207], v[202:203], v[64:65]
	v_mul_f64 v[102:103], v[218:219], v[102:103]
	v_add_f64 v[204:205], v[204:205], v[206:207]
	v_fma_f64 v[4:5], v[216:217], v[100:101], -v[102:103]
	ds_read_b128 v[100:103], v2 offset:1296
	s_waitcnt vmcnt(10) lgkmcnt(1)
	v_mul_f64 v[206:207], v[96:97], v[70:71]
	v_fmac_f64_e32 v[206:207], v[98:99], v[68:69]
	v_add_f64 v[208:209], v[204:205], v[206:207]
	ds_read_b128 v[204:207], v2 offset:1312
	v_mul_f64 v[106:107], v[222:223], v[106:107]
	v_fma_f64 v[0:1], v[220:221], v[104:105], -v[106:107]
	ds_read_b128 v[104:107], v2 offset:1328
	s_waitcnt vmcnt(9) lgkmcnt(2)
	v_mul_f64 v[210:211], v[100:101], v[74:75]
	v_fmac_f64_e32 v[210:211], v[102:103], v[72:73]
	v_add_f64 v[208:209], v[208:209], v[210:211]
	s_waitcnt vmcnt(8) lgkmcnt(1)
	v_mul_f64 v[210:211], v[204:205], v[78:79]
	v_fmac_f64_e32 v[210:211], v[206:207], v[76:77]
	v_mul_f64 v[6:7], v[226:227], v[110:111]
	v_fma_f64 v[6:7], v[224:225], v[108:109], -v[6:7]
	ds_read_b128 v[108:111], v2 offset:1344
	v_add_f64 v[208:209], v[208:209], v[210:211]
	s_waitcnt vmcnt(7) lgkmcnt(1)
	v_mul_f64 v[210:211], v[104:105], v[126:127]
	v_fmac_f64_e32 v[210:211], v[106:107], v[124:125]
	v_mul_f64 v[114:115], v[230:231], v[114:115]
	v_add_f64 v[212:213], v[208:209], v[210:211]
	ds_read_b128 v[208:211], v2 offset:1360
	v_fma_f64 v[112:113], v[228:229], v[112:113], -v[114:115]
	v_accvgpr_write_b32 a94, v112
	v_accvgpr_write_b32 a95, v113
	ds_read_b128 v[112:115], v2 offset:1376
	s_waitcnt vmcnt(6) lgkmcnt(2)
	v_mul_f64 v[214:215], v[108:109], v[142:143]
	v_fmac_f64_e32 v[214:215], v[110:111], v[140:141]
	v_add_f64 v[212:213], v[212:213], v[214:215]
	s_waitcnt vmcnt(5) lgkmcnt(1)
	v_mul_f64 v[214:215], v[208:209], v[154:155]
	v_fmac_f64_e32 v[214:215], v[210:211], v[152:153]
	v_mul_f64 v[118:119], v[250:251], v[118:119]
	v_add_f64 v[212:213], v[212:213], v[214:215]
	v_fma_f64 v[238:239], v[248:249], v[116:117], -v[118:119]
	ds_read_b128 v[116:119], v2 offset:1392
	s_waitcnt vmcnt(4) lgkmcnt(1)
	v_mul_f64 v[214:215], v[112:113], v[162:163]
	v_fmac_f64_e32 v[214:215], v[114:115], v[160:161]
	v_add_f64 v[216:217], v[212:213], v[214:215]
	ds_read_b128 v[212:215], v2 offset:1408
	v_mul_f64 v[122:123], v[254:255], v[122:123]
	v_fma_f64 v[248:249], v[252:253], v[120:121], -v[122:123]
	ds_read_b128 v[120:123], v2 offset:1424
	s_waitcnt vmcnt(3) lgkmcnt(2)
	v_mul_f64 v[218:219], v[116:117], v[166:167]
	v_fmac_f64_e32 v[218:219], v[118:119], v[164:165]
	v_add_f64 v[216:217], v[216:217], v[218:219]
	s_waitcnt vmcnt(2) lgkmcnt(1)
	v_mul_f64 v[218:219], v[212:213], v[174:175]
	v_fmac_f64_e32 v[218:219], v[214:215], v[172:173]
	v_add_f64 v[216:217], v[216:217], v[218:219]
	;; [unrolled: 4-line block ×3, first 2 shown]
	ds_read_b128 v[216:219], v2 offset:1440
	ds_read_b128 v[224:227], v2 offset:1456
	s_waitcnt vmcnt(0) lgkmcnt(1)
	v_mul_f64 v[222:223], v[216:217], v[82:83]
	v_fmac_f64_e32 v[222:223], v[218:219], v[80:81]
	v_add_f64 v[228:229], v[220:221], v[222:223]
	scratch_load_dwordx4 v[220:223], off, off offset:736
	s_waitcnt vmcnt(0) lgkmcnt(0)
	v_mul_f64 v[230:231], v[224:225], v[222:223]
	v_fmac_f64_e32 v[230:231], v[226:227], v[220:221]
	v_add_f64 v[252:253], v[228:229], v[230:231]
	v_add_f64 v[228:229], v[240:241], 0
	;; [unrolled: 1-line block ×7, first 2 shown]
	scratch_load_dwordx4 v[228:231], off, off offset:112
	v_add_f64 v[250:251], v[4:5], v[0:1]
	v_accvgpr_read_b32 v4, a94
	v_add_f64 v[0:1], v[250:251], v[6:7]
	v_accvgpr_read_b32 v5, a95
	v_add_f64 v[0:1], v[0:1], v[4:5]
	v_add_f64 v[0:1], v[0:1], v[238:239]
	v_mul_f64 v[4:5], v[158:159], v[236:237]
	v_add_f64 v[0:1], v[0:1], v[248:249]
	v_fma_f64 v[4:5], v[156:157], v[234:235], -v[4:5]
	v_add_f64 v[0:1], v[0:1], v[4:5]
	v_mul_f64 v[4:5], v[150:151], v[10:11]
	v_fma_f64 v[4:5], v[148:149], v[8:9], -v[4:5]
	v_add_f64 v[0:1], v[0:1], v[4:5]
	v_mul_f64 v[4:5], v[146:147], v[14:15]
	;; [unrolled: 3-line block ×27, first 2 shown]
	v_fma_f64 v[4:5], v[224:225], v[220:221], -v[4:5]
	v_add_f64 v[0:1], v[0:1], v[4:5]
	s_waitcnt vmcnt(0)
	v_add_f64 v[4:5], v[228:229], -v[0:1]
	v_accvgpr_read_b32 v0, a92
	v_add_f64 v[6:7], v[230:231], -v[252:253]
	v_cmp_lt_u32_e32 vcc, 5, v0
	scratch_store_dwordx4 off, v[4:7], off offset:112
	s_and_saveexec_b64 s[0:1], vcc
	s_cbranch_execz .LBB109_279
; %bb.278:
	scratch_load_dwordx4 v[6:9], off, s57
	v_mov_b32_e32 v3, v2
	v_mov_b32_e32 v4, v2
	;; [unrolled: 1-line block ×3, first 2 shown]
	v_accvgpr_read_b32 v0, a93
	scratch_store_dwordx4 off, v[2:5], off offset:96
	s_waitcnt vmcnt(1)
	ds_write_b128 v0, v[6:9]
.LBB109_279:
	s_or_b64 exec, exec, s[0:1]
	s_waitcnt lgkmcnt(0)
	; wave barrier
	scratch_load_dwordx4 v[132:135], off, off offset:112
	scratch_load_dwordx4 v[160:163], off, off offset:128
	scratch_load_dwordx4 v[164:167], off, off offset:144
	scratch_load_dwordx4 v[168:171], off, off offset:160
	scratch_load_dwordx4 v[176:179], off, off offset:176
	scratch_load_dwordx4 v[180:183], off, off offset:192
	scratch_load_dwordx4 v[188:191], off, off offset:208
	scratch_load_dwordx4 v[192:195], off, off offset:224
	scratch_load_dwordx4 v[200:203], off, off offset:240
	scratch_load_dwordx4 v[204:207], off, off offset:256
	scratch_load_dwordx4 v[212:215], off, off offset:272
	scratch_load_dwordx4 v[4:7], off, off offset:288
	scratch_load_dwordx4 v[8:11], off, off offset:304
	scratch_load_dwordx4 v[12:15], off, off offset:320
	scratch_load_dwordx4 v[16:19], off, off offset:336
	scratch_load_dwordx4 v[20:23], off, off offset:352
	ds_read_b128 v[156:159], v2 offset:832
	ds_read_b128 v[172:175], v2 offset:848
	scratch_load_dwordx4 v[24:27], off, off offset:368
	ds_read_b128 v[232:235], v2 offset:864
	ds_read_b128 v[228:231], v2 offset:880
	scratch_load_dwordx4 v[28:31], off, off offset:384
	ds_read_b128 v[236:239], v2 offset:896
	ds_read_b128 v[184:187], v2 offset:912
	;; [unrolled: 1-line block ×5, first 2 shown]
	scratch_load_dwordx4 v[32:35], off, off offset:400
	ds_read_b128 v[220:223], v2 offset:976
	ds_read_b128 v[216:219], v2 offset:992
	;; [unrolled: 1-line block ×3, first 2 shown]
	scratch_load_dwordx4 v[36:39], off, off offset:416
	ds_read_b128 v[64:67], v2 offset:1024
	ds_read_b128 v[60:63], v2 offset:1040
	;; [unrolled: 1-line block ×5, first 2 shown]
	scratch_load_dwordx4 v[52:55], off, off offset:432
	scratch_load_dwordx4 v[68:71], off, off offset:448
	;; [unrolled: 1-line block ×11, first 2 shown]
	ds_read_b128 v[144:147], v2 offset:1136
	ds_read_b128 v[148:151], v2 offset:1152
	ds_read_b128 v[152:155], v2 offset:1168
	s_waitcnt vmcnt(30) lgkmcnt(14)
	v_mul_f64 v[0:1], v[156:157], v[134:135]
	s_waitcnt vmcnt(29)
	v_mul_f64 v[108:109], v[172:173], v[162:163]
	v_fmac_f64_e32 v[0:1], v[158:159], v[132:133]
	s_waitcnt vmcnt(28)
	v_mul_f64 v[110:111], v[232:233], v[166:167]
	v_fmac_f64_e32 v[108:109], v[174:175], v[160:161]
	v_add_f64 v[0:1], v[0:1], 0
	s_waitcnt vmcnt(27)
	v_mul_f64 v[112:113], v[228:229], v[170:171]
	v_fmac_f64_e32 v[110:111], v[234:235], v[164:165]
	v_add_f64 v[0:1], v[0:1], v[108:109]
	;; [unrolled: 4-line block ×4, first 2 shown]
	s_waitcnt vmcnt(24) lgkmcnt(13)
	v_mul_f64 v[118:119], v[224:225], v[190:191]
	v_fmac_f64_e32 v[116:117], v[186:187], v[180:181]
	v_add_f64 v[0:1], v[0:1], v[114:115]
	s_waitcnt vmcnt(23) lgkmcnt(12)
	v_mul_f64 v[120:121], v[196:197], v[194:195]
	v_fmac_f64_e32 v[118:119], v[226:227], v[188:189]
	v_add_f64 v[0:1], v[0:1], v[116:117]
	;; [unrolled: 4-line block ×9, first 2 shown]
	v_fmac_f64_e32 v[138:139], v[58:59], v[16:17]
	v_add_f64 v[0:1], v[0:1], v[136:137]
	v_add_f64 v[0:1], v[0:1], v[138:139]
	ds_read_b128 v[136:139], v2 offset:1104
	s_waitcnt vmcnt(15) lgkmcnt(5)
	v_mul_f64 v[140:141], v[48:49], v[22:23]
	v_fmac_f64_e32 v[140:141], v[50:51], v[20:21]
	s_waitcnt vmcnt(14) lgkmcnt(4)
	v_mul_f64 v[112:113], v[44:45], v[26:27]
	scratch_load_dwordx4 v[108:111], off, off offset:608
	v_add_f64 v[0:1], v[0:1], v[140:141]
	v_fmac_f64_e32 v[112:113], v[46:47], v[24:25]
	v_add_f64 v[0:1], v[0:1], v[112:113]
	scratch_load_dwordx4 v[112:115], off, off offset:624
	ds_read_b128 v[140:143], v2 offset:1120
	s_waitcnt vmcnt(15) lgkmcnt(1)
	v_mul_f64 v[116:117], v[136:137], v[30:31]
	v_fmac_f64_e32 v[116:117], v[138:139], v[28:29]
	v_add_f64 v[0:1], v[0:1], v[116:117]
	scratch_load_dwordx4 v[116:119], off, off offset:640
	s_waitcnt vmcnt(15) lgkmcnt(0)
	v_mul_f64 v[120:121], v[140:141], v[34:35]
	v_fmac_f64_e32 v[120:121], v[142:143], v[32:33]
	s_waitcnt vmcnt(14)
	v_mul_f64 v[124:125], v[144:145], v[38:39]
	v_add_f64 v[0:1], v[0:1], v[120:121]
	scratch_load_dwordx4 v[120:123], off, off offset:656
	v_fmac_f64_e32 v[124:125], v[146:147], v[36:37]
	v_add_f64 v[0:1], v[0:1], v[124:125]
	s_waitcnt vmcnt(14)
	v_mul_f64 v[124:125], v[148:149], v[54:55]
	scratch_load_dwordx4 v[128:131], off, off offset:672
	v_fmac_f64_e32 v[124:125], v[150:151], v[52:53]
	v_add_f64 v[0:1], v[0:1], v[124:125]
	scratch_load_dwordx4 v[124:127], off, off offset:688
	v_mul_f64 v[134:135], v[158:159], v[134:135]
	v_fma_f64 v[240:241], v[156:157], v[132:133], -v[134:135]
	ds_read_b128 v[156:159], v2 offset:1184
	s_waitcnt vmcnt(15)
	v_mul_f64 v[132:133], v[152:153], v[70:71]
	v_fmac_f64_e32 v[132:133], v[154:155], v[68:69]
	v_add_f64 v[0:1], v[0:1], v[132:133]
	v_mul_f64 v[132:133], v[174:175], v[162:163]
	v_fma_f64 v[242:243], v[172:173], v[160:161], -v[132:133]
	scratch_load_dwordx4 v[132:135], off, off offset:704
	ds_read_b128 v[160:163], v2 offset:1200
	v_mul_f64 v[166:167], v[234:235], v[166:167]
	v_fma_f64 v[244:245], v[232:233], v[164:165], -v[166:167]
	ds_read_b128 v[164:167], v2 offset:1216
	s_waitcnt vmcnt(15) lgkmcnt(2)
	v_mul_f64 v[172:173], v[156:157], v[74:75]
	v_fmac_f64_e32 v[172:173], v[158:159], v[72:73]
	v_add_f64 v[0:1], v[0:1], v[172:173]
	s_waitcnt vmcnt(14) lgkmcnt(1)
	v_mul_f64 v[172:173], v[160:161], v[78:79]
	v_fmac_f64_e32 v[172:173], v[162:163], v[76:77]
	v_mul_f64 v[170:171], v[230:231], v[170:171]
	v_fma_f64 v[246:247], v[228:229], v[168:169], -v[170:171]
	ds_read_b128 v[168:171], v2 offset:1232
	v_add_f64 v[0:1], v[0:1], v[172:173]
	s_waitcnt vmcnt(13) lgkmcnt(1)
	v_mul_f64 v[172:173], v[164:165], v[82:83]
	v_fmac_f64_e32 v[172:173], v[166:167], v[80:81]
	v_add_f64 v[0:1], v[0:1], v[172:173]
	ds_read_b128 v[172:175], v2 offset:1248
	v_mul_f64 v[178:179], v[238:239], v[178:179]
	v_fma_f64 v[236:237], v[236:237], v[176:177], -v[178:179]
	ds_read_b128 v[176:179], v2 offset:1264
	s_waitcnt vmcnt(12) lgkmcnt(2)
	v_mul_f64 v[228:229], v[168:169], v[86:87]
	v_fmac_f64_e32 v[228:229], v[170:171], v[84:85]
	v_add_f64 v[0:1], v[0:1], v[228:229]
	s_waitcnt vmcnt(11) lgkmcnt(1)
	v_mul_f64 v[228:229], v[172:173], v[90:91]
	v_mul_f64 v[182:183], v[186:187], v[182:183]
	v_fmac_f64_e32 v[228:229], v[174:175], v[88:89]
	v_fma_f64 v[238:239], v[184:185], v[180:181], -v[182:183]
	ds_read_b128 v[180:183], v2 offset:1280
	s_waitcnt vmcnt(10) lgkmcnt(1)
	v_mul_f64 v[184:185], v[176:177], v[94:95]
	v_add_f64 v[0:1], v[0:1], v[228:229]
	v_fmac_f64_e32 v[184:185], v[178:179], v[92:93]
	v_add_f64 v[0:1], v[0:1], v[184:185]
	ds_read_b128 v[184:187], v2 offset:1296
	v_mul_f64 v[190:191], v[226:227], v[190:191]
	v_fma_f64 v[252:253], v[224:225], v[188:189], -v[190:191]
	ds_read_b128 v[188:191], v2 offset:1312
	s_waitcnt vmcnt(9) lgkmcnt(2)
	v_mul_f64 v[228:229], v[180:181], v[98:99]
	v_fmac_f64_e32 v[228:229], v[182:183], v[96:97]
	s_waitcnt vmcnt(8) lgkmcnt(1)
	v_mul_f64 v[224:225], v[184:185], v[102:103]
	v_mul_f64 v[194:195], v[198:199], v[194:195]
	v_add_f64 v[0:1], v[0:1], v[228:229]
	v_fmac_f64_e32 v[224:225], v[186:187], v[100:101]
	v_fma_f64 v[254:255], v[196:197], v[192:193], -v[194:195]
	s_waitcnt vmcnt(7) lgkmcnt(0)
	v_mul_f64 v[196:197], v[188:189], v[106:107]
	ds_read_b128 v[192:195], v2 offset:1328
	v_add_f64 v[0:1], v[0:1], v[224:225]
	v_fmac_f64_e32 v[196:197], v[190:191], v[104:105]
	v_add_f64 v[0:1], v[0:1], v[196:197]
	ds_read_b128 v[196:199], v2 offset:1344
	v_mul_f64 v[202:203], v[210:211], v[202:203]
	v_fma_f64 v[248:249], v[208:209], v[200:201], -v[202:203]
	ds_read_b128 v[200:203], v2 offset:1360
	s_waitcnt vmcnt(6) lgkmcnt(2)
	v_mul_f64 v[224:225], v[192:193], v[110:111]
	v_fmac_f64_e32 v[224:225], v[194:195], v[108:109]
	s_waitcnt vmcnt(5) lgkmcnt(1)
	v_mul_f64 v[208:209], v[196:197], v[114:115]
	v_add_f64 v[0:1], v[0:1], v[224:225]
	v_fmac_f64_e32 v[208:209], v[198:199], v[112:113]
	v_add_f64 v[208:209], v[0:1], v[208:209]
	v_mul_f64 v[0:1], v[222:223], v[206:207]
	v_fma_f64 v[0:1], v[220:221], v[204:205], -v[0:1]
	ds_read_b128 v[204:207], v2 offset:1376
	s_waitcnt vmcnt(4) lgkmcnt(1)
	v_mul_f64 v[210:211], v[200:201], v[118:119]
	v_fmac_f64_e32 v[210:211], v[202:203], v[116:117]
	v_add_f64 v[220:221], v[208:209], v[210:211]
	ds_read_b128 v[208:211], v2 offset:1392
	v_mul_f64 v[214:215], v[218:219], v[214:215]
	v_fma_f64 v[250:251], v[216:217], v[212:213], -v[214:215]
	ds_read_b128 v[212:215], v2 offset:1408
	s_waitcnt vmcnt(3) lgkmcnt(2)
	v_mul_f64 v[216:217], v[204:205], v[122:123]
	v_fmac_f64_e32 v[216:217], v[206:207], v[120:121]
	s_waitcnt vmcnt(2) lgkmcnt(1)
	v_mul_f64 v[218:219], v[208:209], v[130:131]
	v_add_f64 v[216:217], v[220:221], v[216:217]
	v_fmac_f64_e32 v[218:219], v[210:211], v[128:129]
	v_add_f64 v[216:217], v[216:217], v[218:219]
	s_waitcnt vmcnt(1) lgkmcnt(0)
	v_mul_f64 v[218:219], v[212:213], v[126:127]
	v_fmac_f64_e32 v[218:219], v[214:215], v[124:125]
	v_add_f64 v[220:221], v[216:217], v[218:219]
	ds_read_b128 v[216:219], v2 offset:1424
	ds_read_b128 v[224:227], v2 offset:1440
	scratch_load_dwordx4 v[232:235], off, off offset:736
	v_accvgpr_write_b32 a95, v1
	v_accvgpr_write_b32 a94, v0
	s_waitcnt vmcnt(1) lgkmcnt(1)
	v_mul_f64 v[222:223], v[216:217], v[134:135]
	v_fmac_f64_e32 v[222:223], v[218:219], v[132:133]
	v_add_f64 v[228:229], v[220:221], v[222:223]
	scratch_load_dwordx4 v[220:223], off, off offset:720
	v_mul_f64 v[6:7], v[42:43], v[6:7]
	v_fma_f64 v[4:5], v[40:41], v[4:5], -v[6:7]
	s_waitcnt vmcnt(0) lgkmcnt(0)
	v_mul_f64 v[230:231], v[224:225], v[222:223]
	v_fmac_f64_e32 v[230:231], v[226:227], v[220:221]
	v_add_f64 v[0:1], v[228:229], v[230:231]
	ds_read_b128 v[228:231], v2 offset:1456
	s_waitcnt lgkmcnt(0)
	v_mul_f64 v[2:3], v[228:229], v[234:235]
	v_fmac_f64_e32 v[2:3], v[230:231], v[232:233]
	v_add_f64 v[2:3], v[0:1], v[2:3]
	v_add_f64 v[0:1], v[240:241], 0
	;; [unrolled: 1-line block ×7, first 2 shown]
	scratch_load_dwordx4 v[236:239], off, off offset:96
	v_add_f64 v[0:1], v[0:1], v[252:253]
	v_add_f64 v[0:1], v[0:1], v[254:255]
	;; [unrolled: 1-line block ×3, first 2 shown]
	v_accvgpr_read_b32 v0, a94
	v_accvgpr_read_b32 v1, a95
	v_add_f64 v[0:1], v[252:253], v[0:1]
	v_add_f64 v[0:1], v[0:1], v[250:251]
	;; [unrolled: 1-line block ×3, first 2 shown]
	v_mul_f64 v[4:5], v[66:67], v[10:11]
	v_fma_f64 v[4:5], v[64:65], v[8:9], -v[4:5]
	v_add_f64 v[0:1], v[0:1], v[4:5]
	v_mul_f64 v[4:5], v[62:63], v[14:15]
	v_fma_f64 v[4:5], v[60:61], v[12:13], -v[4:5]
	v_add_f64 v[0:1], v[0:1], v[4:5]
	;; [unrolled: 3-line block ×28, first 2 shown]
	s_waitcnt vmcnt(0)
	v_add_f64 v[4:5], v[236:237], -v[0:1]
	v_accvgpr_read_b32 v0, a92
	v_add_f64 v[6:7], v[238:239], -v[2:3]
	v_cmp_lt_u32_e32 vcc, 4, v0
	scratch_store_dwordx4 off, v[4:7], off offset:96
	s_and_saveexec_b64 s[0:1], vcc
	s_cbranch_execz .LBB109_281
; %bb.280:
	scratch_load_dwordx4 v[2:5], off, s58
	v_mov_b32_e32 v6, 0
	v_mov_b32_e32 v7, v6
	v_mov_b32_e32 v8, v6
	v_mov_b32_e32 v9, v6
	v_accvgpr_read_b32 v0, a93
	scratch_store_dwordx4 off, v[6:9], off offset:80
	s_waitcnt vmcnt(1)
	ds_write_b128 v0, v[2:5]
.LBB109_281:
	s_or_b64 exec, exec, s[0:1]
	s_waitcnt lgkmcnt(0)
	; wave barrier
	scratch_load_dwordx4 v[112:115], off, off offset:96
	scratch_load_dwordx4 v[116:119], off, off offset:112
	;; [unrolled: 1-line block ×30, first 2 shown]
	v_mov_b32_e32 v2, 0
	ds_read_b128 v[144:147], v2 offset:816
	ds_read_b128 v[156:159], v2 offset:832
	;; [unrolled: 1-line block ×20, first 2 shown]
	s_waitcnt vmcnt(29) lgkmcnt(14)
	v_mul_f64 v[0:1], v[144:145], v[114:115]
	s_waitcnt vmcnt(28)
	v_mul_f64 v[88:89], v[156:157], v[118:119]
	v_fmac_f64_e32 v[0:1], v[146:147], v[112:113]
	s_waitcnt vmcnt(27)
	v_mul_f64 v[90:91], v[168:169], v[122:123]
	v_fmac_f64_e32 v[88:89], v[158:159], v[116:117]
	v_add_f64 v[0:1], v[0:1], 0
	s_waitcnt vmcnt(26)
	v_mul_f64 v[92:93], v[180:181], v[154:155]
	v_fmac_f64_e32 v[90:91], v[170:171], v[120:121]
	v_add_f64 v[0:1], v[0:1], v[88:89]
	s_waitcnt vmcnt(25)
	v_mul_f64 v[94:95], v[192:193], v[162:163]
	v_fmac_f64_e32 v[92:93], v[182:183], v[152:153]
	v_add_f64 v[0:1], v[0:1], v[90:91]
	s_waitcnt vmcnt(24)
	v_mul_f64 v[96:97], v[204:205], v[166:167]
	v_fmac_f64_e32 v[94:95], v[194:195], v[160:161]
	v_add_f64 v[0:1], v[0:1], v[92:93]
	s_waitcnt vmcnt(23) lgkmcnt(13)
	v_mul_f64 v[98:99], v[212:213], v[174:175]
	v_fmac_f64_e32 v[96:97], v[206:207], v[164:165]
	v_add_f64 v[0:1], v[0:1], v[94:95]
	s_waitcnt vmcnt(22) lgkmcnt(12)
	v_mul_f64 v[100:101], v[216:217], v[178:179]
	v_fmac_f64_e32 v[98:99], v[214:215], v[172:173]
	v_add_f64 v[0:1], v[0:1], v[96:97]
	;; [unrolled: 4-line block ×9, first 2 shown]
	v_fmac_f64_e32 v[126:127], v[82:83], v[8:9]
	v_add_f64 v[0:1], v[0:1], v[124:125]
	scratch_load_dwordx4 v[88:91], off, off offset:576
	s_waitcnt vmcnt(15) lgkmcnt(4)
	v_mul_f64 v[128:129], v[76:77], v[236:237]
	v_add_f64 v[0:1], v[0:1], v[126:127]
	ds_read_b128 v[124:127], v2 offset:1088
	v_fmac_f64_e32 v[128:129], v[78:79], v[234:235]
	v_add_f64 v[0:1], v[0:1], v[128:129]
	ds_read_b128 v[128:131], v2 offset:1104
	s_waitcnt vmcnt(14) lgkmcnt(5)
	v_mul_f64 v[92:93], v[72:73], v[18:19]
	v_fmac_f64_e32 v[92:93], v[74:75], v[16:17]
	v_add_f64 v[0:1], v[0:1], v[92:93]
	s_waitcnt vmcnt(13) lgkmcnt(1)
	v_mul_f64 v[96:97], v[124:125], v[22:23]
	scratch_load_dwordx4 v[92:95], off, off offset:592
	v_fmac_f64_e32 v[96:97], v[126:127], v[20:21]
	v_add_f64 v[0:1], v[0:1], v[96:97]
	s_waitcnt vmcnt(13) lgkmcnt(0)
	v_mul_f64 v[100:101], v[128:129], v[26:27]
	scratch_load_dwordx4 v[96:99], off, off offset:608
	v_fmac_f64_e32 v[100:101], v[130:131], v[24:25]
	v_add_f64 v[0:1], v[0:1], v[100:101]
	scratch_load_dwordx4 v[100:103], off, off offset:624
	s_waitcnt vmcnt(14)
	v_mul_f64 v[104:105], v[132:133], v[30:31]
	v_fmac_f64_e32 v[104:105], v[134:135], v[28:29]
	v_add_f64 v[0:1], v[0:1], v[104:105]
	s_waitcnt vmcnt(13)
	v_mul_f64 v[104:105], v[136:137], v[34:35]
	v_fmac_f64_e32 v[104:105], v[138:139], v[32:33]
	v_add_f64 v[0:1], v[0:1], v[104:105]
	scratch_load_dwordx4 v[104:107], off, off offset:640
	s_waitcnt vmcnt(13)
	v_mul_f64 v[108:109], v[140:141], v[38:39]
	v_fmac_f64_e32 v[108:109], v[142:143], v[36:37]
	v_add_f64 v[0:1], v[0:1], v[108:109]
	scratch_load_dwordx4 v[108:111], off, off offset:656
	v_mul_f64 v[114:115], v[146:147], v[114:115]
	v_fma_f64 v[240:241], v[144:145], v[112:113], -v[114:115]
	v_mul_f64 v[112:113], v[158:159], v[118:119]
	ds_read_b128 v[148:151], v2 offset:1168
	ds_read_b128 v[144:147], v2 offset:1184
	v_fma_f64 v[242:243], v[156:157], v[116:117], -v[112:113]
	scratch_load_dwordx4 v[116:119], off, off offset:672
	scratch_load_dwordx4 v[112:115], off, off offset:688
	v_mul_f64 v[122:123], v[170:171], v[122:123]
	v_fma_f64 v[244:245], v[168:169], v[120:121], -v[122:123]
	scratch_load_dwordx4 v[120:123], off, off offset:704
	s_waitcnt vmcnt(16) lgkmcnt(1)
	v_mul_f64 v[156:157], v[148:149], v[42:43]
	v_fmac_f64_e32 v[156:157], v[150:151], v[40:41]
	v_mul_f64 v[154:155], v[182:183], v[154:155]
	v_add_f64 v[0:1], v[0:1], v[156:157]
	v_fma_f64 v[246:247], v[180:181], v[152:153], -v[154:155]
	ds_read_b128 v[152:155], v2 offset:1200
	s_waitcnt vmcnt(15) lgkmcnt(1)
	v_mul_f64 v[156:157], v[144:145], v[46:47]
	v_fmac_f64_e32 v[156:157], v[146:147], v[44:45]
	v_add_f64 v[0:1], v[0:1], v[156:157]
	ds_read_b128 v[156:159], v2 offset:1216
	v_mul_f64 v[162:163], v[194:195], v[162:163]
	v_fma_f64 v[232:233], v[192:193], v[160:161], -v[162:163]
	ds_read_b128 v[160:163], v2 offset:1232
	s_waitcnt vmcnt(14) lgkmcnt(2)
	v_mul_f64 v[168:169], v[152:153], v[50:51]
	v_fmac_f64_e32 v[168:169], v[154:155], v[48:49]
	v_mul_f64 v[166:167], v[206:207], v[166:167]
	v_add_f64 v[0:1], v[0:1], v[168:169]
	s_waitcnt vmcnt(13) lgkmcnt(1)
	v_mul_f64 v[168:169], v[156:157], v[54:55]
	v_fma_f64 v[12:13], v[204:205], v[164:165], -v[166:167]
	ds_read_b128 v[164:167], v2 offset:1248
	v_accvgpr_write_b32 a97, v7
	v_fmac_f64_e32 v[168:169], v[158:159], v[52:53]
	v_accvgpr_write_b32 a96, v6
	v_accvgpr_write_b32 a95, v5
	;; [unrolled: 1-line block ×3, first 2 shown]
	v_add_f64 v[0:1], v[0:1], v[168:169]
	s_waitcnt vmcnt(12) lgkmcnt(1)
	v_mul_f64 v[6:7], v[160:161], v[58:59]
	ds_read_b128 v[168:171], v2 offset:1264
	v_fmac_f64_e32 v[6:7], v[162:163], v[56:57]
	v_accvgpr_write_b32 a101, v11
	v_add_f64 v[0:1], v[0:1], v[6:7]
	v_mul_f64 v[6:7], v[214:215], v[174:175]
	v_accvgpr_write_b32 a100, v10
	v_accvgpr_write_b32 a99, v9
	;; [unrolled: 1-line block ×3, first 2 shown]
	v_fma_f64 v[8:9], v[212:213], v[172:173], -v[6:7]
	s_waitcnt vmcnt(11) lgkmcnt(1)
	v_mul_f64 v[6:7], v[164:165], v[62:63]
	v_fmac_f64_e32 v[6:7], v[166:167], v[60:61]
	ds_read_b128 v[172:175], v2 offset:1280
	v_add_f64 v[0:1], v[0:1], v[6:7]
	s_waitcnt vmcnt(10) lgkmcnt(1)
	v_mul_f64 v[6:7], v[168:169], v[66:67]
	v_fmac_f64_e32 v[6:7], v[170:171], v[64:65]
	v_add_f64 v[0:1], v[0:1], v[6:7]
	v_mul_f64 v[6:7], v[218:219], v[178:179]
	v_fma_f64 v[10:11], v[216:217], v[176:177], -v[6:7]
	ds_read_b128 v[176:179], v2 offset:1296
	ds_read_b128 v[180:183], v2 offset:1312
	s_waitcnt vmcnt(9) lgkmcnt(2)
	v_mul_f64 v[6:7], v[172:173], v[70:71]
	v_fmac_f64_e32 v[6:7], v[174:175], v[68:69]
	v_add_f64 v[0:1], v[0:1], v[6:7]
	s_waitcnt vmcnt(8) lgkmcnt(1)
	v_mul_f64 v[6:7], v[176:177], v[90:91]
	v_fmac_f64_e32 v[6:7], v[178:179], v[88:89]
	v_add_f64 v[0:1], v[0:1], v[6:7]
	v_mul_f64 v[6:7], v[222:223], v[186:187]
	v_fma_f64 v[4:5], v[220:221], v[184:185], -v[6:7]
	ds_read_b128 v[184:187], v2 offset:1328
	v_mul_f64 v[6:7], v[226:227], v[190:191]
	v_fma_f64 v[6:7], v[224:225], v[188:189], -v[6:7]
	ds_read_b128 v[188:191], v2 offset:1344
	s_waitcnt vmcnt(7) lgkmcnt(2)
	v_mul_f64 v[14:15], v[180:181], v[94:95]
	v_fmac_f64_e32 v[14:15], v[182:183], v[92:93]
	v_add_f64 v[0:1], v[0:1], v[14:15]
	s_waitcnt vmcnt(6) lgkmcnt(1)
	v_mul_f64 v[14:15], v[184:185], v[98:99]
	v_fmac_f64_e32 v[14:15], v[186:187], v[96:97]
	v_add_f64 v[0:1], v[0:1], v[14:15]
	s_waitcnt vmcnt(5) lgkmcnt(0)
	v_mul_f64 v[14:15], v[188:189], v[102:103]
	ds_read_b128 v[192:195], v2 offset:1360
	v_fmac_f64_e32 v[14:15], v[190:191], v[100:101]
	v_add_f64 v[14:15], v[0:1], v[14:15]
	v_mul_f64 v[0:1], v[230:231], v[198:199]
	v_fma_f64 v[0:1], v[228:229], v[196:197], -v[0:1]
	ds_read_b128 v[196:199], v2 offset:1376
	v_mul_f64 v[202:203], v[250:251], v[202:203]
	s_waitcnt vmcnt(4) lgkmcnt(1)
	v_mul_f64 v[204:205], v[192:193], v[106:107]
	v_fma_f64 v[238:239], v[248:249], v[200:201], -v[202:203]
	ds_read_b128 v[200:203], v2 offset:1392
	v_fmac_f64_e32 v[204:205], v[194:195], v[104:105]
	v_add_f64 v[14:15], v[14:15], v[204:205]
	ds_read_b128 v[204:207], v2 offset:1408
	s_waitcnt vmcnt(3) lgkmcnt(2)
	v_mul_f64 v[212:213], v[196:197], v[110:111]
	v_mul_f64 v[210:211], v[254:255], v[210:211]
	v_fmac_f64_e32 v[212:213], v[198:199], v[108:109]
	v_fma_f64 v[248:249], v[252:253], v[208:209], -v[210:211]
	ds_read_b128 v[208:211], v2 offset:1424
	ds_read_b128 v[216:219], v2 offset:1440
	v_add_f64 v[14:15], v[14:15], v[212:213]
	s_waitcnt vmcnt(2) lgkmcnt(3)
	v_mul_f64 v[212:213], v[200:201], v[118:119]
	v_fmac_f64_e32 v[212:213], v[202:203], v[116:117]
	v_add_f64 v[14:15], v[14:15], v[212:213]
	s_waitcnt vmcnt(1) lgkmcnt(2)
	v_mul_f64 v[212:213], v[204:205], v[114:115]
	v_fmac_f64_e32 v[212:213], v[206:207], v[112:113]
	;; [unrolled: 4-line block ×3, first 2 shown]
	v_add_f64 v[14:15], v[14:15], v[212:213]
	scratch_load_dwordx4 v[212:215], off, off offset:720
	ds_read_b128 v[224:227], v2 offset:1456
	s_waitcnt vmcnt(0) lgkmcnt(1)
	v_mul_f64 v[220:221], v[216:217], v[214:215]
	v_fmac_f64_e32 v[220:221], v[218:219], v[212:213]
	v_add_f64 v[14:15], v[14:15], v[220:221]
	scratch_load_dwordx4 v[220:223], off, off offset:736
	s_waitcnt vmcnt(0) lgkmcnt(0)
	v_mul_f64 v[228:229], v[224:225], v[222:223]
	v_fmac_f64_e32 v[228:229], v[226:227], v[220:221]
	v_add_f64 v[252:253], v[14:15], v[228:229]
	scratch_load_dwordx4 v[228:231], off, off offset:80
	v_add_f64 v[14:15], v[240:241], 0
	v_add_f64 v[14:15], v[14:15], v[242:243]
	;; [unrolled: 1-line block ×10, first 2 shown]
	v_accvgpr_read_b32 v6, a94
	v_accvgpr_read_b32 v8, a96
	;; [unrolled: 1-line block ×3, first 2 shown]
	v_add_f64 v[0:1], v[4:5], v[0:1]
	v_accvgpr_read_b32 v7, a95
	v_mul_f64 v[4:5], v[86:87], v[8:9]
	v_add_f64 v[0:1], v[0:1], v[238:239]
	v_fma_f64 v[4:5], v[84:85], v[6:7], -v[4:5]
	v_accvgpr_read_b32 v6, a98
	v_add_f64 v[0:1], v[0:1], v[248:249]
	v_accvgpr_read_b32 v8, a100
	v_accvgpr_read_b32 v9, a101
	v_add_f64 v[0:1], v[0:1], v[4:5]
	v_accvgpr_read_b32 v7, a99
	v_mul_f64 v[4:5], v[82:83], v[8:9]
	v_fma_f64 v[4:5], v[80:81], v[6:7], -v[4:5]
	v_add_f64 v[0:1], v[0:1], v[4:5]
	v_mul_f64 v[4:5], v[78:79], v[236:237]
	v_fma_f64 v[4:5], v[76:77], v[234:235], -v[4:5]
	v_add_f64 v[0:1], v[0:1], v[4:5]
	;; [unrolled: 3-line block ×27, first 2 shown]
	s_waitcnt vmcnt(0)
	v_add_f64 v[4:5], v[228:229], -v[0:1]
	v_accvgpr_read_b32 v0, a92
	v_add_f64 v[6:7], v[230:231], -v[252:253]
	v_cmp_lt_u32_e32 vcc, 3, v0
	scratch_store_dwordx4 off, v[4:7], off offset:80
	s_and_saveexec_b64 s[0:1], vcc
	s_cbranch_execz .LBB109_283
; %bb.282:
	scratch_load_dwordx4 v[6:9], off, s59
	v_mov_b32_e32 v3, v2
	v_mov_b32_e32 v4, v2
	;; [unrolled: 1-line block ×3, first 2 shown]
	v_accvgpr_read_b32 v0, a93
	scratch_store_dwordx4 off, v[2:5], off offset:64
	s_waitcnt vmcnt(1)
	ds_write_b128 v0, v[6:9]
.LBB109_283:
	s_or_b64 exec, exec, s[0:1]
	s_waitcnt lgkmcnt(0)
	; wave barrier
	scratch_load_dwordx4 v[88:91], off, off offset:80
	scratch_load_dwordx4 v[92:95], off, off offset:96
	;; [unrolled: 1-line block ×17, first 2 shown]
	ds_read_b128 v[212:215], v2 offset:800
	ds_read_b128 v[204:207], v2 offset:816
	;; [unrolled: 1-line block ×3, first 2 shown]
	scratch_load_dwordx4 v[20:23], off, off offset:352
	ds_read_b128 v[216:219], v2 offset:848
	ds_read_b128 v[208:211], v2 offset:864
	;; [unrolled: 1-line block ×5, first 2 shown]
	scratch_load_dwordx4 v[24:27], off, off offset:368
	ds_read_b128 v[180:183], v2 offset:928
	ds_read_b128 v[160:163], v2 offset:944
	;; [unrolled: 1-line block ×3, first 2 shown]
	scratch_load_dwordx4 v[28:31], off, off offset:384
	ds_read_b128 v[172:175], v2 offset:976
	ds_read_b128 v[148:151], v2 offset:992
	;; [unrolled: 1-line block ×5, first 2 shown]
	scratch_load_dwordx4 v[36:39], off, off offset:400
	ds_read_b128 v[48:51], v2 offset:1056
	scratch_load_dwordx4 v[52:55], off, off offset:416
	scratch_load_dwordx4 v[56:59], off, off offset:432
	;; [unrolled: 1-line block ×9, first 2 shown]
	ds_read_b128 v[140:143], v2 offset:1072
	ds_read_b128 v[232:235], v2 offset:1136
	;; [unrolled: 1-line block ×3, first 2 shown]
	s_waitcnt vmcnt(29) lgkmcnt(14)
	v_mul_f64 v[0:1], v[212:213], v[90:91]
	s_waitcnt vmcnt(28)
	v_mul_f64 v[152:153], v[204:205], v[94:95]
	v_fmac_f64_e32 v[0:1], v[214:215], v[88:89]
	s_waitcnt vmcnt(27)
	v_mul_f64 v[154:155], v[196:197], v[98:99]
	v_fmac_f64_e32 v[152:153], v[206:207], v[92:93]
	v_add_f64 v[0:1], v[0:1], 0
	s_waitcnt vmcnt(26)
	v_mul_f64 v[164:165], v[216:217], v[102:103]
	v_fmac_f64_e32 v[154:155], v[198:199], v[96:97]
	v_add_f64 v[0:1], v[0:1], v[152:153]
	;; [unrolled: 4-line block ×4, first 2 shown]
	s_waitcnt vmcnt(23) lgkmcnt(13)
	v_mul_f64 v[170:171], v[184:185], v[114:115]
	v_fmac_f64_e32 v[168:169], v[202:203], v[108:109]
	v_add_f64 v[0:1], v[0:1], v[166:167]
	s_waitcnt vmcnt(22) lgkmcnt(12)
	v_mul_f64 v[176:177], v[156:157], v[118:119]
	v_fmac_f64_e32 v[170:171], v[186:187], v[112:113]
	v_add_f64 v[0:1], v[0:1], v[168:169]
	;; [unrolled: 4-line block ×10, first 2 shown]
	v_fmac_f64_e32 v[224:225], v[34:35], v[12:13]
	v_add_f64 v[0:1], v[0:1], v[222:223]
	ds_read_b128 v[220:223], v2 offset:1088
	v_add_f64 v[0:1], v[0:1], v[224:225]
	ds_read_b128 v[224:227], v2 offset:1104
	s_waitcnt vmcnt(13) lgkmcnt(5)
	v_mul_f64 v[164:165], v[48:49], v[18:19]
	scratch_load_dwordx4 v[152:155], off, off offset:560
	v_fmac_f64_e32 v[164:165], v[50:51], v[16:17]
	s_waitcnt vmcnt(13) lgkmcnt(4)
	v_mul_f64 v[168:169], v[140:141], v[22:23]
	v_add_f64 v[0:1], v[0:1], v[164:165]
	v_fmac_f64_e32 v[168:169], v[142:143], v[20:21]
	scratch_load_dwordx4 v[164:167], off, off offset:576
	v_add_f64 v[0:1], v[0:1], v[168:169]
	s_waitcnt vmcnt(13) lgkmcnt(1)
	v_mul_f64 v[176:177], v[220:221], v[26:27]
	scratch_load_dwordx4 v[168:171], off, off offset:592
	v_fmac_f64_e32 v[176:177], v[222:223], v[24:25]
	s_waitcnt vmcnt(13) lgkmcnt(0)
	v_mul_f64 v[188:189], v[224:225], v[30:31]
	v_add_f64 v[0:1], v[0:1], v[176:177]
	scratch_load_dwordx4 v[176:179], off, off offset:608
	v_fmac_f64_e32 v[188:189], v[226:227], v[28:29]
	v_add_f64 v[0:1], v[0:1], v[188:189]
	s_waitcnt vmcnt(13)
	v_mul_f64 v[188:189], v[228:229], v[38:39]
	v_fmac_f64_e32 v[188:189], v[230:231], v[36:37]
	v_add_f64 v[0:1], v[0:1], v[188:189]
	scratch_load_dwordx4 v[188:191], off, off offset:624
	s_waitcnt vmcnt(13)
	v_mul_f64 v[192:193], v[232:233], v[54:55]
	v_fmac_f64_e32 v[192:193], v[234:235], v[52:53]
	v_mul_f64 v[90:91], v[214:215], v[90:91]
	v_add_f64 v[0:1], v[0:1], v[192:193]
	scratch_load_dwordx4 v[192:195], off, off offset:640
	v_fma_f64 v[240:241], v[212:213], v[88:89], -v[90:91]
	v_mul_f64 v[88:89], v[206:207], v[94:95]
	ds_read_b128 v[236:239], v2 offset:1152
	ds_read_b128 v[212:215], v2 offset:1168
	v_fma_f64 v[242:243], v[204:205], v[92:93], -v[88:89]
	scratch_load_dwordx4 v[92:95], off, off offset:656
	scratch_load_dwordx4 v[88:91], off, off offset:672
	v_mul_f64 v[98:99], v[198:199], v[98:99]
	v_fma_f64 v[244:245], v[196:197], v[96:97], -v[98:99]
	scratch_load_dwordx4 v[96:99], off, off offset:688
	s_waitcnt vmcnt(16) lgkmcnt(1)
	v_mul_f64 v[204:205], v[236:237], v[58:59]
	v_mul_f64 v[102:103], v[218:219], v[102:103]
	v_fmac_f64_e32 v[204:205], v[238:239], v[56:57]
	v_fma_f64 v[216:217], v[216:217], v[100:101], -v[102:103]
	ds_read_b128 v[100:103], v2 offset:1184
	s_waitcnt vmcnt(15) lgkmcnt(1)
	v_mul_f64 v[196:197], v[212:213], v[62:63]
	v_add_f64 v[0:1], v[0:1], v[204:205]
	v_fmac_f64_e32 v[196:197], v[214:215], v[60:61]
	v_add_f64 v[0:1], v[0:1], v[196:197]
	ds_read_b128 v[196:199], v2 offset:1200
	v_mul_f64 v[106:107], v[210:211], v[106:107]
	v_fma_f64 v[218:219], v[208:209], v[104:105], -v[106:107]
	ds_read_b128 v[104:107], v2 offset:1216
	s_waitcnt vmcnt(14) lgkmcnt(2)
	v_mul_f64 v[204:205], v[100:101], v[66:67]
	v_fmac_f64_e32 v[204:205], v[102:103], v[64:65]
	v_add_f64 v[0:1], v[0:1], v[204:205]
	s_waitcnt vmcnt(13) lgkmcnt(1)
	v_mul_f64 v[204:205], v[196:197], v[70:71]
	v_mul_f64 v[110:111], v[202:203], v[110:111]
	v_fmac_f64_e32 v[204:205], v[198:199], v[68:69]
	v_fma_f64 v[246:247], v[200:201], v[108:109], -v[110:111]
	ds_read_b128 v[108:111], v2 offset:1232
	s_waitcnt vmcnt(12) lgkmcnt(1)
	v_mul_f64 v[200:201], v[104:105], v[74:75]
	v_add_f64 v[0:1], v[0:1], v[204:205]
	v_fmac_f64_e32 v[200:201], v[106:107], v[72:73]
	v_add_f64 v[0:1], v[0:1], v[200:201]
	ds_read_b128 v[200:203], v2 offset:1248
	v_mul_f64 v[114:115], v[186:187], v[114:115]
	v_fma_f64 v[252:253], v[184:185], v[112:113], -v[114:115]
	ds_read_b128 v[112:115], v2 offset:1264
	s_waitcnt vmcnt(11) lgkmcnt(2)
	v_mul_f64 v[184:185], v[108:109], v[78:79]
	v_fmac_f64_e32 v[184:185], v[110:111], v[76:77]
	v_add_f64 v[0:1], v[0:1], v[184:185]
	s_waitcnt vmcnt(10) lgkmcnt(1)
	v_mul_f64 v[184:185], v[200:201], v[82:83]
	v_mul_f64 v[118:119], v[158:159], v[118:119]
	v_fmac_f64_e32 v[184:185], v[202:203], v[80:81]
	v_fma_f64 v[254:255], v[156:157], v[116:117], -v[118:119]
	s_waitcnt vmcnt(9) lgkmcnt(0)
	v_mul_f64 v[156:157], v[112:113], v[86:87]
	v_add_f64 v[0:1], v[0:1], v[184:185]
	ds_read_b128 v[116:119], v2 offset:1280
	v_fmac_f64_e32 v[156:157], v[114:115], v[84:85]
	v_add_f64 v[0:1], v[0:1], v[156:157]
	ds_read_b128 v[156:159], v2 offset:1296
	v_mul_f64 v[122:123], v[182:183], v[122:123]
	v_fma_f64 v[248:249], v[180:181], v[120:121], -v[122:123]
	ds_read_b128 v[120:123], v2 offset:1312
	v_accvgpr_write_b32 a97, v7
	v_mul_f64 v[126:127], v[162:163], v[126:127]
	v_accvgpr_write_b32 a96, v6
	v_accvgpr_write_b32 a95, v5
	;; [unrolled: 1-line block ×3, first 2 shown]
	v_fma_f64 v[4:5], v[160:161], v[124:125], -v[126:127]
	ds_read_b128 v[124:127], v2 offset:1328
	s_waitcnt vmcnt(8) lgkmcnt(3)
	v_mul_f64 v[184:185], v[116:117], v[154:155]
	v_fmac_f64_e32 v[184:185], v[118:119], v[152:153]
	s_waitcnt vmcnt(7) lgkmcnt(2)
	v_mul_f64 v[180:181], v[156:157], v[166:167]
	v_add_f64 v[0:1], v[0:1], v[184:185]
	v_fmac_f64_e32 v[180:181], v[158:159], v[164:165]
	s_waitcnt vmcnt(6) lgkmcnt(1)
	v_mul_f64 v[6:7], v[120:121], v[170:171]
	ds_read_b128 v[160:163], v2 offset:1344
	v_add_f64 v[0:1], v[0:1], v[180:181]
	v_fmac_f64_e32 v[6:7], v[122:123], v[168:169]
	v_add_f64 v[0:1], v[0:1], v[6:7]
	s_waitcnt vmcnt(5) lgkmcnt(1)
	v_mul_f64 v[6:7], v[124:125], v[178:179]
	v_fmac_f64_e32 v[6:7], v[126:127], v[176:177]
	v_add_f64 v[0:1], v[0:1], v[6:7]
	v_mul_f64 v[6:7], v[146:147], v[130:131]
	v_fma_f64 v[6:7], v[144:145], v[128:129], -v[6:7]
	ds_read_b128 v[128:131], v2 offset:1360
	s_waitcnt vmcnt(4) lgkmcnt(1)
	v_mul_f64 v[144:145], v[160:161], v[190:191]
	v_fmac_f64_e32 v[144:145], v[162:163], v[188:189]
	v_add_f64 v[180:181], v[0:1], v[144:145]
	v_mul_f64 v[0:1], v[174:175], v[134:135]
	v_fma_f64 v[0:1], v[172:173], v[132:133], -v[0:1]
	ds_read_b128 v[132:135], v2 offset:1376
	ds_read_b128 v[144:147], v2 offset:1392
	v_mul_f64 v[138:139], v[150:151], v[138:139]
	v_fma_f64 v[250:251], v[148:149], v[136:137], -v[138:139]
	ds_read_b128 v[136:139], v2 offset:1408
	s_waitcnt vmcnt(3) lgkmcnt(3)
	v_mul_f64 v[172:173], v[128:129], v[194:195]
	v_fmac_f64_e32 v[172:173], v[130:131], v[192:193]
	s_waitcnt vmcnt(2) lgkmcnt(2)
	v_mul_f64 v[148:149], v[132:133], v[94:95]
	v_add_f64 v[172:173], v[180:181], v[172:173]
	v_fmac_f64_e32 v[148:149], v[134:135], v[92:93]
	s_waitcnt vmcnt(1) lgkmcnt(1)
	v_mul_f64 v[150:151], v[144:145], v[90:91]
	v_add_f64 v[148:149], v[172:173], v[148:149]
	v_fmac_f64_e32 v[150:151], v[146:147], v[88:89]
	v_add_f64 v[148:149], v[148:149], v[150:151]
	ds_read_b128 v[172:175], v2 offset:1424
	scratch_load_dwordx4 v[208:211], off, off offset:736
	s_waitcnt vmcnt(1) lgkmcnt(1)
	v_mul_f64 v[150:151], v[136:137], v[98:99]
	v_fmac_f64_e32 v[150:151], v[138:139], v[96:97]
	v_add_f64 v[180:181], v[148:149], v[150:151]
	scratch_load_dwordx4 v[148:151], off, off offset:704
	ds_read_b128 v[184:187], v2 offset:1440
	v_accvgpr_write_b32 a99, v1
	v_accvgpr_write_b32 a98, v0
	s_waitcnt vmcnt(0) lgkmcnt(1)
	v_mul_f64 v[182:183], v[172:173], v[150:151]
	v_fmac_f64_e32 v[182:183], v[174:175], v[148:149]
	v_add_f64 v[204:205], v[180:181], v[182:183]
	scratch_load_dwordx4 v[180:183], off, off offset:720
	s_waitcnt vmcnt(0) lgkmcnt(0)
	v_mul_f64 v[206:207], v[184:185], v[182:183]
	v_fmac_f64_e32 v[206:207], v[186:187], v[180:181]
	v_add_f64 v[0:1], v[204:205], v[206:207]
	ds_read_b128 v[204:207], v2 offset:1456
	s_waitcnt lgkmcnt(0)
	v_mul_f64 v[2:3], v[204:205], v[210:211]
	v_fmac_f64_e32 v[2:3], v[206:207], v[208:209]
	v_add_f64 v[2:3], v[0:1], v[2:3]
	v_add_f64 v[0:1], v[240:241], 0
	;; [unrolled: 1-line block ×6, first 2 shown]
	scratch_load_dwordx4 v[216:219], off, off offset:64
	v_add_f64 v[0:1], v[0:1], v[246:247]
	v_add_f64 v[0:1], v[0:1], v[252:253]
	;; [unrolled: 1-line block ×6, first 2 shown]
	v_accvgpr_read_b32 v0, a98
	v_accvgpr_read_b32 v243, a97
	;; [unrolled: 1-line block ×4, first 2 shown]
	v_add_f64 v[0:1], v[252:253], v[0:1]
	v_accvgpr_read_b32 v241, a95
	v_accvgpr_read_b32 v240, a94
	v_mul_f64 v[4:5], v[46:47], v[242:243]
	v_add_f64 v[0:1], v[0:1], v[250:251]
	v_fma_f64 v[4:5], v[44:45], v[240:241], -v[4:5]
	v_add_f64 v[0:1], v[0:1], v[4:5]
	v_mul_f64 v[4:5], v[42:43], v[10:11]
	v_fma_f64 v[4:5], v[40:41], v[8:9], -v[4:5]
	v_add_f64 v[0:1], v[0:1], v[4:5]
	v_mul_f64 v[4:5], v[34:35], v[14:15]
	;; [unrolled: 3-line block ×28, first 2 shown]
	v_fma_f64 v[4:5], v[204:205], v[208:209], -v[4:5]
	v_add_f64 v[0:1], v[0:1], v[4:5]
	s_waitcnt vmcnt(0)
	v_add_f64 v[4:5], v[216:217], -v[0:1]
	v_accvgpr_read_b32 v0, a92
	v_add_f64 v[6:7], v[218:219], -v[2:3]
	v_cmp_lt_u32_e32 vcc, 2, v0
	scratch_store_dwordx4 off, v[4:7], off offset:64
	s_and_saveexec_b64 s[0:1], vcc
	s_cbranch_execz .LBB109_285
; %bb.284:
	scratch_load_dwordx4 v[2:5], off, s60
	v_mov_b32_e32 v6, 0
	v_mov_b32_e32 v7, v6
	;; [unrolled: 1-line block ×4, first 2 shown]
	v_accvgpr_read_b32 v0, a93
	scratch_store_dwordx4 off, v[6:9], off offset:48
	s_waitcnt vmcnt(1)
	ds_write_b128 v0, v[2:5]
.LBB109_285:
	s_or_b64 exec, exec, s[0:1]
	s_waitcnt lgkmcnt(0)
	; wave barrier
	scratch_load_dwordx4 v[96:99], off, off offset:64
	scratch_load_dwordx4 v[100:103], off, off offset:80
	;; [unrolled: 1-line block ×30, first 2 shown]
	v_mov_b32_e32 v2, 0
	ds_read_b128 v[136:139], v2 offset:784
	ds_read_b128 v[144:147], v2 offset:800
	;; [unrolled: 1-line block ×20, first 2 shown]
	s_waitcnt vmcnt(29) lgkmcnt(14)
	v_mul_f64 v[0:1], v[136:137], v[98:99]
	s_waitcnt vmcnt(28)
	v_mul_f64 v[72:73], v[144:145], v[102:103]
	v_fmac_f64_e32 v[0:1], v[138:139], v[96:97]
	s_waitcnt vmcnt(27)
	v_mul_f64 v[74:75], v[148:149], v[106:107]
	v_fmac_f64_e32 v[72:73], v[146:147], v[100:101]
	v_add_f64 v[0:1], v[0:1], 0
	s_waitcnt vmcnt(26)
	v_mul_f64 v[76:77], v[164:165], v[110:111]
	v_fmac_f64_e32 v[74:75], v[150:151], v[104:105]
	v_add_f64 v[0:1], v[0:1], v[72:73]
	;; [unrolled: 4-line block ×4, first 2 shown]
	s_waitcnt vmcnt(23) lgkmcnt(13)
	v_mul_f64 v[82:83], v[200:201], v[158:159]
	v_fmac_f64_e32 v[80:81], v[190:191], v[152:153]
	v_add_f64 v[0:1], v[0:1], v[78:79]
	s_waitcnt vmcnt(22) lgkmcnt(12)
	v_mul_f64 v[84:85], v[208:209], v[162:163]
	v_fmac_f64_e32 v[82:83], v[202:203], v[156:157]
	v_add_f64 v[0:1], v[0:1], v[80:81]
	;; [unrolled: 4-line block ×9, first 2 shown]
	s_waitcnt vmcnt(14) lgkmcnt(4)
	v_mul_f64 v[120:121], v[68:69], v[6:7]
	v_fmac_f64_e32 v[118:119], v[254:255], v[204:205]
	v_accvgpr_write_b32 a97, v7
	v_add_f64 v[0:1], v[0:1], v[116:117]
	v_fmac_f64_e32 v[120:121], v[70:71], v[4:5]
	v_accvgpr_write_b32 a96, v6
	v_accvgpr_write_b32 a95, v5
	;; [unrolled: 1-line block ×3, first 2 shown]
	v_add_f64 v[0:1], v[0:1], v[118:119]
	ds_read_b128 v[116:119], v2 offset:1056
	s_waitcnt vmcnt(13)
	v_mov_b64_e32 v[4:5], v[8:9]
	v_mov_b64_e32 v[6:7], v[10:11]
	s_waitcnt lgkmcnt(4)
	v_mul_f64 v[76:77], v[64:65], v[6:7]
	scratch_load_dwordx4 v[72:75], off, off offset:544
	v_add_f64 v[0:1], v[0:1], v[120:121]
	v_fmac_f64_e32 v[76:77], v[66:67], v[4:5]
	s_waitcnt vmcnt(13)
	v_mov_b64_e32 v[4:5], v[12:13]
	v_add_f64 v[0:1], v[0:1], v[76:77]
	v_mov_b64_e32 v[6:7], v[14:15]
	scratch_load_dwordx4 v[76:79], off, off offset:560
	ds_read_b128 v[120:123], v2 offset:1072
	s_waitcnt lgkmcnt(1)
	v_mul_f64 v[80:81], v[116:117], v[6:7]
	v_fmac_f64_e32 v[80:81], v[118:119], v[4:5]
	v_add_f64 v[0:1], v[0:1], v[80:81]
	scratch_load_dwordx4 v[80:83], off, off offset:576
	s_waitcnt vmcnt(14) lgkmcnt(0)
	v_mul_f64 v[84:85], v[120:121], v[236:237]
	v_fmac_f64_e32 v[84:85], v[122:123], v[234:235]
	s_waitcnt vmcnt(13)
	v_mul_f64 v[88:89], v[124:125], v[22:23]
	v_add_f64 v[0:1], v[0:1], v[84:85]
	v_fmac_f64_e32 v[88:89], v[126:127], v[20:21]
	scratch_load_dwordx4 v[84:87], off, off offset:592
	v_add_f64 v[0:1], v[0:1], v[88:89]
	s_waitcnt vmcnt(13)
	v_mul_f64 v[88:89], v[128:129], v[26:27]
	v_fmac_f64_e32 v[88:89], v[130:131], v[24:25]
	v_add_f64 v[0:1], v[0:1], v[88:89]
	scratch_load_dwordx4 v[88:91], off, off offset:608
	s_waitcnt vmcnt(13)
	v_mul_f64 v[92:93], v[132:133], v[30:31]
	v_fmac_f64_e32 v[92:93], v[134:135], v[28:29]
	v_add_f64 v[0:1], v[0:1], v[92:93]
	scratch_load_dwordx4 v[92:95], off, off offset:624
	v_mul_f64 v[98:99], v[138:139], v[98:99]
	v_fma_f64 v[240:241], v[136:137], v[96:97], -v[98:99]
	v_mul_f64 v[96:97], v[146:147], v[102:103]
	ds_read_b128 v[140:143], v2 offset:1136
	ds_read_b128 v[136:139], v2 offset:1152
	v_fma_f64 v[242:243], v[144:145], v[100:101], -v[96:97]
	scratch_load_dwordx4 v[100:103], off, off offset:640
	scratch_load_dwordx4 v[96:99], off, off offset:656
	s_waitcnt vmcnt(15) lgkmcnt(1)
	v_mul_f64 v[144:145], v[140:141], v[34:35]
	v_fmac_f64_e32 v[144:145], v[142:143], v[32:33]
	v_mul_f64 v[106:107], v[150:151], v[106:107]
	v_add_f64 v[0:1], v[0:1], v[144:145]
	s_waitcnt vmcnt(14) lgkmcnt(0)
	v_mul_f64 v[144:145], v[136:137], v[38:39]
	v_fma_f64 v[244:245], v[148:149], v[104:105], -v[106:107]
	v_mul_f64 v[104:105], v[166:167], v[110:111]
	v_fmac_f64_e32 v[144:145], v[138:139], v[36:37]
	v_fma_f64 v[246:247], v[164:165], v[108:109], -v[104:105]
	scratch_load_dwordx4 v[104:107], off, off offset:672
	v_add_f64 v[0:1], v[0:1], v[144:145]
	ds_read_b128 v[144:147], v2 offset:1168
	ds_read_b128 v[148:151], v2 offset:1184
	v_mul_f64 v[108:109], v[178:179], v[114:115]
	v_fma_f64 v[232:233], v[176:177], v[112:113], -v[108:109]
	scratch_load_dwordx4 v[108:111], off, off offset:688
	s_waitcnt vmcnt(15) lgkmcnt(1)
	v_mul_f64 v[112:113], v[144:145], v[42:43]
	v_fmac_f64_e32 v[112:113], v[146:147], v[40:41]
	v_add_f64 v[0:1], v[0:1], v[112:113]
	v_mul_f64 v[112:113], v[190:191], v[154:155]
	v_fma_f64 v[16:17], v[188:189], v[152:153], -v[112:113]
	scratch_load_dwordx4 v[112:115], off, off offset:704
	ds_read_b128 v[152:155], v2 offset:1200
	s_waitcnt vmcnt(15) lgkmcnt(1)
	v_mul_f64 v[6:7], v[148:149], v[46:47]
	v_fmac_f64_e32 v[6:7], v[150:151], v[44:45]
	v_accvgpr_write_b32 a105, v15
	v_add_f64 v[0:1], v[0:1], v[6:7]
	v_mul_f64 v[6:7], v[202:203], v[158:159]
	v_accvgpr_write_b32 a104, v14
	v_accvgpr_write_b32 a103, v13
	;; [unrolled: 1-line block ×3, first 2 shown]
	v_fma_f64 v[12:13], v[200:201], v[156:157], -v[6:7]
	ds_read_b128 v[156:159], v2 offset:1216
	s_waitcnt vmcnt(14) lgkmcnt(1)
	v_mul_f64 v[6:7], v[152:153], v[50:51]
	v_fmac_f64_e32 v[6:7], v[154:155], v[48:49]
	v_accvgpr_write_b32 a101, v11
	v_add_f64 v[0:1], v[0:1], v[6:7]
	v_mul_f64 v[6:7], v[210:211], v[162:163]
	v_accvgpr_write_b32 a100, v10
	v_accvgpr_write_b32 a99, v9
	;; [unrolled: 1-line block ×3, first 2 shown]
	v_fma_f64 v[10:11], v[208:209], v[160:161], -v[6:7]
	ds_read_b128 v[160:163], v2 offset:1232
	ds_read_b128 v[164:167], v2 offset:1248
	s_waitcnt vmcnt(13) lgkmcnt(2)
	v_mul_f64 v[6:7], v[156:157], v[54:55]
	v_fmac_f64_e32 v[6:7], v[158:159], v[52:53]
	v_add_f64 v[0:1], v[0:1], v[6:7]
	s_waitcnt vmcnt(12) lgkmcnt(1)
	v_mul_f64 v[6:7], v[160:161], v[62:63]
	v_fmac_f64_e32 v[6:7], v[162:163], v[60:61]
	v_add_f64 v[0:1], v[0:1], v[6:7]
	v_mul_f64 v[6:7], v[214:215], v[170:171]
	v_fma_f64 v[8:9], v[212:213], v[168:169], -v[6:7]
	s_waitcnt vmcnt(11) lgkmcnt(0)
	v_mul_f64 v[6:7], v[164:165], v[58:59]
	v_fmac_f64_e32 v[6:7], v[166:167], v[56:57]
	ds_read_b128 v[168:171], v2 offset:1264
	v_add_f64 v[0:1], v[0:1], v[6:7]
	v_mul_f64 v[6:7], v[218:219], v[174:175]
	v_fma_f64 v[14:15], v[216:217], v[172:173], -v[6:7]
	ds_read_b128 v[172:175], v2 offset:1280
	s_waitcnt vmcnt(10) lgkmcnt(1)
	v_mul_f64 v[6:7], v[168:169], v[74:75]
	ds_read_b128 v[176:179], v2 offset:1296
	v_fmac_f64_e32 v[6:7], v[170:171], v[72:73]
	v_add_f64 v[0:1], v[0:1], v[6:7]
	s_waitcnt vmcnt(9) lgkmcnt(1)
	v_mul_f64 v[6:7], v[172:173], v[78:79]
	v_fmac_f64_e32 v[6:7], v[174:175], v[76:77]
	v_add_f64 v[0:1], v[0:1], v[6:7]
	v_mul_f64 v[6:7], v[222:223], v[182:183]
	v_fma_f64 v[4:5], v[220:221], v[180:181], -v[6:7]
	ds_read_b128 v[180:183], v2 offset:1312
	s_waitcnt vmcnt(8) lgkmcnt(1)
	v_mul_f64 v[6:7], v[176:177], v[82:83]
	v_fmac_f64_e32 v[6:7], v[178:179], v[80:81]
	v_add_f64 v[0:1], v[0:1], v[6:7]
	v_mul_f64 v[6:7], v[226:227], v[186:187]
	v_fma_f64 v[6:7], v[224:225], v[184:185], -v[6:7]
	ds_read_b128 v[184:187], v2 offset:1328
	ds_read_b128 v[188:191], v2 offset:1344
	s_waitcnt vmcnt(7) lgkmcnt(2)
	v_mul_f64 v[18:19], v[180:181], v[86:87]
	v_fmac_f64_e32 v[18:19], v[182:183], v[84:85]
	v_add_f64 v[0:1], v[0:1], v[18:19]
	s_waitcnt vmcnt(6) lgkmcnt(1)
	v_mul_f64 v[18:19], v[184:185], v[90:91]
	v_fmac_f64_e32 v[18:19], v[186:187], v[88:89]
	v_add_f64 v[18:19], v[0:1], v[18:19]
	v_mul_f64 v[0:1], v[230:231], v[194:195]
	v_fma_f64 v[0:1], v[228:229], v[192:193], -v[0:1]
	ds_read_b128 v[192:195], v2 offset:1360
	s_waitcnt vmcnt(5) lgkmcnt(1)
	v_mul_f64 v[200:201], v[188:189], v[94:95]
	v_fmac_f64_e32 v[200:201], v[190:191], v[92:93]
	v_mul_f64 v[198:199], v[250:251], v[198:199]
	v_fma_f64 v[238:239], v[248:249], v[196:197], -v[198:199]
	ds_read_b128 v[196:199], v2 offset:1376
	v_add_f64 v[18:19], v[18:19], v[200:201]
	s_waitcnt vmcnt(4) lgkmcnt(1)
	v_mul_f64 v[200:201], v[192:193], v[102:103]
	v_fmac_f64_e32 v[200:201], v[194:195], v[100:101]
	v_add_f64 v[18:19], v[18:19], v[200:201]
	ds_read_b128 v[200:203], v2 offset:1392
	v_mul_f64 v[206:207], v[254:255], v[206:207]
	v_fma_f64 v[248:249], v[252:253], v[204:205], -v[206:207]
	ds_read_b128 v[204:207], v2 offset:1408
	s_waitcnt vmcnt(3) lgkmcnt(2)
	v_mul_f64 v[208:209], v[196:197], v[98:99]
	v_fmac_f64_e32 v[208:209], v[198:199], v[96:97]
	v_add_f64 v[18:19], v[18:19], v[208:209]
	s_waitcnt vmcnt(2) lgkmcnt(1)
	v_mul_f64 v[208:209], v[200:201], v[106:107]
	v_fmac_f64_e32 v[208:209], v[202:203], v[104:105]
	v_add_f64 v[18:19], v[18:19], v[208:209]
	;; [unrolled: 4-line block ×3, first 2 shown]
	ds_read_b128 v[208:211], v2 offset:1424
	ds_read_b128 v[216:219], v2 offset:1440
	;; [unrolled: 1-line block ×3, first 2 shown]
	s_waitcnt vmcnt(0) lgkmcnt(2)
	v_mul_f64 v[212:213], v[208:209], v[114:115]
	v_fmac_f64_e32 v[212:213], v[210:211], v[112:113]
	v_add_f64 v[18:19], v[18:19], v[212:213]
	scratch_load_dwordx4 v[212:215], off, off offset:720
	s_waitcnt vmcnt(0) lgkmcnt(1)
	v_mul_f64 v[220:221], v[216:217], v[214:215]
	v_fmac_f64_e32 v[220:221], v[218:219], v[212:213]
	v_add_f64 v[18:19], v[18:19], v[220:221]
	scratch_load_dwordx4 v[220:223], off, off offset:736
	;; [unrolled: 5-line block ×3, first 2 shown]
	v_add_f64 v[18:19], v[240:241], 0
	v_add_f64 v[18:19], v[18:19], v[242:243]
	;; [unrolled: 1-line block ×12, first 2 shown]
	v_accvgpr_read_b32 v6, a94
	v_accvgpr_read_b32 v8, a96
	;; [unrolled: 1-line block ×3, first 2 shown]
	v_add_f64 v[0:1], v[4:5], v[0:1]
	v_accvgpr_read_b32 v7, a95
	v_mul_f64 v[4:5], v[70:71], v[8:9]
	v_add_f64 v[0:1], v[0:1], v[238:239]
	v_fma_f64 v[4:5], v[68:69], v[6:7], -v[4:5]
	v_accvgpr_read_b32 v6, a98
	v_add_f64 v[0:1], v[0:1], v[248:249]
	v_accvgpr_read_b32 v8, a100
	v_accvgpr_read_b32 v9, a101
	v_add_f64 v[0:1], v[0:1], v[4:5]
	v_accvgpr_read_b32 v7, a99
	v_mul_f64 v[4:5], v[66:67], v[8:9]
	v_fma_f64 v[4:5], v[64:65], v[6:7], -v[4:5]
	v_accvgpr_read_b32 v6, a102
	v_accvgpr_read_b32 v8, a104
	;; [unrolled: 1-line block ×3, first 2 shown]
	v_add_f64 v[0:1], v[0:1], v[4:5]
	v_accvgpr_read_b32 v7, a103
	v_mul_f64 v[4:5], v[118:119], v[8:9]
	v_fma_f64 v[4:5], v[116:117], v[6:7], -v[4:5]
	v_add_f64 v[0:1], v[0:1], v[4:5]
	v_mul_f64 v[4:5], v[122:123], v[236:237]
	v_fma_f64 v[4:5], v[120:121], v[234:235], -v[4:5]
	v_add_f64 v[0:1], v[0:1], v[4:5]
	;; [unrolled: 3-line block ×26, first 2 shown]
	s_waitcnt vmcnt(0)
	v_add_f64 v[4:5], v[228:229], -v[0:1]
	v_accvgpr_read_b32 v0, a92
	v_add_f64 v[6:7], v[230:231], -v[252:253]
	v_cmp_lt_u32_e32 vcc, 1, v0
	scratch_store_dwordx4 off, v[4:7], off offset:48
	s_and_saveexec_b64 s[0:1], vcc
	s_cbranch_execz .LBB109_287
; %bb.286:
	scratch_load_dwordx4 v[6:9], off, s61
	v_mov_b32_e32 v3, v2
	v_mov_b32_e32 v4, v2
	;; [unrolled: 1-line block ×3, first 2 shown]
	v_accvgpr_read_b32 v0, a93
	scratch_store_dwordx4 off, v[2:5], off offset:32
	s_waitcnt vmcnt(1)
	ds_write_b128 v0, v[6:9]
.LBB109_287:
	s_or_b64 exec, exec, s[0:1]
	s_waitcnt lgkmcnt(0)
	; wave barrier
	scratch_load_dwordx4 v[72:75], off, off offset:48
	scratch_load_dwordx4 v[76:79], off, off offset:64
	;; [unrolled: 1-line block ×17, first 2 shown]
	ds_read_b128 v[176:179], v2 offset:768
	ds_read_b128 v[192:195], v2 offset:784
	;; [unrolled: 1-line block ×3, first 2 shown]
	scratch_load_dwordx4 v[20:23], off, off offset:320
	ds_read_b128 v[236:239], v2 offset:816
	ds_read_b128 v[232:235], v2 offset:832
	;; [unrolled: 1-line block ×5, first 2 shown]
	scratch_load_dwordx4 v[168:171], off, off offset:336
	ds_read_b128 v[224:227], v2 offset:896
	ds_read_b128 v[212:215], v2 offset:912
	;; [unrolled: 1-line block ×3, first 2 shown]
	scratch_load_dwordx4 v[12:15], off, off offset:352
	ds_read_b128 v[216:219], v2 offset:944
	ds_read_b128 v[204:207], v2 offset:960
	;; [unrolled: 1-line block ×5, first 2 shown]
	scratch_load_dwordx4 v[28:31], off, off offset:368
	ds_read_b128 v[32:35], v2 offset:1024
	scratch_load_dwordx4 v[36:39], off, off offset:384
	scratch_load_dwordx4 v[40:43], off, off offset:400
	;; [unrolled: 1-line block ×9, first 2 shown]
	ds_read_b128 v[132:135], v2 offset:1040
	s_waitcnt lgkmcnt(2)
	v_accvgpr_write_b32 a101, v19
	v_accvgpr_write_b32 a100, v18
	;; [unrolled: 1-line block ×4, first 2 shown]
	ds_read_b128 v[172:175], v2 offset:1104
	s_waitcnt vmcnt(29)
	v_mul_f64 v[0:1], v[176:177], v[74:75]
	s_waitcnt vmcnt(28)
	v_mul_f64 v[136:137], v[192:193], v[78:79]
	v_fmac_f64_e32 v[0:1], v[178:179], v[72:73]
	s_waitcnt vmcnt(27)
	v_mul_f64 v[138:139], v[188:189], v[82:83]
	v_fmac_f64_e32 v[136:137], v[194:195], v[76:77]
	v_add_f64 v[0:1], v[0:1], 0
	s_waitcnt vmcnt(26)
	v_mul_f64 v[140:141], v[236:237], v[86:87]
	v_fmac_f64_e32 v[138:139], v[190:191], v[80:81]
	v_add_f64 v[0:1], v[0:1], v[136:137]
	;; [unrolled: 4-line block ×14, first 2 shown]
	v_fmac_f64_e32 v[164:165], v[18:19], v[4:5]
	v_add_f64 v[0:1], v[0:1], v[162:163]
	s_waitcnt vmcnt(13) lgkmcnt(2)
	v_mul_f64 v[140:141], v[32:33], v[26:27]
	scratch_load_dwordx4 v[136:139], off, off offset:528
	v_add_f64 v[0:1], v[0:1], v[164:165]
	v_fmac_f64_e32 v[140:141], v[34:35], v[24:25]
	v_add_f64 v[0:1], v[0:1], v[140:141]
	ds_read_b128 v[160:163], v2 offset:1056
	scratch_load_dwordx4 v[140:143], off, off offset:544
	ds_read_b128 v[164:167], v2 offset:1072
	s_waitcnt vmcnt(13)
	v_mov_b64_e32 v[16:17], v[168:169]
	v_mov_b64_e32 v[18:19], v[170:171]
	ds_read_b128 v[168:171], v2 offset:1088
	s_waitcnt lgkmcnt(4)
	v_mul_f64 v[144:145], v[132:133], v[22:23]
	v_fmac_f64_e32 v[144:145], v[134:135], v[20:21]
	s_waitcnt lgkmcnt(2)
	v_mul_f64 v[148:149], v[160:161], v[18:19]
	v_add_f64 v[0:1], v[0:1], v[144:145]
	v_fmac_f64_e32 v[148:149], v[162:163], v[16:17]
	s_waitcnt vmcnt(12) lgkmcnt(1)
	v_mul_f64 v[152:153], v[164:165], v[14:15]
	scratch_load_dwordx4 v[144:147], off, off offset:560
	v_add_f64 v[0:1], v[0:1], v[148:149]
	v_fmac_f64_e32 v[152:153], v[166:167], v[12:13]
	scratch_load_dwordx4 v[148:151], off, off offset:576
	v_add_f64 v[0:1], v[0:1], v[152:153]
	s_waitcnt vmcnt(13) lgkmcnt(0)
	v_mul_f64 v[152:153], v[168:169], v[30:31]
	v_fmac_f64_e32 v[152:153], v[170:171], v[28:29]
	v_add_f64 v[0:1], v[0:1], v[152:153]
	scratch_load_dwordx4 v[152:155], off, off offset:592
	s_waitcnt vmcnt(13)
	v_mul_f64 v[156:157], v[172:173], v[38:39]
	v_fmac_f64_e32 v[156:157], v[174:175], v[36:37]
	v_mul_f64 v[74:75], v[178:179], v[74:75]
	v_add_f64 v[0:1], v[0:1], v[156:157]
	scratch_load_dwordx4 v[156:159], off, off offset:608
	v_fma_f64 v[240:241], v[176:177], v[72:73], -v[74:75]
	v_mul_f64 v[72:73], v[194:195], v[78:79]
	ds_read_b128 v[180:183], v2 offset:1120
	ds_read_b128 v[176:179], v2 offset:1136
	v_fma_f64 v[242:243], v[192:193], v[76:77], -v[72:73]
	scratch_load_dwordx4 v[76:79], off, off offset:624
	scratch_load_dwordx4 v[72:75], off, off offset:640
	v_mul_f64 v[82:83], v[190:191], v[82:83]
	v_fma_f64 v[244:245], v[188:189], v[80:81], -v[82:83]
	v_mul_f64 v[80:81], v[238:239], v[86:87]
	v_fma_f64 v[236:237], v[236:237], v[84:85], -v[80:81]
	scratch_load_dwordx4 v[80:83], off, off offset:656
	ds_read_b128 v[188:191], v2 offset:1152
	v_mul_f64 v[84:85], v[234:235], v[90:91]
	s_waitcnt vmcnt(16) lgkmcnt(2)
	v_mul_f64 v[192:193], v[180:181], v[42:43]
	v_fma_f64 v[238:239], v[232:233], v[88:89], -v[84:85]
	scratch_load_dwordx4 v[84:87], off, off offset:672
	v_fmac_f64_e32 v[192:193], v[182:183], v[40:41]
	v_add_f64 v[0:1], v[0:1], v[192:193]
	s_waitcnt vmcnt(16) lgkmcnt(1)
	v_mul_f64 v[192:193], v[176:177], v[46:47]
	v_fmac_f64_e32 v[192:193], v[178:179], v[44:45]
	v_add_f64 v[0:1], v[0:1], v[192:193]
	ds_read_b128 v[192:195], v2 offset:1168
	s_waitcnt vmcnt(15) lgkmcnt(1)
	v_mul_f64 v[88:89], v[188:189], v[50:51]
	v_fmac_f64_e32 v[88:89], v[190:191], v[48:49]
	v_add_f64 v[0:1], v[0:1], v[88:89]
	v_mul_f64 v[88:89], v[230:231], v[94:95]
	v_fma_f64 v[246:247], v[228:229], v[92:93], -v[88:89]
	scratch_load_dwordx4 v[88:91], off, off offset:688
	scratch_load_dwordx4 v[232:235], off, off offset:736
	ds_read_b128 v[92:95], v2 offset:1184
	v_mul_f64 v[98:99], v[222:223], v[98:99]
	v_fma_f64 v[252:253], v[220:221], v[96:97], -v[98:99]
	ds_read_b128 v[96:99], v2 offset:1200
	v_mul_f64 v[102:103], v[210:211], v[102:103]
	s_waitcnt vmcnt(16) lgkmcnt(2)
	v_mul_f64 v[228:229], v[192:193], v[54:55]
	v_fma_f64 v[254:255], v[208:209], v[100:101], -v[102:103]
	ds_read_b128 v[100:103], v2 offset:1216
	ds_read_b128 v[208:211], v2 offset:1232
	v_fmac_f64_e32 v[228:229], v[194:195], v[52:53]
	s_waitcnt vmcnt(15) lgkmcnt(3)
	v_mul_f64 v[220:221], v[92:93], v[58:59]
	v_add_f64 v[0:1], v[0:1], v[228:229]
	v_fmac_f64_e32 v[220:221], v[94:95], v[56:57]
	v_mul_f64 v[106:107], v[226:227], v[106:107]
	v_add_f64 v[0:1], v[0:1], v[220:221]
	s_waitcnt vmcnt(14) lgkmcnt(2)
	v_mul_f64 v[220:221], v[96:97], v[62:63]
	v_fma_f64 v[248:249], v[224:225], v[104:105], -v[106:107]
	ds_read_b128 v[104:107], v2 offset:1248
	v_fmac_f64_e32 v[220:221], v[98:99], v[60:61]
	v_mul_f64 v[110:111], v[214:215], v[110:111]
	v_add_f64 v[0:1], v[0:1], v[220:221]
	s_waitcnt vmcnt(13) lgkmcnt(2)
	v_mul_f64 v[220:221], v[100:101], v[70:71]
	v_fma_f64 v[8:9], v[212:213], v[108:109], -v[110:111]
	ds_read_b128 v[108:111], v2 offset:1264
	v_fmac_f64_e32 v[220:221], v[102:103], v[68:69]
	v_accvgpr_write_b32 a97, v7
	v_add_f64 v[0:1], v[0:1], v[220:221]
	s_waitcnt vmcnt(12) lgkmcnt(2)
	v_mul_f64 v[220:221], v[208:209], v[66:67]
	v_accvgpr_write_b32 a96, v6
	v_accvgpr_write_b32 a95, v5
	;; [unrolled: 1-line block ×3, first 2 shown]
	v_fmac_f64_e32 v[220:221], v[210:211], v[64:65]
	s_waitcnt vmcnt(11) lgkmcnt(1)
	v_mul_f64 v[6:7], v[104:105], v[138:139]
	v_add_f64 v[0:1], v[0:1], v[220:221]
	v_fmac_f64_e32 v[6:7], v[106:107], v[136:137]
	v_add_f64 v[0:1], v[0:1], v[6:7]
	s_waitcnt vmcnt(10) lgkmcnt(0)
	v_mul_f64 v[6:7], v[108:109], v[142:143]
	v_fmac_f64_e32 v[6:7], v[110:111], v[140:141]
	ds_read_b128 v[212:215], v2 offset:1280
	v_add_f64 v[0:1], v[0:1], v[6:7]
	v_mul_f64 v[6:7], v[202:203], v[114:115]
	v_fma_f64 v[6:7], v[200:201], v[112:113], -v[6:7]
	ds_read_b128 v[112:115], v2 offset:1296
	v_mul_f64 v[118:119], v[218:219], v[118:119]
	v_fma_f64 v[4:5], v[216:217], v[116:117], -v[118:119]
	ds_read_b128 v[116:119], v2 offset:1312
	s_waitcnt vmcnt(9) lgkmcnt(2)
	v_mul_f64 v[200:201], v[212:213], v[146:147]
	v_fmac_f64_e32 v[200:201], v[214:215], v[144:145]
	s_waitcnt vmcnt(8) lgkmcnt(1)
	v_mul_f64 v[10:11], v[112:113], v[150:151]
	v_add_f64 v[0:1], v[0:1], v[200:201]
	v_fmac_f64_e32 v[10:11], v[114:115], v[148:149]
	v_add_f64 v[0:1], v[0:1], v[10:11]
	ds_read_b128 v[200:203], v2 offset:1328
	s_waitcnt vmcnt(7) lgkmcnt(1)
	v_mul_f64 v[10:11], v[116:117], v[154:155]
	v_fmac_f64_e32 v[10:11], v[118:119], v[152:153]
	v_add_f64 v[10:11], v[0:1], v[10:11]
	v_mul_f64 v[0:1], v[206:207], v[122:123]
	v_fma_f64 v[0:1], v[204:205], v[120:121], -v[0:1]
	ds_read_b128 v[120:123], v2 offset:1344
	v_mul_f64 v[126:127], v[198:199], v[126:127]
	v_fma_f64 v[124:125], v[196:197], v[124:125], -v[126:127]
	s_waitcnt vmcnt(6) lgkmcnt(1)
	v_mul_f64 v[204:205], v[200:201], v[158:159]
	v_accvgpr_write_b32 a102, v124
	v_fmac_f64_e32 v[204:205], v[202:203], v[156:157]
	v_accvgpr_write_b32 a103, v125
	ds_read_b128 v[124:127], v2 offset:1360
	s_waitcnt vmcnt(5) lgkmcnt(1)
	v_mul_f64 v[196:197], v[120:121], v[78:79]
	v_add_f64 v[10:11], v[10:11], v[204:205]
	v_fmac_f64_e32 v[196:197], v[122:123], v[76:77]
	v_add_f64 v[10:11], v[10:11], v[196:197]
	ds_read_b128 v[196:199], v2 offset:1376
	v_mul_f64 v[130:131], v[186:187], v[130:131]
	v_fma_f64 v[250:251], v[184:185], v[128:129], -v[130:131]
	ds_read_b128 v[128:131], v2 offset:1392
	s_waitcnt vmcnt(4) lgkmcnt(2)
	v_mul_f64 v[184:185], v[124:125], v[74:75]
	v_fmac_f64_e32 v[184:185], v[126:127], v[72:73]
	v_add_f64 v[10:11], v[10:11], v[184:185]
	s_waitcnt vmcnt(3) lgkmcnt(1)
	v_mul_f64 v[184:185], v[196:197], v[82:83]
	v_fmac_f64_e32 v[184:185], v[198:199], v[80:81]
	v_add_f64 v[10:11], v[10:11], v[184:185]
	s_waitcnt vmcnt(2) lgkmcnt(0)
	v_mul_f64 v[184:185], v[128:129], v[86:87]
	v_fmac_f64_e32 v[184:185], v[130:131], v[84:85]
	v_add_f64 v[10:11], v[10:11], v[184:185]
	ds_read_b128 v[184:187], v2 offset:1408
	ds_read_b128 v[216:219], v2 offset:1424
	;; [unrolled: 1-line block ×3, first 2 shown]
	s_waitcnt vmcnt(1) lgkmcnt(2)
	v_mul_f64 v[204:205], v[184:185], v[90:91]
	v_fmac_f64_e32 v[204:205], v[186:187], v[88:89]
	v_add_f64 v[10:11], v[10:11], v[204:205]
	scratch_load_dwordx4 v[204:207], off, off offset:704
	s_waitcnt vmcnt(0) lgkmcnt(1)
	v_mul_f64 v[220:221], v[216:217], v[206:207]
	v_fmac_f64_e32 v[220:221], v[218:219], v[204:205]
	v_add_f64 v[10:11], v[10:11], v[220:221]
	scratch_load_dwordx4 v[220:223], off, off offset:720
	s_waitcnt vmcnt(0) lgkmcnt(0)
	v_mul_f64 v[228:229], v[224:225], v[222:223]
	v_fmac_f64_e32 v[228:229], v[226:227], v[220:221]
	v_add_f64 v[10:11], v[10:11], v[228:229]
	ds_read_b128 v[228:231], v2 offset:1456
	s_waitcnt lgkmcnt(0)
	v_mul_f64 v[2:3], v[228:229], v[234:235]
	v_fmac_f64_e32 v[2:3], v[230:231], v[232:233]
	v_add_f64 v[2:3], v[10:11], v[2:3]
	v_add_f64 v[10:11], v[240:241], 0
	;; [unrolled: 1-line block ×6, first 2 shown]
	scratch_load_dwordx4 v[236:239], off, off offset:32
	v_add_f64 v[10:11], v[10:11], v[246:247]
	v_add_f64 v[10:11], v[10:11], v[252:253]
	;; [unrolled: 1-line block ×8, first 2 shown]
	v_accvgpr_read_b32 v0, a102
	v_accvgpr_read_b32 v6, a94
	;; [unrolled: 1-line block ×7, first 2 shown]
	v_add_f64 v[0:1], v[252:253], v[0:1]
	v_accvgpr_read_b32 v7, a95
	v_accvgpr_read_b32 v241, a99
	;; [unrolled: 1-line block ×3, first 2 shown]
	v_mul_f64 v[4:5], v[242:243], v[8:9]
	v_add_f64 v[0:1], v[0:1], v[250:251]
	v_fma_f64 v[4:5], v[240:241], v[6:7], -v[4:5]
	v_add_f64 v[0:1], v[0:1], v[4:5]
	v_mul_f64 v[4:5], v[34:35], v[26:27]
	v_fma_f64 v[4:5], v[32:33], v[24:25], -v[4:5]
	v_add_f64 v[0:1], v[0:1], v[4:5]
	v_mul_f64 v[4:5], v[134:135], v[22:23]
	;; [unrolled: 3-line block ×28, first 2 shown]
	v_fma_f64 v[4:5], v[228:229], v[232:233], -v[4:5]
	v_add_f64 v[0:1], v[0:1], v[4:5]
	s_waitcnt vmcnt(0)
	v_add_f64 v[4:5], v[236:237], -v[0:1]
	v_accvgpr_read_b32 v0, a92
	v_add_f64 v[6:7], v[238:239], -v[2:3]
	v_cmp_ne_u32_e32 vcc, 0, v0
	scratch_store_dwordx4 off, v[4:7], off offset:32
	s_and_saveexec_b64 s[0:1], vcc
	s_cbranch_execz .LBB109_289
; %bb.288:
	scratch_load_dwordx4 v[2:5], off, off offset:16
	v_mov_b32_e32 v6, 0
	v_mov_b32_e32 v7, v6
	;; [unrolled: 1-line block ×4, first 2 shown]
	v_accvgpr_read_b32 v0, a93
	scratch_store_dwordx4 off, v[6:9], off offset:16
	s_waitcnt vmcnt(1)
	ds_write_b128 v0, v[2:5]
.LBB109_289:
	s_or_b64 exec, exec, s[0:1]
	s_waitcnt lgkmcnt(0)
	; wave barrier
	scratch_load_dwordx4 v[88:91], off, off offset:32
	scratch_load_dwordx4 v[92:95], off, off offset:48
	scratch_load_dwordx4 v[96:99], off, off offset:64
	scratch_load_dwordx4 v[100:103], off, off offset:80
	scratch_load_dwordx4 v[104:107], off, off offset:96
	scratch_load_dwordx4 v[108:111], off, off offset:112
	scratch_load_dwordx4 v[148:151], off, off offset:128
	scratch_load_dwordx4 v[152:155], off, off offset:144
	scratch_load_dwordx4 v[160:163], off, off offset:160
	scratch_load_dwordx4 v[164:167], off, off offset:176
	scratch_load_dwordx4 v[172:175], off, off offset:192
	scratch_load_dwordx4 v[176:179], off, off offset:208
	scratch_load_dwordx4 v[184:187], off, off offset:224
	scratch_load_dwordx4 v[188:191], off, off offset:240
	scratch_load_dwordx4 v[196:199], off, off offset:256
	scratch_load_dwordx4 v[200:203], off, off offset:272
	scratch_load_dwordx4 v[0:3], off, off offset:288
	scratch_load_dwordx4 v[4:7], off, off offset:304
	scratch_load_dwordx4 v[8:11], off, off offset:320
	scratch_load_dwordx4 v[12:15], off, off offset:336
	scratch_load_dwordx4 v[128:131], off, off offset:352
	scratch_load_dwordx4 v[20:23], off, off offset:368
	scratch_load_dwordx4 v[24:27], off, off offset:384
	scratch_load_dwordx4 v[28:31], off, off offset:400
	scratch_load_dwordx4 v[32:35], off, off offset:416
	scratch_load_dwordx4 v[36:39], off, off offset:432
	scratch_load_dwordx4 v[40:43], off, off offset:448
	scratch_load_dwordx4 v[44:47], off, off offset:464
	scratch_load_dwordx4 v[48:51], off, off offset:480
	v_mov_b32_e32 v16, 0
	ds_read_b128 v[136:139], v16 offset:752
	ds_read_b128 v[140:143], v16 offset:768
	;; [unrolled: 1-line block ×20, first 2 shown]
	s_and_b64 vcc, exec, s[10:11]
	ds_read_b128 v[116:119], v16 offset:1056
	ds_read_b128 v[132:135], v16 offset:1120
	s_waitcnt vmcnt(28) lgkmcnt(14)
	v_mul_f64 v[60:61], v[136:137], v[90:91]
	s_waitcnt vmcnt(27)
	v_mul_f64 v[62:63], v[140:141], v[94:95]
	v_fmac_f64_e32 v[60:61], v[138:139], v[88:89]
	s_waitcnt vmcnt(26)
	v_mul_f64 v[64:65], v[144:145], v[98:99]
	v_fmac_f64_e32 v[62:63], v[142:143], v[92:93]
	v_add_f64 v[60:61], v[60:61], 0
	s_waitcnt vmcnt(25)
	v_mul_f64 v[66:67], v[156:157], v[102:103]
	v_fmac_f64_e32 v[64:65], v[146:147], v[96:97]
	v_add_f64 v[60:61], v[60:61], v[62:63]
	;; [unrolled: 4-line block ×6, first 2 shown]
	s_waitcnt vmcnt(20) lgkmcnt(13)
	v_mul_f64 v[76:77], v[208:209], v[162:163]
	v_fmac_f64_e32 v[74:75], v[206:207], v[152:153]
	v_add_f64 v[60:61], v[60:61], v[72:73]
	s_waitcnt vmcnt(19) lgkmcnt(12)
	v_mul_f64 v[78:79], v[212:213], v[166:167]
	v_fmac_f64_e32 v[76:77], v[210:211], v[160:161]
	v_add_f64 v[60:61], v[60:61], v[74:75]
	;; [unrolled: 4-line block ×8, first 2 shown]
	v_fmac_f64_e32 v[114:115], v[250:251], v[200:201]
	v_add_f64 v[64:65], v[60:61], v[112:113]
	s_waitcnt vmcnt(12) lgkmcnt(5)
	v_mul_f64 v[66:67], v[56:57], v[2:3]
	v_accvgpr_write_b32 a95, v3
	scratch_load_dwordx4 v[60:63], off, off offset:496
	v_add_f64 v[64:65], v[64:65], v[114:115]
	v_fmac_f64_e32 v[66:67], v[58:59], v[0:1]
	v_accvgpr_write_b32 a94, v2
	v_accvgpr_write_b32 a93, v1
	;; [unrolled: 1-line block ×3, first 2 shown]
	s_waitcnt vmcnt(12)
	v_mov_b64_e32 v[0:1], v[4:5]
	ds_read_b128 v[112:115], v16 offset:1040
	v_add_f64 v[72:73], v[64:65], v[66:67]
	v_mov_b64_e32 v[2:3], v[6:7]
	scratch_load_dwordx4 v[64:67], off, off offset:512
	s_waitcnt lgkmcnt(5)
	v_mul_f64 v[74:75], v[52:53], v[2:3]
	v_fmac_f64_e32 v[74:75], v[54:55], v[0:1]
	scratch_load_dwordx4 v[68:71], off, off offset:528
	s_waitcnt vmcnt(13)
	v_mov_b64_e32 v[0:1], v[8:9]
	v_mov_b64_e32 v[2:3], v[10:11]
	v_add_f64 v[72:73], v[72:73], v[74:75]
	s_waitcnt lgkmcnt(0)
	v_mul_f64 v[74:75], v[112:113], v[2:3]
	v_fmac_f64_e32 v[74:75], v[114:115], v[0:1]
	s_waitcnt vmcnt(12)
	v_mov_b64_e32 v[0:1], v[12:13]
	v_mov_b64_e32 v[2:3], v[14:15]
	v_mul_f64 v[78:79], v[116:117], v[2:3]
	v_fmac_f64_e32 v[78:79], v[118:119], v[0:1]
	s_waitcnt vmcnt(11)
	v_mov_b64_e32 v[0:1], v[128:129]
	v_add_f64 v[76:77], v[72:73], v[74:75]
	scratch_load_dwordx4 v[72:75], off, off offset:544
	v_mov_b64_e32 v[2:3], v[130:131]
	v_add_f64 v[80:81], v[76:77], v[78:79]
	v_mul_f64 v[82:83], v[120:121], v[2:3]
	scratch_load_dwordx4 v[76:79], off, off offset:560
	v_fmac_f64_e32 v[82:83], v[122:123], v[0:1]
	v_add_f64 v[84:85], v[80:81], v[82:83]
	scratch_load_dwordx4 v[80:83], off, off offset:576
	v_accvgpr_write_b32 a108, v128
	v_accvgpr_write_b32 a109, v129
	;; [unrolled: 1-line block ×4, first 2 shown]
	ds_read_b128 v[128:131], v16 offset:1104
	v_mul_f64 v[90:91], v[138:139], v[90:91]
	v_fma_f64 v[240:241], v[136:137], v[88:89], -v[90:91]
	ds_read_b128 v[136:139], v16 offset:1136
	s_waitcnt vmcnt(13)
	v_mul_f64 v[86:87], v[124:125], v[22:23]
	v_fmac_f64_e32 v[86:87], v[126:127], v[20:21]
	s_waitcnt vmcnt(12) lgkmcnt(1)
	v_mul_f64 v[238:239], v[128:129], v[26:27]
	v_add_f64 v[236:237], v[84:85], v[86:87]
	v_fmac_f64_e32 v[238:239], v[130:131], v[24:25]
	v_add_f64 v[236:237], v[236:237], v[238:239]
	s_waitcnt vmcnt(11)
	v_mul_f64 v[238:239], v[132:133], v[30:31]
	v_mul_f64 v[94:95], v[142:143], v[94:95]
	;; [unrolled: 1-line block ×3, first 2 shown]
	v_fmac_f64_e32 v[238:239], v[134:135], v[28:29]
	v_fma_f64 v[242:243], v[140:141], v[92:93], -v[94:95]
	v_fma_f64 v[244:245], v[144:145], v[96:97], -v[98:99]
	ds_read_b128 v[140:143], v16 offset:1152
	s_waitcnt vmcnt(10) lgkmcnt(1)
	v_mul_f64 v[144:145], v[136:137], v[34:35]
	v_add_f64 v[236:237], v[236:237], v[238:239]
	v_mul_f64 v[96:97], v[158:159], v[102:103]
	v_fmac_f64_e32 v[144:145], v[138:139], v[32:33]
	v_fma_f64 v[246:247], v[156:157], v[100:101], -v[96:97]
	v_add_f64 v[156:157], v[236:237], v[144:145]
	ds_read_b128 v[144:147], v16 offset:1168
	v_mul_f64 v[150:151], v[194:195], v[150:151]
	v_fma_f64 v[236:237], v[192:193], v[148:149], -v[150:151]
	ds_read_b128 v[148:151], v16 offset:1184
	v_mul_f64 v[154:155], v[206:207], v[154:155]
	s_waitcnt vmcnt(9) lgkmcnt(2)
	v_mul_f64 v[158:159], v[140:141], v[38:39]
	v_fma_f64 v[252:253], v[204:205], v[152:153], -v[154:155]
	ds_read_b128 v[152:155], v16 offset:1200
	v_fmac_f64_e32 v[158:159], v[142:143], v[36:37]
	v_accvgpr_write_b32 a99, v7
	v_add_f64 v[2:3], v[156:157], v[158:159]
	s_waitcnt vmcnt(8) lgkmcnt(2)
	v_mul_f64 v[156:157], v[144:145], v[42:43]
	v_accvgpr_write_b32 a98, v6
	v_accvgpr_write_b32 a97, v5
	;; [unrolled: 1-line block ×3, first 2 shown]
	v_fmac_f64_e32 v[156:157], v[146:147], v[40:41]
	s_waitcnt vmcnt(7) lgkmcnt(1)
	v_mul_f64 v[6:7], v[148:149], v[46:47]
	v_add_f64 v[2:3], v[2:3], v[156:157]
	v_fmac_f64_e32 v[6:7], v[150:151], v[44:45]
	scratch_load_dwordx4 v[84:87], off, off offset:592
	scratch_load_dwordx4 v[88:91], off, off offset:608
	v_add_f64 v[2:3], v[2:3], v[6:7]
	ds_read_b128 v[156:159], v16 offset:1216
	s_waitcnt vmcnt(8) lgkmcnt(1)
	v_mul_f64 v[6:7], v[152:153], v[50:51]
	v_fmac_f64_e32 v[6:7], v[154:155], v[48:49]
	v_add_f64 v[2:3], v[2:3], v[6:7]
	v_mul_f64 v[6:7], v[210:211], v[162:163]
	v_fma_f64 v[6:7], v[208:209], v[160:161], -v[6:7]
	ds_read_b128 v[160:163], v16 offset:1232
	scratch_load_dwordx4 v[92:95], off, off offset:624
	v_mul_f64 v[166:167], v[214:215], v[166:167]
	v_fma_f64 v[4:5], v[212:213], v[164:165], -v[166:167]
	ds_read_b128 v[164:167], v16 offset:1248
	v_mul_f64 v[100:101], v[170:171], v[106:107]
	v_accvgpr_write_b32 a103, v11
	scratch_load_dwordx4 v[96:99], off, off offset:640
	v_fma_f64 v[254:255], v[168:169], v[104:105], -v[100:101]
	s_waitcnt vmcnt(9) lgkmcnt(2)
	v_mul_f64 v[168:169], v[156:157], v[62:63]
	v_accvgpr_write_b32 a102, v10
	v_accvgpr_write_b32 a101, v9
	;; [unrolled: 1-line block ×3, first 2 shown]
	v_fmac_f64_e32 v[168:169], v[158:159], v[60:61]
	s_waitcnt vmcnt(8) lgkmcnt(1)
	v_mul_f64 v[10:11], v[160:161], v[66:67]
	v_add_f64 v[2:3], v[2:3], v[168:169]
	v_fmac_f64_e32 v[10:11], v[162:163], v[64:65]
	v_add_f64 v[2:3], v[2:3], v[10:11]
	s_waitcnt vmcnt(7) lgkmcnt(0)
	v_mul_f64 v[10:11], v[164:165], v[70:71]
	v_fmac_f64_e32 v[10:11], v[166:167], v[68:69]
	ds_read_b128 v[168:171], v16 offset:1264
	v_add_f64 v[2:3], v[2:3], v[10:11]
	v_mul_f64 v[10:11], v[218:219], v[174:175]
	scratch_load_dwordx4 v[104:107], off, off offset:656
	v_fma_f64 v[10:11], v[216:217], v[172:173], -v[10:11]
	ds_read_b128 v[172:175], v16 offset:1280
	v_mul_f64 v[178:179], v[222:223], v[178:179]
	scratch_load_dwordx4 v[100:103], off, off offset:672
	v_fma_f64 v[8:9], v[220:221], v[176:177], -v[178:179]
	ds_read_b128 v[176:179], v16 offset:1296
	v_mul_f64 v[110:111], v[182:183], v[110:111]
	v_accvgpr_write_b32 a107, v15
	v_fma_f64 v[0:1], v[180:181], v[108:109], -v[110:111]
	scratch_load_dwordx4 v[108:111], off, off offset:688
	s_waitcnt vmcnt(9) lgkmcnt(2)
	v_mul_f64 v[180:181], v[168:169], v[74:75]
	v_accvgpr_write_b32 a106, v14
	v_accvgpr_write_b32 a105, v13
	;; [unrolled: 1-line block ×3, first 2 shown]
	v_fmac_f64_e32 v[180:181], v[170:171], v[72:73]
	s_waitcnt vmcnt(8) lgkmcnt(1)
	v_mul_f64 v[14:15], v[172:173], v[78:79]
	v_add_f64 v[2:3], v[2:3], v[180:181]
	v_fmac_f64_e32 v[14:15], v[174:175], v[76:77]
	scratch_load_dwordx4 v[208:211], off, off offset:704
	scratch_load_dwordx4 v[216:219], off, off offset:720
	v_add_f64 v[2:3], v[2:3], v[14:15]
	ds_read_b128 v[180:183], v16 offset:1312
	s_waitcnt vmcnt(9) lgkmcnt(1)
	v_mul_f64 v[14:15], v[176:177], v[82:83]
	v_fmac_f64_e32 v[14:15], v[178:179], v[80:81]
	v_add_f64 v[2:3], v[2:3], v[14:15]
	v_mul_f64 v[14:15], v[226:227], v[186:187]
	v_fma_f64 v[14:15], v[224:225], v[184:185], -v[14:15]
	scratch_load_dwordx4 v[224:227], off, off offset:736
	ds_read_b128 v[184:187], v16 offset:1328
	v_mul_f64 v[190:191], v[230:231], v[190:191]
	v_fma_f64 v[12:13], v[228:229], v[188:189], -v[190:191]
	ds_read_b128 v[188:191], v16 offset:1344
	ds_read_b128 v[204:207], v16 offset:1408
	;; [unrolled: 1-line block ×5, first 2 shown]
	s_waitcnt vmcnt(9) lgkmcnt(6)
	v_mul_f64 v[192:193], v[180:181], v[86:87]
	v_fmac_f64_e32 v[192:193], v[182:183], v[84:85]
	v_add_f64 v[2:3], v[2:3], v[192:193]
	s_waitcnt vmcnt(8) lgkmcnt(5)
	v_mul_f64 v[18:19], v[184:185], v[90:91]
	ds_read_b128 v[192:195], v16 offset:1360
	v_fmac_f64_e32 v[18:19], v[186:187], v[88:89]
	v_add_f64 v[2:3], v[2:3], v[18:19]
	s_waitcnt vmcnt(7) lgkmcnt(5)
	v_mul_f64 v[18:19], v[188:189], v[94:95]
	v_fmac_f64_e32 v[18:19], v[190:191], v[92:93]
	v_add_f64 v[2:3], v[2:3], v[18:19]
	v_mul_f64 v[18:19], v[234:235], v[198:199]
	v_fma_f64 v[238:239], v[232:233], v[196:197], -v[18:19]
	ds_read_b128 v[196:199], v16 offset:1376
	scratch_load_dwordx4 v[232:235], off, off offset:16
	s_waitcnt vmcnt(7) lgkmcnt(1)
	v_mul_f64 v[18:19], v[192:193], v[98:99]
	v_fmac_f64_e32 v[18:19], v[194:195], v[96:97]
	v_add_f64 v[2:3], v[2:3], v[18:19]
	v_mul_f64 v[18:19], v[250:251], v[202:203]
	v_fma_f64 v[248:249], v[248:249], v[200:201], -v[18:19]
	ds_read_b128 v[200:203], v16 offset:1392
	s_waitcnt vmcnt(6) lgkmcnt(1)
	v_mul_f64 v[18:19], v[196:197], v[106:107]
	v_fmac_f64_e32 v[18:19], v[198:199], v[104:105]
	v_add_f64 v[2:3], v[2:3], v[18:19]
	s_waitcnt vmcnt(5) lgkmcnt(0)
	v_mul_f64 v[18:19], v[200:201], v[102:103]
	v_fmac_f64_e32 v[18:19], v[202:203], v[100:101]
	v_add_f64 v[2:3], v[2:3], v[18:19]
	s_waitcnt vmcnt(4)
	v_mul_f64 v[18:19], v[204:205], v[110:111]
	v_fmac_f64_e32 v[18:19], v[206:207], v[108:109]
	v_add_f64 v[2:3], v[2:3], v[18:19]
	s_waitcnt vmcnt(3)
	v_mul_f64 v[18:19], v[212:213], v[210:211]
	v_fmac_f64_e32 v[18:19], v[214:215], v[208:209]
	v_add_f64 v[2:3], v[2:3], v[18:19]
	s_waitcnt vmcnt(2)
	v_mul_f64 v[18:19], v[220:221], v[218:219]
	v_fmac_f64_e32 v[18:19], v[222:223], v[216:217]
	v_add_f64 v[2:3], v[2:3], v[18:19]
	s_waitcnt vmcnt(1)
	v_mul_f64 v[18:19], v[228:229], v[226:227]
	v_fmac_f64_e32 v[18:19], v[230:231], v[224:225]
	v_add_f64 v[2:3], v[2:3], v[18:19]
	v_add_f64 v[18:19], v[240:241], 0
	;; [unrolled: 1-line block ×13, first 2 shown]
	v_accvgpr_read_b32 v6, a92
	v_add_f64 v[0:1], v[0:1], v[14:15]
	v_accvgpr_read_b32 v8, a94
	v_accvgpr_read_b32 v9, a95
	v_add_f64 v[250:251], v[0:1], v[12:13]
	v_accvgpr_read_b32 v7, a93
	v_mul_f64 v[4:5], v[58:59], v[8:9]
	v_add_f64 v[0:1], v[250:251], v[238:239]
	v_fma_f64 v[4:5], v[56:57], v[6:7], -v[4:5]
	v_accvgpr_read_b32 v6, a96
	v_add_f64 v[0:1], v[0:1], v[248:249]
	v_accvgpr_read_b32 v8, a98
	v_accvgpr_read_b32 v9, a99
	v_add_f64 v[0:1], v[0:1], v[4:5]
	v_accvgpr_read_b32 v7, a97
	v_mul_f64 v[4:5], v[54:55], v[8:9]
	v_fma_f64 v[4:5], v[52:53], v[6:7], -v[4:5]
	v_accvgpr_read_b32 v6, a100
	v_accvgpr_read_b32 v8, a102
	v_accvgpr_read_b32 v9, a103
	v_add_f64 v[0:1], v[0:1], v[4:5]
	v_accvgpr_read_b32 v7, a101
	v_mul_f64 v[4:5], v[114:115], v[8:9]
	v_fma_f64 v[4:5], v[112:113], v[6:7], -v[4:5]
	v_accvgpr_read_b32 v6, a104
	;; [unrolled: 7-line block ×3, first 2 shown]
	v_accvgpr_read_b32 v8, a110
	v_accvgpr_read_b32 v9, a111
	v_add_f64 v[0:1], v[0:1], v[4:5]
	v_accvgpr_read_b32 v7, a109
	v_mul_f64 v[4:5], v[122:123], v[8:9]
	v_fma_f64 v[4:5], v[120:121], v[6:7], -v[4:5]
	v_add_f64 v[0:1], v[0:1], v[4:5]
	v_mul_f64 v[4:5], v[126:127], v[22:23]
	v_fma_f64 v[4:5], v[124:125], v[20:21], -v[4:5]
	v_add_f64 v[0:1], v[0:1], v[4:5]
	;; [unrolled: 3-line block ×25, first 2 shown]
	s_waitcnt vmcnt(0)
	v_add_f64 v[0:1], v[232:233], -v[0:1]
	v_add_f64 v[2:3], v[234:235], -v[2:3]
	scratch_store_dwordx4 off, v[0:3], off offset:16
	s_cbranch_vccz .LBB109_380
; %bb.290:
	global_load_dword v0, v16, s[8:9] offset:176
	s_waitcnt vmcnt(0)
	v_readfirstlane_b32 s0, v0
	s_add_i32 s0, s0, -1
	s_cmp_lg_u32 s0, 44
	s_cbranch_scc0 .LBB109_292
; %bb.291:
	s_lshl_b32 s0, s0, 4
	s_add_i32 s0, s0, 16
	scratch_load_dwordx4 v[0:3], off, s0
	scratch_load_dwordx4 v[4:7], off, s17
	s_waitcnt vmcnt(1)
	scratch_store_dwordx4 off, v[0:3], s17
	s_waitcnt vmcnt(1)
	scratch_store_dwordx4 off, v[4:7], s0
.LBB109_292:
	v_mov_b32_e32 v0, 0
	global_load_dword v1, v0, s[8:9] offset:172
	s_waitcnt vmcnt(0)
	v_readfirstlane_b32 s0, v1
	s_add_i32 s0, s0, -1
	s_cmp_eq_u32 s0, 43
	s_cbranch_scc1 .LBB109_294
; %bb.293:
	s_lshl_b32 s0, s0, 4
	s_add_i32 s0, s0, 16
	scratch_load_dwordx4 v[2:5], off, s0
	scratch_load_dwordx4 v[6:9], off, s18
	s_waitcnt vmcnt(1)
	scratch_store_dwordx4 off, v[2:5], s18
	s_waitcnt vmcnt(1)
	scratch_store_dwordx4 off, v[6:9], s0
.LBB109_294:
	global_load_dword v0, v0, s[8:9] offset:168
	s_waitcnt vmcnt(0)
	v_readfirstlane_b32 s0, v0
	s_add_i32 s0, s0, -1
	s_cmp_eq_u32 s0, 42
	s_cbranch_scc1 .LBB109_296
; %bb.295:
	s_lshl_b32 s0, s0, 4
	s_add_i32 s0, s0, 16
	scratch_load_dwordx4 v[0:3], off, s0
	scratch_load_dwordx4 v[4:7], off, s19
	s_waitcnt vmcnt(1)
	scratch_store_dwordx4 off, v[0:3], s19
	s_waitcnt vmcnt(1)
	scratch_store_dwordx4 off, v[4:7], s0
.LBB109_296:
	v_mov_b32_e32 v0, 0
	global_load_dword v1, v0, s[8:9] offset:164
	s_waitcnt vmcnt(0)
	v_readfirstlane_b32 s0, v1
	s_add_i32 s0, s0, -1
	s_cmp_eq_u32 s0, 41
	s_cbranch_scc1 .LBB109_298
; %bb.297:
	s_lshl_b32 s0, s0, 4
	s_add_i32 s0, s0, 16
	scratch_load_dwordx4 v[2:5], off, s0
	scratch_load_dwordx4 v[6:9], off, s20
	s_waitcnt vmcnt(1)
	scratch_store_dwordx4 off, v[2:5], s20
	s_waitcnt vmcnt(1)
	scratch_store_dwordx4 off, v[6:9], s0
.LBB109_298:
	global_load_dword v0, v0, s[8:9] offset:160
	s_waitcnt vmcnt(0)
	v_readfirstlane_b32 s0, v0
	s_add_i32 s0, s0, -1
	s_cmp_eq_u32 s0, 40
	s_cbranch_scc1 .LBB109_300
; %bb.299:
	s_lshl_b32 s0, s0, 4
	s_add_i32 s0, s0, 16
	scratch_load_dwordx4 v[0:3], off, s0
	scratch_load_dwordx4 v[4:7], off, s21
	s_waitcnt vmcnt(1)
	scratch_store_dwordx4 off, v[0:3], s21
	s_waitcnt vmcnt(1)
	scratch_store_dwordx4 off, v[4:7], s0
.LBB109_300:
	;; [unrolled: 33-line block ×21, first 2 shown]
	v_mov_b32_e32 v0, 0
	global_load_dword v1, v0, s[8:9] offset:4
	s_waitcnt vmcnt(0)
	v_readfirstlane_b32 s0, v1
	s_add_i32 s0, s0, -1
	s_cmp_eq_u32 s0, 1
	s_cbranch_scc1 .LBB109_378
; %bb.377:
	s_lshl_b32 s0, s0, 4
	s_add_i32 s0, s0, 16
	scratch_load_dwordx4 v[2:5], off, s0
	scratch_load_dwordx4 v[6:9], off, s61
	s_waitcnt vmcnt(1)
	scratch_store_dwordx4 off, v[2:5], s61
	s_waitcnt vmcnt(1)
	scratch_store_dwordx4 off, v[6:9], s0
.LBB109_378:
	global_load_dword v0, v0, s[8:9]
	s_waitcnt vmcnt(0)
	v_readfirstlane_b32 s0, v0
	s_add_i32 s0, s0, -1
	s_cmp_eq_u32 s0, 0
	s_cbranch_scc1 .LBB109_380
; %bb.379:
	s_lshl_b32 s0, s0, 4
	s_add_i32 s0, s0, 16
	scratch_load_dwordx4 v[0:3], off, s0
	scratch_load_dwordx4 v[4:7], off, off offset:16
	s_waitcnt vmcnt(1)
	scratch_store_dwordx4 off, v[0:3], off offset:16
	s_waitcnt vmcnt(1)
	scratch_store_dwordx4 off, v[4:7], s0
.LBB109_380:
	scratch_load_dwordx4 v[0:3], off, off offset:16
	s_nop 0
	v_accvgpr_read_b32 v5, a1
	v_accvgpr_read_b32 v4, a0
	s_waitcnt vmcnt(0)
	flat_store_dwordx4 v[4:5], v[0:3]
	scratch_load_dwordx4 v[0:3], off, s61
	v_accvgpr_read_b32 v5, a3
	v_accvgpr_read_b32 v4, a2
	s_waitcnt vmcnt(0)
	flat_store_dwordx4 v[4:5], v[0:3]
	scratch_load_dwordx4 v[0:3], off, s60
	;; [unrolled: 5-line block ×45, first 2 shown]
	v_accvgpr_read_b32 v4, a90
	v_accvgpr_read_b32 v5, a91
	s_waitcnt vmcnt(0)
	flat_store_dwordx4 v[4:5], v[0:3]
	s_endpgm
	.section	.rodata,"a",@progbits
	.p2align	6, 0x0
	.amdhsa_kernel _ZN9rocsolver6v33100L18getri_kernel_smallILi46E19rocblas_complex_numIdEPKPS3_EEvT1_iilPiilS8_bb
		.amdhsa_group_segment_fixed_size 1480
		.amdhsa_private_segment_fixed_size 768
		.amdhsa_kernarg_size 60
		.amdhsa_user_sgpr_count 2
		.amdhsa_user_sgpr_dispatch_ptr 0
		.amdhsa_user_sgpr_queue_ptr 0
		.amdhsa_user_sgpr_kernarg_segment_ptr 1
		.amdhsa_user_sgpr_dispatch_id 0
		.amdhsa_user_sgpr_kernarg_preload_length 0
		.amdhsa_user_sgpr_kernarg_preload_offset 0
		.amdhsa_user_sgpr_private_segment_size 0
		.amdhsa_uses_dynamic_stack 0
		.amdhsa_enable_private_segment 1
		.amdhsa_system_sgpr_workgroup_id_x 1
		.amdhsa_system_sgpr_workgroup_id_y 0
		.amdhsa_system_sgpr_workgroup_id_z 0
		.amdhsa_system_sgpr_workgroup_info 0
		.amdhsa_system_vgpr_workitem_id 0
		.amdhsa_next_free_vgpr 368
		.amdhsa_next_free_sgpr 79
		.amdhsa_accum_offset 256
		.amdhsa_reserve_vcc 1
		.amdhsa_float_round_mode_32 0
		.amdhsa_float_round_mode_16_64 0
		.amdhsa_float_denorm_mode_32 3
		.amdhsa_float_denorm_mode_16_64 3
		.amdhsa_dx10_clamp 1
		.amdhsa_ieee_mode 1
		.amdhsa_fp16_overflow 0
		.amdhsa_tg_split 0
		.amdhsa_exception_fp_ieee_invalid_op 0
		.amdhsa_exception_fp_denorm_src 0
		.amdhsa_exception_fp_ieee_div_zero 0
		.amdhsa_exception_fp_ieee_overflow 0
		.amdhsa_exception_fp_ieee_underflow 0
		.amdhsa_exception_fp_ieee_inexact 0
		.amdhsa_exception_int_div_zero 0
	.end_amdhsa_kernel
	.section	.text._ZN9rocsolver6v33100L18getri_kernel_smallILi46E19rocblas_complex_numIdEPKPS3_EEvT1_iilPiilS8_bb,"axG",@progbits,_ZN9rocsolver6v33100L18getri_kernel_smallILi46E19rocblas_complex_numIdEPKPS3_EEvT1_iilPiilS8_bb,comdat
.Lfunc_end109:
	.size	_ZN9rocsolver6v33100L18getri_kernel_smallILi46E19rocblas_complex_numIdEPKPS3_EEvT1_iilPiilS8_bb, .Lfunc_end109-_ZN9rocsolver6v33100L18getri_kernel_smallILi46E19rocblas_complex_numIdEPKPS3_EEvT1_iilPiilS8_bb
                                        ; -- End function
	.set _ZN9rocsolver6v33100L18getri_kernel_smallILi46E19rocblas_complex_numIdEPKPS3_EEvT1_iilPiilS8_bb.num_vgpr, 256
	.set _ZN9rocsolver6v33100L18getri_kernel_smallILi46E19rocblas_complex_numIdEPKPS3_EEvT1_iilPiilS8_bb.num_agpr, 112
	.set _ZN9rocsolver6v33100L18getri_kernel_smallILi46E19rocblas_complex_numIdEPKPS3_EEvT1_iilPiilS8_bb.numbered_sgpr, 79
	.set _ZN9rocsolver6v33100L18getri_kernel_smallILi46E19rocblas_complex_numIdEPKPS3_EEvT1_iilPiilS8_bb.num_named_barrier, 0
	.set _ZN9rocsolver6v33100L18getri_kernel_smallILi46E19rocblas_complex_numIdEPKPS3_EEvT1_iilPiilS8_bb.private_seg_size, 768
	.set _ZN9rocsolver6v33100L18getri_kernel_smallILi46E19rocblas_complex_numIdEPKPS3_EEvT1_iilPiilS8_bb.uses_vcc, 1
	.set _ZN9rocsolver6v33100L18getri_kernel_smallILi46E19rocblas_complex_numIdEPKPS3_EEvT1_iilPiilS8_bb.uses_flat_scratch, 0
	.set _ZN9rocsolver6v33100L18getri_kernel_smallILi46E19rocblas_complex_numIdEPKPS3_EEvT1_iilPiilS8_bb.has_dyn_sized_stack, 0
	.set _ZN9rocsolver6v33100L18getri_kernel_smallILi46E19rocblas_complex_numIdEPKPS3_EEvT1_iilPiilS8_bb.has_recursion, 0
	.set _ZN9rocsolver6v33100L18getri_kernel_smallILi46E19rocblas_complex_numIdEPKPS3_EEvT1_iilPiilS8_bb.has_indirect_call, 0
	.section	.AMDGPU.csdata,"",@progbits
; Kernel info:
; codeLenInByte = 90780
; TotalNumSgprs: 85
; NumVgprs: 256
; NumAgprs: 112
; TotalNumVgprs: 368
; ScratchSize: 768
; MemoryBound: 0
; FloatMode: 240
; IeeeMode: 1
; LDSByteSize: 1480 bytes/workgroup (compile time only)
; SGPRBlocks: 10
; VGPRBlocks: 45
; NumSGPRsForWavesPerEU: 85
; NumVGPRsForWavesPerEU: 368
; AccumOffset: 256
; Occupancy: 1
; WaveLimiterHint : 1
; COMPUTE_PGM_RSRC2:SCRATCH_EN: 1
; COMPUTE_PGM_RSRC2:USER_SGPR: 2
; COMPUTE_PGM_RSRC2:TRAP_HANDLER: 0
; COMPUTE_PGM_RSRC2:TGID_X_EN: 1
; COMPUTE_PGM_RSRC2:TGID_Y_EN: 0
; COMPUTE_PGM_RSRC2:TGID_Z_EN: 0
; COMPUTE_PGM_RSRC2:TIDIG_COMP_CNT: 0
; COMPUTE_PGM_RSRC3_GFX90A:ACCUM_OFFSET: 63
; COMPUTE_PGM_RSRC3_GFX90A:TG_SPLIT: 0
	.section	.text._ZN9rocsolver6v33100L18getri_kernel_smallILi47E19rocblas_complex_numIdEPKPS3_EEvT1_iilPiilS8_bb,"axG",@progbits,_ZN9rocsolver6v33100L18getri_kernel_smallILi47E19rocblas_complex_numIdEPKPS3_EEvT1_iilPiilS8_bb,comdat
	.globl	_ZN9rocsolver6v33100L18getri_kernel_smallILi47E19rocblas_complex_numIdEPKPS3_EEvT1_iilPiilS8_bb ; -- Begin function _ZN9rocsolver6v33100L18getri_kernel_smallILi47E19rocblas_complex_numIdEPKPS3_EEvT1_iilPiilS8_bb
	.p2align	8
	.type	_ZN9rocsolver6v33100L18getri_kernel_smallILi47E19rocblas_complex_numIdEPKPS3_EEvT1_iilPiilS8_bb,@function
_ZN9rocsolver6v33100L18getri_kernel_smallILi47E19rocblas_complex_numIdEPKPS3_EEvT1_iilPiilS8_bb: ; @_ZN9rocsolver6v33100L18getri_kernel_smallILi47E19rocblas_complex_numIdEPKPS3_EEvT1_iilPiilS8_bb
; %bb.0:
	v_mov_b32_e32 v240, v0
	v_cmp_gt_u32_e32 vcc, 47, v240
	s_and_saveexec_b64 s[4:5], vcc
	s_cbranch_execz .LBB110_202
; %bb.1:
	s_load_dword s14, s[0:1], 0x38
	s_load_dwordx2 s[8:9], s[0:1], 0x0
	s_load_dwordx4 s[4:7], s[0:1], 0x28
	s_waitcnt lgkmcnt(0)
	s_bitcmp1_b32 s14, 8
	s_cselect_b64 s[10:11], -1, 0
	s_ashr_i32 s3, s2, 31
	s_lshl_b64 s[12:13], s[2:3], 3
	s_add_u32 s8, s8, s12
	s_addc_u32 s9, s9, s13
	s_load_dwordx2 s[12:13], s[8:9], 0x0
	s_bfe_u32 s8, s14, 0x10008
	s_cmp_eq_u32 s8, 0
                                        ; implicit-def: $sgpr8_sgpr9
	s_cbranch_scc1 .LBB110_3
; %bb.2:
	s_load_dword s8, s[0:1], 0x20
	s_load_dwordx2 s[14:15], s[0:1], 0x18
	s_mul_i32 s9, s4, s3
	s_mul_hi_u32 s16, s4, s2
	s_add_i32 s16, s16, s9
	s_mul_i32 s5, s5, s2
	s_add_i32 s5, s16, s5
	s_mul_i32 s4, s4, s2
	s_waitcnt lgkmcnt(0)
	s_ashr_i32 s9, s8, 31
	s_lshl_b64 s[4:5], s[4:5], 2
	s_add_u32 s14, s14, s4
	s_addc_u32 s15, s15, s5
	s_lshl_b64 s[4:5], s[8:9], 2
	s_add_u32 s8, s14, s4
	s_addc_u32 s9, s15, s5
.LBB110_3:
	s_load_dwordx2 s[4:5], s[0:1], 0x8
	s_load_dword s14, s[0:1], 0x38
	v_lshlrev_b32_e32 v14, 4, v240
	v_mov_b32_e32 v15, 0
	s_movk_i32 s15, 0x80
	s_waitcnt lgkmcnt(0)
	s_ashr_i32 s1, s4, 31
	s_mov_b32 s0, s4
	s_lshl_b64 s[0:1], s[0:1], 4
	s_add_u32 s0, s12, s0
	s_addc_u32 s1, s13, s1
	v_lshl_add_u64 v[0:1], s[0:1], 0, v[14:15]
	flat_load_dwordx4 v[2:5], v[0:1]
	s_mov_b32 s12, s5
	s_ashr_i32 s13, s5, 31
	v_accvgpr_write_b32 a0, v0
	v_accvgpr_write_b32 a1, v1
	v_lshl_add_u64 v[0:1], s[12:13], 4, v[0:1]
	s_add_i32 s4, s5, s5
	v_add_u32_e32 v6, s4, v240
	v_accvgpr_write_b32 a3, v1
	v_ashrrev_i32_e32 v7, 31, v6
	v_accvgpr_write_b32 a2, v0
	s_movk_i32 s4, 0x50
	s_movk_i32 s12, 0x60
	;; [unrolled: 1-line block ×38, first 2 shown]
	s_add_i32 s58, s4, 16
	s_add_i32 s57, s12, 16
	;; [unrolled: 1-line block ×31, first 2 shown]
	s_waitcnt vmcnt(0) lgkmcnt(0)
	scratch_store_dwordx4 off, v[2:5], off offset:16
	flat_load_dwordx4 v[2:5], v[0:1]
	v_lshl_add_u64 v[0:1], v[6:7], 4, s[0:1]
	v_add_u32_e32 v6, s5, v6
	v_accvgpr_write_b32 a5, v1
	v_ashrrev_i32_e32 v7, 31, v6
	v_accvgpr_write_b32 a4, v0
	s_add_i32 s23, s72, 16
	s_add_i32 s22, s73, 16
	;; [unrolled: 1-line block ×8, first 2 shown]
	s_mov_b32 s62, 32
	s_mov_b32 s61, 48
	;; [unrolled: 1-line block ×3, first 2 shown]
	s_movk_i32 s59, 0x50
	s_waitcnt vmcnt(0) lgkmcnt(0)
	scratch_store_dwordx4 off, v[2:5], off offset:32
	flat_load_dwordx4 v[2:5], v[0:1]
	v_lshl_add_u64 v[0:1], v[6:7], 4, s[0:1]
	v_add_u32_e32 v6, s5, v6
	v_accvgpr_write_b32 a7, v1
	v_ashrrev_i32_e32 v7, 31, v6
	v_accvgpr_write_b32 a6, v0
	s_waitcnt vmcnt(0) lgkmcnt(0)
	scratch_store_dwordx4 off, v[2:5], off offset:48
	flat_load_dwordx4 v[2:5], v[0:1]
	v_lshl_add_u64 v[0:1], v[6:7], 4, s[0:1]
	v_add_u32_e32 v6, s5, v6
	v_accvgpr_write_b32 a9, v1
	v_ashrrev_i32_e32 v7, 31, v6
	v_accvgpr_write_b32 a8, v0
	;; [unrolled: 8-line block ×43, first 2 shown]
	s_movk_i32 s5, 0x110
	s_add_i32 s46, s5, 16
	s_mov_b64 s[4:5], -1
	s_waitcnt vmcnt(0) lgkmcnt(0)
	scratch_store_dwordx4 off, v[2:5], off offset:720
	flat_load_dwordx4 v[2:5], v[0:1]
	v_lshl_add_u64 v[0:1], v[6:7], 4, s[0:1]
	s_movk_i32 s0, 0xf0
	s_movk_i32 s1, 0x100
	v_accvgpr_write_b32 a93, v1
	s_add_i32 s48, s0, 16
	s_add_i32 s47, s1, 16
	v_accvgpr_write_b32 a92, v0
	s_bitcmp0_b32 s14, 0
	s_waitcnt vmcnt(0) lgkmcnt(0)
	scratch_store_dwordx4 off, v[2:5], off offset:736
	flat_load_dwordx4 v[2:5], v[0:1]
	s_waitcnt vmcnt(0) lgkmcnt(0)
	scratch_store_dwordx4 off, v[2:5], off offset:752
	s_cbranch_scc1 .LBB110_200
; %bb.4:
	v_cmp_eq_u32_e64 s[0:1], 0, v240
	s_and_saveexec_b64 s[4:5], s[0:1]
; %bb.5:
	v_mov_b32_e32 v0, 0
	ds_write_b32 v0, v0 offset:1504
; %bb.6:
	s_or_b64 exec, exec, s[4:5]
	s_waitcnt lgkmcnt(0)
	; wave barrier
	scratch_load_dwordx4 v[2:5], v14, off offset:16
	s_waitcnt vmcnt(0)
	v_cmp_eq_f64_e32 vcc, 0, v[2:3]
	v_cmp_eq_f64_e64 s[4:5], 0, v[4:5]
	s_and_b64 s[4:5], vcc, s[4:5]
	s_and_saveexec_b64 s[12:13], s[4:5]
	s_cbranch_execz .LBB110_10
; %bb.7:
	v_mov_b32_e32 v1, 0
	ds_read_b32 v0, v1 offset:1504
	v_add_u32_e32 v2, 1, v240
	s_waitcnt lgkmcnt(0)
	v_readfirstlane_b32 s4, v0
	s_cmp_eq_u32 s4, 0
	s_cselect_b64 s[14:15], -1, 0
	v_cmp_gt_i32_e32 vcc, s4, v2
	s_or_b64 s[14:15], s[14:15], vcc
	s_and_b64 exec, exec, s[14:15]
	s_cbranch_execz .LBB110_10
; %bb.8:
	s_mov_b64 s[14:15], 0
	v_mov_b32_e32 v3, s4
.LBB110_9:                              ; =>This Inner Loop Header: Depth=1
	ds_cmpst_rtn_b32 v3, v1, v3, v2 offset:1504
	s_waitcnt lgkmcnt(0)
	v_cmp_ne_u32_e32 vcc, 0, v3
	v_cmp_le_i32_e64 s[4:5], v3, v2
	s_and_b64 s[4:5], vcc, s[4:5]
	s_and_b64 s[4:5], exec, s[4:5]
	s_or_b64 s[14:15], s[4:5], s[14:15]
	s_andn2_b64 exec, exec, s[14:15]
	s_cbranch_execnz .LBB110_9
.LBB110_10:
	s_or_b64 exec, exec, s[12:13]
	v_mov_b32_e32 v2, 0
	; wave barrier
	ds_read_b32 v1, v2 offset:1504
	s_and_saveexec_b64 s[4:5], s[0:1]
	s_cbranch_execz .LBB110_12
; %bb.11:
	s_lshl_b64 s[12:13], s[2:3], 2
	s_add_u32 s12, s6, s12
	s_addc_u32 s13, s7, s13
	s_waitcnt lgkmcnt(0)
	global_store_dword v2, v1, s[12:13]
.LBB110_12:
	s_or_b64 exec, exec, s[4:5]
	s_waitcnt lgkmcnt(0)
	v_cmp_ne_u32_e32 vcc, 0, v1
	s_mov_b64 s[4:5], 0
	s_cbranch_vccnz .LBB110_200
; %bb.13:
	v_add_u32_e32 v15, 16, v14
	scratch_load_dwordx4 v[2:5], v15, off
                                        ; implicit-def: $vgpr6_vgpr7
                                        ; implicit-def: $vgpr10_vgpr11
	s_waitcnt vmcnt(0)
	v_cmp_ngt_f64_e64 s[4:5], |v[2:3]|, |v[4:5]|
	s_and_saveexec_b64 s[12:13], s[4:5]
	s_xor_b64 s[4:5], exec, s[12:13]
	s_cbranch_execz .LBB110_15
; %bb.14:
	v_div_scale_f64 v[6:7], s[12:13], v[4:5], v[4:5], v[2:3]
	v_rcp_f64_e32 v[8:9], v[6:7]
	v_div_scale_f64 v[10:11], vcc, v[2:3], v[4:5], v[2:3]
	v_fma_f64 v[12:13], -v[6:7], v[8:9], 1.0
	v_fmac_f64_e32 v[8:9], v[8:9], v[12:13]
	v_fma_f64 v[12:13], -v[6:7], v[8:9], 1.0
	v_fmac_f64_e32 v[8:9], v[8:9], v[12:13]
	v_mul_f64 v[12:13], v[10:11], v[8:9]
	v_fma_f64 v[6:7], -v[6:7], v[12:13], v[10:11]
	v_div_fmas_f64 v[6:7], v[6:7], v[8:9], v[12:13]
	v_div_fixup_f64 v[6:7], v[6:7], v[4:5], v[2:3]
	v_fmac_f64_e32 v[4:5], v[2:3], v[6:7]
	v_div_scale_f64 v[2:3], s[12:13], v[4:5], v[4:5], 1.0
	v_rcp_f64_e32 v[8:9], v[2:3]
	s_nop 0
	v_fma_f64 v[10:11], -v[2:3], v[8:9], 1.0
	v_fmac_f64_e32 v[8:9], v[8:9], v[10:11]
	v_fma_f64 v[10:11], -v[2:3], v[8:9], 1.0
	v_fmac_f64_e32 v[8:9], v[8:9], v[10:11]
	v_div_scale_f64 v[10:11], vcc, 1.0, v[4:5], 1.0
	v_mul_f64 v[12:13], v[10:11], v[8:9]
	v_fma_f64 v[2:3], -v[2:3], v[12:13], v[10:11]
	s_nop 1
	v_div_fmas_f64 v[2:3], v[2:3], v[8:9], v[12:13]
	v_div_fixup_f64 v[8:9], v[2:3], v[4:5], 1.0
	v_mul_f64 v[6:7], v[6:7], v[8:9]
	v_xor_b32_e32 v9, 0x80000000, v9
	v_xor_b32_e32 v11, 0x80000000, v7
	v_mov_b32_e32 v10, v6
                                        ; implicit-def: $vgpr2_vgpr3
.LBB110_15:
	s_andn2_saveexec_b64 s[4:5], s[4:5]
	s_cbranch_execz .LBB110_17
; %bb.16:
	v_div_scale_f64 v[6:7], s[12:13], v[2:3], v[2:3], v[4:5]
	v_rcp_f64_e32 v[8:9], v[6:7]
	v_div_scale_f64 v[10:11], vcc, v[4:5], v[2:3], v[4:5]
	v_fma_f64 v[12:13], -v[6:7], v[8:9], 1.0
	v_fmac_f64_e32 v[8:9], v[8:9], v[12:13]
	v_fma_f64 v[12:13], -v[6:7], v[8:9], 1.0
	v_fmac_f64_e32 v[8:9], v[8:9], v[12:13]
	v_mul_f64 v[12:13], v[10:11], v[8:9]
	v_fma_f64 v[6:7], -v[6:7], v[12:13], v[10:11]
	v_div_fmas_f64 v[6:7], v[6:7], v[8:9], v[12:13]
	v_div_fixup_f64 v[8:9], v[6:7], v[2:3], v[4:5]
	v_fmac_f64_e32 v[2:3], v[4:5], v[8:9]
	v_div_scale_f64 v[4:5], s[12:13], v[2:3], v[2:3], 1.0
	v_rcp_f64_e32 v[6:7], v[4:5]
	s_nop 0
	v_fma_f64 v[10:11], -v[4:5], v[6:7], 1.0
	v_fmac_f64_e32 v[6:7], v[6:7], v[10:11]
	v_fma_f64 v[10:11], -v[4:5], v[6:7], 1.0
	v_fmac_f64_e32 v[6:7], v[6:7], v[10:11]
	v_div_scale_f64 v[10:11], vcc, 1.0, v[2:3], 1.0
	v_mul_f64 v[12:13], v[10:11], v[6:7]
	v_fma_f64 v[4:5], -v[4:5], v[12:13], v[10:11]
	s_nop 1
	v_div_fmas_f64 v[4:5], v[4:5], v[6:7], v[12:13]
	v_div_fixup_f64 v[6:7], v[4:5], v[2:3], 1.0
	v_xor_b32_e32 v11, 0x80000000, v7
	v_mov_b32_e32 v10, v6
	v_mul_f64 v[8:9], v[8:9], -v[6:7]
.LBB110_17:
	s_or_b64 exec, exec, s[4:5]
	scratch_store_dwordx4 v15, v[6:9], off
	scratch_load_dwordx4 v[2:5], off, s62
	v_xor_b32_e32 v13, 0x80000000, v9
	v_mov_b32_e32 v12, v8
	v_add_u32_e32 v1, 0x2f0, v14
	ds_write_b128 v14, v[10:13]
	s_waitcnt vmcnt(0)
	ds_write_b128 v14, v[2:5] offset:752
	s_waitcnt lgkmcnt(0)
	; wave barrier
	s_and_saveexec_b64 s[4:5], s[0:1]
	s_cbranch_execz .LBB110_19
; %bb.18:
	scratch_load_dwordx4 v[2:5], v15, off
	ds_read_b128 v[6:9], v1
	v_mov_b32_e32 v0, 0
	ds_read_b128 v[10:13], v0 offset:16
	s_waitcnt vmcnt(0) lgkmcnt(1)
	v_mul_f64 v[16:17], v[8:9], v[4:5]
	v_mul_f64 v[4:5], v[6:7], v[4:5]
	v_fma_f64 v[6:7], v[6:7], v[2:3], -v[16:17]
	v_fmac_f64_e32 v[4:5], v[8:9], v[2:3]
	v_add_f64 v[2:3], v[6:7], 0
	v_add_f64 v[6:7], v[4:5], 0
	s_waitcnt lgkmcnt(0)
	v_mul_f64 v[8:9], v[6:7], v[12:13]
	v_mul_f64 v[4:5], v[2:3], v[12:13]
	v_fma_f64 v[2:3], v[2:3], v[10:11], -v[8:9]
	v_fmac_f64_e32 v[4:5], v[6:7], v[10:11]
	scratch_store_dwordx4 off, v[2:5], off offset:32
.LBB110_19:
	s_or_b64 exec, exec, s[4:5]
	; wave barrier
	scratch_load_dwordx4 v[2:5], off, s61
	v_cmp_gt_u32_e32 vcc, 2, v240
	s_waitcnt vmcnt(0)
	ds_write_b128 v1, v[2:5]
	s_waitcnt lgkmcnt(0)
	; wave barrier
	s_and_saveexec_b64 s[4:5], vcc
	s_cbranch_execz .LBB110_23
; %bb.20:
	scratch_load_dwordx4 v[2:5], v15, off
	ds_read_b128 v[6:9], v1
	s_waitcnt vmcnt(0) lgkmcnt(0)
	v_mul_f64 v[10:11], v[8:9], v[4:5]
	v_mul_f64 v[12:13], v[6:7], v[4:5]
	v_fma_f64 v[4:5], v[6:7], v[2:3], -v[10:11]
	v_fmac_f64_e32 v[12:13], v[8:9], v[2:3]
	v_add_f64 v[4:5], v[4:5], 0
	v_add_f64 v[2:3], v[12:13], 0
	s_and_saveexec_b64 s[12:13], s[0:1]
	s_cbranch_execz .LBB110_22
; %bb.21:
	scratch_load_dwordx4 v[6:9], off, off offset:32
	v_mov_b32_e32 v0, 0
	ds_read_b128 v[10:13], v0 offset:768
	s_waitcnt vmcnt(0) lgkmcnt(0)
	v_mul_f64 v[16:17], v[10:11], v[8:9]
	v_mul_f64 v[8:9], v[12:13], v[8:9]
	v_fmac_f64_e32 v[16:17], v[12:13], v[6:7]
	v_fma_f64 v[6:7], v[10:11], v[6:7], -v[8:9]
	v_add_f64 v[2:3], v[2:3], v[16:17]
	v_add_f64 v[4:5], v[4:5], v[6:7]
.LBB110_22:
	s_or_b64 exec, exec, s[12:13]
	v_mov_b32_e32 v0, 0
	ds_read_b128 v[6:9], v0 offset:32
	s_waitcnt lgkmcnt(0)
	v_mul_f64 v[12:13], v[2:3], v[8:9]
	v_mul_f64 v[10:11], v[4:5], v[8:9]
	v_fma_f64 v[8:9], v[4:5], v[6:7], -v[12:13]
	v_fmac_f64_e32 v[10:11], v[2:3], v[6:7]
	scratch_store_dwordx4 off, v[8:11], off offset:48
.LBB110_23:
	s_or_b64 exec, exec, s[4:5]
	; wave barrier
	scratch_load_dwordx4 v[2:5], off, s60
	v_cmp_gt_u32_e32 vcc, 3, v240
	v_add_u32_e32 v6, -1, v240
	s_waitcnt vmcnt(0)
	ds_write_b128 v1, v[2:5]
	s_waitcnt lgkmcnt(0)
	; wave barrier
	s_and_saveexec_b64 s[0:1], vcc
	s_cbranch_execz .LBB110_27
; %bb.24:
	v_add_u32_e32 v7, -1, v240
	v_add_u32_e32 v8, 0x2f0, v14
	v_add_u32_e32 v9, 16, v14
	v_mov_b64_e32 v[2:3], 0
	s_mov_b64 s[4:5], 0
	v_mov_b64_e32 v[4:5], 0
.LBB110_25:                             ; =>This Inner Loop Header: Depth=1
	scratch_load_dwordx4 v[10:13], v9, off
	ds_read_b128 v[16:19], v8
	v_add_u32_e32 v7, 1, v7
	v_cmp_lt_u32_e32 vcc, 1, v7
	v_add_u32_e32 v8, 16, v8
	v_add_u32_e32 v9, 16, v9
	s_or_b64 s[4:5], vcc, s[4:5]
	s_waitcnt vmcnt(0) lgkmcnt(0)
	v_mul_f64 v[20:21], v[18:19], v[12:13]
	v_mul_f64 v[12:13], v[16:17], v[12:13]
	v_fma_f64 v[16:17], v[16:17], v[10:11], -v[20:21]
	v_fmac_f64_e32 v[12:13], v[18:19], v[10:11]
	v_add_f64 v[4:5], v[4:5], v[16:17]
	v_add_f64 v[2:3], v[2:3], v[12:13]
	s_andn2_b64 exec, exec, s[4:5]
	s_cbranch_execnz .LBB110_25
; %bb.26:
	s_or_b64 exec, exec, s[4:5]
	v_mov_b32_e32 v0, 0
	ds_read_b128 v[8:11], v0 offset:48
	s_waitcnt lgkmcnt(0)
	v_mul_f64 v[16:17], v[2:3], v[10:11]
	v_mul_f64 v[12:13], v[4:5], v[10:11]
	v_fma_f64 v[10:11], v[4:5], v[8:9], -v[16:17]
	v_fmac_f64_e32 v[12:13], v[2:3], v[8:9]
	scratch_store_dwordx4 off, v[10:13], off offset:64
.LBB110_27:
	s_or_b64 exec, exec, s[0:1]
	; wave barrier
	scratch_load_dwordx4 v[2:5], off, s59
	v_cmp_gt_u32_e32 vcc, 4, v240
	s_waitcnt vmcnt(0)
	ds_write_b128 v1, v[2:5]
	s_waitcnt lgkmcnt(0)
	; wave barrier
	s_and_saveexec_b64 s[0:1], vcc
	s_cbranch_execz .LBB110_31
; %bb.28:
	v_add_u32_e32 v7, -1, v240
	v_add_u32_e32 v8, 0x2f0, v14
	v_add_u32_e32 v9, 16, v14
	v_mov_b64_e32 v[2:3], 0
	s_mov_b64 s[4:5], 0
	v_mov_b64_e32 v[4:5], 0
.LBB110_29:                             ; =>This Inner Loop Header: Depth=1
	scratch_load_dwordx4 v[10:13], v9, off
	ds_read_b128 v[16:19], v8
	v_add_u32_e32 v7, 1, v7
	v_cmp_lt_u32_e32 vcc, 2, v7
	v_add_u32_e32 v8, 16, v8
	v_add_u32_e32 v9, 16, v9
	s_or_b64 s[4:5], vcc, s[4:5]
	s_waitcnt vmcnt(0) lgkmcnt(0)
	v_mul_f64 v[20:21], v[18:19], v[12:13]
	v_mul_f64 v[12:13], v[16:17], v[12:13]
	v_fma_f64 v[16:17], v[16:17], v[10:11], -v[20:21]
	v_fmac_f64_e32 v[12:13], v[18:19], v[10:11]
	v_add_f64 v[4:5], v[4:5], v[16:17]
	v_add_f64 v[2:3], v[2:3], v[12:13]
	s_andn2_b64 exec, exec, s[4:5]
	s_cbranch_execnz .LBB110_29
; %bb.30:
	s_or_b64 exec, exec, s[4:5]
	v_mov_b32_e32 v0, 0
	ds_read_b128 v[8:11], v0 offset:64
	s_waitcnt lgkmcnt(0)
	v_mul_f64 v[16:17], v[2:3], v[10:11]
	v_mul_f64 v[12:13], v[4:5], v[10:11]
	v_fma_f64 v[10:11], v[4:5], v[8:9], -v[16:17]
	v_fmac_f64_e32 v[12:13], v[2:3], v[8:9]
	scratch_store_dwordx4 off, v[10:13], off offset:80
.LBB110_31:
	s_or_b64 exec, exec, s[0:1]
	; wave barrier
	scratch_load_dwordx4 v[2:5], off, s58
	v_cmp_gt_u32_e32 vcc, 5, v240
	;; [unrolled: 45-line block ×19, first 2 shown]
	s_waitcnt vmcnt(0)
	ds_write_b128 v1, v[2:5]
	s_waitcnt lgkmcnt(0)
	; wave barrier
	s_and_saveexec_b64 s[0:1], vcc
	s_cbranch_execz .LBB110_103
; %bb.100:
	v_add_u32_e32 v7, -1, v240
	v_add_u32_e32 v8, 0x2f0, v14
	v_add_u32_e32 v9, 16, v14
	v_mov_b64_e32 v[2:3], 0
	s_mov_b64 s[4:5], 0
	v_mov_b64_e32 v[4:5], 0
.LBB110_101:                            ; =>This Inner Loop Header: Depth=1
	scratch_load_dwordx4 v[10:13], v9, off
	ds_read_b128 v[16:19], v8
	v_add_u32_e32 v7, 1, v7
	v_cmp_lt_u32_e32 vcc, 20, v7
	v_add_u32_e32 v8, 16, v8
	v_add_u32_e32 v9, 16, v9
	s_or_b64 s[4:5], vcc, s[4:5]
	s_waitcnt vmcnt(0) lgkmcnt(0)
	v_mul_f64 v[20:21], v[18:19], v[12:13]
	v_mul_f64 v[12:13], v[16:17], v[12:13]
	v_fma_f64 v[16:17], v[16:17], v[10:11], -v[20:21]
	v_fmac_f64_e32 v[12:13], v[18:19], v[10:11]
	v_add_f64 v[4:5], v[4:5], v[16:17]
	v_add_f64 v[2:3], v[2:3], v[12:13]
	s_andn2_b64 exec, exec, s[4:5]
	s_cbranch_execnz .LBB110_101
; %bb.102:
	s_or_b64 exec, exec, s[4:5]
	v_mov_b32_e32 v0, 0
	ds_read_b128 v[8:11], v0 offset:352
	s_waitcnt lgkmcnt(0)
	v_mul_f64 v[16:17], v[2:3], v[10:11]
	v_mul_f64 v[12:13], v[4:5], v[10:11]
	v_fma_f64 v[10:11], v[4:5], v[8:9], -v[16:17]
	v_fmac_f64_e32 v[12:13], v[2:3], v[8:9]
	scratch_store_dwordx4 off, v[10:13], off offset:368
.LBB110_103:
	s_or_b64 exec, exec, s[0:1]
	; wave barrier
	scratch_load_dwordx4 v[2:5], off, s40
	v_cmp_gt_u32_e32 vcc, 23, v240
	s_waitcnt vmcnt(0)
	ds_write_b128 v1, v[2:5]
	s_waitcnt lgkmcnt(0)
	; wave barrier
	s_and_saveexec_b64 s[0:1], vcc
	s_cbranch_execz .LBB110_107
; %bb.104:
	v_add_u32_e32 v7, -1, v240
	v_add_u32_e32 v8, 0x2f0, v14
	v_add_u32_e32 v9, 16, v14
	v_mov_b64_e32 v[2:3], 0
	s_mov_b64 s[4:5], 0
	v_mov_b64_e32 v[4:5], 0
.LBB110_105:                            ; =>This Inner Loop Header: Depth=1
	scratch_load_dwordx4 v[10:13], v9, off
	ds_read_b128 v[16:19], v8
	v_add_u32_e32 v7, 1, v7
	v_cmp_lt_u32_e32 vcc, 21, v7
	v_add_u32_e32 v8, 16, v8
	v_add_u32_e32 v9, 16, v9
	s_or_b64 s[4:5], vcc, s[4:5]
	s_waitcnt vmcnt(0) lgkmcnt(0)
	v_mul_f64 v[20:21], v[18:19], v[12:13]
	v_mul_f64 v[12:13], v[16:17], v[12:13]
	v_fma_f64 v[16:17], v[16:17], v[10:11], -v[20:21]
	v_fmac_f64_e32 v[12:13], v[18:19], v[10:11]
	v_add_f64 v[4:5], v[4:5], v[16:17]
	v_add_f64 v[2:3], v[2:3], v[12:13]
	s_andn2_b64 exec, exec, s[4:5]
	s_cbranch_execnz .LBB110_105
; %bb.106:
	s_or_b64 exec, exec, s[4:5]
	v_mov_b32_e32 v0, 0
	ds_read_b128 v[8:11], v0 offset:368
	s_waitcnt lgkmcnt(0)
	v_mul_f64 v[16:17], v[2:3], v[10:11]
	v_mul_f64 v[12:13], v[4:5], v[10:11]
	v_fma_f64 v[10:11], v[4:5], v[8:9], -v[16:17]
	v_fmac_f64_e32 v[12:13], v[2:3], v[8:9]
	scratch_store_dwordx4 off, v[10:13], off offset:384
.LBB110_107:
	s_or_b64 exec, exec, s[0:1]
	; wave barrier
	scratch_load_dwordx4 v[2:5], off, s39
	v_cmp_gt_u32_e32 vcc, 24, v240
	;; [unrolled: 45-line block ×23, first 2 shown]
	s_waitcnt vmcnt(0)
	ds_write_b128 v1, v[2:5]
	s_waitcnt lgkmcnt(0)
	; wave barrier
	s_and_saveexec_b64 s[0:1], vcc
	s_cbranch_execz .LBB110_195
; %bb.192:
	v_add_u32_e32 v7, -1, v240
	v_add_u32_e32 v8, 0x2f0, v14
	v_add_u32_e32 v9, 16, v14
	v_mov_b64_e32 v[2:3], 0
	s_mov_b64 s[4:5], 0
	v_mov_b64_e32 v[4:5], 0
.LBB110_193:                            ; =>This Inner Loop Header: Depth=1
	scratch_load_dwordx4 v[10:13], v9, off
	ds_read_b128 v[16:19], v8
	v_add_u32_e32 v7, 1, v7
	v_cmp_lt_u32_e32 vcc, 43, v7
	v_add_u32_e32 v8, 16, v8
	v_add_u32_e32 v9, 16, v9
	s_or_b64 s[4:5], vcc, s[4:5]
	s_waitcnt vmcnt(0) lgkmcnt(0)
	v_mul_f64 v[20:21], v[18:19], v[12:13]
	v_mul_f64 v[12:13], v[16:17], v[12:13]
	v_fma_f64 v[16:17], v[16:17], v[10:11], -v[20:21]
	v_fmac_f64_e32 v[12:13], v[18:19], v[10:11]
	v_add_f64 v[4:5], v[4:5], v[16:17]
	v_add_f64 v[2:3], v[2:3], v[12:13]
	s_andn2_b64 exec, exec, s[4:5]
	s_cbranch_execnz .LBB110_193
; %bb.194:
	s_or_b64 exec, exec, s[4:5]
	v_mov_b32_e32 v0, 0
	ds_read_b128 v[8:11], v0 offset:720
	s_waitcnt lgkmcnt(0)
	v_mul_f64 v[16:17], v[2:3], v[10:11]
	v_mul_f64 v[12:13], v[4:5], v[10:11]
	v_fma_f64 v[10:11], v[4:5], v[8:9], -v[16:17]
	v_fmac_f64_e32 v[12:13], v[2:3], v[8:9]
	scratch_store_dwordx4 off, v[10:13], off offset:736
.LBB110_195:
	s_or_b64 exec, exec, s[0:1]
	; wave barrier
	scratch_load_dwordx4 v[2:5], off, s16
	v_cmp_ne_u32_e32 vcc, 46, v240
	s_waitcnt vmcnt(0)
	ds_write_b128 v1, v[2:5]
	s_waitcnt lgkmcnt(0)
	; wave barrier
	s_and_saveexec_b64 s[0:1], vcc
	s_cbranch_execz .LBB110_199
; %bb.196:
	v_add_u32_e32 v1, 0x2f0, v14
	v_add_u32_e32 v7, 16, v14
	v_mov_b64_e32 v[2:3], 0
	s_mov_b64 s[4:5], 0
	v_mov_b64_e32 v[4:5], 0
.LBB110_197:                            ; =>This Inner Loop Header: Depth=1
	scratch_load_dwordx4 v[8:11], v7, off
	ds_read_b128 v[12:15], v1
	v_add_u32_e32 v6, 1, v6
	v_cmp_lt_u32_e32 vcc, 44, v6
	v_add_u32_e32 v1, 16, v1
	v_add_u32_e32 v7, 16, v7
	s_or_b64 s[4:5], vcc, s[4:5]
	s_waitcnt vmcnt(0) lgkmcnt(0)
	v_mul_f64 v[16:17], v[14:15], v[10:11]
	v_mul_f64 v[10:11], v[12:13], v[10:11]
	v_fma_f64 v[12:13], v[12:13], v[8:9], -v[16:17]
	v_fmac_f64_e32 v[10:11], v[14:15], v[8:9]
	v_add_f64 v[4:5], v[4:5], v[12:13]
	v_add_f64 v[2:3], v[2:3], v[10:11]
	s_andn2_b64 exec, exec, s[4:5]
	s_cbranch_execnz .LBB110_197
; %bb.198:
	s_or_b64 exec, exec, s[4:5]
	v_mov_b32_e32 v0, 0
	ds_read_b128 v[6:9], v0 offset:736
	s_waitcnt lgkmcnt(0)
	v_mul_f64 v[12:13], v[2:3], v[8:9]
	v_mul_f64 v[10:11], v[4:5], v[8:9]
	v_fma_f64 v[8:9], v[4:5], v[6:7], -v[12:13]
	v_fmac_f64_e32 v[10:11], v[2:3], v[6:7]
	scratch_store_dwordx4 off, v[8:11], off offset:752
.LBB110_199:
	s_or_b64 exec, exec, s[0:1]
	s_mov_b64 s[4:5], -1
	; wave barrier
.LBB110_200:
	s_and_b64 vcc, exec, s[4:5]
	s_cbranch_vccz .LBB110_202
; %bb.201:
	s_lshl_b64 s[0:1], s[2:3], 2
	s_add_u32 s0, s6, s0
	s_addc_u32 s1, s7, s1
	v_mov_b32_e32 v0, 0
	global_load_dword v0, v0, s[0:1]
	s_waitcnt vmcnt(0)
	v_cmp_ne_u32_e32 vcc, 0, v0
	s_cbranch_vccz .LBB110_203
.LBB110_202:
	s_endpgm
.LBB110_203:
	v_mov_b32_e32 v0, 0x2f0
	v_lshl_add_u32 v0, v240, 4, v0
	v_accvgpr_write_b32 a95, v0
	v_cmp_eq_u32_e32 vcc, 46, v240
	s_and_saveexec_b64 s[0:1], vcc
	s_cbranch_execz .LBB110_205
; %bb.204:
	scratch_load_dwordx4 v[2:5], off, s17
	v_mov_b32_e32 v6, 0
	v_mov_b32_e32 v7, v6
	;; [unrolled: 1-line block ×4, first 2 shown]
	v_accvgpr_read_b32 v0, a95
	scratch_store_dwordx4 off, v[6:9], off offset:736
	s_waitcnt vmcnt(1)
	ds_write_b128 v0, v[2:5]
.LBB110_205:
	s_or_b64 exec, exec, s[0:1]
	s_waitcnt lgkmcnt(0)
	; wave barrier
	scratch_load_dwordx4 v[4:7], off, off offset:752
	scratch_load_dwordx4 v[8:11], off, off offset:736
	v_mov_b32_e32 v2, 0
	ds_read_b128 v[12:15], v2 offset:1488
	v_cmp_lt_u32_e32 vcc, 44, v240
	s_waitcnt vmcnt(1) lgkmcnt(0)
	v_mul_f64 v[16:17], v[12:13], v[6:7]
	v_mul_f64 v[6:7], v[14:15], v[6:7]
	v_fmac_f64_e32 v[16:17], v[14:15], v[4:5]
	v_fma_f64 v[4:5], v[12:13], v[4:5], -v[6:7]
	v_add_f64 v[6:7], v[16:17], 0
	v_add_f64 v[4:5], v[4:5], 0
	s_waitcnt vmcnt(0)
	v_add_f64 v[4:5], v[8:9], -v[4:5]
	v_add_f64 v[6:7], v[10:11], -v[6:7]
	scratch_store_dwordx4 off, v[4:7], off offset:736
	s_and_saveexec_b64 s[0:1], vcc
	s_cbranch_execz .LBB110_207
; %bb.206:
	scratch_load_dwordx4 v[6:9], off, s18
	v_mov_b32_e32 v3, v2
	v_mov_b32_e32 v4, v2
	;; [unrolled: 1-line block ×3, first 2 shown]
	v_accvgpr_read_b32 v0, a95
	scratch_store_dwordx4 off, v[2:5], off offset:720
	s_waitcnt vmcnt(1)
	ds_write_b128 v0, v[6:9]
.LBB110_207:
	s_or_b64 exec, exec, s[0:1]
	s_waitcnt lgkmcnt(0)
	; wave barrier
	scratch_load_dwordx4 v[4:7], off, off offset:736
	scratch_load_dwordx4 v[8:11], off, off offset:752
	;; [unrolled: 1-line block ×3, first 2 shown]
	ds_read_b128 v[16:19], v2 offset:1472
	ds_read_b128 v[20:23], v2 offset:1488
	v_cmp_lt_u32_e32 vcc, 43, v240
	s_waitcnt vmcnt(2) lgkmcnt(1)
	v_mul_f64 v[2:3], v[16:17], v[6:7]
	v_mul_f64 v[6:7], v[18:19], v[6:7]
	s_waitcnt vmcnt(1) lgkmcnt(0)
	v_mul_f64 v[24:25], v[20:21], v[10:11]
	v_mul_f64 v[10:11], v[22:23], v[10:11]
	v_fmac_f64_e32 v[2:3], v[18:19], v[4:5]
	v_fma_f64 v[4:5], v[16:17], v[4:5], -v[6:7]
	v_fmac_f64_e32 v[24:25], v[22:23], v[8:9]
	v_fma_f64 v[6:7], v[20:21], v[8:9], -v[10:11]
	v_add_f64 v[2:3], v[2:3], 0
	v_add_f64 v[4:5], v[4:5], 0
	v_add_f64 v[8:9], v[2:3], v[24:25]
	v_add_f64 v[2:3], v[4:5], v[6:7]
	s_waitcnt vmcnt(0)
	v_add_f64 v[2:3], v[12:13], -v[2:3]
	v_add_f64 v[4:5], v[14:15], -v[8:9]
	scratch_store_dwordx4 off, v[2:5], off offset:720
	s_and_saveexec_b64 s[0:1], vcc
	s_cbranch_execz .LBB110_209
; %bb.208:
	scratch_load_dwordx4 v[2:5], off, s19
	v_mov_b32_e32 v6, 0
	v_mov_b32_e32 v7, v6
	v_mov_b32_e32 v8, v6
	v_mov_b32_e32 v9, v6
	v_accvgpr_read_b32 v0, a95
	scratch_store_dwordx4 off, v[6:9], off offset:704
	s_waitcnt vmcnt(1)
	ds_write_b128 v0, v[2:5]
.LBB110_209:
	s_or_b64 exec, exec, s[0:1]
	v_mov_b32_e32 v2, 0
	s_waitcnt lgkmcnt(0)
	; wave barrier
	ds_read_b128 v[4:7], v2 offset:1456
	ds_read_b128 v[8:11], v2 offset:1472
	;; [unrolled: 1-line block ×3, first 2 shown]
	scratch_load_dwordx4 v[16:19], off, off offset:720
	v_cmp_lt_u32_e32 vcc, 42, v240
	s_waitcnt vmcnt(0) lgkmcnt(2)
	v_mul_f64 v[20:21], v[4:5], v[18:19]
	v_fmac_f64_e32 v[20:21], v[6:7], v[16:17]
	v_add_f64 v[24:25], v[20:21], 0
	scratch_load_dwordx4 v[20:23], off, off offset:736
	v_mul_f64 v[6:7], v[6:7], v[18:19]
	v_fma_f64 v[4:5], v[4:5], v[16:17], -v[6:7]
	v_add_f64 v[4:5], v[4:5], 0
	s_waitcnt vmcnt(0) lgkmcnt(1)
	v_mul_f64 v[26:27], v[8:9], v[22:23]
	v_fmac_f64_e32 v[26:27], v[10:11], v[20:21]
	v_add_f64 v[28:29], v[24:25], v[26:27]
	scratch_load_dwordx4 v[24:27], off, off offset:752
	v_mul_f64 v[6:7], v[10:11], v[22:23]
	v_fma_f64 v[6:7], v[8:9], v[20:21], -v[6:7]
	v_add_f64 v[4:5], v[4:5], v[6:7]
	s_waitcnt vmcnt(0) lgkmcnt(0)
	v_mul_f64 v[6:7], v[14:15], v[26:27]
	v_fma_f64 v[6:7], v[12:13], v[24:25], -v[6:7]
	v_add_f64 v[8:9], v[4:5], v[6:7]
	scratch_load_dwordx4 v[4:7], off, off offset:704
	v_mul_f64 v[30:31], v[12:13], v[26:27]
	v_fmac_f64_e32 v[30:31], v[14:15], v[24:25]
	v_add_f64 v[28:29], v[28:29], v[30:31]
	s_waitcnt vmcnt(0)
	v_add_f64 v[4:5], v[4:5], -v[8:9]
	v_add_f64 v[6:7], v[6:7], -v[28:29]
	scratch_store_dwordx4 off, v[4:7], off offset:704
	s_and_saveexec_b64 s[0:1], vcc
	s_cbranch_execz .LBB110_211
; %bb.210:
	scratch_load_dwordx4 v[6:9], off, s20
	v_mov_b32_e32 v3, v2
	v_mov_b32_e32 v4, v2
	v_mov_b32_e32 v5, v2
	v_accvgpr_read_b32 v0, a95
	scratch_store_dwordx4 off, v[2:5], off offset:688
	s_waitcnt vmcnt(1)
	ds_write_b128 v0, v[6:9]
.LBB110_211:
	s_or_b64 exec, exec, s[0:1]
	s_waitcnt lgkmcnt(0)
	; wave barrier
	scratch_load_dwordx4 v[4:7], off, off offset:704
	scratch_load_dwordx4 v[8:11], off, off offset:720
	;; [unrolled: 1-line block ×5, first 2 shown]
	ds_read_b128 v[24:27], v2 offset:1440
	ds_read_b128 v[28:31], v2 offset:1456
	ds_read_b128 v[32:35], v2 offset:1472
	ds_read_b128 v[36:39], v2 offset:1488
	v_cmp_lt_u32_e32 vcc, 41, v240
	s_waitcnt vmcnt(4) lgkmcnt(3)
	v_mul_f64 v[2:3], v[24:25], v[6:7]
	v_mul_f64 v[6:7], v[26:27], v[6:7]
	s_waitcnt vmcnt(3) lgkmcnt(2)
	v_mul_f64 v[40:41], v[28:29], v[10:11]
	v_mul_f64 v[10:11], v[30:31], v[10:11]
	v_fmac_f64_e32 v[2:3], v[26:27], v[4:5]
	v_fma_f64 v[4:5], v[24:25], v[4:5], -v[6:7]
	s_waitcnt vmcnt(2) lgkmcnt(1)
	v_mul_f64 v[42:43], v[32:33], v[14:15]
	v_mul_f64 v[14:15], v[34:35], v[14:15]
	v_fmac_f64_e32 v[40:41], v[30:31], v[8:9]
	v_fma_f64 v[6:7], v[28:29], v[8:9], -v[10:11]
	v_add_f64 v[2:3], v[2:3], 0
	v_add_f64 v[4:5], v[4:5], 0
	s_waitcnt vmcnt(1) lgkmcnt(0)
	v_mul_f64 v[44:45], v[36:37], v[18:19]
	v_mul_f64 v[18:19], v[38:39], v[18:19]
	v_fmac_f64_e32 v[42:43], v[34:35], v[12:13]
	v_fma_f64 v[8:9], v[32:33], v[12:13], -v[14:15]
	v_add_f64 v[2:3], v[2:3], v[40:41]
	v_add_f64 v[4:5], v[4:5], v[6:7]
	v_fmac_f64_e32 v[44:45], v[38:39], v[16:17]
	v_fma_f64 v[10:11], v[36:37], v[16:17], -v[18:19]
	v_add_f64 v[2:3], v[2:3], v[42:43]
	v_add_f64 v[4:5], v[4:5], v[8:9]
	;; [unrolled: 1-line block ×4, first 2 shown]
	s_waitcnt vmcnt(0)
	v_add_f64 v[2:3], v[20:21], -v[2:3]
	v_add_f64 v[4:5], v[22:23], -v[6:7]
	scratch_store_dwordx4 off, v[2:5], off offset:688
	s_and_saveexec_b64 s[0:1], vcc
	s_cbranch_execz .LBB110_213
; %bb.212:
	scratch_load_dwordx4 v[2:5], off, s21
	v_mov_b32_e32 v6, 0
	v_mov_b32_e32 v7, v6
	;; [unrolled: 1-line block ×4, first 2 shown]
	v_accvgpr_read_b32 v0, a95
	scratch_store_dwordx4 off, v[6:9], off offset:672
	s_waitcnt vmcnt(1)
	ds_write_b128 v0, v[2:5]
.LBB110_213:
	s_or_b64 exec, exec, s[0:1]
	s_waitcnt lgkmcnt(0)
	; wave barrier
	scratch_load_dwordx4 v[4:7], off, off offset:688
	scratch_load_dwordx4 v[8:11], off, off offset:704
	;; [unrolled: 1-line block ×6, first 2 shown]
	v_mov_b32_e32 v2, 0
	ds_read_b128 v[28:31], v2 offset:1424
	ds_read_b128 v[32:35], v2 offset:1440
	;; [unrolled: 1-line block ×5, first 2 shown]
	v_cmp_lt_u32_e32 vcc, 40, v240
	s_waitcnt vmcnt(5) lgkmcnt(4)
	v_mul_f64 v[48:49], v[28:29], v[6:7]
	v_mul_f64 v[6:7], v[30:31], v[6:7]
	s_waitcnt vmcnt(4) lgkmcnt(3)
	v_mul_f64 v[50:51], v[32:33], v[10:11]
	s_waitcnt vmcnt(3) lgkmcnt(2)
	v_mul_f64 v[52:53], v[36:37], v[14:15]
	v_mul_f64 v[10:11], v[34:35], v[10:11]
	;; [unrolled: 1-line block ×3, first 2 shown]
	v_fmac_f64_e32 v[48:49], v[30:31], v[4:5]
	v_fma_f64 v[4:5], v[28:29], v[4:5], -v[6:7]
	v_fmac_f64_e32 v[50:51], v[34:35], v[8:9]
	v_fma_f64 v[6:7], v[32:33], v[8:9], -v[10:11]
	v_fma_f64 v[8:9], v[36:37], v[12:13], -v[14:15]
	v_add_f64 v[14:15], v[48:49], 0
	v_add_f64 v[4:5], v[4:5], 0
	s_waitcnt vmcnt(2) lgkmcnt(1)
	v_mul_f64 v[54:55], v[40:41], v[18:19]
	v_mul_f64 v[18:19], v[42:43], v[18:19]
	v_fmac_f64_e32 v[52:53], v[38:39], v[12:13]
	v_add_f64 v[14:15], v[14:15], v[50:51]
	v_add_f64 v[4:5], v[4:5], v[6:7]
	s_waitcnt vmcnt(1) lgkmcnt(0)
	v_mul_f64 v[56:57], v[44:45], v[22:23]
	v_mul_f64 v[22:23], v[46:47], v[22:23]
	v_fmac_f64_e32 v[54:55], v[42:43], v[16:17]
	v_fma_f64 v[10:11], v[40:41], v[16:17], -v[18:19]
	v_add_f64 v[6:7], v[14:15], v[52:53]
	v_add_f64 v[4:5], v[4:5], v[8:9]
	v_fmac_f64_e32 v[56:57], v[46:47], v[20:21]
	v_fma_f64 v[12:13], v[44:45], v[20:21], -v[22:23]
	v_add_f64 v[6:7], v[6:7], v[54:55]
	v_add_f64 v[4:5], v[4:5], v[10:11]
	;; [unrolled: 1-line block ×4, first 2 shown]
	s_waitcnt vmcnt(0)
	v_add_f64 v[4:5], v[24:25], -v[4:5]
	v_add_f64 v[6:7], v[26:27], -v[6:7]
	scratch_store_dwordx4 off, v[4:7], off offset:672
	s_and_saveexec_b64 s[0:1], vcc
	s_cbranch_execz .LBB110_215
; %bb.214:
	scratch_load_dwordx4 v[6:9], off, s22
	v_mov_b32_e32 v3, v2
	v_mov_b32_e32 v4, v2
	;; [unrolled: 1-line block ×3, first 2 shown]
	v_accvgpr_read_b32 v0, a95
	scratch_store_dwordx4 off, v[2:5], off offset:656
	s_waitcnt vmcnt(1)
	ds_write_b128 v0, v[6:9]
.LBB110_215:
	s_or_b64 exec, exec, s[0:1]
	s_waitcnt lgkmcnt(0)
	; wave barrier
	scratch_load_dwordx4 v[4:7], off, off offset:672
	scratch_load_dwordx4 v[8:11], off, off offset:688
	;; [unrolled: 1-line block ×7, first 2 shown]
	ds_read_b128 v[32:35], v2 offset:1408
	ds_read_b128 v[36:39], v2 offset:1424
	;; [unrolled: 1-line block ×6, first 2 shown]
	v_cmp_lt_u32_e32 vcc, 39, v240
	s_waitcnt vmcnt(6) lgkmcnt(5)
	v_mul_f64 v[2:3], v[32:33], v[6:7]
	v_mul_f64 v[6:7], v[34:35], v[6:7]
	s_waitcnt vmcnt(5) lgkmcnt(4)
	v_mul_f64 v[56:57], v[36:37], v[10:11]
	v_mul_f64 v[10:11], v[38:39], v[10:11]
	v_fmac_f64_e32 v[2:3], v[34:35], v[4:5]
	v_fma_f64 v[4:5], v[32:33], v[4:5], -v[6:7]
	s_waitcnt vmcnt(4) lgkmcnt(3)
	v_mul_f64 v[58:59], v[40:41], v[14:15]
	v_mul_f64 v[14:15], v[42:43], v[14:15]
	v_fmac_f64_e32 v[56:57], v[38:39], v[8:9]
	v_fma_f64 v[6:7], v[36:37], v[8:9], -v[10:11]
	v_add_f64 v[2:3], v[2:3], 0
	v_add_f64 v[4:5], v[4:5], 0
	s_waitcnt vmcnt(3) lgkmcnt(2)
	v_mul_f64 v[60:61], v[44:45], v[18:19]
	v_mul_f64 v[18:19], v[46:47], v[18:19]
	v_fmac_f64_e32 v[58:59], v[42:43], v[12:13]
	v_fma_f64 v[8:9], v[40:41], v[12:13], -v[14:15]
	v_add_f64 v[2:3], v[2:3], v[56:57]
	v_add_f64 v[4:5], v[4:5], v[6:7]
	;; [unrolled: 7-line block ×4, first 2 shown]
	v_fmac_f64_e32 v[64:65], v[54:55], v[24:25]
	v_fma_f64 v[14:15], v[52:53], v[24:25], -v[26:27]
	v_add_f64 v[2:3], v[2:3], v[62:63]
	v_add_f64 v[4:5], v[4:5], v[12:13]
	;; [unrolled: 1-line block ×4, first 2 shown]
	s_waitcnt vmcnt(0)
	v_add_f64 v[2:3], v[28:29], -v[2:3]
	v_add_f64 v[4:5], v[30:31], -v[6:7]
	scratch_store_dwordx4 off, v[2:5], off offset:656
	s_and_saveexec_b64 s[0:1], vcc
	s_cbranch_execz .LBB110_217
; %bb.216:
	scratch_load_dwordx4 v[2:5], off, s23
	v_mov_b32_e32 v6, 0
	v_mov_b32_e32 v7, v6
	;; [unrolled: 1-line block ×4, first 2 shown]
	v_accvgpr_read_b32 v0, a95
	scratch_store_dwordx4 off, v[6:9], off offset:640
	s_waitcnt vmcnt(1)
	ds_write_b128 v0, v[2:5]
.LBB110_217:
	s_or_b64 exec, exec, s[0:1]
	v_mov_b32_e32 v2, 0
	s_waitcnt lgkmcnt(0)
	; wave barrier
	ds_read_b128 v[4:7], v2 offset:1392
	ds_read_b128 v[8:11], v2 offset:1408
	ds_read_b128 v[12:15], v2 offset:1424
	ds_read_b128 v[16:19], v2 offset:1440
	scratch_load_dwordx4 v[20:23], off, off offset:656
	scratch_load_dwordx4 v[40:43], off, off offset:720
	v_cmp_lt_u32_e32 vcc, 38, v240
	scratch_load_dwordx4 v[48:51], off, off offset:736
	scratch_load_dwordx4 v[56:59], off, off offset:752
	s_waitcnt vmcnt(3) lgkmcnt(3)
	v_mul_f64 v[24:25], v[4:5], v[22:23]
	v_fmac_f64_e32 v[24:25], v[6:7], v[20:21]
	v_add_f64 v[28:29], v[24:25], 0
	scratch_load_dwordx4 v[24:27], off, off offset:672
	v_mul_f64 v[6:7], v[6:7], v[22:23]
	v_fma_f64 v[4:5], v[4:5], v[20:21], -v[6:7]
	v_add_f64 v[4:5], v[4:5], 0
	s_waitcnt vmcnt(0) lgkmcnt(2)
	v_mul_f64 v[30:31], v[8:9], v[26:27]
	v_fmac_f64_e32 v[30:31], v[10:11], v[24:25]
	v_add_f64 v[32:33], v[28:29], v[30:31]
	scratch_load_dwordx4 v[28:31], off, off offset:688
	v_mul_f64 v[6:7], v[10:11], v[26:27]
	v_fma_f64 v[6:7], v[8:9], v[24:25], -v[6:7]
	v_add_f64 v[4:5], v[4:5], v[6:7]
	;; [unrolled: 8-line block ×3, first 2 shown]
	s_waitcnt vmcnt(0) lgkmcnt(0)
	v_mul_f64 v[38:39], v[16:17], v[34:35]
	v_fmac_f64_e32 v[38:39], v[18:19], v[32:33]
	v_add_f64 v[44:45], v[36:37], v[38:39]
	ds_read_b128 v[36:39], v2 offset:1456
	v_mul_f64 v[6:7], v[18:19], v[34:35]
	v_fma_f64 v[6:7], v[16:17], v[32:33], -v[6:7]
	v_add_f64 v[4:5], v[4:5], v[6:7]
	s_waitcnt lgkmcnt(0)
	v_mul_f64 v[46:47], v[36:37], v[42:43]
	v_fmac_f64_e32 v[46:47], v[38:39], v[40:41]
	v_add_f64 v[52:53], v[44:45], v[46:47]
	ds_read_b128 v[44:47], v2 offset:1472
	v_mul_f64 v[6:7], v[38:39], v[42:43]
	v_fma_f64 v[6:7], v[36:37], v[40:41], -v[6:7]
	v_add_f64 v[4:5], v[4:5], v[6:7]
	s_waitcnt lgkmcnt(0)
	v_mul_f64 v[54:55], v[44:45], v[50:51]
	v_fmac_f64_e32 v[54:55], v[46:47], v[48:49]
	v_add_f64 v[60:61], v[52:53], v[54:55]
	ds_read_b128 v[52:55], v2 offset:1488
	v_mul_f64 v[6:7], v[46:47], v[50:51]
	v_fma_f64 v[6:7], v[44:45], v[48:49], -v[6:7]
	v_add_f64 v[4:5], v[4:5], v[6:7]
	s_waitcnt lgkmcnt(0)
	v_mul_f64 v[6:7], v[54:55], v[58:59]
	v_fma_f64 v[6:7], v[52:53], v[56:57], -v[6:7]
	v_add_f64 v[8:9], v[4:5], v[6:7]
	scratch_load_dwordx4 v[4:7], off, off offset:640
	v_mul_f64 v[62:63], v[52:53], v[58:59]
	v_fmac_f64_e32 v[62:63], v[54:55], v[56:57]
	v_add_f64 v[60:61], v[60:61], v[62:63]
	s_waitcnt vmcnt(0)
	v_add_f64 v[4:5], v[4:5], -v[8:9]
	v_add_f64 v[6:7], v[6:7], -v[60:61]
	scratch_store_dwordx4 off, v[4:7], off offset:640
	s_and_saveexec_b64 s[0:1], vcc
	s_cbranch_execz .LBB110_219
; %bb.218:
	scratch_load_dwordx4 v[6:9], off, s24
	v_mov_b32_e32 v3, v2
	v_mov_b32_e32 v4, v2
	;; [unrolled: 1-line block ×3, first 2 shown]
	v_accvgpr_read_b32 v0, a95
	scratch_store_dwordx4 off, v[2:5], off offset:624
	s_waitcnt vmcnt(1)
	ds_write_b128 v0, v[6:9]
.LBB110_219:
	s_or_b64 exec, exec, s[0:1]
	s_waitcnt lgkmcnt(0)
	; wave barrier
	ds_read_b128 v[4:7], v2 offset:1376
	ds_read_b128 v[8:11], v2 offset:1392
	;; [unrolled: 1-line block ×4, first 2 shown]
	scratch_load_dwordx4 v[20:23], off, off offset:640
	scratch_load_dwordx4 v[40:43], off, off offset:704
	v_cmp_lt_u32_e32 vcc, 37, v240
	scratch_load_dwordx4 v[48:51], off, off offset:720
	scratch_load_dwordx4 v[56:59], off, off offset:736
	;; [unrolled: 1-line block ×3, first 2 shown]
	s_waitcnt vmcnt(4) lgkmcnt(3)
	v_mul_f64 v[24:25], v[4:5], v[22:23]
	v_fmac_f64_e32 v[24:25], v[6:7], v[20:21]
	v_add_f64 v[28:29], v[24:25], 0
	scratch_load_dwordx4 v[24:27], off, off offset:656
	s_waitcnt vmcnt(0) lgkmcnt(2)
	v_mul_f64 v[30:31], v[8:9], v[26:27]
	v_fmac_f64_e32 v[30:31], v[10:11], v[24:25]
	v_add_f64 v[32:33], v[28:29], v[30:31]
	scratch_load_dwordx4 v[28:31], off, off offset:672
	;; [unrolled: 5-line block ×3, first 2 shown]
	s_waitcnt vmcnt(0) lgkmcnt(0)
	v_mul_f64 v[38:39], v[16:17], v[34:35]
	v_fmac_f64_e32 v[38:39], v[18:19], v[32:33]
	v_add_f64 v[44:45], v[36:37], v[38:39]
	ds_read_b128 v[36:39], v2 offset:1440
	s_waitcnt lgkmcnt(0)
	v_mul_f64 v[46:47], v[36:37], v[42:43]
	v_fmac_f64_e32 v[46:47], v[38:39], v[40:41]
	v_add_f64 v[52:53], v[44:45], v[46:47]
	ds_read_b128 v[44:47], v2 offset:1456
	s_waitcnt lgkmcnt(0)
	;; [unrolled: 5-line block ×4, first 2 shown]
	v_mul_f64 v[2:3], v[60:61], v[66:67]
	v_fmac_f64_e32 v[2:3], v[62:63], v[64:65]
	v_add_f64 v[68:69], v[68:69], v[2:3]
	v_mul_f64 v[2:3], v[6:7], v[22:23]
	v_fma_f64 v[2:3], v[4:5], v[20:21], -v[2:3]
	v_mul_f64 v[4:5], v[10:11], v[26:27]
	v_add_f64 v[2:3], v[2:3], 0
	v_fma_f64 v[4:5], v[8:9], v[24:25], -v[4:5]
	v_add_f64 v[2:3], v[2:3], v[4:5]
	v_mul_f64 v[4:5], v[14:15], v[30:31]
	v_fma_f64 v[4:5], v[12:13], v[28:29], -v[4:5]
	v_add_f64 v[2:3], v[2:3], v[4:5]
	v_mul_f64 v[4:5], v[18:19], v[34:35]
	;; [unrolled: 3-line block ×6, first 2 shown]
	v_fma_f64 v[4:5], v[60:61], v[64:65], -v[4:5]
	v_add_f64 v[6:7], v[2:3], v[4:5]
	scratch_load_dwordx4 v[2:5], off, off offset:624
	s_waitcnt vmcnt(0)
	v_add_f64 v[2:3], v[2:3], -v[6:7]
	v_add_f64 v[4:5], v[4:5], -v[68:69]
	scratch_store_dwordx4 off, v[2:5], off offset:624
	s_and_saveexec_b64 s[0:1], vcc
	s_cbranch_execz .LBB110_221
; %bb.220:
	scratch_load_dwordx4 v[2:5], off, s25
	v_mov_b32_e32 v6, 0
	v_mov_b32_e32 v7, v6
	;; [unrolled: 1-line block ×4, first 2 shown]
	v_accvgpr_read_b32 v0, a95
	scratch_store_dwordx4 off, v[6:9], off offset:608
	s_waitcnt vmcnt(1)
	ds_write_b128 v0, v[2:5]
.LBB110_221:
	s_or_b64 exec, exec, s[0:1]
	s_waitcnt lgkmcnt(0)
	; wave barrier
	scratch_load_dwordx4 v[4:7], off, off offset:624
	scratch_load_dwordx4 v[8:11], off, off offset:640
	;; [unrolled: 1-line block ×10, first 2 shown]
	v_mov_b32_e32 v2, 0
	ds_read_b128 v[44:47], v2 offset:1360
	ds_read_b128 v[48:51], v2 offset:1376
	;; [unrolled: 1-line block ×9, first 2 shown]
	v_cmp_lt_u32_e32 vcc, 36, v240
	s_waitcnt vmcnt(9) lgkmcnt(8)
	v_mul_f64 v[80:81], v[44:45], v[6:7]
	v_mul_f64 v[6:7], v[46:47], v[6:7]
	s_waitcnt vmcnt(8) lgkmcnt(7)
	v_mul_f64 v[82:83], v[48:49], v[10:11]
	s_waitcnt vmcnt(7) lgkmcnt(6)
	;; [unrolled: 2-line block ×3, first 2 shown]
	v_mul_f64 v[88:89], v[60:61], v[22:23]
	v_mul_f64 v[10:11], v[50:51], v[10:11]
	v_mul_f64 v[14:15], v[54:55], v[14:15]
	v_mul_f64 v[22:23], v[62:63], v[22:23]
	v_fmac_f64_e32 v[80:81], v[46:47], v[4:5]
	v_fma_f64 v[4:5], v[44:45], v[4:5], -v[6:7]
	v_fmac_f64_e32 v[82:83], v[50:51], v[8:9]
	v_fmac_f64_e32 v[84:85], v[54:55], v[12:13]
	v_fma_f64 v[6:7], v[48:49], v[8:9], -v[10:11]
	v_fma_f64 v[8:9], v[52:53], v[12:13], -v[14:15]
	;; [unrolled: 1-line block ×3, first 2 shown]
	v_add_f64 v[22:23], v[80:81], 0
	v_add_f64 v[4:5], v[4:5], 0
	v_mul_f64 v[86:87], v[56:57], v[18:19]
	v_mul_f64 v[18:19], v[58:59], v[18:19]
	v_add_f64 v[22:23], v[22:23], v[82:83]
	v_add_f64 v[4:5], v[4:5], v[6:7]
	v_fmac_f64_e32 v[86:87], v[58:59], v[16:17]
	v_fma_f64 v[10:11], v[56:57], v[16:17], -v[18:19]
	v_add_f64 v[6:7], v[22:23], v[84:85]
	v_add_f64 v[4:5], v[4:5], v[8:9]
	s_waitcnt vmcnt(4) lgkmcnt(3)
	v_mul_f64 v[90:91], v[64:65], v[26:27]
	v_mul_f64 v[26:27], v[66:67], v[26:27]
	v_fmac_f64_e32 v[88:89], v[62:63], v[20:21]
	v_add_f64 v[6:7], v[6:7], v[86:87]
	v_add_f64 v[4:5], v[4:5], v[10:11]
	s_waitcnt vmcnt(3) lgkmcnt(2)
	v_mul_f64 v[92:93], v[68:69], v[30:31]
	v_mul_f64 v[30:31], v[70:71], v[30:31]
	v_fmac_f64_e32 v[90:91], v[66:67], v[24:25]
	v_fma_f64 v[14:15], v[64:65], v[24:25], -v[26:27]
	v_add_f64 v[6:7], v[6:7], v[88:89]
	v_add_f64 v[4:5], v[4:5], v[12:13]
	s_waitcnt vmcnt(2) lgkmcnt(1)
	v_mul_f64 v[94:95], v[72:73], v[34:35]
	v_mul_f64 v[34:35], v[74:75], v[34:35]
	v_fmac_f64_e32 v[92:93], v[70:71], v[28:29]
	v_fma_f64 v[16:17], v[68:69], v[28:29], -v[30:31]
	;; [unrolled: 7-line block ×3, first 2 shown]
	v_add_f64 v[6:7], v[6:7], v[92:93]
	v_add_f64 v[4:5], v[4:5], v[16:17]
	v_fmac_f64_e32 v[96:97], v[78:79], v[36:37]
	v_fma_f64 v[20:21], v[76:77], v[36:37], -v[38:39]
	v_add_f64 v[6:7], v[6:7], v[94:95]
	v_add_f64 v[4:5], v[4:5], v[18:19]
	v_add_f64 v[6:7], v[6:7], v[96:97]
	v_add_f64 v[4:5], v[4:5], v[20:21]
	s_waitcnt vmcnt(0)
	v_add_f64 v[4:5], v[40:41], -v[4:5]
	v_add_f64 v[6:7], v[42:43], -v[6:7]
	scratch_store_dwordx4 off, v[4:7], off offset:608
	s_and_saveexec_b64 s[0:1], vcc
	s_cbranch_execz .LBB110_223
; %bb.222:
	scratch_load_dwordx4 v[6:9], off, s26
	v_mov_b32_e32 v3, v2
	v_mov_b32_e32 v4, v2
	;; [unrolled: 1-line block ×3, first 2 shown]
	v_accvgpr_read_b32 v0, a95
	scratch_store_dwordx4 off, v[2:5], off offset:592
	s_waitcnt vmcnt(1)
	ds_write_b128 v0, v[6:9]
.LBB110_223:
	s_or_b64 exec, exec, s[0:1]
	s_waitcnt lgkmcnt(0)
	; wave barrier
	scratch_load_dwordx4 v[4:7], off, off offset:608
	scratch_load_dwordx4 v[8:11], off, off offset:624
	scratch_load_dwordx4 v[12:15], off, off offset:640
	scratch_load_dwordx4 v[16:19], off, off offset:656
	scratch_load_dwordx4 v[20:23], off, off offset:672
	scratch_load_dwordx4 v[24:27], off, off offset:688
	scratch_load_dwordx4 v[28:31], off, off offset:704
	scratch_load_dwordx4 v[32:35], off, off offset:720
	scratch_load_dwordx4 v[36:39], off, off offset:736
	scratch_load_dwordx4 v[40:43], off, off offset:752
	scratch_load_dwordx4 v[44:47], off, off offset:592
	ds_read_b128 v[48:51], v2 offset:1344
	ds_read_b128 v[52:55], v2 offset:1360
	;; [unrolled: 1-line block ×10, first 2 shown]
	v_cmp_lt_u32_e32 vcc, 35, v240
	s_waitcnt vmcnt(10) lgkmcnt(9)
	v_mul_f64 v[2:3], v[48:49], v[6:7]
	v_mul_f64 v[6:7], v[50:51], v[6:7]
	s_waitcnt vmcnt(9) lgkmcnt(8)
	v_mul_f64 v[88:89], v[52:53], v[10:11]
	v_mul_f64 v[10:11], v[54:55], v[10:11]
	v_fmac_f64_e32 v[2:3], v[50:51], v[4:5]
	v_fma_f64 v[4:5], v[48:49], v[4:5], -v[6:7]
	s_waitcnt vmcnt(8) lgkmcnt(7)
	v_mul_f64 v[90:91], v[56:57], v[14:15]
	v_mul_f64 v[14:15], v[58:59], v[14:15]
	v_fmac_f64_e32 v[88:89], v[54:55], v[8:9]
	v_fma_f64 v[6:7], v[52:53], v[8:9], -v[10:11]
	v_add_f64 v[2:3], v[2:3], 0
	v_add_f64 v[4:5], v[4:5], 0
	s_waitcnt vmcnt(7) lgkmcnt(6)
	v_mul_f64 v[92:93], v[60:61], v[18:19]
	v_mul_f64 v[18:19], v[62:63], v[18:19]
	v_fmac_f64_e32 v[90:91], v[58:59], v[12:13]
	v_fma_f64 v[8:9], v[56:57], v[12:13], -v[14:15]
	v_add_f64 v[2:3], v[2:3], v[88:89]
	v_add_f64 v[4:5], v[4:5], v[6:7]
	;; [unrolled: 7-line block ×8, first 2 shown]
	v_fmac_f64_e32 v[104:105], v[86:87], v[40:41]
	v_fma_f64 v[22:23], v[84:85], v[40:41], -v[42:43]
	v_add_f64 v[2:3], v[2:3], v[102:103]
	v_add_f64 v[4:5], v[4:5], v[20:21]
	;; [unrolled: 1-line block ×4, first 2 shown]
	s_waitcnt vmcnt(0)
	v_add_f64 v[2:3], v[44:45], -v[2:3]
	v_add_f64 v[4:5], v[46:47], -v[6:7]
	scratch_store_dwordx4 off, v[2:5], off offset:592
	s_and_saveexec_b64 s[0:1], vcc
	s_cbranch_execz .LBB110_225
; %bb.224:
	scratch_load_dwordx4 v[2:5], off, s27
	v_mov_b32_e32 v6, 0
	v_mov_b32_e32 v7, v6
	;; [unrolled: 1-line block ×4, first 2 shown]
	v_accvgpr_read_b32 v0, a95
	scratch_store_dwordx4 off, v[6:9], off offset:576
	s_waitcnt vmcnt(1)
	ds_write_b128 v0, v[2:5]
.LBB110_225:
	s_or_b64 exec, exec, s[0:1]
	s_waitcnt lgkmcnt(0)
	; wave barrier
	scratch_load_dwordx4 v[4:7], off, off offset:592
	scratch_load_dwordx4 v[8:11], off, off offset:608
	;; [unrolled: 1-line block ×12, first 2 shown]
	v_mov_b32_e32 v2, 0
	ds_read_b128 v[52:55], v2 offset:1328
	ds_read_b128 v[56:59], v2 offset:1344
	;; [unrolled: 1-line block ×11, first 2 shown]
	v_cmp_lt_u32_e32 vcc, 34, v240
	s_waitcnt vmcnt(11) lgkmcnt(10)
	v_mul_f64 v[96:97], v[52:53], v[6:7]
	v_mul_f64 v[6:7], v[54:55], v[6:7]
	s_waitcnt vmcnt(10) lgkmcnt(9)
	v_mul_f64 v[98:99], v[56:57], v[10:11]
	s_waitcnt vmcnt(9) lgkmcnt(8)
	v_mul_f64 v[100:101], v[60:61], v[14:15]
	v_mul_f64 v[10:11], v[58:59], v[10:11]
	s_waitcnt vmcnt(6) lgkmcnt(5)
	v_mul_f64 v[106:107], v[72:73], v[26:27]
	v_mul_f64 v[14:15], v[62:63], v[14:15]
	;; [unrolled: 1-line block ×3, first 2 shown]
	v_fmac_f64_e32 v[96:97], v[54:55], v[4:5]
	v_fma_f64 v[4:5], v[52:53], v[4:5], -v[6:7]
	v_fmac_f64_e32 v[98:99], v[58:59], v[8:9]
	v_fma_f64 v[6:7], v[56:57], v[8:9], -v[10:11]
	v_fma_f64 v[8:9], v[60:61], v[12:13], -v[14:15]
	v_fma_f64 v[14:15], v[72:73], v[24:25], -v[26:27]
	v_add_f64 v[26:27], v[96:97], 0
	v_add_f64 v[4:5], v[4:5], 0
	v_mul_f64 v[102:103], v[64:65], v[18:19]
	v_mul_f64 v[18:19], v[66:67], v[18:19]
	v_fmac_f64_e32 v[100:101], v[62:63], v[12:13]
	v_add_f64 v[26:27], v[26:27], v[98:99]
	v_add_f64 v[4:5], v[4:5], v[6:7]
	v_mul_f64 v[104:105], v[68:69], v[22:23]
	v_mul_f64 v[22:23], v[70:71], v[22:23]
	v_fmac_f64_e32 v[102:103], v[66:67], v[16:17]
	v_fma_f64 v[10:11], v[64:65], v[16:17], -v[18:19]
	v_add_f64 v[6:7], v[26:27], v[100:101]
	v_add_f64 v[4:5], v[4:5], v[8:9]
	v_fmac_f64_e32 v[104:105], v[70:71], v[20:21]
	v_fma_f64 v[12:13], v[68:69], v[20:21], -v[22:23]
	v_add_f64 v[6:7], v[6:7], v[102:103]
	v_add_f64 v[4:5], v[4:5], v[10:11]
	s_waitcnt vmcnt(5) lgkmcnt(4)
	v_mul_f64 v[108:109], v[76:77], v[30:31]
	v_mul_f64 v[30:31], v[78:79], v[30:31]
	v_fmac_f64_e32 v[106:107], v[74:75], v[24:25]
	v_add_f64 v[6:7], v[6:7], v[104:105]
	v_add_f64 v[4:5], v[4:5], v[12:13]
	s_waitcnt vmcnt(4) lgkmcnt(3)
	v_mul_f64 v[110:111], v[80:81], v[34:35]
	v_mul_f64 v[34:35], v[82:83], v[34:35]
	v_fmac_f64_e32 v[108:109], v[78:79], v[28:29]
	v_fma_f64 v[16:17], v[76:77], v[28:29], -v[30:31]
	v_add_f64 v[6:7], v[6:7], v[106:107]
	v_add_f64 v[4:5], v[4:5], v[14:15]
	s_waitcnt vmcnt(3) lgkmcnt(2)
	v_mul_f64 v[112:113], v[84:85], v[38:39]
	v_mul_f64 v[38:39], v[86:87], v[38:39]
	v_fmac_f64_e32 v[110:111], v[82:83], v[32:33]
	v_fma_f64 v[18:19], v[80:81], v[32:33], -v[34:35]
	;; [unrolled: 7-line block ×4, first 2 shown]
	v_add_f64 v[6:7], v[6:7], v[112:113]
	v_add_f64 v[4:5], v[4:5], v[20:21]
	v_fmac_f64_e32 v[116:117], v[94:95], v[44:45]
	v_fma_f64 v[24:25], v[92:93], v[44:45], -v[46:47]
	v_add_f64 v[6:7], v[6:7], v[114:115]
	v_add_f64 v[4:5], v[4:5], v[22:23]
	;; [unrolled: 1-line block ×4, first 2 shown]
	s_waitcnt vmcnt(0)
	v_add_f64 v[4:5], v[48:49], -v[4:5]
	v_add_f64 v[6:7], v[50:51], -v[6:7]
	scratch_store_dwordx4 off, v[4:7], off offset:576
	s_and_saveexec_b64 s[0:1], vcc
	s_cbranch_execz .LBB110_227
; %bb.226:
	scratch_load_dwordx4 v[6:9], off, s28
	v_mov_b32_e32 v3, v2
	v_mov_b32_e32 v4, v2
	;; [unrolled: 1-line block ×3, first 2 shown]
	v_accvgpr_read_b32 v0, a95
	scratch_store_dwordx4 off, v[2:5], off offset:560
	s_waitcnt vmcnt(1)
	ds_write_b128 v0, v[6:9]
.LBB110_227:
	s_or_b64 exec, exec, s[0:1]
	s_waitcnt lgkmcnt(0)
	; wave barrier
	scratch_load_dwordx4 v[4:7], off, off offset:576
	scratch_load_dwordx4 v[8:11], off, off offset:592
	;; [unrolled: 1-line block ×12, first 2 shown]
	ds_read_b128 v[52:55], v2 offset:1312
	ds_read_b128 v[56:59], v2 offset:1328
	;; [unrolled: 1-line block ×4, first 2 shown]
	scratch_load_dwordx4 v[68:71], off, off offset:560
	ds_read_b128 v[72:75], v2 offset:1376
	ds_read_b128 v[76:79], v2 offset:1392
	ds_read_b128 v[80:83], v2 offset:1408
	ds_read_b128 v[84:87], v2 offset:1424
	ds_read_b128 v[88:91], v2 offset:1440
	ds_read_b128 v[92:95], v2 offset:1456
	ds_read_b128 v[96:99], v2 offset:1472
	ds_read_b128 v[100:103], v2 offset:1488
	v_cmp_lt_u32_e32 vcc, 33, v240
	s_waitcnt vmcnt(12) lgkmcnt(11)
	v_mul_f64 v[2:3], v[52:53], v[6:7]
	s_waitcnt vmcnt(11) lgkmcnt(10)
	v_mul_f64 v[104:105], v[56:57], v[10:11]
	v_fmac_f64_e32 v[2:3], v[54:55], v[4:5]
	s_waitcnt vmcnt(10) lgkmcnt(9)
	v_mul_f64 v[106:107], v[60:61], v[14:15]
	v_mul_f64 v[6:7], v[54:55], v[6:7]
	v_fmac_f64_e32 v[104:105], v[58:59], v[8:9]
	v_add_f64 v[2:3], v[2:3], 0
	s_waitcnt vmcnt(9) lgkmcnt(8)
	v_mul_f64 v[108:109], v[64:65], v[18:19]
	v_mul_f64 v[10:11], v[58:59], v[10:11]
	v_fmac_f64_e32 v[106:107], v[62:63], v[12:13]
	v_fma_f64 v[4:5], v[52:53], v[4:5], -v[6:7]
	v_add_f64 v[2:3], v[2:3], v[104:105]
	s_waitcnt vmcnt(8) lgkmcnt(7)
	v_mul_f64 v[110:111], v[72:73], v[22:23]
	v_mul_f64 v[14:15], v[62:63], v[14:15]
	v_fmac_f64_e32 v[108:109], v[66:67], v[16:17]
	v_fma_f64 v[6:7], v[56:57], v[8:9], -v[10:11]
	v_add_f64 v[4:5], v[4:5], 0
	v_add_f64 v[2:3], v[2:3], v[106:107]
	s_waitcnt vmcnt(7) lgkmcnt(6)
	v_mul_f64 v[112:113], v[76:77], v[26:27]
	v_mul_f64 v[18:19], v[66:67], v[18:19]
	v_fmac_f64_e32 v[110:111], v[74:75], v[20:21]
	v_fma_f64 v[8:9], v[60:61], v[12:13], -v[14:15]
	v_add_f64 v[4:5], v[4:5], v[6:7]
	;; [unrolled: 7-line block ×8, first 2 shown]
	v_add_f64 v[2:3], v[2:3], v[120:121]
	v_mul_f64 v[46:47], v[98:99], v[46:47]
	v_fmac_f64_e32 v[124:125], v[102:103], v[48:49]
	v_fma_f64 v[22:23], v[92:93], v[40:41], -v[42:43]
	v_add_f64 v[4:5], v[4:5], v[20:21]
	v_add_f64 v[2:3], v[2:3], v[122:123]
	;; [unrolled: 1-line block ×4, first 2 shown]
	v_fma_f64 v[2:3], v[96:97], v[44:45], -v[46:47]
	v_add_f64 v[2:3], v[4:5], v[2:3]
	v_mul_f64 v[4:5], v[102:103], v[50:51]
	v_fma_f64 v[4:5], v[100:101], v[48:49], -v[4:5]
	v_add_f64 v[2:3], v[2:3], v[4:5]
	s_waitcnt vmcnt(0)
	v_add_f64 v[2:3], v[68:69], -v[2:3]
	v_add_f64 v[4:5], v[70:71], -v[6:7]
	scratch_store_dwordx4 off, v[2:5], off offset:560
	s_and_saveexec_b64 s[0:1], vcc
	s_cbranch_execz .LBB110_229
; %bb.228:
	scratch_load_dwordx4 v[2:5], off, s29
	v_mov_b32_e32 v6, 0
	v_mov_b32_e32 v7, v6
	;; [unrolled: 1-line block ×4, first 2 shown]
	v_accvgpr_read_b32 v0, a95
	scratch_store_dwordx4 off, v[6:9], off offset:544
	s_waitcnt vmcnt(1)
	ds_write_b128 v0, v[2:5]
.LBB110_229:
	s_or_b64 exec, exec, s[0:1]
	s_waitcnt lgkmcnt(0)
	; wave barrier
	scratch_load_dwordx4 v[4:7], off, off offset:560
	scratch_load_dwordx4 v[8:11], off, off offset:576
	;; [unrolled: 1-line block ×14, first 2 shown]
	v_mov_b32_e32 v2, 0
	ds_read_b128 v[60:63], v2 offset:1296
	ds_read_b128 v[64:67], v2 offset:1312
	;; [unrolled: 1-line block ×13, first 2 shown]
	v_cmp_lt_u32_e32 vcc, 32, v240
	s_waitcnt vmcnt(13) lgkmcnt(12)
	v_mul_f64 v[112:113], v[60:61], v[6:7]
	v_mul_f64 v[6:7], v[62:63], v[6:7]
	s_waitcnt vmcnt(12) lgkmcnt(11)
	v_mul_f64 v[114:115], v[64:65], v[10:11]
	v_mul_f64 v[10:11], v[66:67], v[10:11]
	v_fmac_f64_e32 v[112:113], v[62:63], v[4:5]
	v_fma_f64 v[4:5], v[60:61], v[4:5], -v[6:7]
	s_waitcnt vmcnt(11) lgkmcnt(10)
	v_mul_f64 v[116:117], v[68:69], v[14:15]
	v_mul_f64 v[14:15], v[70:71], v[14:15]
	v_fma_f64 v[6:7], v[64:65], v[8:9], -v[10:11]
	v_add_f64 v[4:5], v[4:5], 0
	s_waitcnt vmcnt(10) lgkmcnt(9)
	v_mul_f64 v[118:119], v[72:73], v[18:19]
	v_mul_f64 v[18:19], v[74:75], v[18:19]
	v_fmac_f64_e32 v[114:115], v[66:67], v[8:9]
	v_fma_f64 v[8:9], v[68:69], v[12:13], -v[14:15]
	v_add_f64 v[4:5], v[4:5], v[6:7]
	s_waitcnt vmcnt(9) lgkmcnt(8)
	v_mul_f64 v[120:121], v[76:77], v[22:23]
	v_mul_f64 v[22:23], v[78:79], v[22:23]
	v_fma_f64 v[10:11], v[72:73], v[16:17], -v[18:19]
	v_add_f64 v[4:5], v[4:5], v[8:9]
	s_waitcnt vmcnt(8) lgkmcnt(7)
	v_mul_f64 v[122:123], v[80:81], v[26:27]
	v_mul_f64 v[26:27], v[82:83], v[26:27]
	v_fmac_f64_e32 v[116:117], v[70:71], v[12:13]
	v_fma_f64 v[12:13], v[76:77], v[20:21], -v[22:23]
	v_add_f64 v[22:23], v[112:113], 0
	v_add_f64 v[4:5], v[4:5], v[10:11]
	s_waitcnt vmcnt(7) lgkmcnt(6)
	v_mul_f64 v[124:125], v[84:85], v[30:31]
	v_mul_f64 v[30:31], v[86:87], v[30:31]
	v_fma_f64 v[14:15], v[80:81], v[24:25], -v[26:27]
	v_add_f64 v[22:23], v[22:23], v[114:115]
	v_add_f64 v[4:5], v[4:5], v[12:13]
	s_waitcnt vmcnt(6) lgkmcnt(5)
	v_mul_f64 v[126:127], v[88:89], v[34:35]
	v_mul_f64 v[34:35], v[90:91], v[34:35]
	v_fmac_f64_e32 v[118:119], v[74:75], v[16:17]
	v_fma_f64 v[16:17], v[84:85], v[28:29], -v[30:31]
	v_add_f64 v[6:7], v[22:23], v[116:117]
	v_add_f64 v[4:5], v[4:5], v[14:15]
	s_waitcnt vmcnt(5) lgkmcnt(4)
	v_mul_f64 v[128:129], v[92:93], v[38:39]
	v_mul_f64 v[38:39], v[94:95], v[38:39]
	v_fmac_f64_e32 v[120:121], v[78:79], v[20:21]
	v_fma_f64 v[18:19], v[88:89], v[32:33], -v[34:35]
	v_add_f64 v[6:7], v[6:7], v[118:119]
	v_add_f64 v[4:5], v[4:5], v[16:17]
	v_fmac_f64_e32 v[122:123], v[82:83], v[24:25]
	v_fma_f64 v[20:21], v[92:93], v[36:37], -v[38:39]
	v_add_f64 v[6:7], v[6:7], v[120:121]
	v_add_f64 v[4:5], v[4:5], v[18:19]
	s_waitcnt vmcnt(4) lgkmcnt(3)
	v_mul_f64 v[8:9], v[98:99], v[42:43]
	v_fmac_f64_e32 v[124:125], v[86:87], v[28:29]
	v_add_f64 v[6:7], v[6:7], v[122:123]
	v_add_f64 v[4:5], v[4:5], v[20:21]
	v_fma_f64 v[8:9], v[96:97], v[40:41], -v[8:9]
	v_fmac_f64_e32 v[126:127], v[90:91], v[32:33]
	v_add_f64 v[6:7], v[6:7], v[124:125]
	v_add_f64 v[4:5], v[4:5], v[8:9]
	s_waitcnt vmcnt(3) lgkmcnt(2)
	v_mul_f64 v[8:9], v[102:103], v[46:47]
	v_mul_f64 v[130:131], v[96:97], v[42:43]
	v_fmac_f64_e32 v[128:129], v[94:95], v[36:37]
	v_add_f64 v[6:7], v[6:7], v[126:127]
	v_fma_f64 v[8:9], v[100:101], v[44:45], -v[8:9]
	v_mul_f64 v[132:133], v[100:101], v[46:47]
	v_fmac_f64_e32 v[130:131], v[98:99], v[40:41]
	v_add_f64 v[6:7], v[6:7], v[128:129]
	v_add_f64 v[4:5], v[4:5], v[8:9]
	s_waitcnt vmcnt(2) lgkmcnt(1)
	v_mul_f64 v[8:9], v[106:107], v[50:51]
	v_mul_f64 v[134:135], v[104:105], v[50:51]
	v_fmac_f64_e32 v[132:133], v[102:103], v[44:45]
	v_add_f64 v[6:7], v[6:7], v[130:131]
	v_fma_f64 v[8:9], v[104:105], v[48:49], -v[8:9]
	s_waitcnt vmcnt(1) lgkmcnt(0)
	v_mul_f64 v[136:137], v[108:109], v[54:55]
	v_fmac_f64_e32 v[134:135], v[106:107], v[48:49]
	v_add_f64 v[6:7], v[6:7], v[132:133]
	v_add_f64 v[4:5], v[4:5], v[8:9]
	v_mul_f64 v[8:9], v[110:111], v[54:55]
	v_fmac_f64_e32 v[136:137], v[110:111], v[52:53]
	v_add_f64 v[6:7], v[6:7], v[134:135]
	v_fma_f64 v[8:9], v[108:109], v[52:53], -v[8:9]
	v_add_f64 v[6:7], v[6:7], v[136:137]
	v_add_f64 v[4:5], v[4:5], v[8:9]
	s_waitcnt vmcnt(0)
	v_add_f64 v[4:5], v[56:57], -v[4:5]
	v_add_f64 v[6:7], v[58:59], -v[6:7]
	scratch_store_dwordx4 off, v[4:7], off offset:544
	s_and_saveexec_b64 s[0:1], vcc
	s_cbranch_execz .LBB110_231
; %bb.230:
	scratch_load_dwordx4 v[6:9], off, s30
	v_mov_b32_e32 v3, v2
	v_mov_b32_e32 v4, v2
	;; [unrolled: 1-line block ×3, first 2 shown]
	v_accvgpr_read_b32 v0, a95
	scratch_store_dwordx4 off, v[2:5], off offset:528
	s_waitcnt vmcnt(1)
	ds_write_b128 v0, v[6:9]
.LBB110_231:
	s_or_b64 exec, exec, s[0:1]
	s_waitcnt lgkmcnt(0)
	; wave barrier
	scratch_load_dwordx4 v[4:7], off, off offset:544
	scratch_load_dwordx4 v[8:11], off, off offset:560
	;; [unrolled: 1-line block ×14, first 2 shown]
	ds_read_b128 v[60:63], v2 offset:1280
	ds_read_b128 v[64:67], v2 offset:1296
	;; [unrolled: 1-line block ×14, first 2 shown]
	scratch_load_dwordx4 v[116:119], off, off offset:528
	v_cmp_lt_u32_e32 vcc, 31, v240
	s_waitcnt vmcnt(14) lgkmcnt(13)
	v_mul_f64 v[2:3], v[60:61], v[6:7]
	s_waitcnt vmcnt(13) lgkmcnt(12)
	v_mul_f64 v[120:121], v[64:65], v[10:11]
	v_fmac_f64_e32 v[2:3], v[62:63], v[4:5]
	s_waitcnt vmcnt(12) lgkmcnt(11)
	v_mul_f64 v[122:123], v[68:69], v[14:15]
	v_fmac_f64_e32 v[120:121], v[66:67], v[8:9]
	v_add_f64 v[2:3], v[2:3], 0
	s_waitcnt vmcnt(11) lgkmcnt(10)
	v_mul_f64 v[124:125], v[72:73], v[18:19]
	v_fmac_f64_e32 v[122:123], v[70:71], v[12:13]
	v_add_f64 v[2:3], v[2:3], v[120:121]
	;; [unrolled: 4-line block ×4, first 2 shown]
	s_waitcnt vmcnt(8) lgkmcnt(7)
	v_mul_f64 v[130:131], v[84:85], v[30:31]
	v_mul_f64 v[6:7], v[62:63], v[6:7]
	v_fmac_f64_e32 v[128:129], v[82:83], v[24:25]
	v_add_f64 v[2:3], v[2:3], v[126:127]
	s_waitcnt vmcnt(7) lgkmcnt(6)
	v_mul_f64 v[132:133], v[88:89], v[34:35]
	v_mul_f64 v[10:11], v[66:67], v[10:11]
	v_fmac_f64_e32 v[130:131], v[86:87], v[28:29]
	v_fma_f64 v[4:5], v[60:61], v[4:5], -v[6:7]
	v_add_f64 v[2:3], v[2:3], v[128:129]
	s_waitcnt vmcnt(6) lgkmcnt(5)
	v_mul_f64 v[134:135], v[92:93], v[38:39]
	v_mul_f64 v[14:15], v[70:71], v[14:15]
	v_fmac_f64_e32 v[132:133], v[90:91], v[32:33]
	v_fma_f64 v[6:7], v[64:65], v[8:9], -v[10:11]
	v_add_f64 v[4:5], v[4:5], 0
	v_add_f64 v[2:3], v[2:3], v[130:131]
	s_waitcnt vmcnt(5) lgkmcnt(4)
	v_mul_f64 v[136:137], v[96:97], v[42:43]
	v_mul_f64 v[18:19], v[74:75], v[18:19]
	v_fmac_f64_e32 v[134:135], v[94:95], v[36:37]
	v_fma_f64 v[8:9], v[68:69], v[12:13], -v[14:15]
	v_add_f64 v[4:5], v[4:5], v[6:7]
	;; [unrolled: 7-line block ×6, first 2 shown]
	v_add_f64 v[2:3], v[2:3], v[140:141]
	v_fmac_f64_e32 v[144:145], v[114:115], v[56:57]
	v_fma_f64 v[18:19], v[88:89], v[32:33], -v[34:35]
	v_add_f64 v[4:5], v[4:5], v[16:17]
	v_add_f64 v[2:3], v[2:3], v[142:143]
	v_add_f64 v[6:7], v[2:3], v[144:145]
	v_add_f64 v[2:3], v[4:5], v[18:19]
	v_mul_f64 v[4:5], v[94:95], v[38:39]
	v_fma_f64 v[4:5], v[92:93], v[36:37], -v[4:5]
	v_add_f64 v[2:3], v[2:3], v[4:5]
	v_mul_f64 v[4:5], v[98:99], v[42:43]
	v_fma_f64 v[4:5], v[96:97], v[40:41], -v[4:5]
	v_add_f64 v[2:3], v[2:3], v[4:5]
	;; [unrolled: 3-line block ×6, first 2 shown]
	s_waitcnt vmcnt(0)
	v_add_f64 v[2:3], v[116:117], -v[2:3]
	v_add_f64 v[4:5], v[118:119], -v[6:7]
	scratch_store_dwordx4 off, v[2:5], off offset:528
	s_and_saveexec_b64 s[0:1], vcc
	s_cbranch_execz .LBB110_233
; %bb.232:
	scratch_load_dwordx4 v[2:5], off, s31
	v_mov_b32_e32 v6, 0
	v_mov_b32_e32 v7, v6
	;; [unrolled: 1-line block ×4, first 2 shown]
	v_accvgpr_read_b32 v0, a95
	scratch_store_dwordx4 off, v[6:9], off offset:512
	s_waitcnt vmcnt(1)
	ds_write_b128 v0, v[2:5]
.LBB110_233:
	s_or_b64 exec, exec, s[0:1]
	s_waitcnt lgkmcnt(0)
	; wave barrier
	scratch_load_dwordx4 v[4:7], off, off offset:528
	scratch_load_dwordx4 v[8:11], off, off offset:544
	;; [unrolled: 1-line block ×16, first 2 shown]
	v_mov_b32_e32 v2, 0
	ds_read_b128 v[68:71], v2 offset:1264
	ds_read_b128 v[72:75], v2 offset:1280
	;; [unrolled: 1-line block ×15, first 2 shown]
	v_cmp_lt_u32_e32 vcc, 30, v240
	s_waitcnt vmcnt(15) lgkmcnt(14)
	v_mul_f64 v[128:129], v[68:69], v[6:7]
	v_mul_f64 v[6:7], v[70:71], v[6:7]
	s_waitcnt vmcnt(14) lgkmcnt(13)
	v_mul_f64 v[130:131], v[72:73], v[10:11]
	v_mul_f64 v[10:11], v[74:75], v[10:11]
	v_fmac_f64_e32 v[128:129], v[70:71], v[4:5]
	v_fma_f64 v[4:5], v[68:69], v[4:5], -v[6:7]
	s_waitcnt vmcnt(13) lgkmcnt(12)
	v_mul_f64 v[132:133], v[76:77], v[14:15]
	v_mul_f64 v[14:15], v[78:79], v[14:15]
	v_fma_f64 v[6:7], v[72:73], v[8:9], -v[10:11]
	v_add_f64 v[4:5], v[4:5], 0
	s_waitcnt vmcnt(12) lgkmcnt(11)
	v_mul_f64 v[134:135], v[80:81], v[18:19]
	v_mul_f64 v[18:19], v[82:83], v[18:19]
	v_fmac_f64_e32 v[130:131], v[74:75], v[8:9]
	v_fma_f64 v[8:9], v[76:77], v[12:13], -v[14:15]
	v_add_f64 v[4:5], v[4:5], v[6:7]
	s_waitcnt vmcnt(11) lgkmcnt(10)
	v_mul_f64 v[136:137], v[84:85], v[22:23]
	v_mul_f64 v[22:23], v[86:87], v[22:23]
	v_fma_f64 v[10:11], v[80:81], v[16:17], -v[18:19]
	v_add_f64 v[4:5], v[4:5], v[8:9]
	s_waitcnt vmcnt(10) lgkmcnt(9)
	v_mul_f64 v[138:139], v[88:89], v[26:27]
	v_mul_f64 v[26:27], v[90:91], v[26:27]
	v_fmac_f64_e32 v[132:133], v[78:79], v[12:13]
	v_fma_f64 v[12:13], v[84:85], v[20:21], -v[22:23]
	v_add_f64 v[4:5], v[4:5], v[10:11]
	v_fma_f64 v[14:15], v[88:89], v[24:25], -v[26:27]
	v_add_f64 v[4:5], v[4:5], v[12:13]
	s_waitcnt vmcnt(9) lgkmcnt(8)
	v_mul_f64 v[8:9], v[94:95], v[30:31]
	v_add_f64 v[4:5], v[4:5], v[14:15]
	v_fma_f64 v[8:9], v[92:93], v[28:29], -v[8:9]
	v_add_f64 v[4:5], v[4:5], v[8:9]
	s_waitcnt vmcnt(8) lgkmcnt(7)
	v_mul_f64 v[8:9], v[98:99], v[34:35]
	v_fma_f64 v[8:9], v[96:97], v[32:33], -v[8:9]
	v_fmac_f64_e32 v[134:135], v[82:83], v[16:17]
	v_add_f64 v[16:17], v[128:129], 0
	v_add_f64 v[4:5], v[4:5], v[8:9]
	s_waitcnt vmcnt(7) lgkmcnt(6)
	v_mul_f64 v[8:9], v[102:103], v[38:39]
	v_add_f64 v[16:17], v[16:17], v[130:131]
	v_fma_f64 v[8:9], v[100:101], v[36:37], -v[8:9]
	v_add_f64 v[6:7], v[16:17], v[132:133]
	v_add_f64 v[4:5], v[4:5], v[8:9]
	s_waitcnt vmcnt(6) lgkmcnt(5)
	v_mul_f64 v[8:9], v[106:107], v[42:43]
	v_fmac_f64_e32 v[136:137], v[86:87], v[20:21]
	v_add_f64 v[6:7], v[6:7], v[134:135]
	v_fma_f64 v[8:9], v[104:105], v[40:41], -v[8:9]
	v_mul_f64 v[140:141], v[92:93], v[30:31]
	v_fmac_f64_e32 v[138:139], v[90:91], v[24:25]
	v_add_f64 v[6:7], v[6:7], v[136:137]
	v_add_f64 v[4:5], v[4:5], v[8:9]
	s_waitcnt vmcnt(5) lgkmcnt(4)
	v_mul_f64 v[8:9], v[110:111], v[46:47]
	v_mul_f64 v[142:143], v[96:97], v[34:35]
	v_fmac_f64_e32 v[140:141], v[94:95], v[28:29]
	v_add_f64 v[6:7], v[6:7], v[138:139]
	v_fma_f64 v[8:9], v[108:109], v[44:45], -v[8:9]
	v_mul_f64 v[144:145], v[100:101], v[38:39]
	v_fmac_f64_e32 v[142:143], v[98:99], v[32:33]
	v_add_f64 v[6:7], v[6:7], v[140:141]
	v_add_f64 v[4:5], v[4:5], v[8:9]
	s_waitcnt vmcnt(4) lgkmcnt(3)
	v_mul_f64 v[8:9], v[114:115], v[50:51]
	;; [unrolled: 10-line block ×4, first 2 shown]
	v_mul_f64 v[154:155], v[120:121], v[58:59]
	v_fmac_f64_e32 v[152:153], v[118:119], v[52:53]
	v_add_f64 v[6:7], v[6:7], v[150:151]
	v_fma_f64 v[8:9], v[120:121], v[56:57], -v[8:9]
	s_waitcnt vmcnt(1) lgkmcnt(0)
	v_mul_f64 v[156:157], v[124:125], v[62:63]
	v_fmac_f64_e32 v[154:155], v[122:123], v[56:57]
	v_add_f64 v[6:7], v[6:7], v[152:153]
	v_add_f64 v[4:5], v[4:5], v[8:9]
	v_mul_f64 v[8:9], v[126:127], v[62:63]
	v_fmac_f64_e32 v[156:157], v[126:127], v[60:61]
	v_add_f64 v[6:7], v[6:7], v[154:155]
	v_fma_f64 v[8:9], v[124:125], v[60:61], -v[8:9]
	v_add_f64 v[6:7], v[6:7], v[156:157]
	v_add_f64 v[4:5], v[4:5], v[8:9]
	s_waitcnt vmcnt(0)
	v_add_f64 v[4:5], v[64:65], -v[4:5]
	v_add_f64 v[6:7], v[66:67], -v[6:7]
	scratch_store_dwordx4 off, v[4:7], off offset:512
	s_and_saveexec_b64 s[0:1], vcc
	s_cbranch_execz .LBB110_235
; %bb.234:
	scratch_load_dwordx4 v[6:9], off, s33
	v_mov_b32_e32 v3, v2
	v_mov_b32_e32 v4, v2
	;; [unrolled: 1-line block ×3, first 2 shown]
	v_accvgpr_read_b32 v0, a95
	scratch_store_dwordx4 off, v[2:5], off offset:496
	s_waitcnt vmcnt(1)
	ds_write_b128 v0, v[6:9]
.LBB110_235:
	s_or_b64 exec, exec, s[0:1]
	s_waitcnt lgkmcnt(0)
	; wave barrier
	ds_read_b128 v[16:19], v2 offset:1248
	ds_read_b128 v[12:15], v2 offset:1264
	;; [unrolled: 1-line block ×4, first 2 shown]
	scratch_load_dwordx4 v[20:23], off, off offset:512
	scratch_load_dwordx4 v[40:43], off, off offset:576
	;; [unrolled: 1-line block ×10, first 2 shown]
	v_cmp_lt_u32_e32 vcc, 29, v240
	scratch_load_dwordx4 v[48:51], off, off offset:592
	scratch_load_dwordx4 v[56:59], off, off offset:608
	scratch_load_dwordx4 v[66:69], off, off offset:624
	s_waitcnt vmcnt(12) lgkmcnt(3)
	v_mul_f64 v[24:25], v[16:17], v[22:23]
	v_fmac_f64_e32 v[24:25], v[18:19], v[20:21]
	v_add_f64 v[28:29], v[24:25], 0
	scratch_load_dwordx4 v[24:27], off, off offset:528
	s_waitcnt vmcnt(0) lgkmcnt(2)
	v_mul_f64 v[30:31], v[12:13], v[26:27]
	v_fmac_f64_e32 v[30:31], v[14:15], v[24:25]
	v_add_f64 v[32:33], v[28:29], v[30:31]
	scratch_load_dwordx4 v[28:31], off, off offset:544
	v_mul_f64 v[14:15], v[14:15], v[26:27]
	v_fma_f64 v[12:13], v[12:13], v[24:25], -v[14:15]
	s_waitcnt vmcnt(0) lgkmcnt(1)
	v_mul_f64 v[34:35], v[8:9], v[30:31]
	v_fmac_f64_e32 v[34:35], v[10:11], v[28:29]
	v_add_f64 v[36:37], v[32:33], v[34:35]
	scratch_load_dwordx4 v[32:35], off, off offset:560
	v_mul_f64 v[10:11], v[10:11], v[30:31]
	v_fma_f64 v[8:9], v[8:9], v[28:29], -v[10:11]
	s_waitcnt vmcnt(0) lgkmcnt(0)
	v_mul_f64 v[38:39], v[4:5], v[34:35]
	v_fmac_f64_e32 v[38:39], v[6:7], v[32:33]
	v_add_f64 v[44:45], v[36:37], v[38:39]
	ds_read_b128 v[36:39], v2 offset:1312
	v_mul_f64 v[6:7], v[6:7], v[34:35]
	v_fma_f64 v[4:5], v[4:5], v[32:33], -v[6:7]
	s_waitcnt lgkmcnt(0)
	v_mul_f64 v[46:47], v[36:37], v[42:43]
	v_fmac_f64_e32 v[46:47], v[38:39], v[40:41]
	v_add_f64 v[52:53], v[44:45], v[46:47]
	ds_read_b128 v[44:47], v2 offset:1328
	s_waitcnt lgkmcnt(0)
	v_mul_f64 v[54:55], v[44:45], v[50:51]
	v_fmac_f64_e32 v[54:55], v[46:47], v[48:49]
	v_add_f64 v[60:61], v[52:53], v[54:55]
	ds_read_b128 v[52:55], v2 offset:1344
	;; [unrolled: 5-line block ×11, first 2 shown]
	s_waitcnt lgkmcnt(0)
	v_mul_f64 v[2:3], v[126:127], v[132:133]
	v_fmac_f64_e32 v[2:3], v[128:129], v[130:131]
	v_add_f64 v[64:65], v[64:65], v[2:3]
	v_mul_f64 v[2:3], v[18:19], v[22:23]
	v_fma_f64 v[2:3], v[16:17], v[20:21], -v[2:3]
	v_add_f64 v[2:3], v[2:3], 0
	v_add_f64 v[2:3], v[2:3], v[12:13]
	;; [unrolled: 1-line block ×4, first 2 shown]
	v_mul_f64 v[4:5], v[38:39], v[42:43]
	v_fma_f64 v[4:5], v[36:37], v[40:41], -v[4:5]
	v_add_f64 v[2:3], v[2:3], v[4:5]
	v_mul_f64 v[4:5], v[46:47], v[50:51]
	v_fma_f64 v[4:5], v[44:45], v[48:49], -v[4:5]
	v_add_f64 v[2:3], v[2:3], v[4:5]
	v_mul_f64 v[4:5], v[54:55], v[58:59]
	v_fma_f64 v[4:5], v[52:53], v[56:57], -v[4:5]
	v_add_f64 v[2:3], v[2:3], v[4:5]
	v_mul_f64 v[4:5], v[62:63], v[68:69]
	v_fma_f64 v[4:5], v[60:61], v[66:67], -v[4:5]
	v_add_f64 v[2:3], v[2:3], v[4:5]
	v_mul_f64 v[4:5], v[72:73], v[76:77]
	v_fma_f64 v[4:5], v[70:71], v[74:75], -v[4:5]
	v_add_f64 v[2:3], v[2:3], v[4:5]
	v_mul_f64 v[4:5], v[80:81], v[84:85]
	v_fma_f64 v[4:5], v[78:79], v[82:83], -v[4:5]
	v_add_f64 v[2:3], v[2:3], v[4:5]
	v_mul_f64 v[4:5], v[88:89], v[92:93]
	v_fma_f64 v[4:5], v[86:87], v[90:91], -v[4:5]
	v_add_f64 v[2:3], v[2:3], v[4:5]
	v_mul_f64 v[4:5], v[96:97], v[100:101]
	v_fma_f64 v[4:5], v[94:95], v[98:99], -v[4:5]
	v_add_f64 v[2:3], v[2:3], v[4:5]
	v_mul_f64 v[4:5], v[104:105], v[108:109]
	v_fma_f64 v[4:5], v[102:103], v[106:107], -v[4:5]
	v_add_f64 v[2:3], v[2:3], v[4:5]
	v_mul_f64 v[4:5], v[112:113], v[116:117]
	v_fma_f64 v[4:5], v[110:111], v[114:115], -v[4:5]
	v_add_f64 v[2:3], v[2:3], v[4:5]
	v_mul_f64 v[4:5], v[120:121], v[124:125]
	v_fma_f64 v[4:5], v[118:119], v[122:123], -v[4:5]
	v_add_f64 v[2:3], v[2:3], v[4:5]
	v_mul_f64 v[4:5], v[128:129], v[132:133]
	v_fma_f64 v[4:5], v[126:127], v[130:131], -v[4:5]
	v_add_f64 v[6:7], v[2:3], v[4:5]
	scratch_load_dwordx4 v[2:5], off, off offset:496
	s_waitcnt vmcnt(0)
	v_add_f64 v[2:3], v[2:3], -v[6:7]
	v_add_f64 v[4:5], v[4:5], -v[64:65]
	scratch_store_dwordx4 off, v[2:5], off offset:496
	s_and_saveexec_b64 s[0:1], vcc
	s_cbranch_execz .LBB110_237
; %bb.236:
	scratch_load_dwordx4 v[2:5], off, s34
	v_mov_b32_e32 v6, 0
	v_mov_b32_e32 v7, v6
	;; [unrolled: 1-line block ×4, first 2 shown]
	v_accvgpr_read_b32 v0, a95
	scratch_store_dwordx4 off, v[6:9], off offset:480
	s_waitcnt vmcnt(1)
	ds_write_b128 v0, v[2:5]
.LBB110_237:
	s_or_b64 exec, exec, s[0:1]
	v_mov_b32_e32 v2, 0
	s_waitcnt lgkmcnt(0)
	; wave barrier
	ds_read_b128 v[16:19], v2 offset:1232
	ds_read_b128 v[12:15], v2 offset:1248
	;; [unrolled: 1-line block ×4, first 2 shown]
	scratch_load_dwordx4 v[20:23], off, off offset:496
	scratch_load_dwordx4 v[40:43], off, off offset:560
	;; [unrolled: 1-line block ×11, first 2 shown]
	v_cmp_lt_u32_e32 vcc, 28, v240
	scratch_load_dwordx4 v[48:51], off, off offset:576
	scratch_load_dwordx4 v[56:59], off, off offset:592
	;; [unrolled: 1-line block ×3, first 2 shown]
	s_waitcnt vmcnt(13) lgkmcnt(3)
	v_mul_f64 v[24:25], v[16:17], v[22:23]
	v_fmac_f64_e32 v[24:25], v[18:19], v[20:21]
	v_add_f64 v[28:29], v[24:25], 0
	scratch_load_dwordx4 v[24:27], off, off offset:512
	v_mul_f64 v[18:19], v[18:19], v[22:23]
	v_fma_f64 v[16:17], v[16:17], v[20:21], -v[18:19]
	v_add_f64 v[16:17], v[16:17], 0
	s_waitcnt vmcnt(0) lgkmcnt(2)
	v_mul_f64 v[30:31], v[12:13], v[26:27]
	v_fmac_f64_e32 v[30:31], v[14:15], v[24:25]
	v_add_f64 v[32:33], v[28:29], v[30:31]
	scratch_load_dwordx4 v[28:31], off, off offset:528
	v_mul_f64 v[14:15], v[14:15], v[26:27]
	v_fma_f64 v[12:13], v[12:13], v[24:25], -v[14:15]
	v_add_f64 v[12:13], v[16:17], v[12:13]
	;; [unrolled: 8-line block ×3, first 2 shown]
	s_waitcnt vmcnt(0) lgkmcnt(0)
	v_mul_f64 v[38:39], v[4:5], v[34:35]
	v_fmac_f64_e32 v[38:39], v[6:7], v[32:33]
	v_add_f64 v[44:45], v[36:37], v[38:39]
	ds_read_b128 v[36:39], v2 offset:1296
	v_mul_f64 v[6:7], v[6:7], v[34:35]
	v_fma_f64 v[4:5], v[4:5], v[32:33], -v[6:7]
	v_add_f64 v[4:5], v[8:9], v[4:5]
	s_waitcnt lgkmcnt(0)
	v_mul_f64 v[46:47], v[36:37], v[42:43]
	v_fmac_f64_e32 v[46:47], v[38:39], v[40:41]
	v_add_f64 v[52:53], v[44:45], v[46:47]
	ds_read_b128 v[44:47], v2 offset:1312
	v_mul_f64 v[6:7], v[38:39], v[42:43]
	v_fma_f64 v[6:7], v[36:37], v[40:41], -v[6:7]
	v_add_f64 v[4:5], v[4:5], v[6:7]
	s_waitcnt lgkmcnt(0)
	;; [unrolled: 8-line block ×13, first 2 shown]
	v_mul_f64 v[6:7], v[136:137], v[140:141]
	v_fma_f64 v[6:7], v[134:135], v[138:139], -v[6:7]
	v_add_f64 v[8:9], v[4:5], v[6:7]
	scratch_load_dwordx4 v[4:7], off, off offset:480
	v_mul_f64 v[142:143], v[134:135], v[140:141]
	v_fmac_f64_e32 v[142:143], v[136:137], v[138:139]
	v_add_f64 v[72:73], v[72:73], v[142:143]
	s_waitcnt vmcnt(0)
	v_add_f64 v[4:5], v[4:5], -v[8:9]
	v_add_f64 v[6:7], v[6:7], -v[72:73]
	scratch_store_dwordx4 off, v[4:7], off offset:480
	s_and_saveexec_b64 s[0:1], vcc
	s_cbranch_execz .LBB110_239
; %bb.238:
	scratch_load_dwordx4 v[6:9], off, s35
	v_mov_b32_e32 v3, v2
	v_mov_b32_e32 v4, v2
	;; [unrolled: 1-line block ×3, first 2 shown]
	v_accvgpr_read_b32 v0, a95
	scratch_store_dwordx4 off, v[2:5], off offset:464
	s_waitcnt vmcnt(1)
	ds_write_b128 v0, v[6:9]
.LBB110_239:
	s_or_b64 exec, exec, s[0:1]
	s_waitcnt lgkmcnt(0)
	; wave barrier
	ds_read_b128 v[16:19], v2 offset:1216
	ds_read_b128 v[12:15], v2 offset:1232
	;; [unrolled: 1-line block ×4, first 2 shown]
	scratch_load_dwordx4 v[20:23], off, off offset:480
	scratch_load_dwordx4 v[40:43], off, off offset:544
	;; [unrolled: 1-line block ×12, first 2 shown]
	v_cmp_lt_u32_e32 vcc, 27, v240
	scratch_load_dwordx4 v[48:51], off, off offset:560
	scratch_load_dwordx4 v[56:59], off, off offset:576
	;; [unrolled: 1-line block ×3, first 2 shown]
	s_waitcnt vmcnt(14) lgkmcnt(3)
	v_mul_f64 v[24:25], v[16:17], v[22:23]
	v_fmac_f64_e32 v[24:25], v[18:19], v[20:21]
	v_add_f64 v[28:29], v[24:25], 0
	scratch_load_dwordx4 v[24:27], off, off offset:496
	s_waitcnt vmcnt(0) lgkmcnt(2)
	v_mul_f64 v[30:31], v[12:13], v[26:27]
	v_fmac_f64_e32 v[30:31], v[14:15], v[24:25]
	v_add_f64 v[32:33], v[28:29], v[30:31]
	scratch_load_dwordx4 v[28:31], off, off offset:512
	v_mul_f64 v[14:15], v[14:15], v[26:27]
	v_fma_f64 v[12:13], v[12:13], v[24:25], -v[14:15]
	s_waitcnt vmcnt(0) lgkmcnt(1)
	v_mul_f64 v[34:35], v[8:9], v[30:31]
	v_fmac_f64_e32 v[34:35], v[10:11], v[28:29]
	v_add_f64 v[36:37], v[32:33], v[34:35]
	scratch_load_dwordx4 v[32:35], off, off offset:528
	v_mul_f64 v[10:11], v[10:11], v[30:31]
	v_fma_f64 v[8:9], v[8:9], v[28:29], -v[10:11]
	s_waitcnt vmcnt(0) lgkmcnt(0)
	v_mul_f64 v[38:39], v[4:5], v[34:35]
	v_fmac_f64_e32 v[38:39], v[6:7], v[32:33]
	v_add_f64 v[44:45], v[36:37], v[38:39]
	ds_read_b128 v[36:39], v2 offset:1280
	v_mul_f64 v[6:7], v[6:7], v[34:35]
	v_fma_f64 v[4:5], v[4:5], v[32:33], -v[6:7]
	s_waitcnt lgkmcnt(0)
	v_mul_f64 v[46:47], v[36:37], v[42:43]
	v_fmac_f64_e32 v[46:47], v[38:39], v[40:41]
	v_add_f64 v[52:53], v[44:45], v[46:47]
	ds_read_b128 v[44:47], v2 offset:1296
	s_waitcnt lgkmcnt(0)
	v_mul_f64 v[54:55], v[44:45], v[50:51]
	v_fmac_f64_e32 v[54:55], v[46:47], v[48:49]
	v_add_f64 v[60:61], v[52:53], v[54:55]
	ds_read_b128 v[52:55], v2 offset:1312
	s_waitcnt lgkmcnt(0)
	v_mul_f64 v[62:63], v[52:53], v[58:59]
	v_fmac_f64_e32 v[62:63], v[54:55], v[56:57]
	v_add_f64 v[68:69], v[60:61], v[62:63]
	ds_read_b128 v[60:63], v2 offset:1328
	s_waitcnt lgkmcnt(0)
	v_mul_f64 v[70:71], v[60:61], v[66:67]
	v_fmac_f64_e32 v[70:71], v[62:63], v[64:65]
	v_add_f64 v[76:77], v[68:69], v[70:71]
	ds_read_b128 v[68:71], v2 offset:1344
	s_waitcnt lgkmcnt(0)
	v_mul_f64 v[78:79], v[68:69], v[74:75]
	v_fmac_f64_e32 v[78:79], v[70:71], v[72:73]
	v_add_f64 v[80:81], v[76:77], v[78:79]
	ds_read_b128 v[76:79], v2 offset:1360
	s_waitcnt lgkmcnt(0)
	v_mul_f64 v[86:87], v[76:77], v[84:85]
	v_fmac_f64_e32 v[86:87], v[78:79], v[82:83]
	v_add_f64 v[80:81], v[80:81], v[86:87]
	ds_read_b128 v[86:89], v2 offset:1376
	s_waitcnt lgkmcnt(0)
	v_mul_f64 v[94:95], v[86:87], v[92:93]
	v_fmac_f64_e32 v[94:95], v[88:89], v[90:91]
	v_add_f64 v[80:81], v[80:81], v[94:95]
	ds_read_b128 v[94:97], v2 offset:1392
	s_waitcnt lgkmcnt(0)
	v_mul_f64 v[102:103], v[94:95], v[100:101]
	v_fmac_f64_e32 v[102:103], v[96:97], v[98:99]
	v_add_f64 v[80:81], v[80:81], v[102:103]
	ds_read_b128 v[102:105], v2 offset:1408
	s_waitcnt lgkmcnt(0)
	v_mul_f64 v[110:111], v[102:103], v[108:109]
	v_fmac_f64_e32 v[110:111], v[104:105], v[106:107]
	v_add_f64 v[80:81], v[80:81], v[110:111]
	ds_read_b128 v[110:113], v2 offset:1424
	s_waitcnt lgkmcnt(0)
	v_mul_f64 v[118:119], v[110:111], v[116:117]
	v_fmac_f64_e32 v[118:119], v[112:113], v[114:115]
	v_add_f64 v[80:81], v[80:81], v[118:119]
	ds_read_b128 v[118:121], v2 offset:1440
	s_waitcnt lgkmcnt(0)
	v_mul_f64 v[126:127], v[118:119], v[124:125]
	v_fmac_f64_e32 v[126:127], v[120:121], v[122:123]
	v_add_f64 v[80:81], v[80:81], v[126:127]
	ds_read_b128 v[126:129], v2 offset:1456
	s_waitcnt lgkmcnt(0)
	v_mul_f64 v[134:135], v[126:127], v[132:133]
	v_fmac_f64_e32 v[134:135], v[128:129], v[130:131]
	v_add_f64 v[80:81], v[80:81], v[134:135]
	ds_read_b128 v[134:137], v2 offset:1472
	s_waitcnt lgkmcnt(0)
	v_mul_f64 v[142:143], v[134:135], v[140:141]
	v_fmac_f64_e32 v[142:143], v[136:137], v[138:139]
	v_add_f64 v[80:81], v[80:81], v[142:143]
	ds_read_b128 v[142:145], v2 offset:1488
	s_waitcnt lgkmcnt(0)
	v_mul_f64 v[2:3], v[142:143], v[148:149]
	v_fmac_f64_e32 v[2:3], v[144:145], v[146:147]
	v_add_f64 v[80:81], v[80:81], v[2:3]
	v_mul_f64 v[2:3], v[18:19], v[22:23]
	v_fma_f64 v[2:3], v[16:17], v[20:21], -v[2:3]
	v_add_f64 v[2:3], v[2:3], 0
	v_add_f64 v[2:3], v[2:3], v[12:13]
	;; [unrolled: 1-line block ×4, first 2 shown]
	v_mul_f64 v[4:5], v[38:39], v[42:43]
	v_fma_f64 v[4:5], v[36:37], v[40:41], -v[4:5]
	v_add_f64 v[2:3], v[2:3], v[4:5]
	v_mul_f64 v[4:5], v[46:47], v[50:51]
	v_fma_f64 v[4:5], v[44:45], v[48:49], -v[4:5]
	v_add_f64 v[2:3], v[2:3], v[4:5]
	;; [unrolled: 3-line block ×14, first 2 shown]
	scratch_load_dwordx4 v[2:5], off, off offset:464
	s_waitcnt vmcnt(0)
	v_add_f64 v[2:3], v[2:3], -v[6:7]
	v_add_f64 v[4:5], v[4:5], -v[80:81]
	scratch_store_dwordx4 off, v[2:5], off offset:464
	s_and_saveexec_b64 s[0:1], vcc
	s_cbranch_execz .LBB110_241
; %bb.240:
	scratch_load_dwordx4 v[2:5], off, s36
	v_mov_b32_e32 v6, 0
	v_mov_b32_e32 v7, v6
	;; [unrolled: 1-line block ×4, first 2 shown]
	v_accvgpr_read_b32 v0, a95
	scratch_store_dwordx4 off, v[6:9], off offset:448
	s_waitcnt vmcnt(1)
	ds_write_b128 v0, v[2:5]
.LBB110_241:
	s_or_b64 exec, exec, s[0:1]
	v_mov_b32_e32 v2, 0
	s_waitcnt lgkmcnt(0)
	; wave barrier
	ds_read_b128 v[16:19], v2 offset:1200
	ds_read_b128 v[12:15], v2 offset:1216
	;; [unrolled: 1-line block ×4, first 2 shown]
	scratch_load_dwordx4 v[20:23], off, off offset:464
	scratch_load_dwordx4 v[40:43], off, off offset:528
	;; [unrolled: 1-line block ×13, first 2 shown]
	v_cmp_lt_u32_e32 vcc, 26, v240
	scratch_load_dwordx4 v[48:51], off, off offset:544
	scratch_load_dwordx4 v[56:59], off, off offset:560
	;; [unrolled: 1-line block ×3, first 2 shown]
	s_waitcnt vmcnt(15) lgkmcnt(3)
	v_mul_f64 v[24:25], v[16:17], v[22:23]
	v_fmac_f64_e32 v[24:25], v[18:19], v[20:21]
	v_add_f64 v[28:29], v[24:25], 0
	scratch_load_dwordx4 v[24:27], off, off offset:480
	v_mul_f64 v[18:19], v[18:19], v[22:23]
	v_fma_f64 v[16:17], v[16:17], v[20:21], -v[18:19]
	v_add_f64 v[16:17], v[16:17], 0
	s_waitcnt vmcnt(0) lgkmcnt(2)
	v_mul_f64 v[30:31], v[12:13], v[26:27]
	v_fmac_f64_e32 v[30:31], v[14:15], v[24:25]
	v_add_f64 v[32:33], v[28:29], v[30:31]
	scratch_load_dwordx4 v[28:31], off, off offset:496
	v_mul_f64 v[14:15], v[14:15], v[26:27]
	v_fma_f64 v[12:13], v[12:13], v[24:25], -v[14:15]
	v_add_f64 v[12:13], v[16:17], v[12:13]
	;; [unrolled: 8-line block ×3, first 2 shown]
	s_waitcnt vmcnt(0) lgkmcnt(0)
	v_mul_f64 v[38:39], v[4:5], v[34:35]
	v_fmac_f64_e32 v[38:39], v[6:7], v[32:33]
	v_add_f64 v[44:45], v[36:37], v[38:39]
	ds_read_b128 v[36:39], v2 offset:1264
	v_mul_f64 v[6:7], v[6:7], v[34:35]
	v_fma_f64 v[4:5], v[4:5], v[32:33], -v[6:7]
	v_add_f64 v[4:5], v[8:9], v[4:5]
	s_waitcnt lgkmcnt(0)
	v_mul_f64 v[46:47], v[36:37], v[42:43]
	v_fmac_f64_e32 v[46:47], v[38:39], v[40:41]
	v_add_f64 v[52:53], v[44:45], v[46:47]
	ds_read_b128 v[44:47], v2 offset:1280
	v_mul_f64 v[6:7], v[38:39], v[42:43]
	v_fma_f64 v[6:7], v[36:37], v[40:41], -v[6:7]
	v_add_f64 v[4:5], v[4:5], v[6:7]
	s_waitcnt lgkmcnt(0)
	;; [unrolled: 8-line block ×15, first 2 shown]
	v_mul_f64 v[6:7], v[152:153], v[156:157]
	v_fma_f64 v[6:7], v[150:151], v[154:155], -v[6:7]
	v_add_f64 v[8:9], v[4:5], v[6:7]
	scratch_load_dwordx4 v[4:7], off, off offset:448
	v_mul_f64 v[158:159], v[150:151], v[156:157]
	v_fmac_f64_e32 v[158:159], v[152:153], v[154:155]
	v_add_f64 v[88:89], v[88:89], v[158:159]
	s_waitcnt vmcnt(0)
	v_add_f64 v[4:5], v[4:5], -v[8:9]
	v_add_f64 v[6:7], v[6:7], -v[88:89]
	scratch_store_dwordx4 off, v[4:7], off offset:448
	s_and_saveexec_b64 s[0:1], vcc
	s_cbranch_execz .LBB110_243
; %bb.242:
	scratch_load_dwordx4 v[6:9], off, s37
	v_mov_b32_e32 v3, v2
	v_mov_b32_e32 v4, v2
	;; [unrolled: 1-line block ×3, first 2 shown]
	v_accvgpr_read_b32 v0, a95
	scratch_store_dwordx4 off, v[2:5], off offset:432
	s_waitcnt vmcnt(1)
	ds_write_b128 v0, v[6:9]
.LBB110_243:
	s_or_b64 exec, exec, s[0:1]
	s_waitcnt lgkmcnt(0)
	; wave barrier
	ds_read_b128 v[16:19], v2 offset:1184
	ds_read_b128 v[12:15], v2 offset:1200
	;; [unrolled: 1-line block ×4, first 2 shown]
	scratch_load_dwordx4 v[20:23], off, off offset:448
	scratch_load_dwordx4 v[40:43], off, off offset:512
	;; [unrolled: 1-line block ×14, first 2 shown]
	v_cmp_lt_u32_e32 vcc, 25, v240
	scratch_load_dwordx4 v[48:51], off, off offset:528
	scratch_load_dwordx4 v[56:59], off, off offset:544
	;; [unrolled: 1-line block ×3, first 2 shown]
	s_waitcnt vmcnt(16) lgkmcnt(3)
	v_mul_f64 v[24:25], v[16:17], v[22:23]
	v_fmac_f64_e32 v[24:25], v[18:19], v[20:21]
	v_add_f64 v[28:29], v[24:25], 0
	scratch_load_dwordx4 v[24:27], off, off offset:464
	s_waitcnt vmcnt(0) lgkmcnt(2)
	v_mul_f64 v[30:31], v[12:13], v[26:27]
	v_fmac_f64_e32 v[30:31], v[14:15], v[24:25]
	v_add_f64 v[32:33], v[28:29], v[30:31]
	scratch_load_dwordx4 v[28:31], off, off offset:480
	v_mul_f64 v[14:15], v[14:15], v[26:27]
	v_fma_f64 v[12:13], v[12:13], v[24:25], -v[14:15]
	s_waitcnt vmcnt(0) lgkmcnt(1)
	v_mul_f64 v[34:35], v[8:9], v[30:31]
	v_fmac_f64_e32 v[34:35], v[10:11], v[28:29]
	v_add_f64 v[36:37], v[32:33], v[34:35]
	scratch_load_dwordx4 v[32:35], off, off offset:496
	v_mul_f64 v[10:11], v[10:11], v[30:31]
	v_fma_f64 v[8:9], v[8:9], v[28:29], -v[10:11]
	s_waitcnt vmcnt(0) lgkmcnt(0)
	v_mul_f64 v[38:39], v[4:5], v[34:35]
	v_fmac_f64_e32 v[38:39], v[6:7], v[32:33]
	v_add_f64 v[44:45], v[36:37], v[38:39]
	ds_read_b128 v[36:39], v2 offset:1248
	v_mul_f64 v[6:7], v[6:7], v[34:35]
	v_fma_f64 v[4:5], v[4:5], v[32:33], -v[6:7]
	s_waitcnt lgkmcnt(0)
	v_mul_f64 v[46:47], v[36:37], v[42:43]
	v_fmac_f64_e32 v[46:47], v[38:39], v[40:41]
	v_add_f64 v[52:53], v[44:45], v[46:47]
	ds_read_b128 v[44:47], v2 offset:1264
	s_waitcnt lgkmcnt(0)
	v_mul_f64 v[54:55], v[44:45], v[50:51]
	v_fmac_f64_e32 v[54:55], v[46:47], v[48:49]
	v_add_f64 v[60:61], v[52:53], v[54:55]
	ds_read_b128 v[52:55], v2 offset:1280
	;; [unrolled: 5-line block ×15, first 2 shown]
	s_waitcnt lgkmcnt(0)
	v_mul_f64 v[2:3], v[158:159], v[164:165]
	v_fmac_f64_e32 v[2:3], v[160:161], v[162:163]
	v_add_f64 v[96:97], v[96:97], v[2:3]
	v_mul_f64 v[2:3], v[18:19], v[22:23]
	v_fma_f64 v[2:3], v[16:17], v[20:21], -v[2:3]
	v_add_f64 v[2:3], v[2:3], 0
	v_add_f64 v[2:3], v[2:3], v[12:13]
	;; [unrolled: 1-line block ×4, first 2 shown]
	v_mul_f64 v[4:5], v[38:39], v[42:43]
	v_fma_f64 v[4:5], v[36:37], v[40:41], -v[4:5]
	v_add_f64 v[2:3], v[2:3], v[4:5]
	v_mul_f64 v[4:5], v[46:47], v[50:51]
	v_fma_f64 v[4:5], v[44:45], v[48:49], -v[4:5]
	v_add_f64 v[2:3], v[2:3], v[4:5]
	;; [unrolled: 3-line block ×16, first 2 shown]
	scratch_load_dwordx4 v[2:5], off, off offset:432
	s_waitcnt vmcnt(0)
	v_add_f64 v[2:3], v[2:3], -v[6:7]
	v_add_f64 v[4:5], v[4:5], -v[96:97]
	scratch_store_dwordx4 off, v[2:5], off offset:432
	s_and_saveexec_b64 s[0:1], vcc
	s_cbranch_execz .LBB110_245
; %bb.244:
	scratch_load_dwordx4 v[2:5], off, s38
	v_mov_b32_e32 v6, 0
	v_mov_b32_e32 v7, v6
	;; [unrolled: 1-line block ×4, first 2 shown]
	v_accvgpr_read_b32 v0, a95
	scratch_store_dwordx4 off, v[6:9], off offset:416
	s_waitcnt vmcnt(1)
	ds_write_b128 v0, v[2:5]
.LBB110_245:
	s_or_b64 exec, exec, s[0:1]
	v_mov_b32_e32 v2, 0
	s_waitcnt lgkmcnt(0)
	; wave barrier
	ds_read_b128 v[16:19], v2 offset:1168
	ds_read_b128 v[12:15], v2 offset:1184
	;; [unrolled: 1-line block ×4, first 2 shown]
	scratch_load_dwordx4 v[20:23], off, off offset:432
	scratch_load_dwordx4 v[40:43], off, off offset:496
	;; [unrolled: 1-line block ×15, first 2 shown]
	v_cmp_lt_u32_e32 vcc, 24, v240
	scratch_load_dwordx4 v[48:51], off, off offset:512
	scratch_load_dwordx4 v[56:59], off, off offset:528
	;; [unrolled: 1-line block ×3, first 2 shown]
	s_waitcnt vmcnt(17) lgkmcnt(3)
	v_mul_f64 v[24:25], v[16:17], v[22:23]
	v_fmac_f64_e32 v[24:25], v[18:19], v[20:21]
	v_add_f64 v[28:29], v[24:25], 0
	scratch_load_dwordx4 v[24:27], off, off offset:448
	v_mul_f64 v[18:19], v[18:19], v[22:23]
	v_fma_f64 v[16:17], v[16:17], v[20:21], -v[18:19]
	v_add_f64 v[16:17], v[16:17], 0
	s_waitcnt vmcnt(0) lgkmcnt(2)
	v_mul_f64 v[30:31], v[12:13], v[26:27]
	v_fmac_f64_e32 v[30:31], v[14:15], v[24:25]
	v_add_f64 v[32:33], v[28:29], v[30:31]
	scratch_load_dwordx4 v[28:31], off, off offset:464
	v_mul_f64 v[14:15], v[14:15], v[26:27]
	v_fma_f64 v[12:13], v[12:13], v[24:25], -v[14:15]
	v_add_f64 v[12:13], v[16:17], v[12:13]
	;; [unrolled: 8-line block ×3, first 2 shown]
	s_waitcnt vmcnt(0) lgkmcnt(0)
	v_mul_f64 v[38:39], v[4:5], v[34:35]
	v_fmac_f64_e32 v[38:39], v[6:7], v[32:33]
	v_add_f64 v[44:45], v[36:37], v[38:39]
	ds_read_b128 v[36:39], v2 offset:1232
	v_mul_f64 v[6:7], v[6:7], v[34:35]
	v_fma_f64 v[4:5], v[4:5], v[32:33], -v[6:7]
	v_add_f64 v[4:5], v[8:9], v[4:5]
	s_waitcnt lgkmcnt(0)
	v_mul_f64 v[46:47], v[36:37], v[42:43]
	v_fmac_f64_e32 v[46:47], v[38:39], v[40:41]
	v_add_f64 v[52:53], v[44:45], v[46:47]
	ds_read_b128 v[44:47], v2 offset:1248
	v_mul_f64 v[6:7], v[38:39], v[42:43]
	v_fma_f64 v[6:7], v[36:37], v[40:41], -v[6:7]
	v_add_f64 v[4:5], v[4:5], v[6:7]
	s_waitcnt lgkmcnt(0)
	;; [unrolled: 8-line block ×17, first 2 shown]
	v_mul_f64 v[6:7], v[168:169], v[172:173]
	v_fma_f64 v[6:7], v[166:167], v[170:171], -v[6:7]
	v_add_f64 v[8:9], v[4:5], v[6:7]
	scratch_load_dwordx4 v[4:7], off, off offset:416
	v_mul_f64 v[174:175], v[166:167], v[172:173]
	v_fmac_f64_e32 v[174:175], v[168:169], v[170:171]
	v_add_f64 v[104:105], v[104:105], v[174:175]
	s_waitcnt vmcnt(0)
	v_add_f64 v[4:5], v[4:5], -v[8:9]
	v_add_f64 v[6:7], v[6:7], -v[104:105]
	scratch_store_dwordx4 off, v[4:7], off offset:416
	s_and_saveexec_b64 s[0:1], vcc
	s_cbranch_execz .LBB110_247
; %bb.246:
	scratch_load_dwordx4 v[6:9], off, s39
	v_mov_b32_e32 v3, v2
	v_mov_b32_e32 v4, v2
	;; [unrolled: 1-line block ×3, first 2 shown]
	v_accvgpr_read_b32 v0, a95
	scratch_store_dwordx4 off, v[2:5], off offset:400
	s_waitcnt vmcnt(1)
	ds_write_b128 v0, v[6:9]
.LBB110_247:
	s_or_b64 exec, exec, s[0:1]
	s_waitcnt lgkmcnt(0)
	; wave barrier
	ds_read_b128 v[16:19], v2 offset:1152
	ds_read_b128 v[12:15], v2 offset:1168
	ds_read_b128 v[8:11], v2 offset:1184
	ds_read_b128 v[4:7], v2 offset:1200
	scratch_load_dwordx4 v[20:23], off, off offset:416
	scratch_load_dwordx4 v[40:43], off, off offset:480
	;; [unrolled: 1-line block ×16, first 2 shown]
	v_cmp_lt_u32_e32 vcc, 23, v240
	scratch_load_dwordx4 v[48:51], off, off offset:496
	scratch_load_dwordx4 v[56:59], off, off offset:512
	scratch_load_dwordx4 v[64:67], off, off offset:528
	s_waitcnt vmcnt(18) lgkmcnt(3)
	v_mul_f64 v[24:25], v[16:17], v[22:23]
	v_fmac_f64_e32 v[24:25], v[18:19], v[20:21]
	v_add_f64 v[28:29], v[24:25], 0
	scratch_load_dwordx4 v[24:27], off, off offset:432
	s_waitcnt vmcnt(0) lgkmcnt(2)
	v_mul_f64 v[30:31], v[12:13], v[26:27]
	v_fmac_f64_e32 v[30:31], v[14:15], v[24:25]
	v_add_f64 v[32:33], v[28:29], v[30:31]
	scratch_load_dwordx4 v[28:31], off, off offset:448
	v_mul_f64 v[14:15], v[14:15], v[26:27]
	v_fma_f64 v[12:13], v[12:13], v[24:25], -v[14:15]
	s_waitcnt vmcnt(0) lgkmcnt(1)
	v_mul_f64 v[34:35], v[8:9], v[30:31]
	v_fmac_f64_e32 v[34:35], v[10:11], v[28:29]
	v_add_f64 v[36:37], v[32:33], v[34:35]
	scratch_load_dwordx4 v[32:35], off, off offset:464
	v_mul_f64 v[10:11], v[10:11], v[30:31]
	v_fma_f64 v[8:9], v[8:9], v[28:29], -v[10:11]
	s_waitcnt vmcnt(0) lgkmcnt(0)
	v_mul_f64 v[38:39], v[4:5], v[34:35]
	v_fmac_f64_e32 v[38:39], v[6:7], v[32:33]
	v_add_f64 v[44:45], v[36:37], v[38:39]
	ds_read_b128 v[36:39], v2 offset:1216
	v_mul_f64 v[6:7], v[6:7], v[34:35]
	v_fma_f64 v[4:5], v[4:5], v[32:33], -v[6:7]
	s_waitcnt lgkmcnt(0)
	v_mul_f64 v[46:47], v[36:37], v[42:43]
	v_fmac_f64_e32 v[46:47], v[38:39], v[40:41]
	v_add_f64 v[52:53], v[44:45], v[46:47]
	ds_read_b128 v[44:47], v2 offset:1232
	s_waitcnt lgkmcnt(0)
	v_mul_f64 v[54:55], v[44:45], v[50:51]
	v_fmac_f64_e32 v[54:55], v[46:47], v[48:49]
	v_add_f64 v[60:61], v[52:53], v[54:55]
	ds_read_b128 v[52:55], v2 offset:1248
	;; [unrolled: 5-line block ×17, first 2 shown]
	s_waitcnt lgkmcnt(0)
	v_mul_f64 v[2:3], v[174:175], v[180:181]
	v_fmac_f64_e32 v[2:3], v[176:177], v[178:179]
	v_add_f64 v[120:121], v[120:121], v[2:3]
	v_mul_f64 v[2:3], v[18:19], v[22:23]
	v_fma_f64 v[2:3], v[16:17], v[20:21], -v[2:3]
	v_add_f64 v[2:3], v[2:3], 0
	v_add_f64 v[2:3], v[2:3], v[12:13]
	;; [unrolled: 1-line block ×4, first 2 shown]
	v_mul_f64 v[4:5], v[38:39], v[42:43]
	v_fma_f64 v[4:5], v[36:37], v[40:41], -v[4:5]
	v_add_f64 v[2:3], v[2:3], v[4:5]
	v_mul_f64 v[4:5], v[46:47], v[50:51]
	v_fma_f64 v[4:5], v[44:45], v[48:49], -v[4:5]
	v_add_f64 v[2:3], v[2:3], v[4:5]
	;; [unrolled: 3-line block ×18, first 2 shown]
	scratch_load_dwordx4 v[2:5], off, off offset:400
	s_waitcnt vmcnt(0)
	v_add_f64 v[2:3], v[2:3], -v[6:7]
	v_add_f64 v[4:5], v[4:5], -v[120:121]
	scratch_store_dwordx4 off, v[2:5], off offset:400
	s_and_saveexec_b64 s[0:1], vcc
	s_cbranch_execz .LBB110_249
; %bb.248:
	scratch_load_dwordx4 v[2:5], off, s40
	v_mov_b32_e32 v6, 0
	v_mov_b32_e32 v7, v6
	;; [unrolled: 1-line block ×4, first 2 shown]
	v_accvgpr_read_b32 v0, a95
	scratch_store_dwordx4 off, v[6:9], off offset:384
	s_waitcnt vmcnt(1)
	ds_write_b128 v0, v[2:5]
.LBB110_249:
	s_or_b64 exec, exec, s[0:1]
	v_mov_b32_e32 v2, 0
	s_waitcnt lgkmcnt(0)
	; wave barrier
	ds_read_b128 v[16:19], v2 offset:1136
	ds_read_b128 v[12:15], v2 offset:1152
	;; [unrolled: 1-line block ×4, first 2 shown]
	scratch_load_dwordx4 v[20:23], off, off offset:400
	scratch_load_dwordx4 v[40:43], off, off offset:464
	;; [unrolled: 1-line block ×17, first 2 shown]
	v_cmp_lt_u32_e32 vcc, 22, v240
	scratch_load_dwordx4 v[48:51], off, off offset:480
	scratch_load_dwordx4 v[56:59], off, off offset:496
	;; [unrolled: 1-line block ×3, first 2 shown]
	s_waitcnt vmcnt(19) lgkmcnt(3)
	v_mul_f64 v[24:25], v[16:17], v[22:23]
	v_fmac_f64_e32 v[24:25], v[18:19], v[20:21]
	v_add_f64 v[28:29], v[24:25], 0
	scratch_load_dwordx4 v[24:27], off, off offset:416
	v_mul_f64 v[18:19], v[18:19], v[22:23]
	v_fma_f64 v[16:17], v[16:17], v[20:21], -v[18:19]
	v_add_f64 v[16:17], v[16:17], 0
	s_waitcnt vmcnt(0) lgkmcnt(2)
	v_mul_f64 v[30:31], v[12:13], v[26:27]
	v_fmac_f64_e32 v[30:31], v[14:15], v[24:25]
	v_add_f64 v[32:33], v[28:29], v[30:31]
	scratch_load_dwordx4 v[28:31], off, off offset:432
	v_mul_f64 v[14:15], v[14:15], v[26:27]
	v_fma_f64 v[12:13], v[12:13], v[24:25], -v[14:15]
	v_add_f64 v[12:13], v[16:17], v[12:13]
	;; [unrolled: 8-line block ×3, first 2 shown]
	s_waitcnt vmcnt(0) lgkmcnt(0)
	v_mul_f64 v[38:39], v[4:5], v[34:35]
	v_fmac_f64_e32 v[38:39], v[6:7], v[32:33]
	v_add_f64 v[44:45], v[36:37], v[38:39]
	ds_read_b128 v[36:39], v2 offset:1200
	v_mul_f64 v[6:7], v[6:7], v[34:35]
	v_fma_f64 v[4:5], v[4:5], v[32:33], -v[6:7]
	v_add_f64 v[4:5], v[8:9], v[4:5]
	s_waitcnt lgkmcnt(0)
	v_mul_f64 v[46:47], v[36:37], v[42:43]
	v_fmac_f64_e32 v[46:47], v[38:39], v[40:41]
	v_add_f64 v[52:53], v[44:45], v[46:47]
	ds_read_b128 v[44:47], v2 offset:1216
	v_mul_f64 v[6:7], v[38:39], v[42:43]
	v_fma_f64 v[6:7], v[36:37], v[40:41], -v[6:7]
	v_add_f64 v[4:5], v[4:5], v[6:7]
	s_waitcnt lgkmcnt(0)
	v_mul_f64 v[54:55], v[44:45], v[50:51]
	v_fmac_f64_e32 v[54:55], v[46:47], v[48:49]
	v_add_f64 v[60:61], v[52:53], v[54:55]
	ds_read_b128 v[52:55], v2 offset:1232
	v_mul_f64 v[6:7], v[46:47], v[50:51]
	v_fma_f64 v[6:7], v[44:45], v[48:49], -v[6:7]
	v_add_f64 v[4:5], v[4:5], v[6:7]
	s_waitcnt lgkmcnt(0)
	v_mul_f64 v[62:63], v[52:53], v[58:59]
	v_fmac_f64_e32 v[62:63], v[54:55], v[56:57]
	v_add_f64 v[68:69], v[60:61], v[62:63]
	ds_read_b128 v[60:63], v2 offset:1248
	v_mul_f64 v[6:7], v[54:55], v[58:59]
	v_fma_f64 v[6:7], v[52:53], v[56:57], -v[6:7]
	v_add_f64 v[4:5], v[4:5], v[6:7]
	s_waitcnt lgkmcnt(0)
	v_mul_f64 v[70:71], v[60:61], v[66:67]
	v_fmac_f64_e32 v[70:71], v[62:63], v[64:65]
	v_add_f64 v[76:77], v[68:69], v[70:71]
	ds_read_b128 v[68:71], v2 offset:1264
	v_mul_f64 v[6:7], v[62:63], v[66:67]
	v_fma_f64 v[6:7], v[60:61], v[64:65], -v[6:7]
	v_add_f64 v[4:5], v[4:5], v[6:7]
	s_waitcnt lgkmcnt(0)
	v_mul_f64 v[78:79], v[68:69], v[74:75]
	v_fmac_f64_e32 v[78:79], v[70:71], v[72:73]
	v_add_f64 v[84:85], v[76:77], v[78:79]
	ds_read_b128 v[76:79], v2 offset:1280
	v_mul_f64 v[6:7], v[70:71], v[74:75]
	v_fma_f64 v[6:7], v[68:69], v[72:73], -v[6:7]
	v_add_f64 v[4:5], v[4:5], v[6:7]
	s_waitcnt lgkmcnt(0)
	v_mul_f64 v[86:87], v[76:77], v[82:83]
	v_fmac_f64_e32 v[86:87], v[78:79], v[80:81]
	v_add_f64 v[92:93], v[84:85], v[86:87]
	ds_read_b128 v[84:87], v2 offset:1296
	v_mul_f64 v[6:7], v[78:79], v[82:83]
	v_fma_f64 v[6:7], v[76:77], v[80:81], -v[6:7]
	v_add_f64 v[4:5], v[4:5], v[6:7]
	s_waitcnt lgkmcnt(0)
	v_mul_f64 v[94:95], v[84:85], v[90:91]
	v_fmac_f64_e32 v[94:95], v[86:87], v[88:89]
	v_add_f64 v[100:101], v[92:93], v[94:95]
	ds_read_b128 v[92:95], v2 offset:1312
	v_mul_f64 v[6:7], v[86:87], v[90:91]
	v_fma_f64 v[6:7], v[84:85], v[88:89], -v[6:7]
	v_add_f64 v[4:5], v[4:5], v[6:7]
	s_waitcnt lgkmcnt(0)
	v_mul_f64 v[102:103], v[92:93], v[98:99]
	v_fmac_f64_e32 v[102:103], v[94:95], v[96:97]
	v_add_f64 v[108:109], v[100:101], v[102:103]
	ds_read_b128 v[100:103], v2 offset:1328
	v_mul_f64 v[6:7], v[94:95], v[98:99]
	v_fma_f64 v[6:7], v[92:93], v[96:97], -v[6:7]
	v_add_f64 v[4:5], v[4:5], v[6:7]
	s_waitcnt lgkmcnt(0)
	v_mul_f64 v[110:111], v[100:101], v[106:107]
	v_fmac_f64_e32 v[110:111], v[102:103], v[104:105]
	v_add_f64 v[116:117], v[108:109], v[110:111]
	ds_read_b128 v[108:111], v2 offset:1344
	v_mul_f64 v[6:7], v[102:103], v[106:107]
	v_fma_f64 v[6:7], v[100:101], v[104:105], -v[6:7]
	v_add_f64 v[4:5], v[4:5], v[6:7]
	s_waitcnt lgkmcnt(0)
	v_mul_f64 v[118:119], v[108:109], v[114:115]
	v_fmac_f64_e32 v[118:119], v[110:111], v[112:113]
	v_add_f64 v[124:125], v[116:117], v[118:119]
	ds_read_b128 v[116:119], v2 offset:1360
	v_mul_f64 v[6:7], v[110:111], v[114:115]
	v_fma_f64 v[6:7], v[108:109], v[112:113], -v[6:7]
	v_add_f64 v[4:5], v[4:5], v[6:7]
	s_waitcnt lgkmcnt(0)
	v_mul_f64 v[126:127], v[116:117], v[122:123]
	v_fmac_f64_e32 v[126:127], v[118:119], v[120:121]
	v_add_f64 v[128:129], v[124:125], v[126:127]
	ds_read_b128 v[124:127], v2 offset:1376
	v_mul_f64 v[6:7], v[118:119], v[122:123]
	v_fma_f64 v[6:7], v[116:117], v[120:121], -v[6:7]
	v_add_f64 v[4:5], v[4:5], v[6:7]
	s_waitcnt lgkmcnt(0)
	v_mul_f64 v[134:135], v[124:125], v[132:133]
	v_fmac_f64_e32 v[134:135], v[126:127], v[130:131]
	v_add_f64 v[128:129], v[128:129], v[134:135]
	ds_read_b128 v[134:137], v2 offset:1392
	v_mul_f64 v[6:7], v[126:127], v[132:133]
	v_fma_f64 v[6:7], v[124:125], v[130:131], -v[6:7]
	v_add_f64 v[4:5], v[4:5], v[6:7]
	s_waitcnt lgkmcnt(0)
	v_mul_f64 v[142:143], v[134:135], v[140:141]
	v_fmac_f64_e32 v[142:143], v[136:137], v[138:139]
	v_add_f64 v[128:129], v[128:129], v[142:143]
	ds_read_b128 v[142:145], v2 offset:1408
	v_mul_f64 v[6:7], v[136:137], v[140:141]
	v_fma_f64 v[6:7], v[134:135], v[138:139], -v[6:7]
	v_add_f64 v[4:5], v[4:5], v[6:7]
	s_waitcnt lgkmcnt(0)
	v_mul_f64 v[150:151], v[142:143], v[148:149]
	v_fmac_f64_e32 v[150:151], v[144:145], v[146:147]
	v_add_f64 v[128:129], v[128:129], v[150:151]
	ds_read_b128 v[150:153], v2 offset:1424
	v_mul_f64 v[6:7], v[144:145], v[148:149]
	v_fma_f64 v[6:7], v[142:143], v[146:147], -v[6:7]
	v_add_f64 v[4:5], v[4:5], v[6:7]
	s_waitcnt lgkmcnt(0)
	v_mul_f64 v[158:159], v[150:151], v[156:157]
	v_fmac_f64_e32 v[158:159], v[152:153], v[154:155]
	v_add_f64 v[128:129], v[128:129], v[158:159]
	ds_read_b128 v[158:161], v2 offset:1440
	v_mul_f64 v[6:7], v[152:153], v[156:157]
	v_fma_f64 v[6:7], v[150:151], v[154:155], -v[6:7]
	v_add_f64 v[4:5], v[4:5], v[6:7]
	s_waitcnt lgkmcnt(0)
	v_mul_f64 v[166:167], v[158:159], v[164:165]
	v_fmac_f64_e32 v[166:167], v[160:161], v[162:163]
	v_add_f64 v[128:129], v[128:129], v[166:167]
	ds_read_b128 v[166:169], v2 offset:1456
	v_mul_f64 v[6:7], v[160:161], v[164:165]
	v_fma_f64 v[6:7], v[158:159], v[162:163], -v[6:7]
	v_add_f64 v[4:5], v[4:5], v[6:7]
	s_waitcnt lgkmcnt(0)
	v_mul_f64 v[174:175], v[166:167], v[172:173]
	v_fmac_f64_e32 v[174:175], v[168:169], v[170:171]
	v_add_f64 v[128:129], v[128:129], v[174:175]
	ds_read_b128 v[174:177], v2 offset:1472
	v_mul_f64 v[6:7], v[168:169], v[172:173]
	v_fma_f64 v[6:7], v[166:167], v[170:171], -v[6:7]
	v_add_f64 v[4:5], v[4:5], v[6:7]
	s_waitcnt lgkmcnt(0)
	v_mul_f64 v[182:183], v[174:175], v[180:181]
	v_fmac_f64_e32 v[182:183], v[176:177], v[178:179]
	v_add_f64 v[128:129], v[128:129], v[182:183]
	ds_read_b128 v[182:185], v2 offset:1488
	v_mul_f64 v[6:7], v[176:177], v[180:181]
	v_fma_f64 v[6:7], v[174:175], v[178:179], -v[6:7]
	v_add_f64 v[4:5], v[4:5], v[6:7]
	s_waitcnt lgkmcnt(0)
	v_mul_f64 v[6:7], v[184:185], v[188:189]
	v_fma_f64 v[6:7], v[182:183], v[186:187], -v[6:7]
	v_add_f64 v[8:9], v[4:5], v[6:7]
	scratch_load_dwordx4 v[4:7], off, off offset:384
	v_mul_f64 v[190:191], v[182:183], v[188:189]
	v_fmac_f64_e32 v[190:191], v[184:185], v[186:187]
	v_add_f64 v[128:129], v[128:129], v[190:191]
	s_waitcnt vmcnt(0)
	v_add_f64 v[4:5], v[4:5], -v[8:9]
	v_add_f64 v[6:7], v[6:7], -v[128:129]
	scratch_store_dwordx4 off, v[4:7], off offset:384
	s_and_saveexec_b64 s[0:1], vcc
	s_cbranch_execz .LBB110_251
; %bb.250:
	scratch_load_dwordx4 v[6:9], off, s41
	v_mov_b32_e32 v3, v2
	v_mov_b32_e32 v4, v2
	;; [unrolled: 1-line block ×3, first 2 shown]
	v_accvgpr_read_b32 v0, a95
	scratch_store_dwordx4 off, v[2:5], off offset:368
	s_waitcnt vmcnt(1)
	ds_write_b128 v0, v[6:9]
.LBB110_251:
	s_or_b64 exec, exec, s[0:1]
	s_waitcnt lgkmcnt(0)
	; wave barrier
	ds_read_b128 v[16:19], v2 offset:1120
	ds_read_b128 v[12:15], v2 offset:1136
	;; [unrolled: 1-line block ×4, first 2 shown]
	scratch_load_dwordx4 v[20:23], off, off offset:384
	scratch_load_dwordx4 v[40:43], off, off offset:448
	;; [unrolled: 1-line block ×18, first 2 shown]
	v_cmp_lt_u32_e32 vcc, 21, v240
	scratch_load_dwordx4 v[48:51], off, off offset:464
	scratch_load_dwordx4 v[56:59], off, off offset:480
	;; [unrolled: 1-line block ×3, first 2 shown]
	s_waitcnt vmcnt(20) lgkmcnt(3)
	v_mul_f64 v[24:25], v[16:17], v[22:23]
	v_fmac_f64_e32 v[24:25], v[18:19], v[20:21]
	v_add_f64 v[28:29], v[24:25], 0
	scratch_load_dwordx4 v[24:27], off, off offset:400
	s_waitcnt vmcnt(0) lgkmcnt(2)
	v_mul_f64 v[30:31], v[12:13], v[26:27]
	v_fmac_f64_e32 v[30:31], v[14:15], v[24:25]
	v_add_f64 v[32:33], v[28:29], v[30:31]
	scratch_load_dwordx4 v[28:31], off, off offset:416
	v_mul_f64 v[14:15], v[14:15], v[26:27]
	v_fma_f64 v[12:13], v[12:13], v[24:25], -v[14:15]
	s_waitcnt vmcnt(0) lgkmcnt(1)
	v_mul_f64 v[34:35], v[8:9], v[30:31]
	v_fmac_f64_e32 v[34:35], v[10:11], v[28:29]
	v_add_f64 v[36:37], v[32:33], v[34:35]
	scratch_load_dwordx4 v[32:35], off, off offset:432
	v_mul_f64 v[10:11], v[10:11], v[30:31]
	v_fma_f64 v[8:9], v[8:9], v[28:29], -v[10:11]
	s_waitcnt vmcnt(0) lgkmcnt(0)
	v_mul_f64 v[38:39], v[4:5], v[34:35]
	v_fmac_f64_e32 v[38:39], v[6:7], v[32:33]
	v_add_f64 v[44:45], v[36:37], v[38:39]
	ds_read_b128 v[36:39], v2 offset:1184
	v_mul_f64 v[6:7], v[6:7], v[34:35]
	v_fma_f64 v[4:5], v[4:5], v[32:33], -v[6:7]
	s_waitcnt lgkmcnt(0)
	v_mul_f64 v[46:47], v[36:37], v[42:43]
	v_fmac_f64_e32 v[46:47], v[38:39], v[40:41]
	v_add_f64 v[52:53], v[44:45], v[46:47]
	ds_read_b128 v[44:47], v2 offset:1200
	s_waitcnt lgkmcnt(0)
	v_mul_f64 v[54:55], v[44:45], v[50:51]
	v_fmac_f64_e32 v[54:55], v[46:47], v[48:49]
	v_add_f64 v[60:61], v[52:53], v[54:55]
	ds_read_b128 v[52:55], v2 offset:1216
	;; [unrolled: 5-line block ×19, first 2 shown]
	s_waitcnt lgkmcnt(0)
	v_mul_f64 v[2:3], v[190:191], v[196:197]
	v_fmac_f64_e32 v[2:3], v[192:193], v[194:195]
	v_add_f64 v[148:149], v[148:149], v[2:3]
	v_mul_f64 v[2:3], v[18:19], v[22:23]
	v_fma_f64 v[2:3], v[16:17], v[20:21], -v[2:3]
	v_add_f64 v[2:3], v[2:3], 0
	v_add_f64 v[2:3], v[2:3], v[12:13]
	;; [unrolled: 1-line block ×4, first 2 shown]
	v_mul_f64 v[4:5], v[38:39], v[42:43]
	v_fma_f64 v[4:5], v[36:37], v[40:41], -v[4:5]
	v_add_f64 v[2:3], v[2:3], v[4:5]
	v_mul_f64 v[4:5], v[46:47], v[50:51]
	v_fma_f64 v[4:5], v[44:45], v[48:49], -v[4:5]
	v_add_f64 v[2:3], v[2:3], v[4:5]
	;; [unrolled: 3-line block ×20, first 2 shown]
	scratch_load_dwordx4 v[2:5], off, off offset:368
	s_waitcnt vmcnt(0)
	v_add_f64 v[2:3], v[2:3], -v[6:7]
	v_add_f64 v[4:5], v[4:5], -v[148:149]
	scratch_store_dwordx4 off, v[2:5], off offset:368
	s_and_saveexec_b64 s[0:1], vcc
	s_cbranch_execz .LBB110_253
; %bb.252:
	scratch_load_dwordx4 v[2:5], off, s42
	v_mov_b32_e32 v6, 0
	v_mov_b32_e32 v7, v6
	;; [unrolled: 1-line block ×4, first 2 shown]
	v_accvgpr_read_b32 v0, a95
	scratch_store_dwordx4 off, v[6:9], off offset:352
	s_waitcnt vmcnt(1)
	ds_write_b128 v0, v[2:5]
.LBB110_253:
	s_or_b64 exec, exec, s[0:1]
	v_mov_b32_e32 v2, 0
	s_waitcnt lgkmcnt(0)
	; wave barrier
	ds_read_b128 v[16:19], v2 offset:1104
	ds_read_b128 v[12:15], v2 offset:1120
	;; [unrolled: 1-line block ×4, first 2 shown]
	scratch_load_dwordx4 v[20:23], off, off offset:368
	scratch_load_dwordx4 v[40:43], off, off offset:432
	;; [unrolled: 1-line block ×19, first 2 shown]
	v_cmp_lt_u32_e32 vcc, 20, v240
	scratch_load_dwordx4 v[48:51], off, off offset:448
	scratch_load_dwordx4 v[56:59], off, off offset:464
	scratch_load_dwordx4 v[64:67], off, off offset:480
	s_waitcnt vmcnt(21) lgkmcnt(3)
	v_mul_f64 v[24:25], v[16:17], v[22:23]
	v_fmac_f64_e32 v[24:25], v[18:19], v[20:21]
	v_add_f64 v[28:29], v[24:25], 0
	scratch_load_dwordx4 v[24:27], off, off offset:384
	v_mul_f64 v[18:19], v[18:19], v[22:23]
	v_fma_f64 v[16:17], v[16:17], v[20:21], -v[18:19]
	v_add_f64 v[16:17], v[16:17], 0
	s_waitcnt vmcnt(0) lgkmcnt(2)
	v_mul_f64 v[30:31], v[12:13], v[26:27]
	v_fmac_f64_e32 v[30:31], v[14:15], v[24:25]
	v_add_f64 v[32:33], v[28:29], v[30:31]
	scratch_load_dwordx4 v[28:31], off, off offset:400
	v_mul_f64 v[14:15], v[14:15], v[26:27]
	v_fma_f64 v[12:13], v[12:13], v[24:25], -v[14:15]
	v_add_f64 v[12:13], v[16:17], v[12:13]
	;; [unrolled: 8-line block ×3, first 2 shown]
	s_waitcnt vmcnt(0) lgkmcnt(0)
	v_mul_f64 v[38:39], v[4:5], v[34:35]
	v_fmac_f64_e32 v[38:39], v[6:7], v[32:33]
	v_add_f64 v[44:45], v[36:37], v[38:39]
	ds_read_b128 v[36:39], v2 offset:1168
	v_mul_f64 v[6:7], v[6:7], v[34:35]
	v_fma_f64 v[4:5], v[4:5], v[32:33], -v[6:7]
	v_add_f64 v[4:5], v[8:9], v[4:5]
	s_waitcnt lgkmcnt(0)
	v_mul_f64 v[46:47], v[36:37], v[42:43]
	v_fmac_f64_e32 v[46:47], v[38:39], v[40:41]
	v_add_f64 v[52:53], v[44:45], v[46:47]
	ds_read_b128 v[44:47], v2 offset:1184
	v_mul_f64 v[6:7], v[38:39], v[42:43]
	v_fma_f64 v[6:7], v[36:37], v[40:41], -v[6:7]
	v_add_f64 v[4:5], v[4:5], v[6:7]
	s_waitcnt lgkmcnt(0)
	;; [unrolled: 8-line block ×21, first 2 shown]
	v_mul_f64 v[6:7], v[200:201], v[204:205]
	v_fma_f64 v[6:7], v[198:199], v[202:203], -v[6:7]
	v_add_f64 v[8:9], v[4:5], v[6:7]
	scratch_load_dwordx4 v[4:7], off, off offset:352
	v_mul_f64 v[206:207], v[198:199], v[204:205]
	v_fmac_f64_e32 v[206:207], v[200:201], v[202:203]
	v_add_f64 v[144:145], v[144:145], v[206:207]
	s_waitcnt vmcnt(0)
	v_add_f64 v[4:5], v[4:5], -v[8:9]
	v_add_f64 v[6:7], v[6:7], -v[144:145]
	scratch_store_dwordx4 off, v[4:7], off offset:352
	s_and_saveexec_b64 s[0:1], vcc
	s_cbranch_execz .LBB110_255
; %bb.254:
	scratch_load_dwordx4 v[6:9], off, s43
	v_mov_b32_e32 v3, v2
	v_mov_b32_e32 v4, v2
	;; [unrolled: 1-line block ×3, first 2 shown]
	v_accvgpr_read_b32 v0, a95
	scratch_store_dwordx4 off, v[2:5], off offset:336
	s_waitcnt vmcnt(1)
	ds_write_b128 v0, v[6:9]
.LBB110_255:
	s_or_b64 exec, exec, s[0:1]
	s_waitcnt lgkmcnt(0)
	; wave barrier
	ds_read_b128 v[16:19], v2 offset:1088
	ds_read_b128 v[12:15], v2 offset:1104
	;; [unrolled: 1-line block ×4, first 2 shown]
	scratch_load_dwordx4 v[20:23], off, off offset:352
	scratch_load_dwordx4 v[40:43], off, off offset:416
	scratch_load_dwordx4 v[72:75], off, off offset:480
	scratch_load_dwordx4 v[80:83], off, off offset:496
	scratch_load_dwordx4 v[88:91], off, off offset:512
	scratch_load_dwordx4 v[96:99], off, off offset:528
	scratch_load_dwordx4 v[104:107], off, off offset:544
	scratch_load_dwordx4 v[112:115], off, off offset:560
	scratch_load_dwordx4 v[120:123], off, off offset:576
	scratch_load_dwordx4 v[128:131], off, off offset:592
	scratch_load_dwordx4 v[136:139], off, off offset:608
	scratch_load_dwordx4 v[144:147], off, off offset:624
	scratch_load_dwordx4 v[152:155], off, off offset:640
	scratch_load_dwordx4 v[160:163], off, off offset:656
	scratch_load_dwordx4 v[170:173], off, off offset:672
	scratch_load_dwordx4 v[178:181], off, off offset:688
	scratch_load_dwordx4 v[186:189], off, off offset:704
	scratch_load_dwordx4 v[194:197], off, off offset:720
	scratch_load_dwordx4 v[202:205], off, off offset:736
	scratch_load_dwordx4 v[210:213], off, off offset:752
	v_cmp_lt_u32_e32 vcc, 19, v240
	scratch_load_dwordx4 v[48:51], off, off offset:432
	scratch_load_dwordx4 v[56:59], off, off offset:448
	;; [unrolled: 1-line block ×3, first 2 shown]
	s_waitcnt vmcnt(22) lgkmcnt(3)
	v_mul_f64 v[24:25], v[16:17], v[22:23]
	v_fmac_f64_e32 v[24:25], v[18:19], v[20:21]
	v_add_f64 v[28:29], v[24:25], 0
	scratch_load_dwordx4 v[24:27], off, off offset:368
	s_waitcnt vmcnt(0) lgkmcnt(2)
	v_mul_f64 v[30:31], v[12:13], v[26:27]
	v_fmac_f64_e32 v[30:31], v[14:15], v[24:25]
	v_add_f64 v[32:33], v[28:29], v[30:31]
	scratch_load_dwordx4 v[28:31], off, off offset:384
	v_mul_f64 v[14:15], v[14:15], v[26:27]
	v_fma_f64 v[12:13], v[12:13], v[24:25], -v[14:15]
	s_waitcnt vmcnt(0) lgkmcnt(1)
	v_mul_f64 v[34:35], v[8:9], v[30:31]
	v_fmac_f64_e32 v[34:35], v[10:11], v[28:29]
	v_add_f64 v[36:37], v[32:33], v[34:35]
	scratch_load_dwordx4 v[32:35], off, off offset:400
	v_mul_f64 v[10:11], v[10:11], v[30:31]
	v_fma_f64 v[8:9], v[8:9], v[28:29], -v[10:11]
	s_waitcnt vmcnt(0) lgkmcnt(0)
	v_mul_f64 v[38:39], v[4:5], v[34:35]
	v_fmac_f64_e32 v[38:39], v[6:7], v[32:33]
	v_add_f64 v[44:45], v[36:37], v[38:39]
	ds_read_b128 v[36:39], v2 offset:1152
	v_mul_f64 v[6:7], v[6:7], v[34:35]
	v_fma_f64 v[4:5], v[4:5], v[32:33], -v[6:7]
	s_waitcnt lgkmcnt(0)
	v_mul_f64 v[46:47], v[36:37], v[42:43]
	v_fmac_f64_e32 v[46:47], v[38:39], v[40:41]
	v_add_f64 v[52:53], v[44:45], v[46:47]
	ds_read_b128 v[44:47], v2 offset:1168
	s_waitcnt lgkmcnt(0)
	v_mul_f64 v[54:55], v[44:45], v[50:51]
	v_fmac_f64_e32 v[54:55], v[46:47], v[48:49]
	v_add_f64 v[60:61], v[52:53], v[54:55]
	ds_read_b128 v[52:55], v2 offset:1184
	;; [unrolled: 5-line block ×21, first 2 shown]
	s_waitcnt lgkmcnt(0)
	v_mul_f64 v[2:3], v[206:207], v[212:213]
	v_fmac_f64_e32 v[2:3], v[208:209], v[210:211]
	v_add_f64 v[168:169], v[168:169], v[2:3]
	v_mul_f64 v[2:3], v[18:19], v[22:23]
	v_fma_f64 v[2:3], v[16:17], v[20:21], -v[2:3]
	v_add_f64 v[2:3], v[2:3], 0
	v_add_f64 v[2:3], v[2:3], v[12:13]
	;; [unrolled: 1-line block ×4, first 2 shown]
	v_mul_f64 v[4:5], v[38:39], v[42:43]
	v_fma_f64 v[4:5], v[36:37], v[40:41], -v[4:5]
	v_add_f64 v[2:3], v[2:3], v[4:5]
	v_mul_f64 v[4:5], v[46:47], v[50:51]
	v_fma_f64 v[4:5], v[44:45], v[48:49], -v[4:5]
	v_add_f64 v[2:3], v[2:3], v[4:5]
	;; [unrolled: 3-line block ×22, first 2 shown]
	scratch_load_dwordx4 v[2:5], off, off offset:336
	s_waitcnt vmcnt(0)
	v_add_f64 v[2:3], v[2:3], -v[6:7]
	v_add_f64 v[4:5], v[4:5], -v[168:169]
	scratch_store_dwordx4 off, v[2:5], off offset:336
	s_and_saveexec_b64 s[0:1], vcc
	s_cbranch_execz .LBB110_257
; %bb.256:
	scratch_load_dwordx4 v[2:5], off, s44
	v_mov_b32_e32 v6, 0
	v_mov_b32_e32 v7, v6
	;; [unrolled: 1-line block ×4, first 2 shown]
	v_accvgpr_read_b32 v0, a95
	scratch_store_dwordx4 off, v[6:9], off offset:320
	s_waitcnt vmcnt(1)
	ds_write_b128 v0, v[2:5]
.LBB110_257:
	s_or_b64 exec, exec, s[0:1]
	v_mov_b32_e32 v2, 0
	s_waitcnt lgkmcnt(0)
	; wave barrier
	ds_read_b128 v[16:19], v2 offset:1072
	ds_read_b128 v[12:15], v2 offset:1088
	;; [unrolled: 1-line block ×4, first 2 shown]
	scratch_load_dwordx4 v[20:23], off, off offset:336
	scratch_load_dwordx4 v[40:43], off, off offset:400
	;; [unrolled: 1-line block ×21, first 2 shown]
	v_cmp_lt_u32_e32 vcc, 18, v240
	scratch_load_dwordx4 v[48:51], off, off offset:416
	scratch_load_dwordx4 v[56:59], off, off offset:432
	;; [unrolled: 1-line block ×3, first 2 shown]
	s_waitcnt vmcnt(23) lgkmcnt(3)
	v_mul_f64 v[24:25], v[16:17], v[22:23]
	v_fmac_f64_e32 v[24:25], v[18:19], v[20:21]
	v_add_f64 v[28:29], v[24:25], 0
	scratch_load_dwordx4 v[24:27], off, off offset:352
	v_mul_f64 v[18:19], v[18:19], v[22:23]
	v_fma_f64 v[16:17], v[16:17], v[20:21], -v[18:19]
	v_add_f64 v[16:17], v[16:17], 0
	s_waitcnt vmcnt(0) lgkmcnt(2)
	v_mul_f64 v[30:31], v[12:13], v[26:27]
	v_fmac_f64_e32 v[30:31], v[14:15], v[24:25]
	v_add_f64 v[32:33], v[28:29], v[30:31]
	scratch_load_dwordx4 v[28:31], off, off offset:368
	v_mul_f64 v[14:15], v[14:15], v[26:27]
	v_fma_f64 v[12:13], v[12:13], v[24:25], -v[14:15]
	v_add_f64 v[12:13], v[16:17], v[12:13]
	s_waitcnt vmcnt(0) lgkmcnt(1)
	v_mul_f64 v[34:35], v[8:9], v[30:31]
	v_fmac_f64_e32 v[34:35], v[10:11], v[28:29]
	v_add_f64 v[36:37], v[32:33], v[34:35]
	scratch_load_dwordx4 v[32:35], off, off offset:384
	v_mul_f64 v[10:11], v[10:11], v[30:31]
	v_fma_f64 v[8:9], v[8:9], v[28:29], -v[10:11]
	v_add_f64 v[8:9], v[12:13], v[8:9]
	s_waitcnt vmcnt(0) lgkmcnt(0)
	v_mul_f64 v[38:39], v[4:5], v[34:35]
	v_fmac_f64_e32 v[38:39], v[6:7], v[32:33]
	v_add_f64 v[44:45], v[36:37], v[38:39]
	ds_read_b128 v[36:39], v2 offset:1136
	v_mul_f64 v[6:7], v[6:7], v[34:35]
	v_fma_f64 v[4:5], v[4:5], v[32:33], -v[6:7]
	v_add_f64 v[4:5], v[8:9], v[4:5]
	s_waitcnt lgkmcnt(0)
	v_mul_f64 v[46:47], v[36:37], v[42:43]
	v_fmac_f64_e32 v[46:47], v[38:39], v[40:41]
	v_add_f64 v[52:53], v[44:45], v[46:47]
	ds_read_b128 v[44:47], v2 offset:1152
	v_mul_f64 v[6:7], v[38:39], v[42:43]
	v_fma_f64 v[6:7], v[36:37], v[40:41], -v[6:7]
	v_add_f64 v[4:5], v[4:5], v[6:7]
	s_waitcnt lgkmcnt(0)
	;; [unrolled: 8-line block ×23, first 2 shown]
	v_mul_f64 v[6:7], v[216:217], v[220:221]
	v_fma_f64 v[6:7], v[214:215], v[218:219], -v[6:7]
	v_add_f64 v[8:9], v[4:5], v[6:7]
	scratch_load_dwordx4 v[4:7], off, off offset:320
	v_mul_f64 v[222:223], v[214:215], v[220:221]
	v_fmac_f64_e32 v[222:223], v[216:217], v[218:219]
	v_add_f64 v[160:161], v[160:161], v[222:223]
	s_waitcnt vmcnt(0)
	v_add_f64 v[4:5], v[4:5], -v[8:9]
	v_add_f64 v[6:7], v[6:7], -v[160:161]
	scratch_store_dwordx4 off, v[4:7], off offset:320
	s_and_saveexec_b64 s[0:1], vcc
	s_cbranch_execz .LBB110_259
; %bb.258:
	scratch_load_dwordx4 v[6:9], off, s45
	v_mov_b32_e32 v3, v2
	v_mov_b32_e32 v4, v2
	v_mov_b32_e32 v5, v2
	v_accvgpr_read_b32 v0, a95
	scratch_store_dwordx4 off, v[2:5], off offset:304
	s_waitcnt vmcnt(1)
	ds_write_b128 v0, v[6:9]
.LBB110_259:
	s_or_b64 exec, exec, s[0:1]
	s_waitcnt lgkmcnt(0)
	; wave barrier
	ds_read_b128 v[16:19], v2 offset:1056
	ds_read_b128 v[12:15], v2 offset:1072
	;; [unrolled: 1-line block ×4, first 2 shown]
	scratch_load_dwordx4 v[20:23], off, off offset:320
	scratch_load_dwordx4 v[40:43], off, off offset:384
	;; [unrolled: 1-line block ×22, first 2 shown]
	v_cmp_lt_u32_e32 vcc, 17, v240
	scratch_load_dwordx4 v[48:51], off, off offset:400
	scratch_load_dwordx4 v[56:59], off, off offset:416
	;; [unrolled: 1-line block ×3, first 2 shown]
	s_waitcnt vmcnt(24) lgkmcnt(3)
	v_mul_f64 v[24:25], v[16:17], v[22:23]
	v_fmac_f64_e32 v[24:25], v[18:19], v[20:21]
	v_add_f64 v[28:29], v[24:25], 0
	scratch_load_dwordx4 v[24:27], off, off offset:336
	s_waitcnt vmcnt(0) lgkmcnt(2)
	v_mul_f64 v[30:31], v[12:13], v[26:27]
	v_fmac_f64_e32 v[30:31], v[14:15], v[24:25]
	v_add_f64 v[32:33], v[28:29], v[30:31]
	scratch_load_dwordx4 v[28:31], off, off offset:352
	v_mul_f64 v[14:15], v[14:15], v[26:27]
	v_fma_f64 v[12:13], v[12:13], v[24:25], -v[14:15]
	s_waitcnt vmcnt(0) lgkmcnt(1)
	v_mul_f64 v[34:35], v[8:9], v[30:31]
	v_fmac_f64_e32 v[34:35], v[10:11], v[28:29]
	v_add_f64 v[36:37], v[32:33], v[34:35]
	scratch_load_dwordx4 v[32:35], off, off offset:368
	v_mul_f64 v[10:11], v[10:11], v[30:31]
	v_fma_f64 v[8:9], v[8:9], v[28:29], -v[10:11]
	s_waitcnt vmcnt(0) lgkmcnt(0)
	v_mul_f64 v[38:39], v[4:5], v[34:35]
	v_fmac_f64_e32 v[38:39], v[6:7], v[32:33]
	v_add_f64 v[44:45], v[36:37], v[38:39]
	ds_read_b128 v[36:39], v2 offset:1120
	v_mul_f64 v[6:7], v[6:7], v[34:35]
	v_fma_f64 v[4:5], v[4:5], v[32:33], -v[6:7]
	s_waitcnt lgkmcnt(0)
	v_mul_f64 v[46:47], v[36:37], v[42:43]
	v_fmac_f64_e32 v[46:47], v[38:39], v[40:41]
	v_add_f64 v[52:53], v[44:45], v[46:47]
	ds_read_b128 v[44:47], v2 offset:1136
	s_waitcnt lgkmcnt(0)
	v_mul_f64 v[54:55], v[44:45], v[50:51]
	v_fmac_f64_e32 v[54:55], v[46:47], v[48:49]
	v_add_f64 v[60:61], v[52:53], v[54:55]
	ds_read_b128 v[52:55], v2 offset:1152
	;; [unrolled: 5-line block ×23, first 2 shown]
	s_waitcnt lgkmcnt(0)
	v_mul_f64 v[2:3], v[222:223], v[228:229]
	v_fmac_f64_e32 v[2:3], v[224:225], v[226:227]
	v_add_f64 v[176:177], v[176:177], v[2:3]
	v_mul_f64 v[2:3], v[18:19], v[22:23]
	v_fma_f64 v[2:3], v[16:17], v[20:21], -v[2:3]
	v_add_f64 v[2:3], v[2:3], 0
	v_add_f64 v[2:3], v[2:3], v[12:13]
	;; [unrolled: 1-line block ×4, first 2 shown]
	v_mul_f64 v[4:5], v[38:39], v[42:43]
	v_fma_f64 v[4:5], v[36:37], v[40:41], -v[4:5]
	v_add_f64 v[2:3], v[2:3], v[4:5]
	v_mul_f64 v[4:5], v[46:47], v[50:51]
	v_fma_f64 v[4:5], v[44:45], v[48:49], -v[4:5]
	v_add_f64 v[2:3], v[2:3], v[4:5]
	;; [unrolled: 3-line block ×24, first 2 shown]
	scratch_load_dwordx4 v[2:5], off, off offset:304
	s_waitcnt vmcnt(0)
	v_add_f64 v[2:3], v[2:3], -v[6:7]
	v_add_f64 v[4:5], v[4:5], -v[176:177]
	scratch_store_dwordx4 off, v[2:5], off offset:304
	s_and_saveexec_b64 s[0:1], vcc
	s_cbranch_execz .LBB110_261
; %bb.260:
	scratch_load_dwordx4 v[2:5], off, s46
	v_mov_b32_e32 v6, 0
	v_mov_b32_e32 v7, v6
	;; [unrolled: 1-line block ×4, first 2 shown]
	v_accvgpr_read_b32 v0, a95
	scratch_store_dwordx4 off, v[6:9], off offset:288
	s_waitcnt vmcnt(1)
	ds_write_b128 v0, v[2:5]
.LBB110_261:
	s_or_b64 exec, exec, s[0:1]
	v_mov_b32_e32 v2, 0
	s_waitcnt lgkmcnt(0)
	; wave barrier
	ds_read_b128 v[16:19], v2 offset:1040
	ds_read_b128 v[12:15], v2 offset:1056
	;; [unrolled: 1-line block ×4, first 2 shown]
	scratch_load_dwordx4 v[20:23], off, off offset:304
	scratch_load_dwordx4 v[40:43], off, off offset:368
	;; [unrolled: 1-line block ×23, first 2 shown]
	v_cmp_lt_u32_e32 vcc, 16, v240
	scratch_load_dwordx4 v[48:51], off, off offset:384
	scratch_load_dwordx4 v[56:59], off, off offset:400
	;; [unrolled: 1-line block ×3, first 2 shown]
	s_waitcnt vmcnt(25) lgkmcnt(3)
	v_mul_f64 v[24:25], v[16:17], v[22:23]
	v_fmac_f64_e32 v[24:25], v[18:19], v[20:21]
	v_add_f64 v[28:29], v[24:25], 0
	scratch_load_dwordx4 v[24:27], off, off offset:320
	v_mul_f64 v[18:19], v[18:19], v[22:23]
	v_fma_f64 v[16:17], v[16:17], v[20:21], -v[18:19]
	v_add_f64 v[16:17], v[16:17], 0
	s_waitcnt vmcnt(0) lgkmcnt(2)
	v_mul_f64 v[30:31], v[12:13], v[26:27]
	v_fmac_f64_e32 v[30:31], v[14:15], v[24:25]
	v_add_f64 v[32:33], v[28:29], v[30:31]
	scratch_load_dwordx4 v[28:31], off, off offset:336
	v_mul_f64 v[14:15], v[14:15], v[26:27]
	v_fma_f64 v[12:13], v[12:13], v[24:25], -v[14:15]
	v_add_f64 v[12:13], v[16:17], v[12:13]
	;; [unrolled: 8-line block ×3, first 2 shown]
	s_waitcnt vmcnt(0) lgkmcnt(0)
	v_mul_f64 v[38:39], v[4:5], v[34:35]
	v_fmac_f64_e32 v[38:39], v[6:7], v[32:33]
	v_add_f64 v[44:45], v[36:37], v[38:39]
	ds_read_b128 v[36:39], v2 offset:1104
	v_mul_f64 v[6:7], v[6:7], v[34:35]
	v_fma_f64 v[4:5], v[4:5], v[32:33], -v[6:7]
	v_add_f64 v[4:5], v[8:9], v[4:5]
	s_waitcnt lgkmcnt(0)
	v_mul_f64 v[46:47], v[36:37], v[42:43]
	v_fmac_f64_e32 v[46:47], v[38:39], v[40:41]
	v_add_f64 v[52:53], v[44:45], v[46:47]
	ds_read_b128 v[44:47], v2 offset:1120
	v_mul_f64 v[6:7], v[38:39], v[42:43]
	v_fma_f64 v[6:7], v[36:37], v[40:41], -v[6:7]
	v_add_f64 v[4:5], v[4:5], v[6:7]
	s_waitcnt lgkmcnt(0)
	;; [unrolled: 8-line block ×25, first 2 shown]
	v_mul_f64 v[6:7], v[232:233], v[236:237]
	v_fma_f64 v[6:7], v[230:231], v[234:235], -v[6:7]
	v_add_f64 v[8:9], v[4:5], v[6:7]
	scratch_load_dwordx4 v[4:7], off, off offset:288
	v_mul_f64 v[238:239], v[230:231], v[236:237]
	v_fmac_f64_e32 v[238:239], v[232:233], v[234:235]
	v_add_f64 v[176:177], v[176:177], v[238:239]
	s_waitcnt vmcnt(0)
	v_add_f64 v[4:5], v[4:5], -v[8:9]
	v_add_f64 v[6:7], v[6:7], -v[176:177]
	scratch_store_dwordx4 off, v[4:7], off offset:288
	s_and_saveexec_b64 s[0:1], vcc
	s_cbranch_execz .LBB110_263
; %bb.262:
	scratch_load_dwordx4 v[6:9], off, s47
	v_mov_b32_e32 v3, v2
	v_mov_b32_e32 v4, v2
	v_mov_b32_e32 v5, v2
	v_accvgpr_read_b32 v0, a95
	scratch_store_dwordx4 off, v[2:5], off offset:272
	s_waitcnt vmcnt(1)
	ds_write_b128 v0, v[6:9]
.LBB110_263:
	s_or_b64 exec, exec, s[0:1]
	s_waitcnt lgkmcnt(0)
	; wave barrier
	ds_read_b128 v[16:19], v2 offset:1024
	ds_read_b128 v[12:15], v2 offset:1040
	ds_read_b128 v[8:11], v2 offset:1056
	ds_read_b128 v[4:7], v2 offset:1072
	scratch_load_dwordx4 v[20:23], off, off offset:288
	scratch_load_dwordx4 v[40:43], off, off offset:352
	;; [unrolled: 1-line block ×24, first 2 shown]
	v_cmp_lt_u32_e32 vcc, 15, v240
	scratch_load_dwordx4 v[48:51], off, off offset:368
	scratch_load_dwordx4 v[56:59], off, off offset:384
	;; [unrolled: 1-line block ×3, first 2 shown]
	ds_read_b128 v[250:253], v2 offset:1488
	s_waitcnt vmcnt(26) lgkmcnt(4)
	v_mul_f64 v[24:25], v[16:17], v[22:23]
	v_fmac_f64_e32 v[24:25], v[18:19], v[20:21]
	v_add_f64 v[28:29], v[24:25], 0
	scratch_load_dwordx4 v[24:27], off, off offset:304
	s_waitcnt vmcnt(0) lgkmcnt(3)
	v_mul_f64 v[30:31], v[12:13], v[26:27]
	v_fmac_f64_e32 v[30:31], v[14:15], v[24:25]
	v_add_f64 v[32:33], v[28:29], v[30:31]
	scratch_load_dwordx4 v[28:31], off, off offset:320
	v_mul_f64 v[14:15], v[14:15], v[26:27]
	v_fma_f64 v[12:13], v[12:13], v[24:25], -v[14:15]
	s_waitcnt vmcnt(0) lgkmcnt(2)
	v_mul_f64 v[34:35], v[8:9], v[30:31]
	v_fmac_f64_e32 v[34:35], v[10:11], v[28:29]
	v_add_f64 v[36:37], v[32:33], v[34:35]
	scratch_load_dwordx4 v[32:35], off, off offset:336
	v_mul_f64 v[10:11], v[10:11], v[30:31]
	v_fma_f64 v[8:9], v[8:9], v[28:29], -v[10:11]
	s_waitcnt vmcnt(0) lgkmcnt(1)
	v_mul_f64 v[38:39], v[4:5], v[34:35]
	v_fmac_f64_e32 v[38:39], v[6:7], v[32:33]
	v_add_f64 v[44:45], v[36:37], v[38:39]
	ds_read_b128 v[36:39], v2 offset:1088
	v_mul_f64 v[6:7], v[6:7], v[34:35]
	v_fma_f64 v[4:5], v[4:5], v[32:33], -v[6:7]
	s_waitcnt lgkmcnt(0)
	v_mul_f64 v[46:47], v[36:37], v[42:43]
	v_fmac_f64_e32 v[46:47], v[38:39], v[40:41]
	v_add_f64 v[52:53], v[44:45], v[46:47]
	ds_read_b128 v[44:47], v2 offset:1104
	s_waitcnt lgkmcnt(0)
	v_mul_f64 v[54:55], v[44:45], v[50:51]
	v_fmac_f64_e32 v[54:55], v[46:47], v[48:49]
	v_add_f64 v[60:61], v[52:53], v[54:55]
	ds_read_b128 v[52:55], v2 offset:1120
	;; [unrolled: 5-line block ×24, first 2 shown]
	v_mul_f64 v[2:3], v[250:251], v[244:245]
	v_fmac_f64_e32 v[2:3], v[252:253], v[242:243]
	s_waitcnt lgkmcnt(0)
	v_mul_f64 v[238:239], v[230:231], v[236:237]
	v_fmac_f64_e32 v[238:239], v[232:233], v[234:235]
	v_add_f64 v[184:185], v[184:185], v[238:239]
	v_add_f64 v[184:185], v[184:185], v[2:3]
	v_mul_f64 v[2:3], v[18:19], v[22:23]
	v_fma_f64 v[2:3], v[16:17], v[20:21], -v[2:3]
	v_add_f64 v[2:3], v[2:3], 0
	v_add_f64 v[2:3], v[2:3], v[12:13]
	;; [unrolled: 1-line block ×4, first 2 shown]
	v_mul_f64 v[4:5], v[38:39], v[42:43]
	v_fma_f64 v[4:5], v[36:37], v[40:41], -v[4:5]
	v_add_f64 v[2:3], v[2:3], v[4:5]
	v_mul_f64 v[4:5], v[46:47], v[50:51]
	v_fma_f64 v[4:5], v[44:45], v[48:49], -v[4:5]
	v_add_f64 v[2:3], v[2:3], v[4:5]
	;; [unrolled: 3-line block ×26, first 2 shown]
	scratch_load_dwordx4 v[2:5], off, off offset:272
	s_waitcnt vmcnt(0)
	v_add_f64 v[2:3], v[2:3], -v[6:7]
	v_add_f64 v[4:5], v[4:5], -v[184:185]
	scratch_store_dwordx4 off, v[2:5], off offset:272
	s_and_saveexec_b64 s[0:1], vcc
	s_cbranch_execz .LBB110_265
; %bb.264:
	scratch_load_dwordx4 v[2:5], off, s48
	v_mov_b32_e32 v6, 0
	v_mov_b32_e32 v7, v6
	;; [unrolled: 1-line block ×4, first 2 shown]
	v_accvgpr_read_b32 v0, a95
	scratch_store_dwordx4 off, v[6:9], off offset:256
	s_waitcnt vmcnt(1)
	ds_write_b128 v0, v[2:5]
.LBB110_265:
	s_or_b64 exec, exec, s[0:1]
	s_waitcnt lgkmcnt(0)
	; wave barrier
	scratch_load_dwordx4 v[16:19], off, off offset:272
	scratch_load_dwordx4 v[12:15], off, off offset:288
	;; [unrolled: 1-line block ×32, first 2 shown]
	v_mov_b32_e32 v2, 0
	ds_read_b128 v[132:135], v2 offset:1008
	ds_read_b128 v[136:139], v2 offset:1024
	;; [unrolled: 1-line block ×17, first 2 shown]
	v_cmp_lt_u32_e32 vcc, 14, v240
	s_waitcnt vmcnt(31) lgkmcnt(14)
	v_mul_f64 v[200:201], v[132:133], v[18:19]
	s_waitcnt vmcnt(30)
	v_mul_f64 v[202:203], v[136:137], v[14:15]
	v_fmac_f64_e32 v[200:201], v[134:135], v[16:17]
	s_waitcnt vmcnt(29)
	v_mul_f64 v[204:205], v[140:141], v[10:11]
	v_fmac_f64_e32 v[202:203], v[138:139], v[12:13]
	v_add_f64 v[200:201], v[200:201], 0
	s_waitcnt vmcnt(28) lgkmcnt(13)
	v_mul_f64 v[206:207], v[144:145], v[6:7]
	v_fmac_f64_e32 v[204:205], v[142:143], v[8:9]
	v_add_f64 v[200:201], v[200:201], v[202:203]
	s_waitcnt vmcnt(27) lgkmcnt(12)
	v_mul_f64 v[208:209], v[148:149], v[22:23]
	v_fmac_f64_e32 v[206:207], v[146:147], v[4:5]
	v_add_f64 v[200:201], v[200:201], v[204:205]
	s_waitcnt vmcnt(26) lgkmcnt(11)
	v_mul_f64 v[210:211], v[152:153], v[26:27]
	v_fmac_f64_e32 v[208:209], v[150:151], v[20:21]
	v_add_f64 v[200:201], v[200:201], v[206:207]
	s_waitcnt vmcnt(25) lgkmcnt(10)
	v_mul_f64 v[212:213], v[156:157], v[30:31]
	v_fmac_f64_e32 v[210:211], v[154:155], v[24:25]
	v_add_f64 v[200:201], v[200:201], v[208:209]
	s_waitcnt vmcnt(24) lgkmcnt(9)
	v_mul_f64 v[214:215], v[160:161], v[34:35]
	v_fmac_f64_e32 v[212:213], v[158:159], v[28:29]
	v_add_f64 v[200:201], v[200:201], v[210:211]
	s_waitcnt vmcnt(23) lgkmcnt(8)
	v_mul_f64 v[216:217], v[164:165], v[38:39]
	v_fmac_f64_e32 v[214:215], v[162:163], v[32:33]
	v_add_f64 v[200:201], v[200:201], v[212:213]
	s_waitcnt vmcnt(22) lgkmcnt(7)
	v_mul_f64 v[218:219], v[168:169], v[42:43]
	v_fmac_f64_e32 v[216:217], v[166:167], v[36:37]
	v_add_f64 v[200:201], v[200:201], v[214:215]
	s_waitcnt vmcnt(21) lgkmcnt(6)
	v_mul_f64 v[220:221], v[172:173], v[46:47]
	v_fmac_f64_e32 v[218:219], v[170:171], v[40:41]
	v_add_f64 v[200:201], v[200:201], v[216:217]
	s_waitcnt vmcnt(20) lgkmcnt(5)
	v_mul_f64 v[222:223], v[176:177], v[50:51]
	v_fmac_f64_e32 v[220:221], v[174:175], v[44:45]
	v_add_f64 v[200:201], v[200:201], v[218:219]
	s_waitcnt vmcnt(19) lgkmcnt(4)
	v_mul_f64 v[224:225], v[180:181], v[54:55]
	v_fmac_f64_e32 v[222:223], v[178:179], v[48:49]
	v_add_f64 v[200:201], v[200:201], v[220:221]
	s_waitcnt vmcnt(18) lgkmcnt(3)
	v_mul_f64 v[226:227], v[184:185], v[58:59]
	v_fmac_f64_e32 v[224:225], v[182:183], v[52:53]
	v_add_f64 v[200:201], v[200:201], v[222:223]
	s_waitcnt vmcnt(17) lgkmcnt(2)
	v_mul_f64 v[228:229], v[188:189], v[62:63]
	v_fmac_f64_e32 v[226:227], v[186:187], v[56:57]
	v_add_f64 v[200:201], v[200:201], v[224:225]
	v_fmac_f64_e32 v[228:229], v[190:191], v[60:61]
	v_add_f64 v[200:201], v[200:201], v[226:227]
	s_waitcnt vmcnt(16) lgkmcnt(1)
	v_mul_f64 v[202:203], v[192:193], v[66:67]
	v_add_f64 v[200:201], v[200:201], v[228:229]
	v_fmac_f64_e32 v[202:203], v[194:195], v[64:65]
	s_waitcnt vmcnt(15) lgkmcnt(0)
	v_mul_f64 v[206:207], v[196:197], v[70:71]
	v_add_f64 v[204:205], v[200:201], v[202:203]
	ds_read_b128 v[200:203], v2 offset:1280
	v_fmac_f64_e32 v[206:207], v[198:199], v[68:69]
	v_add_f64 v[208:209], v[204:205], v[206:207]
	ds_read_b128 v[204:207], v2 offset:1296
	v_mul_f64 v[18:19], v[134:135], v[18:19]
	s_waitcnt vmcnt(14) lgkmcnt(1)
	v_mul_f64 v[210:211], v[200:201], v[74:75]
	v_fmac_f64_e32 v[210:211], v[202:203], v[72:73]
	v_add_f64 v[212:213], v[208:209], v[210:211]
	s_waitcnt vmcnt(13) lgkmcnt(0)
	v_mul_f64 v[214:215], v[204:205], v[78:79]
	ds_read_b128 v[208:211], v2 offset:1312
	v_fmac_f64_e32 v[214:215], v[206:207], v[76:77]
	v_add_f64 v[216:217], v[212:213], v[214:215]
	ds_read_b128 v[212:215], v2 offset:1328
	v_fma_f64 v[244:245], v[132:133], v[16:17], -v[18:19]
	s_waitcnt vmcnt(12) lgkmcnt(1)
	v_mul_f64 v[218:219], v[208:209], v[82:83]
	v_fmac_f64_e32 v[218:219], v[210:211], v[80:81]
	v_add_f64 v[220:221], v[216:217], v[218:219]
	s_waitcnt vmcnt(11) lgkmcnt(0)
	v_mul_f64 v[222:223], v[212:213], v[86:87]
	ds_read_b128 v[216:219], v2 offset:1344
	v_fmac_f64_e32 v[222:223], v[214:215], v[84:85]
	v_add_f64 v[224:225], v[220:221], v[222:223]
	ds_read_b128 v[220:223], v2 offset:1360
	ds_read_b128 v[16:19], v2 offset:1440
	s_waitcnt vmcnt(10) lgkmcnt(2)
	v_mul_f64 v[226:227], v[216:217], v[90:91]
	v_fmac_f64_e32 v[226:227], v[218:219], v[88:89]
	v_add_f64 v[228:229], v[224:225], v[226:227]
	s_waitcnt vmcnt(9) lgkmcnt(1)
	v_mul_f64 v[230:231], v[220:221], v[94:95]
	ds_read_b128 v[224:227], v2 offset:1376
	v_fmac_f64_e32 v[230:231], v[222:223], v[92:93]
	v_add_f64 v[232:233], v[228:229], v[230:231]
	ds_read_b128 v[228:231], v2 offset:1392
	v_mul_f64 v[14:15], v[138:139], v[14:15]
	s_waitcnt vmcnt(8) lgkmcnt(1)
	v_mul_f64 v[234:235], v[224:225], v[98:99]
	v_fmac_f64_e32 v[234:235], v[226:227], v[96:97]
	v_add_f64 v[236:237], v[232:233], v[234:235]
	s_waitcnt vmcnt(7) lgkmcnt(0)
	v_mul_f64 v[238:239], v[228:229], v[102:103]
	ds_read_b128 v[232:235], v2 offset:1408
	v_fmac_f64_e32 v[238:239], v[230:231], v[100:101]
	v_add_f64 v[242:243], v[236:237], v[238:239]
	ds_read_b128 v[236:239], v2 offset:1424
	v_fma_f64 v[136:137], v[136:137], v[12:13], -v[14:15]
	s_waitcnt vmcnt(6) lgkmcnt(1)
	v_mul_f64 v[132:133], v[232:233], v[106:107]
	v_fmac_f64_e32 v[132:133], v[234:235], v[104:105]
	v_add_f64 v[132:133], v[242:243], v[132:133]
	s_waitcnt vmcnt(5) lgkmcnt(0)
	v_mul_f64 v[134:135], v[236:237], v[110:111]
	v_fmac_f64_e32 v[134:135], v[238:239], v[108:109]
	v_add_f64 v[132:133], v[132:133], v[134:135]
	ds_read_b128 v[12:15], v2 offset:1456
	s_waitcnt vmcnt(4)
	v_mul_f64 v[134:135], v[16:17], v[114:115]
	v_fmac_f64_e32 v[134:135], v[18:19], v[112:113]
	v_add_f64 v[138:139], v[132:133], v[134:135]
	ds_read_b128 v[132:135], v2 offset:1472
	v_mul_f64 v[10:11], v[142:143], v[10:11]
	v_fma_f64 v[140:141], v[140:141], v[8:9], -v[10:11]
	ds_read_b128 v[8:11], v2 offset:1488
	s_waitcnt vmcnt(3) lgkmcnt(2)
	v_mul_f64 v[142:143], v[12:13], v[118:119]
	v_fmac_f64_e32 v[142:143], v[14:15], v[116:117]
	v_add_f64 v[138:139], v[138:139], v[142:143]
	s_waitcnt vmcnt(2) lgkmcnt(1)
	v_mul_f64 v[142:143], v[132:133], v[122:123]
	v_fmac_f64_e32 v[142:143], v[134:135], v[120:121]
	v_add_f64 v[138:139], v[138:139], v[142:143]
	;; [unrolled: 4-line block ×3, first 2 shown]
	v_add_f64 v[142:143], v[244:245], 0
	v_add_f64 v[136:137], v[142:143], v[136:137]
	v_mul_f64 v[6:7], v[146:147], v[6:7]
	v_add_f64 v[136:137], v[136:137], v[140:141]
	v_fma_f64 v[4:5], v[144:145], v[4:5], -v[6:7]
	v_mul_f64 v[6:7], v[150:151], v[22:23]
	v_add_f64 v[4:5], v[136:137], v[4:5]
	v_fma_f64 v[6:7], v[148:149], v[20:21], -v[6:7]
	v_add_f64 v[4:5], v[4:5], v[6:7]
	v_mul_f64 v[6:7], v[154:155], v[26:27]
	v_fma_f64 v[6:7], v[152:153], v[24:25], -v[6:7]
	v_add_f64 v[4:5], v[4:5], v[6:7]
	v_mul_f64 v[6:7], v[158:159], v[30:31]
	;; [unrolled: 3-line block ×26, first 2 shown]
	v_fma_f64 v[6:7], v[8:9], v[124:125], -v[6:7]
	v_add_f64 v[4:5], v[4:5], v[6:7]
	s_waitcnt vmcnt(0)
	v_add_f64 v[4:5], v[128:129], -v[4:5]
	v_add_f64 v[6:7], v[130:131], -v[138:139]
	scratch_store_dwordx4 off, v[4:7], off offset:256
	s_and_saveexec_b64 s[0:1], vcc
	s_cbranch_execz .LBB110_267
; %bb.266:
	scratch_load_dwordx4 v[6:9], off, s49
	v_mov_b32_e32 v3, v2
	v_mov_b32_e32 v4, v2
	;; [unrolled: 1-line block ×3, first 2 shown]
	v_accvgpr_read_b32 v0, a95
	scratch_store_dwordx4 off, v[2:5], off offset:240
	s_waitcnt vmcnt(1)
	ds_write_b128 v0, v[6:9]
.LBB110_267:
	s_or_b64 exec, exec, s[0:1]
	s_waitcnt lgkmcnt(0)
	; wave barrier
	scratch_load_dwordx4 v[140:143], off, off offset:256
	scratch_load_dwordx4 v[148:151], off, off offset:272
	;; [unrolled: 1-line block ×16, first 2 shown]
	ds_read_b128 v[188:191], v2 offset:992
	ds_read_b128 v[184:187], v2 offset:1008
	scratch_load_dwordx4 v[56:59], off, off offset:512
	ds_read_b128 v[192:195], v2 offset:1024
	ds_read_b128 v[68:71], v2 offset:1040
	scratch_load_dwordx4 v[60:63], off, off offset:528
	ds_read_b128 v[88:91], v2 offset:1056
	ds_read_b128 v[84:87], v2 offset:1072
	ds_read_b128 v[80:83], v2 offset:1088
	ds_read_b128 v[76:79], v2 offset:1104
	scratch_load_dwordx4 v[64:67], off, off offset:544
	ds_read_b128 v[100:103], v2 offset:1120
	ds_read_b128 v[96:99], v2 offset:1136
	scratch_load_dwordx4 v[72:75], off, off offset:560
	ds_read_b128 v[116:119], v2 offset:1152
	ds_read_b128 v[112:115], v2 offset:1168
	;; [unrolled: 1-line block ×4, first 2 shown]
	scratch_load_dwordx4 v[92:95], off, off offset:576
	ds_read_b128 v[132:135], v2 offset:1216
	ds_read_b128 v[128:131], v2 offset:1232
	;; [unrolled: 1-line block ×3, first 2 shown]
	scratch_load_dwordx4 v[120:123], off, off offset:592
	scratch_load_dwordx4 v[136:139], off, off offset:608
	;; [unrolled: 1-line block ×11, first 2 shown]
	v_cmp_lt_u32_e32 vcc, 13, v240
	s_waitcnt vmcnt(31) lgkmcnt(14)
	v_mul_f64 v[200:201], v[188:189], v[142:143]
	s_waitcnt vmcnt(30)
	v_mul_f64 v[202:203], v[184:185], v[150:151]
	v_fmac_f64_e32 v[200:201], v[190:191], v[140:141]
	s_waitcnt vmcnt(29)
	v_mul_f64 v[204:205], v[192:193], v[154:155]
	v_fmac_f64_e32 v[202:203], v[186:187], v[148:149]
	v_add_f64 v[200:201], v[200:201], 0
	s_waitcnt vmcnt(28) lgkmcnt(13)
	v_mul_f64 v[206:207], v[68:69], v[6:7]
	v_fmac_f64_e32 v[204:205], v[194:195], v[152:153]
	v_add_f64 v[200:201], v[200:201], v[202:203]
	s_waitcnt vmcnt(27) lgkmcnt(12)
	;; [unrolled: 4-line block ×13, first 2 shown]
	v_mul_f64 v[230:231], v[128:129], v[54:55]
	v_fmac_f64_e32 v[228:229], v[134:135], v[48:49]
	v_add_f64 v[200:201], v[200:201], v[226:227]
	v_add_f64 v[200:201], v[200:201], v[228:229]
	v_fmac_f64_e32 v[230:231], v[130:131], v[52:53]
	s_waitcnt vmcnt(15) lgkmcnt(0)
	v_mul_f64 v[206:207], v[124:125], v[58:59]
	v_add_f64 v[204:205], v[200:201], v[230:231]
	ds_read_b128 v[200:203], v2 offset:1264
	v_fmac_f64_e32 v[206:207], v[126:127], v[56:57]
	v_add_f64 v[208:209], v[204:205], v[206:207]
	ds_read_b128 v[204:207], v2 offset:1280
	v_mul_f64 v[142:143], v[190:191], v[142:143]
	s_waitcnt vmcnt(14) lgkmcnt(1)
	v_mul_f64 v[210:211], v[200:201], v[62:63]
	v_fmac_f64_e32 v[210:211], v[202:203], v[60:61]
	v_add_f64 v[212:213], v[208:209], v[210:211]
	s_waitcnt vmcnt(13) lgkmcnt(0)
	v_mul_f64 v[214:215], v[204:205], v[66:67]
	ds_read_b128 v[208:211], v2 offset:1296
	v_fmac_f64_e32 v[214:215], v[206:207], v[64:65]
	v_add_f64 v[216:217], v[212:213], v[214:215]
	ds_read_b128 v[212:215], v2 offset:1312
	v_fma_f64 v[250:251], v[188:189], v[140:141], -v[142:143]
	s_waitcnt vmcnt(12) lgkmcnt(1)
	v_mul_f64 v[218:219], v[208:209], v[74:75]
	v_fmac_f64_e32 v[218:219], v[210:211], v[72:73]
	v_add_f64 v[220:221], v[216:217], v[218:219]
	s_waitcnt vmcnt(11) lgkmcnt(0)
	v_mul_f64 v[222:223], v[212:213], v[94:95]
	ds_read_b128 v[216:219], v2 offset:1328
	v_fmac_f64_e32 v[222:223], v[214:215], v[92:93]
	v_add_f64 v[224:225], v[220:221], v[222:223]
	ds_read_b128 v[220:223], v2 offset:1344
	ds_read_b128 v[140:143], v2 offset:1424
	s_waitcnt vmcnt(10) lgkmcnt(2)
	v_mul_f64 v[226:227], v[216:217], v[122:123]
	v_fmac_f64_e32 v[226:227], v[218:219], v[120:121]
	v_add_f64 v[228:229], v[224:225], v[226:227]
	s_waitcnt vmcnt(9) lgkmcnt(1)
	v_mul_f64 v[230:231], v[220:221], v[138:139]
	ds_read_b128 v[224:227], v2 offset:1360
	v_fmac_f64_e32 v[230:231], v[222:223], v[136:137]
	v_add_f64 v[232:233], v[228:229], v[230:231]
	ds_read_b128 v[228:231], v2 offset:1376
	v_mul_f64 v[150:151], v[186:187], v[150:151]
	s_waitcnt vmcnt(8) lgkmcnt(1)
	v_mul_f64 v[234:235], v[224:225], v[146:147]
	v_fmac_f64_e32 v[234:235], v[226:227], v[144:145]
	v_add_f64 v[236:237], v[232:233], v[234:235]
	s_waitcnt vmcnt(7) lgkmcnt(0)
	v_mul_f64 v[238:239], v[228:229], v[158:159]
	ds_read_b128 v[232:235], v2 offset:1392
	v_fmac_f64_e32 v[238:239], v[230:231], v[156:157]
	v_add_f64 v[242:243], v[236:237], v[238:239]
	ds_read_b128 v[236:239], v2 offset:1408
	v_fma_f64 v[252:253], v[184:185], v[148:149], -v[150:151]
	s_waitcnt vmcnt(6) lgkmcnt(1)
	v_mul_f64 v[244:245], v[232:233], v[162:163]
	v_fmac_f64_e32 v[244:245], v[234:235], v[160:161]
	ds_read_b128 v[148:151], v2 offset:1440
	s_waitcnt vmcnt(5) lgkmcnt(1)
	v_mul_f64 v[188:189], v[236:237], v[166:167]
	v_add_f64 v[242:243], v[242:243], v[244:245]
	v_fmac_f64_e32 v[188:189], v[238:239], v[164:165]
	s_waitcnt vmcnt(4)
	v_mul_f64 v[184:185], v[140:141], v[170:171]
	v_add_f64 v[188:189], v[242:243], v[188:189]
	v_fmac_f64_e32 v[184:185], v[142:143], v[168:169]
	v_add_f64 v[188:189], v[188:189], v[184:185]
	ds_read_b128 v[184:187], v2 offset:1456
	v_mul_f64 v[154:155], v[194:195], v[154:155]
	s_waitcnt vmcnt(3) lgkmcnt(1)
	v_mul_f64 v[190:191], v[148:149], v[174:175]
	v_fma_f64 v[244:245], v[192:193], v[152:153], -v[154:155]
	ds_read_b128 v[152:155], v2 offset:1472
	v_fmac_f64_e32 v[190:191], v[150:151], v[172:173]
	v_add_f64 v[242:243], v[188:189], v[190:191]
	ds_read_b128 v[188:191], v2 offset:1488
	s_waitcnt vmcnt(2) lgkmcnt(2)
	v_mul_f64 v[192:193], v[184:185], v[178:179]
	v_fmac_f64_e32 v[192:193], v[186:187], v[176:177]
	v_add_f64 v[2:3], v[242:243], v[192:193]
	s_waitcnt vmcnt(1) lgkmcnt(1)
	v_mul_f64 v[192:193], v[152:153], v[182:183]
	v_fmac_f64_e32 v[192:193], v[154:155], v[180:181]
	v_add_f64 v[2:3], v[2:3], v[192:193]
	;; [unrolled: 4-line block ×3, first 2 shown]
	scratch_load_dwordx4 v[192:195], off, off offset:240
	v_add_f64 v[242:243], v[250:251], 0
	v_add_f64 v[242:243], v[242:243], v[252:253]
	v_mul_f64 v[6:7], v[70:71], v[6:7]
	v_add_f64 v[242:243], v[242:243], v[244:245]
	v_fma_f64 v[4:5], v[68:69], v[4:5], -v[6:7]
	v_mul_f64 v[6:7], v[90:91], v[10:11]
	v_add_f64 v[4:5], v[242:243], v[4:5]
	v_fma_f64 v[6:7], v[88:89], v[8:9], -v[6:7]
	v_add_f64 v[4:5], v[4:5], v[6:7]
	v_mul_f64 v[6:7], v[86:87], v[14:15]
	v_fma_f64 v[6:7], v[84:85], v[12:13], -v[6:7]
	v_add_f64 v[4:5], v[4:5], v[6:7]
	v_mul_f64 v[6:7], v[82:83], v[18:19]
	;; [unrolled: 3-line block ×27, first 2 shown]
	v_fma_f64 v[6:7], v[188:189], v[196:197], -v[6:7]
	v_add_f64 v[4:5], v[4:5], v[6:7]
	s_waitcnt vmcnt(0)
	v_add_f64 v[4:5], v[192:193], -v[4:5]
	v_add_f64 v[6:7], v[194:195], -v[2:3]
	scratch_store_dwordx4 off, v[4:7], off offset:240
	s_and_saveexec_b64 s[0:1], vcc
	s_cbranch_execz .LBB110_269
; %bb.268:
	scratch_load_dwordx4 v[2:5], off, s50
	v_mov_b32_e32 v6, 0
	v_mov_b32_e32 v7, v6
	;; [unrolled: 1-line block ×4, first 2 shown]
	v_accvgpr_read_b32 v0, a95
	scratch_store_dwordx4 off, v[6:9], off offset:224
	s_waitcnt vmcnt(1)
	ds_write_b128 v0, v[2:5]
.LBB110_269:
	s_or_b64 exec, exec, s[0:1]
	s_waitcnt lgkmcnt(0)
	; wave barrier
	scratch_load_dwordx4 v[108:111], off, off offset:240
	scratch_load_dwordx4 v[116:119], off, off offset:256
	;; [unrolled: 1-line block ×33, first 2 shown]
	v_mov_b32_e32 v2, 0
	ds_read_b128 v[220:223], v2 offset:976
	ds_read_b128 v[224:227], v2 offset:992
	;; [unrolled: 1-line block ×16, first 2 shown]
	v_cmp_lt_u32_e32 vcc, 12, v240
	s_waitcnt vmcnt(32) lgkmcnt(14)
	v_mul_f64 v[180:181], v[220:221], v[110:111]
	s_waitcnt vmcnt(31)
	v_mul_f64 v[182:183], v[224:225], v[118:119]
	v_fmac_f64_e32 v[180:181], v[222:223], v[108:109]
	s_waitcnt vmcnt(30) lgkmcnt(13)
	v_mul_f64 v[184:185], v[234:235], v[122:123]
	v_fmac_f64_e32 v[182:183], v[226:227], v[116:117]
	v_add_f64 v[180:181], v[180:181], 0
	s_waitcnt vmcnt(29) lgkmcnt(12)
	v_mul_f64 v[186:187], v[242:243], v[126:127]
	v_fmac_f64_e32 v[184:185], v[236:237], v[120:121]
	v_add_f64 v[180:181], v[180:181], v[182:183]
	;; [unrolled: 4-line block ×13, first 2 shown]
	v_fmac_f64_e32 v[208:209], v[142:143], v[40:41]
	v_add_f64 v[180:181], v[180:181], v[206:207]
	v_add_f64 v[184:185], v[180:181], v[208:209]
	ds_read_b128 v[180:183], v2 offset:1232
	s_waitcnt vmcnt(17) lgkmcnt(1)
	v_mul_f64 v[186:187], v[136:137], v[46:47]
	v_fmac_f64_e32 v[186:187], v[138:139], v[44:45]
	v_add_f64 v[188:189], v[184:185], v[186:187]
	ds_read_b128 v[184:187], v2 offset:1248
	s_waitcnt vmcnt(16) lgkmcnt(1)
	v_mul_f64 v[190:191], v[180:181], v[50:51]
	v_fmac_f64_e32 v[190:191], v[182:183], v[48:49]
	;; [unrolled: 5-line block ×10, first 2 shown]
	v_mul_f64 v[110:111], v[222:223], v[110:111]
	v_add_f64 v[228:229], v[228:229], v[230:231]
	v_fma_f64 v[230:231], v[220:221], v[108:109], -v[110:111]
	ds_read_b128 v[108:111], v2 offset:1392
	s_waitcnt vmcnt(7) lgkmcnt(1)
	v_mul_f64 v[220:221], v[216:217], v[86:87]
	v_mul_f64 v[118:119], v[226:227], v[118:119]
	v_fmac_f64_e32 v[220:221], v[218:219], v[84:85]
	v_fma_f64 v[232:233], v[224:225], v[116:117], -v[118:119]
	ds_read_b128 v[116:119], v2 offset:1408
	s_waitcnt vmcnt(6) lgkmcnt(1)
	v_mul_f64 v[222:223], v[108:109], v[90:91]
	v_add_f64 v[220:221], v[228:229], v[220:221]
	v_fmac_f64_e32 v[222:223], v[110:111], v[88:89]
	v_add_f64 v[224:225], v[220:221], v[222:223]
	ds_read_b128 v[220:223], v2 offset:1424
	v_mul_f64 v[122:123], v[236:237], v[122:123]
	v_fma_f64 v[234:235], v[234:235], v[120:121], -v[122:123]
	ds_read_b128 v[120:123], v2 offset:1440
	s_waitcnt vmcnt(5) lgkmcnt(2)
	v_mul_f64 v[226:227], v[116:117], v[94:95]
	v_fmac_f64_e32 v[226:227], v[118:119], v[92:93]
	v_mul_f64 v[126:127], v[244:245], v[126:127]
	v_add_f64 v[224:225], v[224:225], v[226:227]
	s_waitcnt vmcnt(4) lgkmcnt(1)
	v_mul_f64 v[226:227], v[220:221], v[98:99]
	v_fma_f64 v[236:237], v[242:243], v[124:125], -v[126:127]
	ds_read_b128 v[124:127], v2 offset:1456
	v_fmac_f64_e32 v[226:227], v[222:223], v[96:97]
	v_add_f64 v[228:229], v[224:225], v[226:227]
	s_waitcnt vmcnt(3) lgkmcnt(1)
	v_mul_f64 v[238:239], v[120:121], v[102:103]
	ds_read_b128 v[224:227], v2 offset:1472
	v_fmac_f64_e32 v[238:239], v[122:123], v[100:101]
	v_mul_f64 v[130:131], v[252:253], v[130:131]
	v_add_f64 v[228:229], v[228:229], v[238:239]
	v_fma_f64 v[238:239], v[250:251], v[128:129], -v[130:131]
	ds_read_b128 v[128:131], v2 offset:1488
	s_waitcnt vmcnt(2) lgkmcnt(2)
	v_mul_f64 v[242:243], v[124:125], v[106:107]
	v_fmac_f64_e32 v[242:243], v[126:127], v[104:105]
	v_add_f64 v[228:229], v[228:229], v[242:243]
	s_waitcnt vmcnt(1) lgkmcnt(1)
	v_mul_f64 v[242:243], v[224:225], v[114:115]
	v_fmac_f64_e32 v[242:243], v[226:227], v[112:113]
	v_add_f64 v[228:229], v[228:229], v[242:243]
	;; [unrolled: 4-line block ×3, first 2 shown]
	scratch_load_dwordx4 v[242:245], off, off offset:224
	v_add_f64 v[230:231], v[230:231], 0
	v_add_f64 v[230:231], v[230:231], v[232:233]
	;; [unrolled: 1-line block ×4, first 2 shown]
	v_mul_f64 v[6:7], v[178:179], v[6:7]
	v_add_f64 v[230:231], v[230:231], v[238:239]
	v_fma_f64 v[4:5], v[176:177], v[4:5], -v[6:7]
	v_mul_f64 v[6:7], v[174:175], v[10:11]
	v_add_f64 v[4:5], v[230:231], v[4:5]
	v_fma_f64 v[6:7], v[172:173], v[8:9], -v[6:7]
	v_add_f64 v[4:5], v[4:5], v[6:7]
	v_mul_f64 v[6:7], v[170:171], v[14:15]
	v_fma_f64 v[6:7], v[168:169], v[12:13], -v[6:7]
	v_add_f64 v[4:5], v[4:5], v[6:7]
	v_mul_f64 v[6:7], v[166:167], v[18:19]
	v_fma_f64 v[6:7], v[164:165], v[16:17], -v[6:7]
	v_add_f64 v[4:5], v[4:5], v[6:7]
	v_mul_f64 v[6:7], v[162:163], v[22:23]
	v_fma_f64 v[6:7], v[160:161], v[20:21], -v[6:7]
	v_add_f64 v[4:5], v[4:5], v[6:7]
	v_mul_f64 v[6:7], v[158:159], v[26:27]
	v_fma_f64 v[6:7], v[156:157], v[24:25], -v[6:7]
	v_add_f64 v[4:5], v[4:5], v[6:7]
	v_mul_f64 v[6:7], v[154:155], v[30:31]
	v_fma_f64 v[6:7], v[152:153], v[28:29], -v[6:7]
	v_add_f64 v[4:5], v[4:5], v[6:7]
	v_mul_f64 v[6:7], v[150:151], v[34:35]
	v_fma_f64 v[6:7], v[148:149], v[32:33], -v[6:7]
	v_add_f64 v[4:5], v[4:5], v[6:7]
	v_mul_f64 v[6:7], v[146:147], v[38:39]
	v_fma_f64 v[6:7], v[144:145], v[36:37], -v[6:7]
	v_add_f64 v[4:5], v[4:5], v[6:7]
	v_mul_f64 v[6:7], v[142:143], v[42:43]
	v_fma_f64 v[6:7], v[140:141], v[40:41], -v[6:7]
	v_add_f64 v[4:5], v[4:5], v[6:7]
	v_mul_f64 v[6:7], v[138:139], v[46:47]
	v_fma_f64 v[6:7], v[136:137], v[44:45], -v[6:7]
	v_add_f64 v[4:5], v[4:5], v[6:7]
	v_mul_f64 v[6:7], v[182:183], v[50:51]
	v_fma_f64 v[6:7], v[180:181], v[48:49], -v[6:7]
	v_add_f64 v[4:5], v[4:5], v[6:7]
	v_mul_f64 v[6:7], v[186:187], v[54:55]
	v_fma_f64 v[6:7], v[184:185], v[52:53], -v[6:7]
	v_add_f64 v[4:5], v[4:5], v[6:7]
	v_mul_f64 v[6:7], v[190:191], v[58:59]
	v_fma_f64 v[6:7], v[188:189], v[56:57], -v[6:7]
	v_add_f64 v[4:5], v[4:5], v[6:7]
	v_mul_f64 v[6:7], v[194:195], v[62:63]
	v_fma_f64 v[6:7], v[192:193], v[60:61], -v[6:7]
	v_add_f64 v[4:5], v[4:5], v[6:7]
	v_mul_f64 v[6:7], v[198:199], v[66:67]
	v_fma_f64 v[6:7], v[196:197], v[64:65], -v[6:7]
	v_add_f64 v[4:5], v[4:5], v[6:7]
	v_mul_f64 v[6:7], v[202:203], v[70:71]
	v_fma_f64 v[6:7], v[200:201], v[68:69], -v[6:7]
	v_add_f64 v[4:5], v[4:5], v[6:7]
	v_mul_f64 v[6:7], v[206:207], v[74:75]
	v_fma_f64 v[6:7], v[204:205], v[72:73], -v[6:7]
	v_add_f64 v[4:5], v[4:5], v[6:7]
	v_mul_f64 v[6:7], v[210:211], v[78:79]
	v_fma_f64 v[6:7], v[208:209], v[76:77], -v[6:7]
	v_add_f64 v[4:5], v[4:5], v[6:7]
	v_mul_f64 v[6:7], v[214:215], v[82:83]
	v_fma_f64 v[6:7], v[212:213], v[80:81], -v[6:7]
	v_add_f64 v[4:5], v[4:5], v[6:7]
	v_mul_f64 v[6:7], v[218:219], v[86:87]
	v_fma_f64 v[6:7], v[216:217], v[84:85], -v[6:7]
	v_add_f64 v[4:5], v[4:5], v[6:7]
	v_mul_f64 v[6:7], v[110:111], v[90:91]
	v_fma_f64 v[6:7], v[108:109], v[88:89], -v[6:7]
	v_add_f64 v[4:5], v[4:5], v[6:7]
	v_mul_f64 v[6:7], v[118:119], v[94:95]
	v_fma_f64 v[6:7], v[116:117], v[92:93], -v[6:7]
	v_add_f64 v[4:5], v[4:5], v[6:7]
	v_mul_f64 v[6:7], v[222:223], v[98:99]
	v_fma_f64 v[6:7], v[220:221], v[96:97], -v[6:7]
	v_add_f64 v[4:5], v[4:5], v[6:7]
	v_mul_f64 v[6:7], v[122:123], v[102:103]
	v_fma_f64 v[6:7], v[120:121], v[100:101], -v[6:7]
	v_add_f64 v[4:5], v[4:5], v[6:7]
	v_mul_f64 v[6:7], v[126:127], v[106:107]
	v_fma_f64 v[6:7], v[124:125], v[104:105], -v[6:7]
	v_add_f64 v[4:5], v[4:5], v[6:7]
	v_mul_f64 v[6:7], v[226:227], v[114:115]
	v_fma_f64 v[6:7], v[224:225], v[112:113], -v[6:7]
	v_add_f64 v[4:5], v[4:5], v[6:7]
	v_mul_f64 v[6:7], v[130:131], v[134:135]
	v_fma_f64 v[6:7], v[128:129], v[132:133], -v[6:7]
	v_add_f64 v[4:5], v[4:5], v[6:7]
	s_waitcnt vmcnt(0)
	v_add_f64 v[4:5], v[242:243], -v[4:5]
	v_add_f64 v[6:7], v[244:245], -v[228:229]
	scratch_store_dwordx4 off, v[4:7], off offset:224
	s_and_saveexec_b64 s[0:1], vcc
	s_cbranch_execz .LBB110_271
; %bb.270:
	scratch_load_dwordx4 v[6:9], off, s51
	v_mov_b32_e32 v3, v2
	v_mov_b32_e32 v4, v2
	;; [unrolled: 1-line block ×3, first 2 shown]
	v_accvgpr_read_b32 v0, a95
	scratch_store_dwordx4 off, v[2:5], off offset:208
	s_waitcnt vmcnt(1)
	ds_write_b128 v0, v[6:9]
.LBB110_271:
	s_or_b64 exec, exec, s[0:1]
	s_waitcnt lgkmcnt(0)
	; wave barrier
	scratch_load_dwordx4 v[144:147], off, off offset:224
	scratch_load_dwordx4 v[152:155], off, off offset:240
	;; [unrolled: 1-line block ×16, first 2 shown]
	ds_read_b128 v[196:199], v2 offset:960
	ds_read_b128 v[188:191], v2 offset:976
	ds_read_b128 v[180:183], v2 offset:992
	scratch_load_dwordx4 v[48:51], off, off offset:480
	ds_read_b128 v[192:195], v2 offset:1008
	ds_read_b128 v[184:187], v2 offset:1024
	ds_read_b128 v[64:67], v2 offset:1040
	scratch_load_dwordx4 v[52:55], off, off offset:496
	;; [unrolled: 4-line block ×5, first 2 shown]
	ds_read_b128 v[116:119], v2 offset:1200
	ds_read_b128 v[112:115], v2 offset:1216
	scratch_load_dwordx4 v[108:111], off, off offset:560
	scratch_load_dwordx4 v[120:123], off, off offset:576
	;; [unrolled: 1-line block ×12, first 2 shown]
	v_cmp_lt_u32_e32 vcc, 11, v240
	s_waitcnt vmcnt(32) lgkmcnt(14)
	v_mul_f64 v[204:205], v[196:197], v[146:147]
	s_waitcnt vmcnt(31)
	v_mul_f64 v[206:207], v[188:189], v[154:155]
	v_fmac_f64_e32 v[204:205], v[198:199], v[144:145]
	s_waitcnt vmcnt(30)
	v_mul_f64 v[208:209], v[180:181], v[158:159]
	v_fmac_f64_e32 v[206:207], v[190:191], v[152:153]
	v_add_f64 v[204:205], v[204:205], 0
	s_waitcnt vmcnt(29) lgkmcnt(13)
	v_mul_f64 v[210:211], v[192:193], v[162:163]
	v_fmac_f64_e32 v[208:209], v[182:183], v[156:157]
	v_add_f64 v[204:205], v[204:205], v[206:207]
	s_waitcnt vmcnt(28) lgkmcnt(12)
	;; [unrolled: 4-line block ×12, first 2 shown]
	v_mul_f64 v[232:233], v[96:97], v[42:43]
	v_fmac_f64_e32 v[230:231], v[102:103], v[36:37]
	v_add_f64 v[204:205], v[204:205], v[228:229]
	v_fmac_f64_e32 v[232:233], v[98:99], v[40:41]
	v_add_f64 v[204:205], v[204:205], v[230:231]
	s_waitcnt vmcnt(17) lgkmcnt(1)
	v_mul_f64 v[206:207], v[116:117], v[46:47]
	v_add_f64 v[204:205], v[204:205], v[232:233]
	v_fmac_f64_e32 v[206:207], v[118:119], v[44:45]
	s_waitcnt vmcnt(16) lgkmcnt(0)
	v_mul_f64 v[210:211], v[112:113], v[50:51]
	v_add_f64 v[208:209], v[204:205], v[206:207]
	ds_read_b128 v[204:207], v2 offset:1232
	v_fmac_f64_e32 v[210:211], v[114:115], v[48:49]
	v_add_f64 v[212:213], v[208:209], v[210:211]
	ds_read_b128 v[208:211], v2 offset:1248
	v_mul_f64 v[146:147], v[198:199], v[146:147]
	s_waitcnt vmcnt(15) lgkmcnt(1)
	v_mul_f64 v[214:215], v[204:205], v[54:55]
	v_fmac_f64_e32 v[214:215], v[206:207], v[52:53]
	v_add_f64 v[216:217], v[212:213], v[214:215]
	s_waitcnt vmcnt(14) lgkmcnt(0)
	v_mul_f64 v[218:219], v[208:209], v[58:59]
	ds_read_b128 v[212:215], v2 offset:1264
	v_fmac_f64_e32 v[218:219], v[210:211], v[56:57]
	v_add_f64 v[220:221], v[216:217], v[218:219]
	ds_read_b128 v[216:219], v2 offset:1280
	v_mul_f64 v[154:155], v[190:191], v[154:155]
	s_waitcnt vmcnt(13) lgkmcnt(1)
	v_mul_f64 v[222:223], v[212:213], v[62:63]
	v_fmac_f64_e32 v[222:223], v[214:215], v[60:61]
	v_add_f64 v[224:225], v[220:221], v[222:223]
	s_waitcnt vmcnt(12) lgkmcnt(0)
	v_mul_f64 v[226:227], v[216:217], v[94:95]
	ds_read_b128 v[220:223], v2 offset:1296
	v_fmac_f64_e32 v[226:227], v[218:219], v[92:93]
	v_add_f64 v[228:229], v[224:225], v[226:227]
	ds_read_b128 v[224:227], v2 offset:1312
	v_fma_f64 v[250:251], v[188:189], v[152:153], -v[154:155]
	s_waitcnt vmcnt(11) lgkmcnt(1)
	v_mul_f64 v[230:231], v[220:221], v[110:111]
	v_fmac_f64_e32 v[230:231], v[222:223], v[108:109]
	v_add_f64 v[232:233], v[228:229], v[230:231]
	s_waitcnt vmcnt(10) lgkmcnt(0)
	v_mul_f64 v[234:235], v[224:225], v[122:123]
	ds_read_b128 v[228:231], v2 offset:1328
	v_fmac_f64_e32 v[234:235], v[226:227], v[120:121]
	v_add_f64 v[236:237], v[232:233], v[234:235]
	ds_read_b128 v[232:235], v2 offset:1344
	ds_read_b128 v[152:155], v2 offset:1392
	s_waitcnt vmcnt(9) lgkmcnt(2)
	v_mul_f64 v[238:239], v[228:229], v[126:127]
	v_fmac_f64_e32 v[238:239], v[230:231], v[124:125]
	v_add_f64 v[242:243], v[236:237], v[238:239]
	s_waitcnt vmcnt(8) lgkmcnt(1)
	v_mul_f64 v[244:245], v[232:233], v[130:131]
	ds_read_b128 v[236:239], v2 offset:1360
	v_fmac_f64_e32 v[244:245], v[234:235], v[128:129]
	v_add_f64 v[242:243], v[242:243], v[244:245]
	v_fma_f64 v[244:245], v[196:197], v[144:145], -v[146:147]
	ds_read_b128 v[144:147], v2 offset:1376
	s_waitcnt vmcnt(7) lgkmcnt(1)
	v_mul_f64 v[196:197], v[236:237], v[134:135]
	v_fmac_f64_e32 v[196:197], v[238:239], v[132:133]
	v_add_f64 v[188:189], v[242:243], v[196:197]
	v_mul_f64 v[158:159], v[182:183], v[158:159]
	s_waitcnt vmcnt(6) lgkmcnt(0)
	v_mul_f64 v[190:191], v[144:145], v[138:139]
	v_fmac_f64_e32 v[190:191], v[146:147], v[136:137]
	v_add_f64 v[196:197], v[188:189], v[190:191]
	ds_read_b128 v[188:191], v2 offset:1408
	v_fma_f64 v[242:243], v[180:181], v[156:157], -v[158:159]
	ds_read_b128 v[156:159], v2 offset:1424
	s_waitcnt vmcnt(5)
	v_mul_f64 v[198:199], v[152:153], v[142:143]
	v_fmac_f64_e32 v[198:199], v[154:155], v[140:141]
	s_waitcnt vmcnt(4) lgkmcnt(1)
	v_mul_f64 v[180:181], v[188:189], v[150:151]
	v_add_f64 v[196:197], v[196:197], v[198:199]
	v_fmac_f64_e32 v[180:181], v[190:191], v[148:149]
	v_mul_f64 v[162:163], v[194:195], v[162:163]
	v_add_f64 v[198:199], v[196:197], v[180:181]
	v_fma_f64 v[196:197], v[192:193], v[160:161], -v[162:163]
	ds_read_b128 v[160:163], v2 offset:1440
	s_waitcnt vmcnt(3) lgkmcnt(1)
	v_mul_f64 v[192:193], v[156:157], v[166:167]
	ds_read_b128 v[180:183], v2 offset:1456
	v_fmac_f64_e32 v[192:193], v[158:159], v[164:165]
	v_mul_f64 v[170:171], v[186:187], v[170:171]
	v_add_f64 v[192:193], v[198:199], v[192:193]
	v_fma_f64 v[198:199], v[184:185], v[168:169], -v[170:171]
	ds_read_b128 v[168:171], v2 offset:1472
	s_waitcnt vmcnt(2) lgkmcnt(2)
	v_mul_f64 v[184:185], v[160:161], v[174:175]
	v_fmac_f64_e32 v[184:185], v[162:163], v[172:173]
	s_waitcnt vmcnt(1) lgkmcnt(1)
	v_mul_f64 v[186:187], v[180:181], v[178:179]
	v_add_f64 v[184:185], v[192:193], v[184:185]
	v_fmac_f64_e32 v[186:187], v[182:183], v[176:177]
	v_add_f64 v[184:185], v[184:185], v[186:187]
	s_waitcnt vmcnt(0) lgkmcnt(0)
	v_mul_f64 v[186:187], v[168:169], v[202:203]
	v_fmac_f64_e32 v[186:187], v[170:171], v[200:201]
	v_add_f64 v[252:253], v[184:185], v[186:187]
	scratch_load_dwordx4 v[184:187], off, off offset:752
	v_add_f64 v[244:245], v[244:245], 0
	v_add_f64 v[244:245], v[244:245], v[250:251]
	;; [unrolled: 1-line block ×3, first 2 shown]
	scratch_load_dwordx4 v[242:245], off, off offset:208
	v_add_f64 v[196:197], v[250:251], v[196:197]
	v_mul_f64 v[6:7], v[66:67], v[6:7]
	v_add_f64 v[196:197], v[196:197], v[198:199]
	v_fma_f64 v[4:5], v[64:65], v[4:5], -v[6:7]
	v_mul_f64 v[6:7], v[78:79], v[10:11]
	v_add_f64 v[4:5], v[196:197], v[4:5]
	v_fma_f64 v[6:7], v[76:77], v[8:9], -v[6:7]
	v_add_f64 v[4:5], v[4:5], v[6:7]
	v_mul_f64 v[6:7], v[74:75], v[14:15]
	v_fma_f64 v[6:7], v[72:73], v[12:13], -v[6:7]
	v_add_f64 v[4:5], v[4:5], v[6:7]
	v_mul_f64 v[6:7], v[70:71], v[18:19]
	;; [unrolled: 3-line block ×24, first 2 shown]
	ds_read_b128 v[192:195], v2 offset:1488
	v_fma_f64 v[6:7], v[160:161], v[172:173], -v[6:7]
	v_add_f64 v[4:5], v[4:5], v[6:7]
	v_mul_f64 v[6:7], v[182:183], v[178:179]
	v_fma_f64 v[6:7], v[180:181], v[176:177], -v[6:7]
	v_add_f64 v[4:5], v[4:5], v[6:7]
	v_mul_f64 v[6:7], v[170:171], v[202:203]
	v_fma_f64 v[6:7], v[168:169], v[200:201], -v[6:7]
	s_waitcnt vmcnt(1) lgkmcnt(0)
	v_mul_f64 v[2:3], v[192:193], v[186:187]
	v_add_f64 v[4:5], v[4:5], v[6:7]
	v_mul_f64 v[6:7], v[194:195], v[186:187]
	v_fmac_f64_e32 v[2:3], v[194:195], v[184:185]
	v_fma_f64 v[6:7], v[192:193], v[184:185], -v[6:7]
	v_add_f64 v[2:3], v[252:253], v[2:3]
	v_add_f64 v[4:5], v[4:5], v[6:7]
	s_waitcnt vmcnt(0)
	v_add_f64 v[4:5], v[242:243], -v[4:5]
	v_add_f64 v[6:7], v[244:245], -v[2:3]
	scratch_store_dwordx4 off, v[4:7], off offset:208
	s_and_saveexec_b64 s[0:1], vcc
	s_cbranch_execz .LBB110_273
; %bb.272:
	scratch_load_dwordx4 v[2:5], off, s52
	v_mov_b32_e32 v6, 0
	v_mov_b32_e32 v7, v6
	;; [unrolled: 1-line block ×4, first 2 shown]
	v_accvgpr_read_b32 v0, a95
	scratch_store_dwordx4 off, v[6:9], off offset:192
	s_waitcnt vmcnt(1)
	ds_write_b128 v0, v[2:5]
.LBB110_273:
	s_or_b64 exec, exec, s[0:1]
	s_waitcnt lgkmcnt(0)
	; wave barrier
	scratch_load_dwordx4 v[184:187], off, off offset:208
	scratch_load_dwordx4 v[188:191], off, off offset:224
	;; [unrolled: 1-line block ×32, first 2 shown]
	v_mov_b32_e32 v2, 0
	ds_read_b128 v[192:195], v2 offset:944
	ds_read_b128 v[204:207], v2 offset:960
	;; [unrolled: 1-line block ×16, first 2 shown]
	v_cmp_lt_u32_e32 vcc, 10, v240
	s_waitcnt vmcnt(31) lgkmcnt(14)
	v_mul_f64 v[104:105], v[192:193], v[186:187]
	s_waitcnt vmcnt(30)
	v_mul_f64 v[106:107], v[204:205], v[190:191]
	v_fmac_f64_e32 v[104:105], v[194:195], v[184:185]
	s_waitcnt vmcnt(29) lgkmcnt(13)
	v_mul_f64 v[112:113], v[216:217], v[198:199]
	v_fmac_f64_e32 v[106:107], v[206:207], v[188:189]
	v_add_f64 v[104:105], v[104:105], 0
	s_waitcnt vmcnt(28) lgkmcnt(12)
	v_mul_f64 v[114:115], v[224:225], v[202:203]
	v_fmac_f64_e32 v[112:113], v[218:219], v[196:197]
	v_add_f64 v[104:105], v[104:105], v[106:107]
	;; [unrolled: 4-line block ×10, first 2 shown]
	ds_read_b128 v[152:155], v2 offset:1200
	ds_read_b128 v[156:159], v2 offset:1216
	s_waitcnt vmcnt(19) lgkmcnt(5)
	v_mul_f64 v[164:165], v[124:125], v[26:27]
	v_fmac_f64_e32 v[162:163], v[134:135], v[20:21]
	v_add_f64 v[104:105], v[104:105], v[160:161]
	s_waitcnt vmcnt(18) lgkmcnt(4)
	v_mul_f64 v[166:167], v[120:121], v[30:31]
	v_fmac_f64_e32 v[164:165], v[126:127], v[24:25]
	v_add_f64 v[104:105], v[104:105], v[162:163]
	;; [unrolled: 4-line block ×4, first 2 shown]
	v_add_f64 v[112:113], v[104:105], v[168:169]
	v_fmac_f64_e32 v[170:171], v[110:111], v[36:37]
	scratch_load_dwordx4 v[104:107], off, off offset:720
	s_waitcnt vmcnt(16) lgkmcnt(1)
	v_mul_f64 v[114:115], v[152:153], v[42:43]
	v_add_f64 v[112:113], v[112:113], v[170:171]
	v_fmac_f64_e32 v[114:115], v[154:155], v[40:41]
	v_add_f64 v[128:129], v[112:113], v[114:115]
	scratch_load_dwordx4 v[112:115], off, off offset:736
	s_waitcnt vmcnt(16) lgkmcnt(0)
	v_mul_f64 v[130:131], v[156:157], v[46:47]
	v_fmac_f64_e32 v[130:131], v[158:159], v[44:45]
	v_add_f64 v[168:169], v[128:129], v[130:131]
	scratch_load_dwordx4 v[128:131], off, off offset:752
	ds_read_b128 v[160:163], v2 offset:1232
	ds_read_b128 v[164:167], v2 offset:1248
	v_mul_f64 v[186:187], v[194:195], v[186:187]
	v_fma_f64 v[254:255], v[192:193], v[184:185], -v[186:187]
	ds_read_b128 v[184:187], v2 offset:1328
	s_waitcnt vmcnt(16) lgkmcnt(2)
	v_mul_f64 v[170:171], v[160:161], v[50:51]
	v_fmac_f64_e32 v[170:171], v[162:163], v[48:49]
	s_waitcnt vmcnt(15) lgkmcnt(1)
	v_mul_f64 v[174:175], v[164:165], v[54:55]
	v_add_f64 v[172:173], v[168:169], v[170:171]
	ds_read_b128 v[168:171], v2 offset:1264
	v_fmac_f64_e32 v[174:175], v[166:167], v[52:53]
	v_add_f64 v[176:177], v[172:173], v[174:175]
	ds_read_b128 v[172:175], v2 offset:1280
	v_mul_f64 v[190:191], v[206:207], v[190:191]
	s_waitcnt vmcnt(14) lgkmcnt(1)
	v_mul_f64 v[178:179], v[168:169], v[58:59]
	v_fmac_f64_e32 v[178:179], v[170:171], v[56:57]
	v_add_f64 v[180:181], v[176:177], v[178:179]
	s_waitcnt vmcnt(13) lgkmcnt(0)
	v_mul_f64 v[182:183], v[172:173], v[62:63]
	ds_read_b128 v[176:179], v2 offset:1296
	v_fmac_f64_e32 v[182:183], v[174:175], v[60:61]
	v_add_f64 v[232:233], v[180:181], v[182:183]
	ds_read_b128 v[180:183], v2 offset:1312
	v_fma_f64 v[246:247], v[204:205], v[188:189], -v[190:191]
	s_waitcnt vmcnt(12) lgkmcnt(1)
	v_mul_f64 v[234:235], v[176:177], v[66:67]
	v_fmac_f64_e32 v[234:235], v[178:179], v[64:65]
	v_add_f64 v[232:233], v[232:233], v[234:235]
	s_waitcnt vmcnt(11) lgkmcnt(0)
	v_mul_f64 v[192:193], v[180:181], v[70:71]
	v_fmac_f64_e32 v[192:193], v[182:183], v[68:69]
	ds_read_b128 v[188:191], v2 offset:1344
	s_waitcnt vmcnt(10)
	v_mul_f64 v[194:195], v[184:185], v[74:75]
	v_add_f64 v[192:193], v[232:233], v[192:193]
	v_fmac_f64_e32 v[194:195], v[186:187], v[72:73]
	v_add_f64 v[204:205], v[192:193], v[194:195]
	ds_read_b128 v[192:195], v2 offset:1360
	v_mul_f64 v[198:199], v[218:219], v[198:199]
	v_fma_f64 v[248:249], v[216:217], v[196:197], -v[198:199]
	ds_read_b128 v[196:199], v2 offset:1376
	s_waitcnt vmcnt(9) lgkmcnt(2)
	v_mul_f64 v[206:207], v[188:189], v[78:79]
	v_fmac_f64_e32 v[206:207], v[190:191], v[76:77]
	v_add_f64 v[204:205], v[204:205], v[206:207]
	s_waitcnt vmcnt(8) lgkmcnt(1)
	v_mul_f64 v[206:207], v[192:193], v[82:83]
	v_fmac_f64_e32 v[206:207], v[194:195], v[80:81]
	v_mul_f64 v[202:203], v[226:227], v[202:203]
	v_add_f64 v[204:205], v[204:205], v[206:207]
	v_fma_f64 v[234:235], v[224:225], v[200:201], -v[202:203]
	ds_read_b128 v[200:203], v2 offset:1392
	s_waitcnt vmcnt(7) lgkmcnt(1)
	v_mul_f64 v[206:207], v[196:197], v[86:87]
	v_fmac_f64_e32 v[206:207], v[198:199], v[84:85]
	v_add_f64 v[216:217], v[204:205], v[206:207]
	ds_read_b128 v[204:207], v2 offset:1408
	v_mul_f64 v[210:211], v[230:231], v[210:211]
	v_fma_f64 v[236:237], v[228:229], v[208:209], -v[210:211]
	ds_read_b128 v[208:211], v2 offset:1424
	s_waitcnt vmcnt(6) lgkmcnt(2)
	v_mul_f64 v[218:219], v[200:201], v[90:91]
	v_fmac_f64_e32 v[218:219], v[202:203], v[88:89]
	v_add_f64 v[216:217], v[216:217], v[218:219]
	s_waitcnt vmcnt(5) lgkmcnt(1)
	v_mul_f64 v[218:219], v[204:205], v[94:95]
	v_fmac_f64_e32 v[218:219], v[206:207], v[92:93]
	v_mul_f64 v[214:215], v[244:245], v[214:215]
	v_fma_f64 v[238:239], v[242:243], v[212:213], -v[214:215]
	ds_read_b128 v[212:215], v2 offset:1440
	v_add_f64 v[216:217], v[216:217], v[218:219]
	s_waitcnt vmcnt(4) lgkmcnt(1)
	v_mul_f64 v[218:219], v[208:209], v[102:103]
	v_fmac_f64_e32 v[218:219], v[210:211], v[100:101]
	v_add_f64 v[224:225], v[216:217], v[218:219]
	ds_read_b128 v[216:219], v2 offset:1456
	v_mul_f64 v[222:223], v[252:253], v[222:223]
	v_fma_f64 v[250:251], v[250:251], v[220:221], -v[222:223]
	ds_read_b128 v[220:223], v2 offset:1472
	s_waitcnt vmcnt(3) lgkmcnt(2)
	v_mul_f64 v[226:227], v[212:213], v[98:99]
	v_fmac_f64_e32 v[226:227], v[214:215], v[96:97]
	v_add_f64 v[224:225], v[224:225], v[226:227]
	s_waitcnt vmcnt(2) lgkmcnt(1)
	v_mul_f64 v[226:227], v[216:217], v[106:107]
	v_fmac_f64_e32 v[226:227], v[218:219], v[104:105]
	v_add_f64 v[224:225], v[224:225], v[226:227]
	;; [unrolled: 4-line block ×3, first 2 shown]
	ds_read_b128 v[224:227], v2 offset:1488
	v_mul_f64 v[6:7], v[150:151], v[6:7]
	v_fma_f64 v[4:5], v[148:149], v[4:5], -v[6:7]
	v_mul_f64 v[6:7], v[146:147], v[10:11]
	v_fma_f64 v[6:7], v[144:145], v[8:9], -v[6:7]
	s_waitcnt vmcnt(0) lgkmcnt(0)
	v_mul_f64 v[230:231], v[224:225], v[130:131]
	v_fmac_f64_e32 v[230:231], v[226:227], v[128:129]
	v_add_f64 v[232:233], v[228:229], v[230:231]
	v_add_f64 v[228:229], v[254:255], 0
	;; [unrolled: 1-line block ×4, first 2 shown]
	scratch_load_dwordx4 v[228:231], off, off offset:192
	v_add_f64 v[234:235], v[252:253], v[234:235]
	v_add_f64 v[234:235], v[234:235], v[236:237]
	v_add_f64 v[234:235], v[234:235], v[238:239]
	v_add_f64 v[234:235], v[234:235], v[250:251]
	v_add_f64 v[4:5], v[234:235], v[4:5]
	v_add_f64 v[4:5], v[4:5], v[6:7]
	v_mul_f64 v[6:7], v[142:143], v[14:15]
	v_fma_f64 v[6:7], v[140:141], v[12:13], -v[6:7]
	v_add_f64 v[4:5], v[4:5], v[6:7]
	v_mul_f64 v[6:7], v[138:139], v[18:19]
	v_fma_f64 v[6:7], v[136:137], v[16:17], -v[6:7]
	v_add_f64 v[4:5], v[4:5], v[6:7]
	;; [unrolled: 3-line block ×26, first 2 shown]
	s_waitcnt vmcnt(0)
	v_add_f64 v[4:5], v[228:229], -v[4:5]
	v_add_f64 v[6:7], v[230:231], -v[232:233]
	scratch_store_dwordx4 off, v[4:7], off offset:192
	s_and_saveexec_b64 s[0:1], vcc
	s_cbranch_execz .LBB110_275
; %bb.274:
	scratch_load_dwordx4 v[6:9], off, s53
	v_mov_b32_e32 v3, v2
	v_mov_b32_e32 v4, v2
	;; [unrolled: 1-line block ×3, first 2 shown]
	v_accvgpr_read_b32 v0, a95
	scratch_store_dwordx4 off, v[2:5], off offset:176
	s_waitcnt vmcnt(1)
	ds_write_b128 v0, v[6:9]
.LBB110_275:
	s_or_b64 exec, exec, s[0:1]
	s_waitcnt lgkmcnt(0)
	; wave barrier
	scratch_load_dwordx4 v[140:143], off, off offset:192
	scratch_load_dwordx4 v[144:147], off, off offset:208
	scratch_load_dwordx4 v[148:151], off, off offset:224
	scratch_load_dwordx4 v[152:155], off, off offset:240
	scratch_load_dwordx4 v[156:159], off, off offset:256
	scratch_load_dwordx4 v[160:163], off, off offset:272
	scratch_load_dwordx4 v[164:167], off, off offset:288
	scratch_load_dwordx4 v[4:7], off, off offset:304
	scratch_load_dwordx4 v[8:11], off, off offset:320
	scratch_load_dwordx4 v[12:15], off, off offset:336
	scratch_load_dwordx4 v[16:19], off, off offset:352
	scratch_load_dwordx4 v[20:23], off, off offset:368
	scratch_load_dwordx4 v[24:27], off, off offset:384
	scratch_load_dwordx4 v[28:31], off, off offset:400
	scratch_load_dwordx4 v[32:35], off, off offset:416
	scratch_load_dwordx4 v[36:39], off, off offset:432
	ds_read_b128 v[208:211], v2 offset:928
	ds_read_b128 v[200:203], v2 offset:944
	ds_read_b128 v[188:191], v2 offset:960
	scratch_load_dwordx4 v[40:43], off, off offset:448
	ds_read_b128 v[204:207], v2 offset:976
	ds_read_b128 v[192:195], v2 offset:992
	;; [unrolled: 1-line block ×3, first 2 shown]
	scratch_load_dwordx4 v[44:47], off, off offset:464
	ds_read_b128 v[196:199], v2 offset:1024
	ds_read_b128 v[64:67], v2 offset:1040
	;; [unrolled: 1-line block ×4, first 2 shown]
	scratch_load_dwordx4 v[48:51], off, off offset:480
	ds_read_b128 v[72:75], v2 offset:1088
	ds_read_b128 v[68:71], v2 offset:1104
	scratch_load_dwordx4 v[56:59], off, off offset:496
	ds_read_b128 v[92:95], v2 offset:1120
	ds_read_b128 v[88:91], v2 offset:1136
	;; [unrolled: 1-line block ×4, first 2 shown]
	scratch_load_dwordx4 v[76:79], off, off offset:512
	scratch_load_dwordx4 v[96:99], off, off offset:528
	;; [unrolled: 1-line block ×12, first 2 shown]
	ds_read_b128 v[168:171], v2 offset:1184
	v_accvgpr_write_b32 a94, v240
	v_cmp_lt_u32_e32 vcc, 9, v240
	s_waitcnt vmcnt(31) lgkmcnt(14)
	v_mul_f64 v[172:173], v[208:209], v[142:143]
	s_waitcnt vmcnt(30)
	v_mul_f64 v[174:175], v[200:201], v[146:147]
	v_fmac_f64_e32 v[172:173], v[210:211], v[140:141]
	s_waitcnt vmcnt(29)
	v_mul_f64 v[176:177], v[188:189], v[150:151]
	v_fmac_f64_e32 v[174:175], v[202:203], v[144:145]
	v_add_f64 v[172:173], v[172:173], 0
	s_waitcnt vmcnt(28) lgkmcnt(13)
	v_mul_f64 v[178:179], v[204:205], v[154:155]
	v_fmac_f64_e32 v[176:177], v[190:191], v[148:149]
	v_add_f64 v[172:173], v[172:173], v[174:175]
	s_waitcnt vmcnt(27) lgkmcnt(12)
	;; [unrolled: 4-line block ×10, first 2 shown]
	v_mul_f64 v[224:225], v[92:93], v[26:27]
	v_fmac_f64_e32 v[222:223], v[70:71], v[20:21]
	v_add_f64 v[172:173], v[172:173], v[220:221]
	ds_read_b128 v[212:215], v2 offset:1200
	s_waitcnt vmcnt(18) lgkmcnt(4)
	v_mul_f64 v[226:227], v[88:89], v[30:31]
	v_fmac_f64_e32 v[224:225], v[94:95], v[24:25]
	v_add_f64 v[172:173], v[172:173], v[222:223]
	ds_read_b128 v[216:219], v2 offset:1216
	ds_read_b128 v[220:223], v2 offset:1232
	s_waitcnt vmcnt(17) lgkmcnt(5)
	v_mul_f64 v[228:229], v[84:85], v[34:35]
	v_fmac_f64_e32 v[226:227], v[90:91], v[28:29]
	v_add_f64 v[172:173], v[172:173], v[224:225]
	s_waitcnt vmcnt(16) lgkmcnt(4)
	v_mul_f64 v[230:231], v[80:81], v[38:39]
	v_fmac_f64_e32 v[228:229], v[86:87], v[32:33]
	v_add_f64 v[172:173], v[172:173], v[226:227]
	v_add_f64 v[176:177], v[172:173], v[228:229]
	v_fmac_f64_e32 v[230:231], v[82:83], v[36:37]
	s_waitcnt vmcnt(15) lgkmcnt(3)
	v_mul_f64 v[178:179], v[168:169], v[42:43]
	v_add_f64 v[176:177], v[176:177], v[230:231]
	v_fmac_f64_e32 v[178:179], v[170:171], v[40:41]
	s_waitcnt vmcnt(14) lgkmcnt(2)
	v_mul_f64 v[182:183], v[212:213], v[46:47]
	;; [unrolled: 4-line block ×3, first 2 shown]
	v_add_f64 v[224:225], v[180:181], v[182:183]
	v_fmac_f64_e32 v[226:227], v[218:219], v[48:49]
	v_add_f64 v[228:229], v[224:225], v[226:227]
	ds_read_b128 v[224:227], v2 offset:1248
	s_waitcnt vmcnt(12) lgkmcnt(1)
	v_mul_f64 v[230:231], v[220:221], v[58:59]
	v_fmac_f64_e32 v[230:231], v[222:223], v[56:57]
	v_add_f64 v[232:233], v[228:229], v[230:231]
	ds_read_b128 v[228:231], v2 offset:1264
	s_waitcnt vmcnt(11) lgkmcnt(1)
	v_mul_f64 v[234:235], v[224:225], v[78:79]
	v_fmac_f64_e32 v[234:235], v[226:227], v[76:77]
	v_add_f64 v[236:237], v[232:233], v[234:235]
	ds_read_b128 v[232:235], v2 offset:1280
	s_waitcnt vmcnt(10) lgkmcnt(1)
	v_mul_f64 v[238:239], v[228:229], v[98:99]
	v_fmac_f64_e32 v[238:239], v[230:231], v[96:97]
	v_add_f64 v[242:243], v[236:237], v[238:239]
	ds_read_b128 v[236:239], v2 offset:1296
	s_waitcnt vmcnt(9) lgkmcnt(1)
	v_mul_f64 v[244:245], v[232:233], v[102:103]
	v_fmac_f64_e32 v[244:245], v[234:235], v[100:101]
	v_mul_f64 v[142:143], v[210:211], v[142:143]
	v_add_f64 v[242:243], v[242:243], v[244:245]
	v_fma_f64 v[244:245], v[208:209], v[140:141], -v[142:143]
	ds_read_b128 v[140:143], v2 offset:1312
	s_waitcnt vmcnt(8) lgkmcnt(1)
	v_mul_f64 v[208:209], v[236:237], v[106:107]
	v_fmac_f64_e32 v[208:209], v[238:239], v[104:105]
	v_mul_f64 v[146:147], v[202:203], v[146:147]
	v_add_f64 v[208:209], v[242:243], v[208:209]
	v_fma_f64 v[242:243], v[200:201], v[144:145], -v[146:147]
	ds_read_b128 v[144:147], v2 offset:1328
	s_waitcnt vmcnt(7) lgkmcnt(1)
	v_mul_f64 v[200:201], v[140:141], v[110:111]
	scratch_load_dwordx4 v[172:175], off, off offset:704
	v_fmac_f64_e32 v[200:201], v[142:143], v[108:109]
	v_add_f64 v[208:209], v[208:209], v[200:201]
	ds_read_b128 v[200:203], v2 offset:1344
	v_mul_f64 v[150:151], v[190:191], v[150:151]
	scratch_load_dwordx4 v[176:179], off, off offset:720
	scratch_load_dwordx4 v[180:183], off, off offset:736
	v_fma_f64 v[246:247], v[188:189], v[148:149], -v[150:151]
	ds_read_b128 v[148:151], v2 offset:1360
	s_waitcnt vmcnt(9) lgkmcnt(2)
	v_mul_f64 v[210:211], v[144:145], v[114:115]
	v_fmac_f64_e32 v[210:211], v[146:147], v[112:113]
	s_waitcnt vmcnt(8) lgkmcnt(1)
	v_mul_f64 v[188:189], v[200:201], v[118:119]
	v_add_f64 v[208:209], v[208:209], v[210:211]
	v_fmac_f64_e32 v[188:189], v[202:203], v[116:117]
	v_mul_f64 v[154:155], v[206:207], v[154:155]
	s_waitcnt vmcnt(7) lgkmcnt(0)
	v_mul_f64 v[190:191], v[148:149], v[122:123]
	v_add_f64 v[188:189], v[208:209], v[188:189]
	v_fma_f64 v[248:249], v[204:205], v[152:153], -v[154:155]
	ds_read_b128 v[152:155], v2 offset:1376
	v_fmac_f64_e32 v[190:191], v[150:151], v[120:121]
	v_add_f64 v[204:205], v[188:189], v[190:191]
	ds_read_b128 v[188:191], v2 offset:1392
	v_mul_f64 v[158:159], v[194:195], v[158:159]
	s_waitcnt vmcnt(6) lgkmcnt(1)
	v_mul_f64 v[206:207], v[152:153], v[126:127]
	v_fmac_f64_e32 v[206:207], v[154:155], v[124:125]
	v_fma_f64 v[250:251], v[192:193], v[156:157], -v[158:159]
	s_waitcnt vmcnt(5) lgkmcnt(0)
	v_mul_f64 v[192:193], v[188:189], v[130:131]
	v_add_f64 v[204:205], v[204:205], v[206:207]
	v_fmac_f64_e32 v[192:193], v[190:191], v[128:129]
	v_mul_f64 v[162:163], v[186:187], v[162:163]
	v_add_f64 v[244:245], v[244:245], 0
	v_fma_f64 v[208:209], v[184:185], v[160:161], -v[162:163]
	v_add_f64 v[184:185], v[204:205], v[192:193]
	scratch_load_dwordx4 v[204:207], off, off offset:752
	v_add_f64 v[242:243], v[244:245], v[242:243]
	v_add_f64 v[242:243], v[242:243], v[246:247]
	;; [unrolled: 1-line block ×4, first 2 shown]
	scratch_load_dwordx4 v[242:245], off, off offset:176
	v_mul_f64 v[166:167], v[198:199], v[166:167]
	v_fma_f64 v[210:211], v[196:197], v[164:165], -v[166:167]
	v_add_f64 v[208:209], v[250:251], v[208:209]
	v_mul_f64 v[6:7], v[66:67], v[6:7]
	v_add_f64 v[208:209], v[208:209], v[210:211]
	v_fma_f64 v[4:5], v[64:65], v[4:5], -v[6:7]
	v_mul_f64 v[6:7], v[62:63], v[10:11]
	v_add_f64 v[4:5], v[208:209], v[4:5]
	v_fma_f64 v[6:7], v[60:61], v[8:9], -v[6:7]
	v_add_f64 v[4:5], v[4:5], v[6:7]
	v_mul_f64 v[6:7], v[54:55], v[14:15]
	v_fma_f64 v[6:7], v[52:53], v[12:13], -v[6:7]
	v_add_f64 v[4:5], v[4:5], v[6:7]
	v_mul_f64 v[6:7], v[74:75], v[18:19]
	;; [unrolled: 3-line block ×12, first 2 shown]
	v_fma_f64 v[6:7], v[224:225], v[76:77], -v[6:7]
	ds_read_b128 v[156:159], v2 offset:1408
	ds_read_b128 v[160:163], v2 offset:1424
	v_add_f64 v[4:5], v[4:5], v[6:7]
	v_mul_f64 v[6:7], v[230:231], v[98:99]
	v_fma_f64 v[6:7], v[228:229], v[96:97], -v[6:7]
	v_add_f64 v[4:5], v[4:5], v[6:7]
	v_mul_f64 v[6:7], v[234:235], v[102:103]
	v_fma_f64 v[6:7], v[232:233], v[100:101], -v[6:7]
	v_add_f64 v[4:5], v[4:5], v[6:7]
	v_mul_f64 v[6:7], v[238:239], v[106:107]
	s_waitcnt vmcnt(6) lgkmcnt(1)
	v_mul_f64 v[186:187], v[156:157], v[138:139]
	v_fma_f64 v[6:7], v[236:237], v[104:105], -v[6:7]
	v_fmac_f64_e32 v[186:187], v[158:159], v[136:137]
	v_add_f64 v[4:5], v[4:5], v[6:7]
	v_mul_f64 v[6:7], v[142:143], v[110:111]
	v_add_f64 v[192:193], v[184:185], v[186:187]
	ds_read_b128 v[184:187], v2 offset:1440
	ds_read_b128 v[164:167], v2 offset:1456
	v_fma_f64 v[6:7], v[140:141], v[108:109], -v[6:7]
	v_add_f64 v[4:5], v[4:5], v[6:7]
	v_mul_f64 v[6:7], v[146:147], v[114:115]
	v_fma_f64 v[6:7], v[144:145], v[112:113], -v[6:7]
	s_waitcnt vmcnt(5) lgkmcnt(2)
	v_mul_f64 v[194:195], v[160:161], v[134:135]
	v_add_f64 v[4:5], v[4:5], v[6:7]
	v_mul_f64 v[6:7], v[202:203], v[118:119]
	v_fmac_f64_e32 v[194:195], v[162:163], v[132:133]
	v_fma_f64 v[6:7], v[200:201], v[116:117], -v[6:7]
	v_add_f64 v[192:193], v[192:193], v[194:195]
	s_waitcnt vmcnt(4) lgkmcnt(1)
	v_mul_f64 v[194:195], v[184:185], v[174:175]
	v_add_f64 v[4:5], v[4:5], v[6:7]
	v_mul_f64 v[6:7], v[150:151], v[122:123]
	v_fmac_f64_e32 v[194:195], v[186:187], v[172:173]
	v_fma_f64 v[6:7], v[148:149], v[120:121], -v[6:7]
	v_add_f64 v[192:193], v[192:193], v[194:195]
	;; [unrolled: 7-line block ×3, first 2 shown]
	ds_read_b128 v[192:195], v2 offset:1472
	v_add_f64 v[4:5], v[4:5], v[6:7]
	v_mul_f64 v[6:7], v[190:191], v[130:131]
	v_fma_f64 v[6:7], v[188:189], v[128:129], -v[6:7]
	v_add_f64 v[4:5], v[4:5], v[6:7]
	v_mul_f64 v[6:7], v[158:159], v[138:139]
	v_fma_f64 v[6:7], v[156:157], v[136:137], -v[6:7]
	v_add_f64 v[4:5], v[4:5], v[6:7]
	v_mul_f64 v[6:7], v[162:163], v[134:135]
	s_waitcnt vmcnt(2) lgkmcnt(0)
	v_mul_f64 v[198:199], v[192:193], v[182:183]
	v_fma_f64 v[6:7], v[160:161], v[132:133], -v[6:7]
	v_fmac_f64_e32 v[198:199], v[194:195], v[180:181]
	v_add_f64 v[4:5], v[4:5], v[6:7]
	v_mul_f64 v[6:7], v[186:187], v[174:175]
	v_add_f64 v[252:253], v[196:197], v[198:199]
	ds_read_b128 v[196:199], v2 offset:1488
	v_fma_f64 v[6:7], v[184:185], v[172:173], -v[6:7]
	v_add_f64 v[4:5], v[4:5], v[6:7]
	v_mul_f64 v[6:7], v[166:167], v[178:179]
	v_fma_f64 v[6:7], v[164:165], v[176:177], -v[6:7]
	v_add_f64 v[4:5], v[4:5], v[6:7]
	v_mul_f64 v[6:7], v[194:195], v[182:183]
	v_fma_f64 v[6:7], v[192:193], v[180:181], -v[6:7]
	s_waitcnt vmcnt(1) lgkmcnt(0)
	v_mul_f64 v[2:3], v[196:197], v[206:207]
	v_add_f64 v[4:5], v[4:5], v[6:7]
	v_mul_f64 v[6:7], v[198:199], v[206:207]
	v_fmac_f64_e32 v[2:3], v[198:199], v[204:205]
	v_fma_f64 v[6:7], v[196:197], v[204:205], -v[6:7]
	v_add_f64 v[2:3], v[252:253], v[2:3]
	v_add_f64 v[4:5], v[4:5], v[6:7]
	s_waitcnt vmcnt(0)
	v_add_f64 v[4:5], v[242:243], -v[4:5]
	v_add_f64 v[6:7], v[244:245], -v[2:3]
	scratch_store_dwordx4 off, v[4:7], off offset:176
	s_and_saveexec_b64 s[0:1], vcc
	s_cbranch_execz .LBB110_277
; %bb.276:
	scratch_load_dwordx4 v[2:5], off, s54
	v_mov_b32_e32 v6, 0
	v_mov_b32_e32 v7, v6
	;; [unrolled: 1-line block ×4, first 2 shown]
	v_accvgpr_read_b32 v0, a95
	scratch_store_dwordx4 off, v[6:9], off offset:160
	s_waitcnt vmcnt(1)
	ds_write_b128 v0, v[2:5]
.LBB110_277:
	s_or_b64 exec, exec, s[0:1]
	s_waitcnt lgkmcnt(0)
	; wave barrier
	scratch_load_dwordx4 v[168:171], off, off offset:176
	scratch_load_dwordx4 v[172:175], off, off offset:192
	;; [unrolled: 1-line block ×32, first 2 shown]
	v_mov_b32_e32 v2, 0
	ds_read_b128 v[176:179], v2 offset:912
	ds_read_b128 v[188:191], v2 offset:928
	;; [unrolled: 1-line block ×17, first 2 shown]
	v_accvgpr_read_b32 v0, a94
	v_cmp_lt_u32_e32 vcc, 8, v0
	s_waitcnt vmcnt(31) lgkmcnt(14)
	v_mul_f64 v[104:105], v[176:177], v[170:171]
	s_waitcnt vmcnt(30)
	v_mul_f64 v[106:107], v[188:189], v[174:175]
	v_fmac_f64_e32 v[104:105], v[178:179], v[168:169]
	s_waitcnt vmcnt(29)
	v_mul_f64 v[108:109], v[200:201], v[182:183]
	v_fmac_f64_e32 v[106:107], v[190:191], v[172:173]
	v_add_f64 v[104:105], v[104:105], 0
	s_waitcnt vmcnt(28) lgkmcnt(13)
	v_mul_f64 v[110:111], v[212:213], v[186:187]
	v_fmac_f64_e32 v[108:109], v[202:203], v[180:181]
	v_add_f64 v[104:105], v[104:105], v[106:107]
	s_waitcnt vmcnt(27) lgkmcnt(12)
	;; [unrolled: 4-line block ×12, first 2 shown]
	v_mul_f64 v[156:157], v[112:113], v[26:27]
	v_fmac_f64_e32 v[154:155], v[118:119], v[20:21]
	v_add_f64 v[104:105], v[104:105], v[152:153]
	v_fmac_f64_e32 v[156:157], v[114:115], v[24:25]
	v_add_f64 v[104:105], v[104:105], v[154:155]
	s_waitcnt vmcnt(16) lgkmcnt(1)
	v_mul_f64 v[106:107], v[100:101], v[30:31]
	v_add_f64 v[104:105], v[104:105], v[156:157]
	v_fmac_f64_e32 v[106:107], v[102:103], v[28:29]
	v_add_f64 v[108:109], v[104:105], v[106:107]
	ds_read_b128 v[144:147], v2 offset:1184
	ds_read_b128 v[148:151], v2 offset:1200
	scratch_load_dwordx4 v[104:107], off, off offset:688
	s_waitcnt vmcnt(16) lgkmcnt(2)
	v_mul_f64 v[110:111], v[96:97], v[34:35]
	v_fmac_f64_e32 v[110:111], v[98:99], v[32:33]
	v_add_f64 v[120:121], v[108:109], v[110:111]
	scratch_load_dwordx4 v[108:111], off, off offset:704
	s_waitcnt vmcnt(16) lgkmcnt(1)
	v_mul_f64 v[122:123], v[144:145], v[38:39]
	v_fmac_f64_e32 v[122:123], v[146:147], v[36:37]
	v_add_f64 v[132:133], v[120:121], v[122:123]
	s_waitcnt vmcnt(15) lgkmcnt(0)
	v_mul_f64 v[134:135], v[148:149], v[42:43]
	scratch_load_dwordx4 v[120:123], off, off offset:720
	v_fmac_f64_e32 v[134:135], v[150:151], v[40:41]
	v_add_f64 v[160:161], v[132:133], v[134:135]
	scratch_load_dwordx4 v[132:135], off, off offset:736
	ds_read_b128 v[152:155], v2 offset:1216
	ds_read_b128 v[156:159], v2 offset:1232
	v_mul_f64 v[170:171], v[178:179], v[170:171]
	v_fma_f64 v[246:247], v[176:177], v[168:169], -v[170:171]
	ds_read_b128 v[168:171], v2 offset:1280
	s_waitcnt vmcnt(16) lgkmcnt(2)
	v_mul_f64 v[162:163], v[152:153], v[46:47]
	v_fmac_f64_e32 v[162:163], v[154:155], v[44:45]
	s_waitcnt vmcnt(15) lgkmcnt(1)
	v_mul_f64 v[166:167], v[156:157], v[50:51]
	v_add_f64 v[164:165], v[160:161], v[162:163]
	ds_read_b128 v[160:163], v2 offset:1248
	v_fmac_f64_e32 v[166:167], v[158:159], v[48:49]
	v_add_f64 v[232:233], v[164:165], v[166:167]
	ds_read_b128 v[164:167], v2 offset:1264
	v_mul_f64 v[174:175], v[190:191], v[174:175]
	s_waitcnt vmcnt(14) lgkmcnt(1)
	v_mul_f64 v[234:235], v[160:161], v[54:55]
	v_fmac_f64_e32 v[234:235], v[162:163], v[52:53]
	v_add_f64 v[232:233], v[232:233], v[234:235]
	s_waitcnt vmcnt(13) lgkmcnt(0)
	v_mul_f64 v[176:177], v[164:165], v[58:59]
	v_fmac_f64_e32 v[176:177], v[166:167], v[56:57]
	v_fma_f64 v[248:249], v[188:189], v[172:173], -v[174:175]
	ds_read_b128 v[172:175], v2 offset:1296
	s_waitcnt vmcnt(12)
	v_mul_f64 v[178:179], v[168:169], v[62:63]
	v_add_f64 v[176:177], v[232:233], v[176:177]
	v_fmac_f64_e32 v[178:179], v[170:171], v[60:61]
	v_add_f64 v[188:189], v[176:177], v[178:179]
	ds_read_b128 v[176:179], v2 offset:1312
	v_mul_f64 v[182:183], v[202:203], v[182:183]
	v_fma_f64 v[254:255], v[200:201], v[180:181], -v[182:183]
	ds_read_b128 v[180:183], v2 offset:1328
	s_waitcnt vmcnt(11) lgkmcnt(2)
	v_mul_f64 v[190:191], v[172:173], v[66:67]
	v_fmac_f64_e32 v[190:191], v[174:175], v[64:65]
	v_add_f64 v[188:189], v[188:189], v[190:191]
	s_waitcnt vmcnt(10) lgkmcnt(1)
	v_mul_f64 v[190:191], v[176:177], v[70:71]
	v_fmac_f64_e32 v[190:191], v[178:179], v[68:69]
	v_mul_f64 v[186:187], v[214:215], v[186:187]
	v_fma_f64 v[240:241], v[212:213], v[184:185], -v[186:187]
	ds_read_b128 v[184:187], v2 offset:1344
	v_add_f64 v[188:189], v[188:189], v[190:191]
	s_waitcnt vmcnt(9) lgkmcnt(1)
	v_mul_f64 v[190:191], v[180:181], v[74:75]
	v_fmac_f64_e32 v[190:191], v[182:183], v[72:73]
	v_add_f64 v[200:201], v[188:189], v[190:191]
	ds_read_b128 v[188:191], v2 offset:1360
	v_mul_f64 v[194:195], v[222:223], v[194:195]
	v_fma_f64 v[232:233], v[220:221], v[192:193], -v[194:195]
	ds_read_b128 v[192:195], v2 offset:1376
	s_waitcnt vmcnt(8) lgkmcnt(2)
	v_mul_f64 v[202:203], v[184:185], v[78:79]
	v_fmac_f64_e32 v[202:203], v[186:187], v[76:77]
	v_add_f64 v[200:201], v[200:201], v[202:203]
	s_waitcnt vmcnt(7) lgkmcnt(1)
	v_mul_f64 v[202:203], v[188:189], v[82:83]
	v_fmac_f64_e32 v[202:203], v[190:191], v[80:81]
	v_mul_f64 v[198:199], v[226:227], v[198:199]
	v_add_f64 v[200:201], v[200:201], v[202:203]
	v_fma_f64 v[234:235], v[224:225], v[196:197], -v[198:199]
	ds_read_b128 v[196:199], v2 offset:1392
	s_waitcnt vmcnt(6) lgkmcnt(1)
	v_mul_f64 v[202:203], v[192:193], v[86:87]
	v_fmac_f64_e32 v[202:203], v[194:195], v[84:85]
	v_add_f64 v[212:213], v[200:201], v[202:203]
	ds_read_b128 v[200:203], v2 offset:1408
	v_mul_f64 v[206:207], v[230:231], v[206:207]
	v_fma_f64 v[236:237], v[228:229], v[204:205], -v[206:207]
	ds_read_b128 v[204:207], v2 offset:1424
	s_waitcnt vmcnt(5) lgkmcnt(2)
	v_mul_f64 v[214:215], v[196:197], v[94:95]
	v_fmac_f64_e32 v[214:215], v[198:199], v[92:93]
	v_add_f64 v[212:213], v[212:213], v[214:215]
	s_waitcnt vmcnt(4) lgkmcnt(1)
	v_mul_f64 v[214:215], v[200:201], v[90:91]
	v_fmac_f64_e32 v[214:215], v[202:203], v[88:89]
	v_mul_f64 v[210:211], v[244:245], v[210:211]
	v_fma_f64 v[238:239], v[242:243], v[208:209], -v[210:211]
	ds_read_b128 v[208:211], v2 offset:1440
	v_add_f64 v[212:213], v[212:213], v[214:215]
	s_waitcnt vmcnt(3) lgkmcnt(1)
	v_mul_f64 v[214:215], v[204:205], v[106:107]
	v_fmac_f64_e32 v[214:215], v[206:207], v[104:105]
	v_add_f64 v[220:221], v[212:213], v[214:215]
	ds_read_b128 v[212:215], v2 offset:1456
	v_mul_f64 v[218:219], v[252:253], v[218:219]
	v_fma_f64 v[250:251], v[250:251], v[216:217], -v[218:219]
	ds_read_b128 v[216:219], v2 offset:1472
	ds_read_b128 v[224:227], v2 offset:1488
	s_waitcnt vmcnt(2) lgkmcnt(3)
	v_mul_f64 v[222:223], v[208:209], v[110:111]
	v_fmac_f64_e32 v[222:223], v[210:211], v[108:109]
	v_add_f64 v[220:221], v[220:221], v[222:223]
	s_waitcnt vmcnt(1) lgkmcnt(2)
	v_mul_f64 v[222:223], v[212:213], v[122:123]
	v_fmac_f64_e32 v[222:223], v[214:215], v[120:121]
	v_add_f64 v[220:221], v[220:221], v[222:223]
	;; [unrolled: 4-line block ×3, first 2 shown]
	scratch_load_dwordx4 v[220:223], off, off offset:752
	v_mul_f64 v[6:7], v[142:143], v[6:7]
	v_fma_f64 v[4:5], v[140:141], v[4:5], -v[6:7]
	v_mul_f64 v[6:7], v[138:139], v[10:11]
	v_fma_f64 v[6:7], v[136:137], v[8:9], -v[6:7]
	s_waitcnt vmcnt(0) lgkmcnt(0)
	v_mul_f64 v[230:231], v[224:225], v[222:223]
	v_fmac_f64_e32 v[230:231], v[226:227], v[220:221]
	v_add_f64 v[242:243], v[228:229], v[230:231]
	v_add_f64 v[228:229], v[246:247], 0
	;; [unrolled: 1-line block ×6, first 2 shown]
	scratch_load_dwordx4 v[228:231], off, off offset:160
	v_add_f64 v[232:233], v[252:253], v[234:235]
	v_add_f64 v[232:233], v[232:233], v[236:237]
	;; [unrolled: 1-line block ×6, first 2 shown]
	v_mul_f64 v[6:7], v[130:131], v[14:15]
	v_fma_f64 v[6:7], v[128:129], v[12:13], -v[6:7]
	v_add_f64 v[4:5], v[4:5], v[6:7]
	v_mul_f64 v[6:7], v[126:127], v[18:19]
	v_fma_f64 v[6:7], v[124:125], v[16:17], -v[6:7]
	v_add_f64 v[4:5], v[4:5], v[6:7]
	v_mul_f64 v[6:7], v[118:119], v[22:23]
	v_fma_f64 v[6:7], v[116:117], v[20:21], -v[6:7]
	v_add_f64 v[4:5], v[4:5], v[6:7]
	v_mul_f64 v[6:7], v[114:115], v[26:27]
	v_fma_f64 v[6:7], v[112:113], v[24:25], -v[6:7]
	v_add_f64 v[4:5], v[4:5], v[6:7]
	v_mul_f64 v[6:7], v[102:103], v[30:31]
	v_fma_f64 v[6:7], v[100:101], v[28:29], -v[6:7]
	v_add_f64 v[4:5], v[4:5], v[6:7]
	v_mul_f64 v[6:7], v[98:99], v[34:35]
	v_fma_f64 v[6:7], v[96:97], v[32:33], -v[6:7]
	v_add_f64 v[4:5], v[4:5], v[6:7]
	v_mul_f64 v[6:7], v[146:147], v[38:39]
	v_fma_f64 v[6:7], v[144:145], v[36:37], -v[6:7]
	v_add_f64 v[4:5], v[4:5], v[6:7]
	v_mul_f64 v[6:7], v[150:151], v[42:43]
	v_fma_f64 v[6:7], v[148:149], v[40:41], -v[6:7]
	v_add_f64 v[4:5], v[4:5], v[6:7]
	v_mul_f64 v[6:7], v[154:155], v[46:47]
	v_fma_f64 v[6:7], v[152:153], v[44:45], -v[6:7]
	v_add_f64 v[4:5], v[4:5], v[6:7]
	v_mul_f64 v[6:7], v[158:159], v[50:51]
	v_fma_f64 v[6:7], v[156:157], v[48:49], -v[6:7]
	v_add_f64 v[4:5], v[4:5], v[6:7]
	v_mul_f64 v[6:7], v[162:163], v[54:55]
	v_fma_f64 v[6:7], v[160:161], v[52:53], -v[6:7]
	v_add_f64 v[4:5], v[4:5], v[6:7]
	v_mul_f64 v[6:7], v[166:167], v[58:59]
	v_fma_f64 v[6:7], v[164:165], v[56:57], -v[6:7]
	v_add_f64 v[4:5], v[4:5], v[6:7]
	v_mul_f64 v[6:7], v[170:171], v[62:63]
	v_fma_f64 v[6:7], v[168:169], v[60:61], -v[6:7]
	v_add_f64 v[4:5], v[4:5], v[6:7]
	v_mul_f64 v[6:7], v[174:175], v[66:67]
	v_fma_f64 v[6:7], v[172:173], v[64:65], -v[6:7]
	v_add_f64 v[4:5], v[4:5], v[6:7]
	v_mul_f64 v[6:7], v[178:179], v[70:71]
	v_fma_f64 v[6:7], v[176:177], v[68:69], -v[6:7]
	v_add_f64 v[4:5], v[4:5], v[6:7]
	v_mul_f64 v[6:7], v[182:183], v[74:75]
	v_fma_f64 v[6:7], v[180:181], v[72:73], -v[6:7]
	v_add_f64 v[4:5], v[4:5], v[6:7]
	v_mul_f64 v[6:7], v[186:187], v[78:79]
	v_fma_f64 v[6:7], v[184:185], v[76:77], -v[6:7]
	v_add_f64 v[4:5], v[4:5], v[6:7]
	v_mul_f64 v[6:7], v[190:191], v[82:83]
	v_fma_f64 v[6:7], v[188:189], v[80:81], -v[6:7]
	v_add_f64 v[4:5], v[4:5], v[6:7]
	v_mul_f64 v[6:7], v[194:195], v[86:87]
	v_fma_f64 v[6:7], v[192:193], v[84:85], -v[6:7]
	v_add_f64 v[4:5], v[4:5], v[6:7]
	v_mul_f64 v[6:7], v[198:199], v[94:95]
	v_fma_f64 v[6:7], v[196:197], v[92:93], -v[6:7]
	v_add_f64 v[4:5], v[4:5], v[6:7]
	v_mul_f64 v[6:7], v[202:203], v[90:91]
	v_fma_f64 v[6:7], v[200:201], v[88:89], -v[6:7]
	v_add_f64 v[4:5], v[4:5], v[6:7]
	v_mul_f64 v[6:7], v[206:207], v[106:107]
	v_fma_f64 v[6:7], v[204:205], v[104:105], -v[6:7]
	v_add_f64 v[4:5], v[4:5], v[6:7]
	v_mul_f64 v[6:7], v[210:211], v[110:111]
	v_fma_f64 v[6:7], v[208:209], v[108:109], -v[6:7]
	v_add_f64 v[4:5], v[4:5], v[6:7]
	v_mul_f64 v[6:7], v[214:215], v[122:123]
	v_fma_f64 v[6:7], v[212:213], v[120:121], -v[6:7]
	v_add_f64 v[4:5], v[4:5], v[6:7]
	v_mul_f64 v[6:7], v[218:219], v[134:135]
	v_fma_f64 v[6:7], v[216:217], v[132:133], -v[6:7]
	v_add_f64 v[4:5], v[4:5], v[6:7]
	v_mul_f64 v[6:7], v[226:227], v[222:223]
	v_fma_f64 v[6:7], v[224:225], v[220:221], -v[6:7]
	v_add_f64 v[4:5], v[4:5], v[6:7]
	s_waitcnt vmcnt(0)
	v_add_f64 v[4:5], v[228:229], -v[4:5]
	v_add_f64 v[6:7], v[230:231], -v[242:243]
	scratch_store_dwordx4 off, v[4:7], off offset:160
	s_and_saveexec_b64 s[0:1], vcc
	s_cbranch_execz .LBB110_279
; %bb.278:
	scratch_load_dwordx4 v[6:9], off, s55
	v_mov_b32_e32 v3, v2
	v_mov_b32_e32 v4, v2
	;; [unrolled: 1-line block ×3, first 2 shown]
	v_accvgpr_read_b32 v0, a95
	scratch_store_dwordx4 off, v[2:5], off offset:144
	s_waitcnt vmcnt(1)
	ds_write_b128 v0, v[6:9]
.LBB110_279:
	s_or_b64 exec, exec, s[0:1]
	s_waitcnt lgkmcnt(0)
	; wave barrier
	scratch_load_dwordx4 v[168:171], off, off offset:160
	scratch_load_dwordx4 v[172:175], off, off offset:176
	;; [unrolled: 1-line block ×16, first 2 shown]
	ds_read_b128 v[232:235], v2 offset:896
	ds_read_b128 v[176:179], v2 offset:912
	scratch_load_dwordx4 v[32:35], off, off offset:416
	ds_read_b128 v[236:239], v2 offset:928
	ds_read_b128 v[188:191], v2 offset:944
	;; [unrolled: 1-line block ×5, first 2 shown]
	scratch_load_dwordx4 v[36:39], off, off offset:432
	ds_read_b128 v[224:227], v2 offset:1008
	ds_read_b128 v[220:223], v2 offset:1024
	;; [unrolled: 1-line block ×3, first 2 shown]
	scratch_load_dwordx4 v[40:43], off, off offset:448
	ds_read_b128 v[64:67], v2 offset:1056
	ds_read_b128 v[60:63], v2 offset:1072
	;; [unrolled: 1-line block ×4, first 2 shown]
	scratch_load_dwordx4 v[48:51], off, off offset:464
	ds_read_b128 v[80:83], v2 offset:1120
	ds_read_b128 v[72:75], v2 offset:1136
	;; [unrolled: 1-line block ×3, first 2 shown]
	scratch_load_dwordx4 v[76:79], off, off offset:480
	scratch_load_dwordx4 v[84:87], off, off offset:496
	scratch_load_dwordx4 v[88:91], off, off offset:512
	scratch_load_dwordx4 v[92:95], off, off offset:528
	scratch_load_dwordx4 v[96:99], off, off offset:544
	scratch_load_dwordx4 v[100:103], off, off offset:560
	scratch_load_dwordx4 v[104:107], off, off offset:576
	scratch_load_dwordx4 v[108:111], off, off offset:592
	scratch_load_dwordx4 v[112:115], off, off offset:608
	scratch_load_dwordx4 v[116:119], off, off offset:624
	scratch_load_dwordx4 v[124:127], off, off offset:640
	scratch_load_dwordx4 v[120:123], off, off offset:656
	v_accvgpr_read_b32 v0, a94
	v_cmp_lt_u32_e32 vcc, 7, v0
	s_waitcnt vmcnt(31) lgkmcnt(14)
	v_mul_f64 v[128:129], v[232:233], v[170:171]
	s_waitcnt vmcnt(30)
	v_mul_f64 v[130:131], v[176:177], v[174:175]
	v_fmac_f64_e32 v[128:129], v[234:235], v[168:169]
	s_waitcnt vmcnt(29)
	v_mul_f64 v[132:133], v[236:237], v[182:183]
	v_fmac_f64_e32 v[130:131], v[178:179], v[172:173]
	v_add_f64 v[128:129], v[128:129], 0
	s_waitcnt vmcnt(28) lgkmcnt(13)
	v_mul_f64 v[134:135], v[188:189], v[186:187]
	v_fmac_f64_e32 v[132:133], v[238:239], v[180:181]
	v_add_f64 v[128:129], v[128:129], v[130:131]
	s_waitcnt vmcnt(27) lgkmcnt(12)
	;; [unrolled: 4-line block ×13, first 2 shown]
	v_mul_f64 v[158:159], v[72:73], v[30:31]
	v_fmac_f64_e32 v[156:157], v[82:83], v[24:25]
	v_add_f64 v[128:129], v[128:129], v[154:155]
	v_add_f64 v[128:129], v[128:129], v[156:157]
	v_fmac_f64_e32 v[158:159], v[74:75], v[28:29]
	v_add_f64 v[132:133], v[128:129], v[158:159]
	ds_read_b128 v[144:147], v2 offset:1168
	ds_read_b128 v[148:151], v2 offset:1184
	scratch_load_dwordx4 v[128:131], off, off offset:672
	s_waitcnt vmcnt(16) lgkmcnt(2)
	v_mul_f64 v[134:135], v[68:69], v[34:35]
	v_fmac_f64_e32 v[134:135], v[70:71], v[32:33]
	s_waitcnt vmcnt(15) lgkmcnt(1)
	v_mul_f64 v[138:139], v[144:145], v[38:39]
	v_add_f64 v[136:137], v[132:133], v[134:135]
	scratch_load_dwordx4 v[132:135], off, off offset:688
	v_fmac_f64_e32 v[138:139], v[146:147], v[36:37]
	v_add_f64 v[140:141], v[136:137], v[138:139]
	s_waitcnt vmcnt(15) lgkmcnt(0)
	v_mul_f64 v[142:143], v[148:149], v[42:43]
	scratch_load_dwordx4 v[136:139], off, off offset:704
	v_fmac_f64_e32 v[142:143], v[150:151], v[40:41]
	v_add_f64 v[160:161], v[140:141], v[142:143]
	scratch_load_dwordx4 v[140:143], off, off offset:720
	ds_read_b128 v[152:155], v2 offset:1200
	ds_read_b128 v[156:159], v2 offset:1216
	v_mul_f64 v[170:171], v[234:235], v[170:171]
	v_mul_f64 v[174:175], v[178:179], v[174:175]
	v_mul_f64 v[182:183], v[238:239], v[182:183]
	s_waitcnt vmcnt(16) lgkmcnt(1)
	v_mul_f64 v[162:163], v[152:153], v[50:51]
	v_fmac_f64_e32 v[162:163], v[154:155], v[48:49]
	v_add_f64 v[164:165], v[160:161], v[162:163]
	ds_read_b128 v[160:163], v2 offset:1232
	s_waitcnt vmcnt(15) lgkmcnt(1)
	v_mul_f64 v[166:167], v[156:157], v[78:79]
	v_fmac_f64_e32 v[166:167], v[158:159], v[76:77]
	v_add_f64 v[240:241], v[164:165], v[166:167]
	ds_read_b128 v[164:167], v2 offset:1248
	s_waitcnt vmcnt(14) lgkmcnt(1)
	v_mul_f64 v[242:243], v[160:161], v[86:87]
	v_fmac_f64_e32 v[242:243], v[162:163], v[84:85]
	v_add_f64 v[240:241], v[240:241], v[242:243]
	v_fma_f64 v[242:243], v[232:233], v[168:169], -v[170:171]
	ds_read_b128 v[168:171], v2 offset:1264
	s_waitcnt vmcnt(13) lgkmcnt(1)
	v_mul_f64 v[232:233], v[164:165], v[90:91]
	v_fmac_f64_e32 v[232:233], v[166:167], v[88:89]
	v_add_f64 v[232:233], v[240:241], v[232:233]
	v_fma_f64 v[240:241], v[176:177], v[172:173], -v[174:175]
	ds_read_b128 v[172:175], v2 offset:1280
	s_waitcnt vmcnt(12) lgkmcnt(1)
	v_mul_f64 v[176:177], v[168:169], v[94:95]
	v_fmac_f64_e32 v[176:177], v[170:171], v[92:93]
	v_add_f64 v[232:233], v[232:233], v[176:177]
	ds_read_b128 v[176:179], v2 offset:1296
	v_fma_f64 v[236:237], v[236:237], v[180:181], -v[182:183]
	ds_read_b128 v[180:183], v2 offset:1312
	s_waitcnt vmcnt(11) lgkmcnt(2)
	v_mul_f64 v[234:235], v[172:173], v[98:99]
	v_fmac_f64_e32 v[234:235], v[174:175], v[96:97]
	v_add_f64 v[232:233], v[232:233], v[234:235]
	s_waitcnt vmcnt(10) lgkmcnt(1)
	v_mul_f64 v[234:235], v[176:177], v[102:103]
	v_fmac_f64_e32 v[234:235], v[178:179], v[100:101]
	v_mul_f64 v[186:187], v[190:191], v[186:187]
	s_waitcnt vmcnt(9) lgkmcnt(0)
	v_mul_f64 v[190:191], v[180:181], v[106:107]
	v_fma_f64 v[238:239], v[188:189], v[184:185], -v[186:187]
	ds_read_b128 v[184:187], v2 offset:1328
	v_add_f64 v[188:189], v[232:233], v[234:235]
	v_fmac_f64_e32 v[190:191], v[182:183], v[104:105]
	v_add_f64 v[232:233], v[188:189], v[190:191]
	ds_read_b128 v[188:191], v2 offset:1344
	v_mul_f64 v[194:195], v[230:231], v[194:195]
	v_fma_f64 v[244:245], v[228:229], v[192:193], -v[194:195]
	ds_read_b128 v[192:195], v2 offset:1360
	s_waitcnt vmcnt(8) lgkmcnt(2)
	v_mul_f64 v[234:235], v[184:185], v[110:111]
	v_fmac_f64_e32 v[234:235], v[186:187], v[108:109]
	s_waitcnt vmcnt(7) lgkmcnt(1)
	v_mul_f64 v[228:229], v[188:189], v[114:115]
	v_mul_f64 v[198:199], v[202:203], v[198:199]
	v_add_f64 v[232:233], v[232:233], v[234:235]
	v_fmac_f64_e32 v[228:229], v[190:191], v[112:113]
	v_fma_f64 v[246:247], v[200:201], v[196:197], -v[198:199]
	ds_read_b128 v[196:199], v2 offset:1376
	s_waitcnt vmcnt(6) lgkmcnt(1)
	v_mul_f64 v[200:201], v[192:193], v[118:119]
	v_add_f64 v[228:229], v[232:233], v[228:229]
	v_fmac_f64_e32 v[200:201], v[194:195], v[116:117]
	v_add_f64 v[228:229], v[228:229], v[200:201]
	ds_read_b128 v[200:203], v2 offset:1392
	v_mul_f64 v[206:207], v[214:215], v[206:207]
	v_fma_f64 v[248:249], v[212:213], v[204:205], -v[206:207]
	ds_read_b128 v[204:207], v2 offset:1408
	s_waitcnt vmcnt(5) lgkmcnt(2)
	v_mul_f64 v[230:231], v[196:197], v[126:127]
	v_fmac_f64_e32 v[230:231], v[198:199], v[124:125]
	s_waitcnt vmcnt(4) lgkmcnt(1)
	v_mul_f64 v[212:213], v[200:201], v[122:123]
	v_add_f64 v[228:229], v[228:229], v[230:231]
	v_fmac_f64_e32 v[212:213], v[202:203], v[120:121]
	v_mul_f64 v[210:211], v[226:227], v[210:211]
	s_waitcnt vmcnt(3) lgkmcnt(0)
	v_mul_f64 v[214:215], v[204:205], v[130:131]
	v_fma_f64 v[250:251], v[224:225], v[208:209], -v[210:211]
	ds_read_b128 v[208:211], v2 offset:1424
	v_add_f64 v[212:213], v[228:229], v[212:213]
	v_fmac_f64_e32 v[214:215], v[206:207], v[128:129]
	v_add_f64 v[224:225], v[212:213], v[214:215]
	ds_read_b128 v[212:215], v2 offset:1440
	v_mul_f64 v[218:219], v[222:223], v[218:219]
	v_fma_f64 v[252:253], v[220:221], v[216:217], -v[218:219]
	ds_read_b128 v[216:219], v2 offset:1456
	s_waitcnt vmcnt(2) lgkmcnt(2)
	v_mul_f64 v[220:221], v[208:209], v[134:135]
	v_fmac_f64_e32 v[220:221], v[210:211], v[132:133]
	s_waitcnt vmcnt(1) lgkmcnt(1)
	v_mul_f64 v[222:223], v[212:213], v[138:139]
	v_add_f64 v[220:221], v[224:225], v[220:221]
	v_fmac_f64_e32 v[222:223], v[214:215], v[136:137]
	v_add_f64 v[220:221], v[220:221], v[222:223]
	ds_read_b128 v[224:227], v2 offset:1472
	s_waitcnt vmcnt(0) lgkmcnt(1)
	v_mul_f64 v[222:223], v[216:217], v[142:143]
	v_fmac_f64_e32 v[222:223], v[218:219], v[140:141]
	v_add_f64 v[228:229], v[220:221], v[222:223]
	scratch_load_dwordx4 v[220:223], off, off offset:736
	scratch_load_dwordx4 v[232:235], off, off offset:752
	v_add_f64 v[242:243], v[242:243], 0
	v_add_f64 v[240:241], v[242:243], v[240:241]
	;; [unrolled: 1-line block ×6, first 2 shown]
	v_mul_f64 v[6:7], v[46:47], v[6:7]
	v_fma_f64 v[4:5], v[44:45], v[4:5], -v[6:7]
	v_mul_f64 v[6:7], v[66:67], v[10:11]
	v_fma_f64 v[6:7], v[64:65], v[8:9], -v[6:7]
	s_waitcnt vmcnt(1) lgkmcnt(0)
	v_mul_f64 v[230:231], v[224:225], v[222:223]
	v_fmac_f64_e32 v[230:231], v[226:227], v[220:221]
	v_add_f64 v[254:255], v[228:229], v[230:231]
	ds_read_b128 v[228:231], v2 offset:1488
	s_waitcnt vmcnt(0) lgkmcnt(0)
	v_mul_f64 v[2:3], v[228:229], v[234:235]
	v_fmac_f64_e32 v[2:3], v[230:231], v[232:233]
	v_add_f64 v[2:3], v[254:255], v[2:3]
	v_add_f64 v[254:255], v[236:237], v[248:249]
	scratch_load_dwordx4 v[236:239], off, off offset:144
	v_add_f64 v[240:241], v[254:255], v[250:251]
	v_add_f64 v[240:241], v[240:241], v[252:253]
	;; [unrolled: 1-line block ×4, first 2 shown]
	v_mul_f64 v[6:7], v[62:63], v[14:15]
	v_fma_f64 v[6:7], v[60:61], v[12:13], -v[6:7]
	v_add_f64 v[4:5], v[4:5], v[6:7]
	v_mul_f64 v[6:7], v[58:59], v[18:19]
	v_fma_f64 v[6:7], v[56:57], v[16:17], -v[6:7]
	v_add_f64 v[4:5], v[4:5], v[6:7]
	;; [unrolled: 3-line block ×27, first 2 shown]
	s_waitcnt vmcnt(0)
	v_add_f64 v[4:5], v[236:237], -v[4:5]
	v_add_f64 v[6:7], v[238:239], -v[2:3]
	scratch_store_dwordx4 off, v[4:7], off offset:144
	s_and_saveexec_b64 s[0:1], vcc
	s_cbranch_execz .LBB110_281
; %bb.280:
	scratch_load_dwordx4 v[2:5], off, s56
	v_mov_b32_e32 v6, 0
	v_mov_b32_e32 v7, v6
	;; [unrolled: 1-line block ×4, first 2 shown]
	v_accvgpr_read_b32 v0, a95
	scratch_store_dwordx4 off, v[6:9], off offset:128
	s_waitcnt vmcnt(1)
	ds_write_b128 v0, v[2:5]
.LBB110_281:
	s_or_b64 exec, exec, s[0:1]
	s_waitcnt lgkmcnt(0)
	; wave barrier
	scratch_load_dwordx4 v[80:83], off, off offset:144
	scratch_load_dwordx4 v[84:87], off, off offset:160
	;; [unrolled: 1-line block ×31, first 2 shown]
	v_mov_b32_e32 v2, 0
	ds_read_b128 v[196:199], v2 offset:880
	ds_read_b128 v[200:203], v2 offset:896
	;; [unrolled: 1-line block ×20, first 2 shown]
	s_waitcnt vmcnt(30) lgkmcnt(14)
	v_mul_f64 v[140:141], v[196:197], v[82:83]
	s_waitcnt vmcnt(29)
	v_mul_f64 v[142:143], v[200:201], v[86:87]
	v_fmac_f64_e32 v[140:141], v[198:199], v[80:81]
	s_waitcnt vmcnt(28)
	v_mul_f64 v[152:153], v[204:205], v[90:91]
	v_fmac_f64_e32 v[142:143], v[202:203], v[84:85]
	v_add_f64 v[140:141], v[140:141], 0
	s_waitcnt vmcnt(27)
	v_mul_f64 v[154:155], v[208:209], v[94:95]
	v_fmac_f64_e32 v[152:153], v[206:207], v[88:89]
	v_add_f64 v[140:141], v[140:141], v[142:143]
	;; [unrolled: 4-line block ×4, first 2 shown]
	s_waitcnt vmcnt(24) lgkmcnt(13)
	v_mul_f64 v[164:165], v[220:221], v[106:107]
	v_fmac_f64_e32 v[162:163], v[218:219], v[100:101]
	v_add_f64 v[140:141], v[140:141], v[160:161]
	s_waitcnt vmcnt(23) lgkmcnt(12)
	v_mul_f64 v[166:167], v[224:225], v[110:111]
	v_fmac_f64_e32 v[164:165], v[222:223], v[104:105]
	v_add_f64 v[140:141], v[140:141], v[162:163]
	;; [unrolled: 4-line block ×8, first 2 shown]
	v_fmac_f64_e32 v[178:179], v[146:147], v[12:13]
	v_add_f64 v[140:141], v[140:141], v[176:177]
	v_add_f64 v[140:141], v[140:141], v[178:179]
	ds_read_b128 v[176:179], v2 offset:1152
	s_waitcnt vmcnt(16) lgkmcnt(6)
	v_mul_f64 v[180:181], v[136:137], v[18:19]
	s_waitcnt vmcnt(15) lgkmcnt(5)
	v_mul_f64 v[182:183], v[132:133], v[22:23]
	v_fmac_f64_e32 v[180:181], v[138:139], v[16:17]
	v_add_f64 v[152:153], v[140:141], v[180:181]
	v_fmac_f64_e32 v[182:183], v[134:135], v[20:21]
	scratch_load_dwordx4 v[140:143], off, off offset:640
	s_waitcnt vmcnt(15) lgkmcnt(4)
	v_mul_f64 v[154:155], v[128:129], v[26:27]
	v_add_f64 v[152:153], v[152:153], v[182:183]
	v_fmac_f64_e32 v[154:155], v[130:131], v[24:25]
	v_add_f64 v[160:161], v[152:153], v[154:155]
	ds_read_b128 v[180:183], v2 offset:1168
	s_waitcnt vmcnt(14) lgkmcnt(1)
	v_mul_f64 v[162:163], v[176:177], v[30:31]
	scratch_load_dwordx4 v[152:155], off, off offset:656
	v_fmac_f64_e32 v[162:163], v[178:179], v[28:29]
	v_add_f64 v[164:165], v[160:161], v[162:163]
	scratch_load_dwordx4 v[160:163], off, off offset:672
	s_waitcnt vmcnt(15) lgkmcnt(0)
	v_mul_f64 v[166:167], v[180:181], v[34:35]
	v_fmac_f64_e32 v[166:167], v[182:183], v[32:33]
	v_add_f64 v[168:169], v[164:165], v[166:167]
	s_waitcnt vmcnt(14)
	v_mul_f64 v[170:171], v[184:185], v[38:39]
	scratch_load_dwordx4 v[164:167], off, off offset:688
	v_fmac_f64_e32 v[170:171], v[186:187], v[36:37]
	v_add_f64 v[168:169], v[168:169], v[170:171]
	s_waitcnt vmcnt(14)
	v_mul_f64 v[170:171], v[188:189], v[42:43]
	scratch_load_dwordx4 v[172:175], off, off offset:704
	v_fmac_f64_e32 v[170:171], v[190:191], v[40:41]
	v_add_f64 v[232:233], v[168:169], v[170:171]
	scratch_load_dwordx4 v[168:171], off, off offset:720
	v_mul_f64 v[82:83], v[198:199], v[82:83]
	v_fma_f64 v[240:241], v[196:197], v[80:81], -v[82:83]
	ds_read_b128 v[196:199], v2 offset:1232
	s_waitcnt vmcnt(15)
	v_mul_f64 v[80:81], v[192:193], v[46:47]
	v_fmac_f64_e32 v[80:81], v[194:195], v[44:45]
	v_add_f64 v[232:233], v[232:233], v[80:81]
	v_mul_f64 v[80:81], v[202:203], v[86:87]
	v_fma_f64 v[246:247], v[200:201], v[84:85], -v[80:81]
	scratch_load_dwordx4 v[80:83], off, off offset:736
	ds_read_b128 v[84:87], v2 offset:1248
	v_mul_f64 v[90:91], v[206:207], v[90:91]
	v_fma_f64 v[248:249], v[204:205], v[88:89], -v[90:91]
	ds_read_b128 v[88:91], v2 offset:1264
	s_waitcnt vmcnt(15) lgkmcnt(2)
	v_mul_f64 v[200:201], v[196:197], v[50:51]
	v_fmac_f64_e32 v[200:201], v[198:199], v[48:49]
	s_waitcnt vmcnt(14) lgkmcnt(1)
	v_mul_f64 v[202:203], v[84:85], v[54:55]
	v_add_f64 v[200:201], v[232:233], v[200:201]
	v_fmac_f64_e32 v[202:203], v[86:87], v[52:53]
	v_mul_f64 v[94:95], v[210:211], v[94:95]
	v_fma_f64 v[254:255], v[208:209], v[92:93], -v[94:95]
	ds_read_b128 v[92:95], v2 offset:1280
	v_add_f64 v[200:201], v[200:201], v[202:203]
	s_waitcnt vmcnt(13) lgkmcnt(1)
	v_mul_f64 v[202:203], v[88:89], v[58:59]
	v_fmac_f64_e32 v[202:203], v[90:91], v[56:57]
	v_add_f64 v[204:205], v[200:201], v[202:203]
	ds_read_b128 v[200:203], v2 offset:1296
	v_mul_f64 v[98:99], v[214:215], v[98:99]
	v_fma_f64 v[232:233], v[212:213], v[96:97], -v[98:99]
	ds_read_b128 v[96:99], v2 offset:1312
	s_waitcnt vmcnt(12) lgkmcnt(2)
	v_mul_f64 v[206:207], v[92:93], v[62:63]
	v_fmac_f64_e32 v[206:207], v[94:95], v[60:61]
	v_add_f64 v[204:205], v[204:205], v[206:207]
	s_waitcnt vmcnt(11) lgkmcnt(1)
	v_mul_f64 v[206:207], v[200:201], v[66:67]
	v_fmac_f64_e32 v[206:207], v[202:203], v[64:65]
	v_mul_f64 v[102:103], v[218:219], v[102:103]
	v_add_f64 v[204:205], v[204:205], v[206:207]
	v_fma_f64 v[238:239], v[216:217], v[100:101], -v[102:103]
	ds_read_b128 v[100:103], v2 offset:1328
	s_waitcnt vmcnt(10) lgkmcnt(1)
	v_mul_f64 v[206:207], v[96:97], v[70:71]
	v_fmac_f64_e32 v[206:207], v[98:99], v[68:69]
	v_add_f64 v[208:209], v[204:205], v[206:207]
	ds_read_b128 v[204:207], v2 offset:1344
	v_mul_f64 v[106:107], v[222:223], v[106:107]
	v_fma_f64 v[0:1], v[220:221], v[104:105], -v[106:107]
	ds_read_b128 v[104:107], v2 offset:1360
	s_waitcnt vmcnt(9) lgkmcnt(2)
	v_mul_f64 v[210:211], v[100:101], v[74:75]
	v_fmac_f64_e32 v[210:211], v[102:103], v[72:73]
	v_add_f64 v[208:209], v[208:209], v[210:211]
	s_waitcnt vmcnt(8) lgkmcnt(1)
	v_mul_f64 v[210:211], v[204:205], v[78:79]
	v_fmac_f64_e32 v[210:211], v[206:207], v[76:77]
	v_mul_f64 v[110:111], v[226:227], v[110:111]
	v_fma_f64 v[234:235], v[224:225], v[108:109], -v[110:111]
	ds_read_b128 v[108:111], v2 offset:1376
	v_add_f64 v[208:209], v[208:209], v[210:211]
	s_waitcnt vmcnt(7) lgkmcnt(1)
	v_mul_f64 v[210:211], v[104:105], v[126:127]
	v_fmac_f64_e32 v[210:211], v[106:107], v[124:125]
	v_add_f64 v[212:213], v[208:209], v[210:211]
	ds_read_b128 v[208:211], v2 offset:1392
	v_mul_f64 v[114:115], v[230:231], v[114:115]
	v_fma_f64 v[236:237], v[228:229], v[112:113], -v[114:115]
	ds_read_b128 v[112:115], v2 offset:1408
	s_waitcnt vmcnt(6) lgkmcnt(2)
	v_mul_f64 v[214:215], v[108:109], v[142:143]
	v_fmac_f64_e32 v[214:215], v[110:111], v[140:141]
	v_add_f64 v[212:213], v[212:213], v[214:215]
	s_waitcnt vmcnt(5) lgkmcnt(1)
	v_mul_f64 v[214:215], v[208:209], v[154:155]
	v_fmac_f64_e32 v[214:215], v[210:211], v[152:153]
	v_mul_f64 v[118:119], v[244:245], v[118:119]
	v_add_f64 v[212:213], v[212:213], v[214:215]
	v_fma_f64 v[244:245], v[242:243], v[116:117], -v[118:119]
	ds_read_b128 v[116:119], v2 offset:1424
	s_waitcnt vmcnt(4) lgkmcnt(1)
	v_mul_f64 v[214:215], v[112:113], v[162:163]
	v_fmac_f64_e32 v[214:215], v[114:115], v[160:161]
	v_add_f64 v[216:217], v[212:213], v[214:215]
	ds_read_b128 v[212:215], v2 offset:1440
	v_mul_f64 v[122:123], v[252:253], v[122:123]
	v_fma_f64 v[250:251], v[250:251], v[120:121], -v[122:123]
	ds_read_b128 v[120:123], v2 offset:1456
	s_waitcnt vmcnt(3) lgkmcnt(2)
	v_mul_f64 v[218:219], v[116:117], v[166:167]
	v_fmac_f64_e32 v[218:219], v[118:119], v[164:165]
	v_add_f64 v[216:217], v[216:217], v[218:219]
	s_waitcnt vmcnt(2) lgkmcnt(1)
	v_mul_f64 v[218:219], v[212:213], v[174:175]
	v_fmac_f64_e32 v[218:219], v[214:215], v[172:173]
	v_add_f64 v[216:217], v[216:217], v[218:219]
	;; [unrolled: 4-line block ×3, first 2 shown]
	ds_read_b128 v[216:219], v2 offset:1472
	ds_read_b128 v[224:227], v2 offset:1488
	v_mul_f64 v[6:7], v[158:159], v[6:7]
	v_fma_f64 v[4:5], v[156:157], v[4:5], -v[6:7]
	s_waitcnt vmcnt(0) lgkmcnt(1)
	v_mul_f64 v[222:223], v[216:217], v[82:83]
	v_fmac_f64_e32 v[222:223], v[218:219], v[80:81]
	v_add_f64 v[228:229], v[220:221], v[222:223]
	scratch_load_dwordx4 v[220:223], off, off offset:752
	s_waitcnt vmcnt(0) lgkmcnt(0)
	v_mul_f64 v[230:231], v[224:225], v[222:223]
	v_fmac_f64_e32 v[230:231], v[226:227], v[220:221]
	v_add_f64 v[242:243], v[228:229], v[230:231]
	v_add_f64 v[228:229], v[240:241], 0
	;; [unrolled: 1-line block ×8, first 2 shown]
	scratch_load_dwordx4 v[228:231], off, off offset:128
	v_add_f64 v[0:1], v[252:253], v[234:235]
	v_add_f64 v[0:1], v[0:1], v[236:237]
	;; [unrolled: 1-line block ×5, first 2 shown]
	v_mul_f64 v[4:5], v[150:151], v[10:11]
	v_fma_f64 v[4:5], v[148:149], v[8:9], -v[4:5]
	v_add_f64 v[0:1], v[0:1], v[4:5]
	v_mul_f64 v[4:5], v[146:147], v[14:15]
	v_fma_f64 v[4:5], v[144:145], v[12:13], -v[4:5]
	v_add_f64 v[0:1], v[0:1], v[4:5]
	;; [unrolled: 3-line block ×27, first 2 shown]
	s_waitcnt vmcnt(0)
	v_add_f64 v[4:5], v[228:229], -v[0:1]
	v_accvgpr_read_b32 v0, a94
	v_add_f64 v[6:7], v[230:231], -v[242:243]
	v_cmp_lt_u32_e32 vcc, 6, v0
	scratch_store_dwordx4 off, v[4:7], off offset:128
	s_and_saveexec_b64 s[0:1], vcc
	s_cbranch_execz .LBB110_283
; %bb.282:
	scratch_load_dwordx4 v[6:9], off, s57
	v_mov_b32_e32 v3, v2
	v_mov_b32_e32 v4, v2
	;; [unrolled: 1-line block ×3, first 2 shown]
	v_accvgpr_read_b32 v0, a95
	scratch_store_dwordx4 off, v[2:5], off offset:112
	s_waitcnt vmcnt(1)
	ds_write_b128 v0, v[6:9]
.LBB110_283:
	s_or_b64 exec, exec, s[0:1]
	s_waitcnt lgkmcnt(0)
	; wave barrier
	scratch_load_dwordx4 v[132:135], off, off offset:128
	scratch_load_dwordx4 v[160:163], off, off offset:144
	;; [unrolled: 1-line block ×16, first 2 shown]
	ds_read_b128 v[156:159], v2 offset:864
	ds_read_b128 v[172:175], v2 offset:880
	scratch_load_dwordx4 v[24:27], off, off offset:384
	ds_read_b128 v[232:235], v2 offset:896
	ds_read_b128 v[228:231], v2 offset:912
	scratch_load_dwordx4 v[28:31], off, off offset:400
	ds_read_b128 v[236:239], v2 offset:928
	ds_read_b128 v[184:187], v2 offset:944
	;; [unrolled: 1-line block ×5, first 2 shown]
	scratch_load_dwordx4 v[32:35], off, off offset:416
	ds_read_b128 v[220:223], v2 offset:1008
	ds_read_b128 v[216:219], v2 offset:1024
	;; [unrolled: 1-line block ×3, first 2 shown]
	scratch_load_dwordx4 v[36:39], off, off offset:432
	ds_read_b128 v[64:67], v2 offset:1056
	ds_read_b128 v[60:63], v2 offset:1072
	;; [unrolled: 1-line block ×5, first 2 shown]
	scratch_load_dwordx4 v[52:55], off, off offset:448
	scratch_load_dwordx4 v[68:71], off, off offset:464
	;; [unrolled: 1-line block ×11, first 2 shown]
	ds_read_b128 v[144:147], v2 offset:1168
	ds_read_b128 v[148:151], v2 offset:1184
	;; [unrolled: 1-line block ×3, first 2 shown]
	s_waitcnt vmcnt(30) lgkmcnt(14)
	v_mul_f64 v[0:1], v[156:157], v[134:135]
	s_waitcnt vmcnt(29)
	v_mul_f64 v[108:109], v[172:173], v[162:163]
	v_fmac_f64_e32 v[0:1], v[158:159], v[132:133]
	s_waitcnt vmcnt(28)
	v_mul_f64 v[110:111], v[232:233], v[166:167]
	v_fmac_f64_e32 v[108:109], v[174:175], v[160:161]
	v_add_f64 v[0:1], v[0:1], 0
	s_waitcnt vmcnt(27)
	v_mul_f64 v[112:113], v[228:229], v[170:171]
	v_fmac_f64_e32 v[110:111], v[234:235], v[164:165]
	v_add_f64 v[0:1], v[0:1], v[108:109]
	;; [unrolled: 4-line block ×4, first 2 shown]
	s_waitcnt vmcnt(24) lgkmcnt(13)
	v_mul_f64 v[118:119], v[224:225], v[190:191]
	v_fmac_f64_e32 v[116:117], v[186:187], v[180:181]
	v_add_f64 v[0:1], v[0:1], v[114:115]
	s_waitcnt vmcnt(23) lgkmcnt(12)
	v_mul_f64 v[120:121], v[196:197], v[194:195]
	v_fmac_f64_e32 v[118:119], v[226:227], v[188:189]
	v_add_f64 v[0:1], v[0:1], v[116:117]
	;; [unrolled: 4-line block ×9, first 2 shown]
	v_fmac_f64_e32 v[138:139], v[58:59], v[16:17]
	v_add_f64 v[0:1], v[0:1], v[136:137]
	v_add_f64 v[0:1], v[0:1], v[138:139]
	ds_read_b128 v[136:139], v2 offset:1136
	s_waitcnt vmcnt(15) lgkmcnt(5)
	v_mul_f64 v[140:141], v[48:49], v[22:23]
	v_fmac_f64_e32 v[140:141], v[50:51], v[20:21]
	s_waitcnt vmcnt(14) lgkmcnt(4)
	v_mul_f64 v[112:113], v[44:45], v[26:27]
	scratch_load_dwordx4 v[108:111], off, off offset:624
	v_add_f64 v[0:1], v[0:1], v[140:141]
	v_fmac_f64_e32 v[112:113], v[46:47], v[24:25]
	v_add_f64 v[0:1], v[0:1], v[112:113]
	scratch_load_dwordx4 v[112:115], off, off offset:640
	ds_read_b128 v[140:143], v2 offset:1152
	s_waitcnt vmcnt(15) lgkmcnt(1)
	v_mul_f64 v[116:117], v[136:137], v[30:31]
	v_fmac_f64_e32 v[116:117], v[138:139], v[28:29]
	v_add_f64 v[0:1], v[0:1], v[116:117]
	scratch_load_dwordx4 v[116:119], off, off offset:656
	s_waitcnt vmcnt(15) lgkmcnt(0)
	v_mul_f64 v[120:121], v[140:141], v[34:35]
	v_fmac_f64_e32 v[120:121], v[142:143], v[32:33]
	s_waitcnt vmcnt(14)
	v_mul_f64 v[124:125], v[144:145], v[38:39]
	v_add_f64 v[0:1], v[0:1], v[120:121]
	scratch_load_dwordx4 v[120:123], off, off offset:672
	v_fmac_f64_e32 v[124:125], v[146:147], v[36:37]
	v_add_f64 v[0:1], v[0:1], v[124:125]
	s_waitcnt vmcnt(14)
	v_mul_f64 v[124:125], v[148:149], v[54:55]
	scratch_load_dwordx4 v[128:131], off, off offset:688
	v_fmac_f64_e32 v[124:125], v[150:151], v[52:53]
	v_add_f64 v[0:1], v[0:1], v[124:125]
	scratch_load_dwordx4 v[124:127], off, off offset:704
	v_mul_f64 v[134:135], v[158:159], v[134:135]
	v_fma_f64 v[240:241], v[156:157], v[132:133], -v[134:135]
	ds_read_b128 v[156:159], v2 offset:1216
	s_waitcnt vmcnt(15)
	v_mul_f64 v[132:133], v[152:153], v[70:71]
	v_fmac_f64_e32 v[132:133], v[154:155], v[68:69]
	v_add_f64 v[0:1], v[0:1], v[132:133]
	v_mul_f64 v[132:133], v[174:175], v[162:163]
	v_fma_f64 v[242:243], v[172:173], v[160:161], -v[132:133]
	scratch_load_dwordx4 v[132:135], off, off offset:720
	ds_read_b128 v[160:163], v2 offset:1232
	v_mul_f64 v[166:167], v[234:235], v[166:167]
	v_fma_f64 v[244:245], v[232:233], v[164:165], -v[166:167]
	ds_read_b128 v[164:167], v2 offset:1248
	s_waitcnt vmcnt(15) lgkmcnt(2)
	v_mul_f64 v[172:173], v[156:157], v[74:75]
	v_fmac_f64_e32 v[172:173], v[158:159], v[72:73]
	v_add_f64 v[0:1], v[0:1], v[172:173]
	s_waitcnt vmcnt(14) lgkmcnt(1)
	v_mul_f64 v[172:173], v[160:161], v[78:79]
	v_fmac_f64_e32 v[172:173], v[162:163], v[76:77]
	v_mul_f64 v[170:171], v[230:231], v[170:171]
	v_fma_f64 v[246:247], v[228:229], v[168:169], -v[170:171]
	ds_read_b128 v[168:171], v2 offset:1264
	v_add_f64 v[0:1], v[0:1], v[172:173]
	s_waitcnt vmcnt(13) lgkmcnt(1)
	v_mul_f64 v[172:173], v[164:165], v[82:83]
	v_fmac_f64_e32 v[172:173], v[166:167], v[80:81]
	v_add_f64 v[0:1], v[0:1], v[172:173]
	ds_read_b128 v[172:175], v2 offset:1280
	v_mul_f64 v[178:179], v[238:239], v[178:179]
	v_fma_f64 v[236:237], v[236:237], v[176:177], -v[178:179]
	ds_read_b128 v[176:179], v2 offset:1296
	s_waitcnt vmcnt(12) lgkmcnt(2)
	v_mul_f64 v[228:229], v[168:169], v[86:87]
	v_fmac_f64_e32 v[228:229], v[170:171], v[84:85]
	v_add_f64 v[0:1], v[0:1], v[228:229]
	s_waitcnt vmcnt(11) lgkmcnt(1)
	v_mul_f64 v[228:229], v[172:173], v[90:91]
	v_mul_f64 v[182:183], v[186:187], v[182:183]
	v_fmac_f64_e32 v[228:229], v[174:175], v[88:89]
	v_fma_f64 v[238:239], v[184:185], v[180:181], -v[182:183]
	ds_read_b128 v[180:183], v2 offset:1312
	s_waitcnt vmcnt(10) lgkmcnt(1)
	v_mul_f64 v[184:185], v[176:177], v[94:95]
	v_add_f64 v[0:1], v[0:1], v[228:229]
	v_fmac_f64_e32 v[184:185], v[178:179], v[92:93]
	v_add_f64 v[0:1], v[0:1], v[184:185]
	ds_read_b128 v[184:187], v2 offset:1328
	v_mul_f64 v[190:191], v[226:227], v[190:191]
	v_fma_f64 v[248:249], v[224:225], v[188:189], -v[190:191]
	ds_read_b128 v[188:191], v2 offset:1344
	s_waitcnt vmcnt(9) lgkmcnt(2)
	v_mul_f64 v[228:229], v[180:181], v[98:99]
	v_fmac_f64_e32 v[228:229], v[182:183], v[96:97]
	s_waitcnt vmcnt(8) lgkmcnt(1)
	v_mul_f64 v[224:225], v[184:185], v[102:103]
	v_mul_f64 v[194:195], v[198:199], v[194:195]
	v_add_f64 v[0:1], v[0:1], v[228:229]
	v_fmac_f64_e32 v[224:225], v[186:187], v[100:101]
	v_fma_f64 v[254:255], v[196:197], v[192:193], -v[194:195]
	s_waitcnt vmcnt(7) lgkmcnt(0)
	v_mul_f64 v[196:197], v[188:189], v[106:107]
	ds_read_b128 v[192:195], v2 offset:1360
	v_add_f64 v[0:1], v[0:1], v[224:225]
	v_fmac_f64_e32 v[196:197], v[190:191], v[104:105]
	v_add_f64 v[0:1], v[0:1], v[196:197]
	ds_read_b128 v[196:199], v2 offset:1376
	v_mul_f64 v[202:203], v[210:211], v[202:203]
	v_fma_f64 v[250:251], v[208:209], v[200:201], -v[202:203]
	ds_read_b128 v[200:203], v2 offset:1392
	s_waitcnt vmcnt(6) lgkmcnt(2)
	v_mul_f64 v[224:225], v[192:193], v[110:111]
	v_fmac_f64_e32 v[224:225], v[194:195], v[108:109]
	s_waitcnt vmcnt(5) lgkmcnt(1)
	v_mul_f64 v[208:209], v[196:197], v[114:115]
	v_add_f64 v[0:1], v[0:1], v[224:225]
	v_fmac_f64_e32 v[208:209], v[198:199], v[112:113]
	v_add_f64 v[208:209], v[0:1], v[208:209]
	v_mul_f64 v[0:1], v[222:223], v[206:207]
	v_fma_f64 v[0:1], v[220:221], v[204:205], -v[0:1]
	ds_read_b128 v[204:207], v2 offset:1408
	s_waitcnt vmcnt(4) lgkmcnt(1)
	v_mul_f64 v[210:211], v[200:201], v[118:119]
	v_fmac_f64_e32 v[210:211], v[202:203], v[116:117]
	v_add_f64 v[220:221], v[208:209], v[210:211]
	ds_read_b128 v[208:211], v2 offset:1424
	v_mul_f64 v[214:215], v[218:219], v[214:215]
	v_fma_f64 v[252:253], v[216:217], v[212:213], -v[214:215]
	ds_read_b128 v[212:215], v2 offset:1440
	s_waitcnt vmcnt(3) lgkmcnt(2)
	v_mul_f64 v[216:217], v[204:205], v[122:123]
	v_fmac_f64_e32 v[216:217], v[206:207], v[120:121]
	s_waitcnt vmcnt(2) lgkmcnt(1)
	v_mul_f64 v[218:219], v[208:209], v[130:131]
	v_add_f64 v[216:217], v[220:221], v[216:217]
	v_fmac_f64_e32 v[218:219], v[210:211], v[128:129]
	v_add_f64 v[216:217], v[216:217], v[218:219]
	s_waitcnt vmcnt(1) lgkmcnt(0)
	v_mul_f64 v[218:219], v[212:213], v[126:127]
	v_fmac_f64_e32 v[218:219], v[214:215], v[124:125]
	v_add_f64 v[220:221], v[216:217], v[218:219]
	ds_read_b128 v[216:219], v2 offset:1456
	ds_read_b128 v[224:227], v2 offset:1472
	scratch_load_dwordx4 v[232:235], off, off offset:752
	v_accvgpr_write_b32 a97, v1
	v_accvgpr_write_b32 a96, v0
	s_waitcnt vmcnt(1) lgkmcnt(1)
	v_mul_f64 v[222:223], v[216:217], v[134:135]
	v_fmac_f64_e32 v[222:223], v[218:219], v[132:133]
	v_add_f64 v[228:229], v[220:221], v[222:223]
	scratch_load_dwordx4 v[220:223], off, off offset:736
	v_mul_f64 v[6:7], v[42:43], v[6:7]
	v_fma_f64 v[4:5], v[40:41], v[4:5], -v[6:7]
	s_waitcnt vmcnt(0) lgkmcnt(0)
	v_mul_f64 v[230:231], v[224:225], v[222:223]
	v_fmac_f64_e32 v[230:231], v[226:227], v[220:221]
	v_add_f64 v[0:1], v[228:229], v[230:231]
	ds_read_b128 v[228:231], v2 offset:1488
	s_waitcnt lgkmcnt(0)
	v_mul_f64 v[2:3], v[228:229], v[234:235]
	v_fmac_f64_e32 v[2:3], v[230:231], v[232:233]
	v_add_f64 v[2:3], v[0:1], v[2:3]
	v_add_f64 v[0:1], v[240:241], 0
	;; [unrolled: 1-line block ×7, first 2 shown]
	scratch_load_dwordx4 v[236:239], off, off offset:112
	v_add_f64 v[0:1], v[0:1], v[248:249]
	v_add_f64 v[0:1], v[0:1], v[254:255]
	;; [unrolled: 1-line block ×3, first 2 shown]
	v_accvgpr_read_b32 v0, a96
	v_accvgpr_read_b32 v1, a97
	v_add_f64 v[0:1], v[254:255], v[0:1]
	v_add_f64 v[0:1], v[0:1], v[252:253]
	;; [unrolled: 1-line block ×3, first 2 shown]
	v_mul_f64 v[4:5], v[66:67], v[10:11]
	v_fma_f64 v[4:5], v[64:65], v[8:9], -v[4:5]
	v_add_f64 v[0:1], v[0:1], v[4:5]
	v_mul_f64 v[4:5], v[62:63], v[14:15]
	v_fma_f64 v[4:5], v[60:61], v[12:13], -v[4:5]
	v_add_f64 v[0:1], v[0:1], v[4:5]
	;; [unrolled: 3-line block ×28, first 2 shown]
	s_waitcnt vmcnt(0)
	v_add_f64 v[4:5], v[236:237], -v[0:1]
	v_accvgpr_read_b32 v0, a94
	v_add_f64 v[6:7], v[238:239], -v[2:3]
	v_cmp_lt_u32_e32 vcc, 5, v0
	scratch_store_dwordx4 off, v[4:7], off offset:112
	s_and_saveexec_b64 s[0:1], vcc
	s_cbranch_execz .LBB110_285
; %bb.284:
	scratch_load_dwordx4 v[2:5], off, s58
	v_mov_b32_e32 v6, 0
	v_mov_b32_e32 v7, v6
	v_mov_b32_e32 v8, v6
	v_mov_b32_e32 v9, v6
	v_accvgpr_read_b32 v0, a95
	scratch_store_dwordx4 off, v[6:9], off offset:96
	s_waitcnt vmcnt(1)
	ds_write_b128 v0, v[2:5]
.LBB110_285:
	s_or_b64 exec, exec, s[0:1]
	s_waitcnt lgkmcnt(0)
	; wave barrier
	scratch_load_dwordx4 v[112:115], off, off offset:112
	scratch_load_dwordx4 v[116:119], off, off offset:128
	;; [unrolled: 1-line block ×30, first 2 shown]
	v_mov_b32_e32 v2, 0
	ds_read_b128 v[144:147], v2 offset:848
	ds_read_b128 v[156:159], v2 offset:864
	ds_read_b128 v[168:171], v2 offset:880
	ds_read_b128 v[180:183], v2 offset:896
	ds_read_b128 v[192:195], v2 offset:912
	ds_read_b128 v[204:207], v2 offset:928
	ds_read_b128 v[212:215], v2 offset:944
	ds_read_b128 v[216:219], v2 offset:960
	ds_read_b128 v[220:223], v2 offset:976
	ds_read_b128 v[224:227], v2 offset:992
	ds_read_b128 v[228:231], v2 offset:1008
	ds_read_b128 v[242:245], v2 offset:1024
	ds_read_b128 v[250:253], v2 offset:1040
	ds_read_b128 v[84:87], v2 offset:1056
	ds_read_b128 v[80:83], v2 offset:1072
	ds_read_b128 v[76:79], v2 offset:1088
	ds_read_b128 v[72:75], v2 offset:1104
	ds_read_b128 v[132:135], v2 offset:1152
	ds_read_b128 v[136:139], v2 offset:1168
	ds_read_b128 v[140:143], v2 offset:1184
	s_waitcnt vmcnt(29) lgkmcnt(14)
	v_mul_f64 v[0:1], v[144:145], v[114:115]
	s_waitcnt vmcnt(28)
	v_mul_f64 v[88:89], v[156:157], v[118:119]
	v_fmac_f64_e32 v[0:1], v[146:147], v[112:113]
	s_waitcnt vmcnt(27)
	v_mul_f64 v[90:91], v[168:169], v[122:123]
	v_fmac_f64_e32 v[88:89], v[158:159], v[116:117]
	v_add_f64 v[0:1], v[0:1], 0
	s_waitcnt vmcnt(26)
	v_mul_f64 v[92:93], v[180:181], v[154:155]
	v_fmac_f64_e32 v[90:91], v[170:171], v[120:121]
	v_add_f64 v[0:1], v[0:1], v[88:89]
	;; [unrolled: 4-line block ×4, first 2 shown]
	s_waitcnt vmcnt(23) lgkmcnt(13)
	v_mul_f64 v[98:99], v[212:213], v[174:175]
	v_fmac_f64_e32 v[96:97], v[206:207], v[164:165]
	v_add_f64 v[0:1], v[0:1], v[94:95]
	s_waitcnt vmcnt(22) lgkmcnt(12)
	v_mul_f64 v[100:101], v[216:217], v[178:179]
	v_fmac_f64_e32 v[98:99], v[214:215], v[172:173]
	v_add_f64 v[0:1], v[0:1], v[96:97]
	;; [unrolled: 4-line block ×9, first 2 shown]
	v_fmac_f64_e32 v[126:127], v[82:83], v[234:235]
	v_add_f64 v[0:1], v[0:1], v[124:125]
	scratch_load_dwordx4 v[88:91], off, off offset:592
	s_waitcnt vmcnt(15) lgkmcnt(4)
	v_mul_f64 v[128:129], v[76:77], v[14:15]
	v_add_f64 v[0:1], v[0:1], v[126:127]
	ds_read_b128 v[124:127], v2 offset:1120
	v_fmac_f64_e32 v[128:129], v[78:79], v[12:13]
	v_add_f64 v[0:1], v[0:1], v[128:129]
	ds_read_b128 v[128:131], v2 offset:1136
	s_waitcnt vmcnt(14) lgkmcnt(5)
	v_mul_f64 v[92:93], v[72:73], v[18:19]
	v_fmac_f64_e32 v[92:93], v[74:75], v[16:17]
	v_add_f64 v[0:1], v[0:1], v[92:93]
	s_waitcnt vmcnt(13) lgkmcnt(1)
	v_mul_f64 v[96:97], v[124:125], v[22:23]
	scratch_load_dwordx4 v[92:95], off, off offset:608
	v_fmac_f64_e32 v[96:97], v[126:127], v[20:21]
	v_add_f64 v[0:1], v[0:1], v[96:97]
	s_waitcnt vmcnt(13) lgkmcnt(0)
	v_mul_f64 v[100:101], v[128:129], v[26:27]
	scratch_load_dwordx4 v[96:99], off, off offset:624
	v_fmac_f64_e32 v[100:101], v[130:131], v[24:25]
	v_add_f64 v[0:1], v[0:1], v[100:101]
	scratch_load_dwordx4 v[100:103], off, off offset:640
	s_waitcnt vmcnt(14)
	v_mul_f64 v[104:105], v[132:133], v[30:31]
	v_fmac_f64_e32 v[104:105], v[134:135], v[28:29]
	v_add_f64 v[0:1], v[0:1], v[104:105]
	s_waitcnt vmcnt(13)
	v_mul_f64 v[104:105], v[136:137], v[34:35]
	v_fmac_f64_e32 v[104:105], v[138:139], v[32:33]
	v_add_f64 v[0:1], v[0:1], v[104:105]
	scratch_load_dwordx4 v[104:107], off, off offset:656
	s_waitcnt vmcnt(13)
	v_mul_f64 v[108:109], v[140:141], v[38:39]
	v_fmac_f64_e32 v[108:109], v[142:143], v[36:37]
	v_add_f64 v[0:1], v[0:1], v[108:109]
	scratch_load_dwordx4 v[108:111], off, off offset:672
	v_mul_f64 v[114:115], v[146:147], v[114:115]
	v_fma_f64 v[240:241], v[144:145], v[112:113], -v[114:115]
	v_mul_f64 v[112:113], v[158:159], v[118:119]
	ds_read_b128 v[148:151], v2 offset:1200
	ds_read_b128 v[144:147], v2 offset:1216
	v_fma_f64 v[246:247], v[156:157], v[116:117], -v[112:113]
	scratch_load_dwordx4 v[116:119], off, off offset:688
	scratch_load_dwordx4 v[112:115], off, off offset:704
	v_mul_f64 v[122:123], v[170:171], v[122:123]
	v_fma_f64 v[248:249], v[168:169], v[120:121], -v[122:123]
	scratch_load_dwordx4 v[120:123], off, off offset:720
	s_waitcnt vmcnt(16) lgkmcnt(1)
	v_mul_f64 v[156:157], v[148:149], v[42:43]
	v_fmac_f64_e32 v[156:157], v[150:151], v[40:41]
	v_mul_f64 v[154:155], v[182:183], v[154:155]
	v_add_f64 v[0:1], v[0:1], v[156:157]
	v_fma_f64 v[254:255], v[180:181], v[152:153], -v[154:155]
	ds_read_b128 v[152:155], v2 offset:1232
	s_waitcnt vmcnt(15) lgkmcnt(1)
	v_mul_f64 v[156:157], v[144:145], v[46:47]
	v_fmac_f64_e32 v[156:157], v[146:147], v[44:45]
	v_add_f64 v[0:1], v[0:1], v[156:157]
	ds_read_b128 v[156:159], v2 offset:1248
	v_mul_f64 v[162:163], v[194:195], v[162:163]
	v_fma_f64 v[232:233], v[192:193], v[160:161], -v[162:163]
	ds_read_b128 v[160:163], v2 offset:1264
	s_waitcnt vmcnt(14) lgkmcnt(2)
	v_mul_f64 v[168:169], v[152:153], v[50:51]
	v_fmac_f64_e32 v[168:169], v[154:155], v[48:49]
	v_add_f64 v[0:1], v[0:1], v[168:169]
	s_waitcnt vmcnt(13) lgkmcnt(1)
	v_mul_f64 v[168:169], v[156:157], v[54:55]
	v_fmac_f64_e32 v[168:169], v[158:159], v[52:53]
	v_mul_f64 v[166:167], v[206:207], v[166:167]
	v_add_f64 v[0:1], v[0:1], v[168:169]
	v_fma_f64 v[238:239], v[204:205], v[164:165], -v[166:167]
	ds_read_b128 v[164:167], v2 offset:1280
	s_waitcnt vmcnt(12) lgkmcnt(1)
	v_mul_f64 v[168:169], v[160:161], v[58:59]
	v_fmac_f64_e32 v[168:169], v[162:163], v[56:57]
	v_add_f64 v[0:1], v[0:1], v[168:169]
	ds_read_b128 v[168:171], v2 offset:1296
	v_accvgpr_write_b32 a99, v7
	v_accvgpr_write_b32 a98, v6
	;; [unrolled: 1-line block ×4, first 2 shown]
	s_waitcnt vmcnt(11) lgkmcnt(1)
	v_mul_f64 v[6:7], v[164:165], v[62:63]
	v_mul_f64 v[174:175], v[214:215], v[174:175]
	v_fmac_f64_e32 v[6:7], v[166:167], v[60:61]
	v_fma_f64 v[8:9], v[212:213], v[172:173], -v[174:175]
	ds_read_b128 v[172:175], v2 offset:1312
	v_add_f64 v[0:1], v[0:1], v[6:7]
	s_waitcnt vmcnt(10) lgkmcnt(1)
	v_mul_f64 v[6:7], v[168:169], v[66:67]
	v_fmac_f64_e32 v[6:7], v[170:171], v[64:65]
	v_add_f64 v[0:1], v[0:1], v[6:7]
	v_mul_f64 v[6:7], v[218:219], v[178:179]
	v_fma_f64 v[4:5], v[216:217], v[176:177], -v[6:7]
	ds_read_b128 v[176:179], v2 offset:1328
	ds_read_b128 v[180:183], v2 offset:1344
	s_waitcnt vmcnt(9) lgkmcnt(2)
	v_mul_f64 v[6:7], v[172:173], v[70:71]
	v_fmac_f64_e32 v[6:7], v[174:175], v[68:69]
	v_add_f64 v[0:1], v[0:1], v[6:7]
	s_waitcnt vmcnt(8) lgkmcnt(1)
	v_mul_f64 v[6:7], v[176:177], v[90:91]
	v_fmac_f64_e32 v[6:7], v[178:179], v[88:89]
	v_add_f64 v[0:1], v[0:1], v[6:7]
	v_mul_f64 v[6:7], v[222:223], v[186:187]
	v_fma_f64 v[10:11], v[220:221], v[184:185], -v[6:7]
	ds_read_b128 v[184:187], v2 offset:1360
	v_mul_f64 v[6:7], v[226:227], v[190:191]
	v_fma_f64 v[6:7], v[224:225], v[188:189], -v[6:7]
	ds_read_b128 v[188:191], v2 offset:1376
	s_waitcnt vmcnt(7) lgkmcnt(2)
	v_mul_f64 v[192:193], v[180:181], v[94:95]
	v_fmac_f64_e32 v[192:193], v[182:183], v[92:93]
	v_add_f64 v[0:1], v[0:1], v[192:193]
	s_waitcnt vmcnt(6) lgkmcnt(1)
	v_mul_f64 v[192:193], v[184:185], v[98:99]
	v_fmac_f64_e32 v[192:193], v[186:187], v[96:97]
	v_add_f64 v[0:1], v[0:1], v[192:193]
	s_waitcnt vmcnt(5) lgkmcnt(0)
	v_mul_f64 v[204:205], v[188:189], v[102:103]
	ds_read_b128 v[192:195], v2 offset:1392
	v_fmac_f64_e32 v[204:205], v[190:191], v[100:101]
	v_add_f64 v[204:205], v[0:1], v[204:205]
	v_mul_f64 v[0:1], v[230:231], v[198:199]
	v_fma_f64 v[0:1], v[228:229], v[196:197], -v[0:1]
	ds_read_b128 v[196:199], v2 offset:1408
	v_mul_f64 v[202:203], v[244:245], v[202:203]
	s_waitcnt vmcnt(4) lgkmcnt(1)
	v_mul_f64 v[206:207], v[192:193], v[106:107]
	v_fma_f64 v[242:243], v[242:243], v[200:201], -v[202:203]
	ds_read_b128 v[200:203], v2 offset:1424
	v_fmac_f64_e32 v[206:207], v[194:195], v[104:105]
	v_add_f64 v[212:213], v[204:205], v[206:207]
	ds_read_b128 v[204:207], v2 offset:1440
	s_waitcnt vmcnt(3) lgkmcnt(2)
	v_mul_f64 v[214:215], v[196:197], v[110:111]
	v_mul_f64 v[210:211], v[252:253], v[210:211]
	v_fmac_f64_e32 v[214:215], v[198:199], v[108:109]
	v_fma_f64 v[250:251], v[250:251], v[208:209], -v[210:211]
	ds_read_b128 v[208:211], v2 offset:1456
	ds_read_b128 v[216:219], v2 offset:1472
	v_add_f64 v[212:213], v[212:213], v[214:215]
	s_waitcnt vmcnt(2) lgkmcnt(3)
	v_mul_f64 v[214:215], v[200:201], v[118:119]
	v_fmac_f64_e32 v[214:215], v[202:203], v[116:117]
	v_add_f64 v[212:213], v[212:213], v[214:215]
	s_waitcnt vmcnt(1) lgkmcnt(2)
	v_mul_f64 v[214:215], v[204:205], v[114:115]
	v_fmac_f64_e32 v[214:215], v[206:207], v[112:113]
	;; [unrolled: 4-line block ×3, first 2 shown]
	v_add_f64 v[220:221], v[212:213], v[214:215]
	scratch_load_dwordx4 v[212:215], off, off offset:736
	ds_read_b128 v[224:227], v2 offset:1488
	s_waitcnt vmcnt(0) lgkmcnt(1)
	v_mul_f64 v[222:223], v[216:217], v[214:215]
	v_fmac_f64_e32 v[222:223], v[218:219], v[212:213]
	v_add_f64 v[228:229], v[220:221], v[222:223]
	scratch_load_dwordx4 v[220:223], off, off offset:752
	s_waitcnt vmcnt(0) lgkmcnt(0)
	v_mul_f64 v[230:231], v[224:225], v[222:223]
	v_fmac_f64_e32 v[230:231], v[226:227], v[220:221]
	v_add_f64 v[244:245], v[228:229], v[230:231]
	v_add_f64 v[228:229], v[240:241], 0
	;; [unrolled: 1-line block ×8, first 2 shown]
	scratch_load_dwordx4 v[228:231], off, off offset:96
	v_add_f64 v[4:5], v[8:9], v[4:5]
	v_add_f64 v[252:253], v[4:5], v[10:11]
	v_add_f64 v[4:5], v[252:253], v[6:7]
	v_accvgpr_read_b32 v6, a96
	v_add_f64 v[0:1], v[4:5], v[0:1]
	v_accvgpr_read_b32 v8, a98
	v_accvgpr_read_b32 v9, a99
	v_add_f64 v[0:1], v[0:1], v[242:243]
	v_accvgpr_read_b32 v7, a97
	v_mul_f64 v[4:5], v[86:87], v[8:9]
	v_add_f64 v[0:1], v[0:1], v[250:251]
	v_fma_f64 v[4:5], v[84:85], v[6:7], -v[4:5]
	v_add_f64 v[0:1], v[0:1], v[4:5]
	v_mul_f64 v[4:5], v[82:83], v[236:237]
	v_fma_f64 v[4:5], v[80:81], v[234:235], -v[4:5]
	v_add_f64 v[0:1], v[0:1], v[4:5]
	v_mul_f64 v[4:5], v[78:79], v[14:15]
	;; [unrolled: 3-line block ×27, first 2 shown]
	v_fma_f64 v[4:5], v[224:225], v[220:221], -v[4:5]
	v_add_f64 v[0:1], v[0:1], v[4:5]
	s_waitcnt vmcnt(0)
	v_add_f64 v[4:5], v[228:229], -v[0:1]
	v_accvgpr_read_b32 v0, a94
	v_add_f64 v[6:7], v[230:231], -v[244:245]
	v_cmp_lt_u32_e32 vcc, 4, v0
	scratch_store_dwordx4 off, v[4:7], off offset:96
	s_and_saveexec_b64 s[0:1], vcc
	s_cbranch_execz .LBB110_287
; %bb.286:
	scratch_load_dwordx4 v[6:9], off, s59
	v_mov_b32_e32 v3, v2
	v_mov_b32_e32 v4, v2
	;; [unrolled: 1-line block ×3, first 2 shown]
	v_accvgpr_read_b32 v0, a95
	scratch_store_dwordx4 off, v[2:5], off offset:80
	s_waitcnt vmcnt(1)
	ds_write_b128 v0, v[6:9]
.LBB110_287:
	s_or_b64 exec, exec, s[0:1]
	s_waitcnt lgkmcnt(0)
	; wave barrier
	scratch_load_dwordx4 v[88:91], off, off offset:96
	scratch_load_dwordx4 v[92:95], off, off offset:112
	;; [unrolled: 1-line block ×17, first 2 shown]
	ds_read_b128 v[212:215], v2 offset:832
	ds_read_b128 v[204:207], v2 offset:848
	;; [unrolled: 1-line block ×3, first 2 shown]
	scratch_load_dwordx4 v[20:23], off, off offset:368
	ds_read_b128 v[216:219], v2 offset:880
	ds_read_b128 v[208:211], v2 offset:896
	;; [unrolled: 1-line block ×5, first 2 shown]
	scratch_load_dwordx4 v[24:27], off, off offset:384
	ds_read_b128 v[180:183], v2 offset:960
	ds_read_b128 v[160:163], v2 offset:976
	;; [unrolled: 1-line block ×3, first 2 shown]
	scratch_load_dwordx4 v[28:31], off, off offset:400
	ds_read_b128 v[172:175], v2 offset:1008
	ds_read_b128 v[148:151], v2 offset:1024
	;; [unrolled: 1-line block ×5, first 2 shown]
	scratch_load_dwordx4 v[36:39], off, off offset:416
	ds_read_b128 v[48:51], v2 offset:1088
	scratch_load_dwordx4 v[52:55], off, off offset:432
	scratch_load_dwordx4 v[56:59], off, off offset:448
	;; [unrolled: 1-line block ×9, first 2 shown]
	ds_read_b128 v[140:143], v2 offset:1104
	ds_read_b128 v[232:235], v2 offset:1168
	;; [unrolled: 1-line block ×3, first 2 shown]
	s_waitcnt vmcnt(29) lgkmcnt(14)
	v_mul_f64 v[0:1], v[212:213], v[90:91]
	s_waitcnt vmcnt(28)
	v_mul_f64 v[152:153], v[204:205], v[94:95]
	v_fmac_f64_e32 v[0:1], v[214:215], v[88:89]
	s_waitcnt vmcnt(27)
	v_mul_f64 v[154:155], v[196:197], v[98:99]
	v_fmac_f64_e32 v[152:153], v[206:207], v[92:93]
	v_add_f64 v[0:1], v[0:1], 0
	s_waitcnt vmcnt(26)
	v_mul_f64 v[164:165], v[216:217], v[102:103]
	v_fmac_f64_e32 v[154:155], v[198:199], v[96:97]
	v_add_f64 v[0:1], v[0:1], v[152:153]
	;; [unrolled: 4-line block ×4, first 2 shown]
	s_waitcnt vmcnt(23) lgkmcnt(13)
	v_mul_f64 v[170:171], v[184:185], v[114:115]
	v_fmac_f64_e32 v[168:169], v[202:203], v[108:109]
	v_add_f64 v[0:1], v[0:1], v[166:167]
	s_waitcnt vmcnt(22) lgkmcnt(12)
	v_mul_f64 v[176:177], v[156:157], v[118:119]
	v_fmac_f64_e32 v[170:171], v[186:187], v[112:113]
	v_add_f64 v[0:1], v[0:1], v[168:169]
	;; [unrolled: 4-line block ×10, first 2 shown]
	v_fmac_f64_e32 v[224:225], v[34:35], v[12:13]
	v_add_f64 v[0:1], v[0:1], v[222:223]
	ds_read_b128 v[220:223], v2 offset:1120
	v_add_f64 v[0:1], v[0:1], v[224:225]
	ds_read_b128 v[224:227], v2 offset:1136
	s_waitcnt vmcnt(13) lgkmcnt(5)
	v_mul_f64 v[164:165], v[48:49], v[18:19]
	scratch_load_dwordx4 v[152:155], off, off offset:576
	v_fmac_f64_e32 v[164:165], v[50:51], v[16:17]
	s_waitcnt vmcnt(13) lgkmcnt(4)
	v_mul_f64 v[168:169], v[140:141], v[22:23]
	v_add_f64 v[0:1], v[0:1], v[164:165]
	v_fmac_f64_e32 v[168:169], v[142:143], v[20:21]
	scratch_load_dwordx4 v[164:167], off, off offset:592
	v_add_f64 v[0:1], v[0:1], v[168:169]
	s_waitcnt vmcnt(13) lgkmcnt(1)
	v_mul_f64 v[176:177], v[220:221], v[26:27]
	scratch_load_dwordx4 v[168:171], off, off offset:608
	v_fmac_f64_e32 v[176:177], v[222:223], v[24:25]
	s_waitcnt vmcnt(13) lgkmcnt(0)
	v_mul_f64 v[188:189], v[224:225], v[30:31]
	v_add_f64 v[0:1], v[0:1], v[176:177]
	scratch_load_dwordx4 v[176:179], off, off offset:624
	v_fmac_f64_e32 v[188:189], v[226:227], v[28:29]
	v_add_f64 v[0:1], v[0:1], v[188:189]
	s_waitcnt vmcnt(13)
	v_mul_f64 v[188:189], v[228:229], v[38:39]
	v_fmac_f64_e32 v[188:189], v[230:231], v[36:37]
	v_add_f64 v[0:1], v[0:1], v[188:189]
	scratch_load_dwordx4 v[188:191], off, off offset:640
	s_waitcnt vmcnt(13)
	v_mul_f64 v[192:193], v[232:233], v[54:55]
	v_fmac_f64_e32 v[192:193], v[234:235], v[52:53]
	v_mul_f64 v[90:91], v[214:215], v[90:91]
	v_add_f64 v[0:1], v[0:1], v[192:193]
	scratch_load_dwordx4 v[192:195], off, off offset:656
	v_fma_f64 v[240:241], v[212:213], v[88:89], -v[90:91]
	v_mul_f64 v[88:89], v[206:207], v[94:95]
	ds_read_b128 v[236:239], v2 offset:1184
	ds_read_b128 v[212:215], v2 offset:1200
	v_fma_f64 v[242:243], v[204:205], v[92:93], -v[88:89]
	scratch_load_dwordx4 v[92:95], off, off offset:672
	scratch_load_dwordx4 v[88:91], off, off offset:688
	v_mul_f64 v[98:99], v[198:199], v[98:99]
	v_fma_f64 v[244:245], v[196:197], v[96:97], -v[98:99]
	scratch_load_dwordx4 v[96:99], off, off offset:704
	s_waitcnt vmcnt(16) lgkmcnt(1)
	v_mul_f64 v[204:205], v[236:237], v[58:59]
	v_mul_f64 v[102:103], v[218:219], v[102:103]
	v_fmac_f64_e32 v[204:205], v[238:239], v[56:57]
	v_fma_f64 v[216:217], v[216:217], v[100:101], -v[102:103]
	ds_read_b128 v[100:103], v2 offset:1216
	s_waitcnt vmcnt(15) lgkmcnt(1)
	v_mul_f64 v[196:197], v[212:213], v[62:63]
	v_add_f64 v[0:1], v[0:1], v[204:205]
	v_fmac_f64_e32 v[196:197], v[214:215], v[60:61]
	v_add_f64 v[0:1], v[0:1], v[196:197]
	ds_read_b128 v[196:199], v2 offset:1232
	v_mul_f64 v[106:107], v[210:211], v[106:107]
	v_fma_f64 v[218:219], v[208:209], v[104:105], -v[106:107]
	ds_read_b128 v[104:107], v2 offset:1248
	s_waitcnt vmcnt(14) lgkmcnt(2)
	v_mul_f64 v[204:205], v[100:101], v[66:67]
	v_fmac_f64_e32 v[204:205], v[102:103], v[64:65]
	v_add_f64 v[0:1], v[0:1], v[204:205]
	s_waitcnt vmcnt(13) lgkmcnt(1)
	v_mul_f64 v[204:205], v[196:197], v[70:71]
	v_mul_f64 v[110:111], v[202:203], v[110:111]
	v_fmac_f64_e32 v[204:205], v[198:199], v[68:69]
	v_fma_f64 v[246:247], v[200:201], v[108:109], -v[110:111]
	ds_read_b128 v[108:111], v2 offset:1264
	s_waitcnt vmcnt(12) lgkmcnt(1)
	v_mul_f64 v[200:201], v[104:105], v[74:75]
	v_add_f64 v[0:1], v[0:1], v[204:205]
	v_fmac_f64_e32 v[200:201], v[106:107], v[72:73]
	v_add_f64 v[0:1], v[0:1], v[200:201]
	ds_read_b128 v[200:203], v2 offset:1280
	v_mul_f64 v[114:115], v[186:187], v[114:115]
	v_fma_f64 v[248:249], v[184:185], v[112:113], -v[114:115]
	ds_read_b128 v[112:115], v2 offset:1296
	s_waitcnt vmcnt(11) lgkmcnt(2)
	v_mul_f64 v[184:185], v[108:109], v[78:79]
	v_fmac_f64_e32 v[184:185], v[110:111], v[76:77]
	v_add_f64 v[0:1], v[0:1], v[184:185]
	s_waitcnt vmcnt(10) lgkmcnt(1)
	v_mul_f64 v[184:185], v[200:201], v[82:83]
	v_mul_f64 v[118:119], v[158:159], v[118:119]
	v_fmac_f64_e32 v[184:185], v[202:203], v[80:81]
	v_fma_f64 v[254:255], v[156:157], v[116:117], -v[118:119]
	s_waitcnt vmcnt(9) lgkmcnt(0)
	v_mul_f64 v[156:157], v[112:113], v[86:87]
	v_add_f64 v[0:1], v[0:1], v[184:185]
	ds_read_b128 v[116:119], v2 offset:1312
	v_fmac_f64_e32 v[156:157], v[114:115], v[84:85]
	v_add_f64 v[0:1], v[0:1], v[156:157]
	ds_read_b128 v[156:159], v2 offset:1328
	v_mul_f64 v[122:123], v[182:183], v[122:123]
	v_fma_f64 v[250:251], v[180:181], v[120:121], -v[122:123]
	ds_read_b128 v[120:123], v2 offset:1344
	v_accvgpr_write_b32 a99, v7
	v_mul_f64 v[126:127], v[162:163], v[126:127]
	v_accvgpr_write_b32 a98, v6
	v_accvgpr_write_b32 a97, v5
	;; [unrolled: 1-line block ×3, first 2 shown]
	v_fma_f64 v[4:5], v[160:161], v[124:125], -v[126:127]
	ds_read_b128 v[124:127], v2 offset:1360
	s_waitcnt vmcnt(8) lgkmcnt(3)
	v_mul_f64 v[184:185], v[116:117], v[154:155]
	v_fmac_f64_e32 v[184:185], v[118:119], v[152:153]
	s_waitcnt vmcnt(7) lgkmcnt(2)
	v_mul_f64 v[180:181], v[156:157], v[166:167]
	v_add_f64 v[0:1], v[0:1], v[184:185]
	v_fmac_f64_e32 v[180:181], v[158:159], v[164:165]
	s_waitcnt vmcnt(6) lgkmcnt(1)
	v_mul_f64 v[6:7], v[120:121], v[170:171]
	ds_read_b128 v[160:163], v2 offset:1376
	v_add_f64 v[0:1], v[0:1], v[180:181]
	v_fmac_f64_e32 v[6:7], v[122:123], v[168:169]
	v_add_f64 v[0:1], v[0:1], v[6:7]
	s_waitcnt vmcnt(5) lgkmcnt(1)
	v_mul_f64 v[6:7], v[124:125], v[178:179]
	v_fmac_f64_e32 v[6:7], v[126:127], v[176:177]
	v_add_f64 v[0:1], v[0:1], v[6:7]
	v_mul_f64 v[6:7], v[146:147], v[130:131]
	v_fma_f64 v[6:7], v[144:145], v[128:129], -v[6:7]
	ds_read_b128 v[128:131], v2 offset:1392
	s_waitcnt vmcnt(4) lgkmcnt(1)
	v_mul_f64 v[144:145], v[160:161], v[190:191]
	v_fmac_f64_e32 v[144:145], v[162:163], v[188:189]
	v_add_f64 v[180:181], v[0:1], v[144:145]
	v_mul_f64 v[0:1], v[174:175], v[134:135]
	v_fma_f64 v[0:1], v[172:173], v[132:133], -v[0:1]
	ds_read_b128 v[132:135], v2 offset:1408
	ds_read_b128 v[144:147], v2 offset:1424
	v_mul_f64 v[138:139], v[150:151], v[138:139]
	v_fma_f64 v[252:253], v[148:149], v[136:137], -v[138:139]
	ds_read_b128 v[136:139], v2 offset:1440
	s_waitcnt vmcnt(3) lgkmcnt(3)
	v_mul_f64 v[172:173], v[128:129], v[194:195]
	v_fmac_f64_e32 v[172:173], v[130:131], v[192:193]
	s_waitcnt vmcnt(2) lgkmcnt(2)
	v_mul_f64 v[148:149], v[132:133], v[94:95]
	v_add_f64 v[172:173], v[180:181], v[172:173]
	v_fmac_f64_e32 v[148:149], v[134:135], v[92:93]
	s_waitcnt vmcnt(1) lgkmcnt(1)
	v_mul_f64 v[150:151], v[144:145], v[90:91]
	v_add_f64 v[148:149], v[172:173], v[148:149]
	v_fmac_f64_e32 v[150:151], v[146:147], v[88:89]
	v_add_f64 v[148:149], v[148:149], v[150:151]
	ds_read_b128 v[172:175], v2 offset:1456
	scratch_load_dwordx4 v[208:211], off, off offset:752
	s_waitcnt vmcnt(1) lgkmcnt(1)
	v_mul_f64 v[150:151], v[136:137], v[98:99]
	v_fmac_f64_e32 v[150:151], v[138:139], v[96:97]
	v_add_f64 v[180:181], v[148:149], v[150:151]
	scratch_load_dwordx4 v[148:151], off, off offset:720
	ds_read_b128 v[184:187], v2 offset:1472
	v_accvgpr_write_b32 a101, v1
	v_accvgpr_write_b32 a100, v0
	s_waitcnt vmcnt(0) lgkmcnt(1)
	v_mul_f64 v[182:183], v[172:173], v[150:151]
	v_fmac_f64_e32 v[182:183], v[174:175], v[148:149]
	v_add_f64 v[204:205], v[180:181], v[182:183]
	scratch_load_dwordx4 v[180:183], off, off offset:736
	s_waitcnt vmcnt(0) lgkmcnt(0)
	v_mul_f64 v[206:207], v[184:185], v[182:183]
	v_fmac_f64_e32 v[206:207], v[186:187], v[180:181]
	v_add_f64 v[0:1], v[204:205], v[206:207]
	ds_read_b128 v[204:207], v2 offset:1488
	s_waitcnt lgkmcnt(0)
	v_mul_f64 v[2:3], v[204:205], v[210:211]
	v_fmac_f64_e32 v[2:3], v[206:207], v[208:209]
	v_add_f64 v[2:3], v[0:1], v[2:3]
	v_add_f64 v[0:1], v[240:241], 0
	;; [unrolled: 1-line block ×6, first 2 shown]
	scratch_load_dwordx4 v[216:219], off, off offset:80
	v_add_f64 v[0:1], v[0:1], v[246:247]
	v_add_f64 v[0:1], v[0:1], v[248:249]
	;; [unrolled: 1-line block ×6, first 2 shown]
	v_accvgpr_read_b32 v0, a100
	v_accvgpr_read_b32 v243, a99
	;; [unrolled: 1-line block ×4, first 2 shown]
	v_add_f64 v[0:1], v[254:255], v[0:1]
	v_accvgpr_read_b32 v241, a97
	v_accvgpr_read_b32 v240, a96
	v_mul_f64 v[4:5], v[46:47], v[242:243]
	v_add_f64 v[0:1], v[0:1], v[252:253]
	v_fma_f64 v[4:5], v[44:45], v[240:241], -v[4:5]
	v_add_f64 v[0:1], v[0:1], v[4:5]
	v_mul_f64 v[4:5], v[42:43], v[10:11]
	v_fma_f64 v[4:5], v[40:41], v[8:9], -v[4:5]
	v_add_f64 v[0:1], v[0:1], v[4:5]
	v_mul_f64 v[4:5], v[34:35], v[14:15]
	v_fma_f64 v[4:5], v[32:33], v[12:13], -v[4:5]
	v_add_f64 v[0:1], v[0:1], v[4:5]
	v_mul_f64 v[4:5], v[50:51], v[18:19]
	v_fma_f64 v[4:5], v[48:49], v[16:17], -v[4:5]
	v_add_f64 v[0:1], v[0:1], v[4:5]
	v_mul_f64 v[4:5], v[142:143], v[22:23]
	v_fma_f64 v[4:5], v[140:141], v[20:21], -v[4:5]
	v_add_f64 v[0:1], v[0:1], v[4:5]
	v_mul_f64 v[4:5], v[222:223], v[26:27]
	v_fma_f64 v[4:5], v[220:221], v[24:25], -v[4:5]
	v_add_f64 v[0:1], v[0:1], v[4:5]
	v_mul_f64 v[4:5], v[226:227], v[30:31]
	v_fma_f64 v[4:5], v[224:225], v[28:29], -v[4:5]
	v_add_f64 v[0:1], v[0:1], v[4:5]
	v_mul_f64 v[4:5], v[230:231], v[38:39]
	v_fma_f64 v[4:5], v[228:229], v[36:37], -v[4:5]
	v_add_f64 v[0:1], v[0:1], v[4:5]
	v_mul_f64 v[4:5], v[234:235], v[54:55]
	v_fma_f64 v[4:5], v[232:233], v[52:53], -v[4:5]
	v_add_f64 v[0:1], v[0:1], v[4:5]
	v_mul_f64 v[4:5], v[238:239], v[58:59]
	v_fma_f64 v[4:5], v[236:237], v[56:57], -v[4:5]
	v_add_f64 v[0:1], v[0:1], v[4:5]
	v_mul_f64 v[4:5], v[214:215], v[62:63]
	v_fma_f64 v[4:5], v[212:213], v[60:61], -v[4:5]
	v_add_f64 v[0:1], v[0:1], v[4:5]
	v_mul_f64 v[4:5], v[102:103], v[66:67]
	v_fma_f64 v[4:5], v[100:101], v[64:65], -v[4:5]
	v_add_f64 v[0:1], v[0:1], v[4:5]
	v_mul_f64 v[4:5], v[198:199], v[70:71]
	v_fma_f64 v[4:5], v[196:197], v[68:69], -v[4:5]
	v_add_f64 v[0:1], v[0:1], v[4:5]
	v_mul_f64 v[4:5], v[106:107], v[74:75]
	v_fma_f64 v[4:5], v[104:105], v[72:73], -v[4:5]
	v_add_f64 v[0:1], v[0:1], v[4:5]
	v_mul_f64 v[4:5], v[110:111], v[78:79]
	v_fma_f64 v[4:5], v[108:109], v[76:77], -v[4:5]
	v_add_f64 v[0:1], v[0:1], v[4:5]
	v_mul_f64 v[4:5], v[202:203], v[82:83]
	v_fma_f64 v[4:5], v[200:201], v[80:81], -v[4:5]
	v_add_f64 v[0:1], v[0:1], v[4:5]
	v_mul_f64 v[4:5], v[114:115], v[86:87]
	v_fma_f64 v[4:5], v[112:113], v[84:85], -v[4:5]
	v_add_f64 v[0:1], v[0:1], v[4:5]
	v_mul_f64 v[4:5], v[118:119], v[154:155]
	v_fma_f64 v[4:5], v[116:117], v[152:153], -v[4:5]
	v_add_f64 v[0:1], v[0:1], v[4:5]
	v_mul_f64 v[4:5], v[158:159], v[166:167]
	v_fma_f64 v[4:5], v[156:157], v[164:165], -v[4:5]
	v_add_f64 v[0:1], v[0:1], v[4:5]
	v_mul_f64 v[4:5], v[122:123], v[170:171]
	v_fma_f64 v[4:5], v[120:121], v[168:169], -v[4:5]
	v_add_f64 v[0:1], v[0:1], v[4:5]
	v_mul_f64 v[4:5], v[126:127], v[178:179]
	v_fma_f64 v[4:5], v[124:125], v[176:177], -v[4:5]
	v_add_f64 v[0:1], v[0:1], v[4:5]
	v_mul_f64 v[4:5], v[162:163], v[190:191]
	v_fma_f64 v[4:5], v[160:161], v[188:189], -v[4:5]
	v_add_f64 v[0:1], v[0:1], v[4:5]
	v_mul_f64 v[4:5], v[130:131], v[194:195]
	v_fma_f64 v[4:5], v[128:129], v[192:193], -v[4:5]
	v_add_f64 v[0:1], v[0:1], v[4:5]
	v_mul_f64 v[4:5], v[134:135], v[94:95]
	v_fma_f64 v[4:5], v[132:133], v[92:93], -v[4:5]
	v_add_f64 v[0:1], v[0:1], v[4:5]
	v_mul_f64 v[4:5], v[146:147], v[90:91]
	v_fma_f64 v[4:5], v[144:145], v[88:89], -v[4:5]
	v_add_f64 v[0:1], v[0:1], v[4:5]
	v_mul_f64 v[4:5], v[138:139], v[98:99]
	v_fma_f64 v[4:5], v[136:137], v[96:97], -v[4:5]
	v_add_f64 v[0:1], v[0:1], v[4:5]
	v_mul_f64 v[4:5], v[174:175], v[150:151]
	v_fma_f64 v[4:5], v[172:173], v[148:149], -v[4:5]
	v_add_f64 v[0:1], v[0:1], v[4:5]
	v_mul_f64 v[4:5], v[186:187], v[182:183]
	v_fma_f64 v[4:5], v[184:185], v[180:181], -v[4:5]
	v_add_f64 v[0:1], v[0:1], v[4:5]
	v_mul_f64 v[4:5], v[206:207], v[210:211]
	v_fma_f64 v[4:5], v[204:205], v[208:209], -v[4:5]
	v_add_f64 v[0:1], v[0:1], v[4:5]
	s_waitcnt vmcnt(0)
	v_add_f64 v[4:5], v[216:217], -v[0:1]
	v_accvgpr_read_b32 v0, a94
	v_add_f64 v[6:7], v[218:219], -v[2:3]
	v_cmp_lt_u32_e32 vcc, 3, v0
	scratch_store_dwordx4 off, v[4:7], off offset:80
	s_and_saveexec_b64 s[0:1], vcc
	s_cbranch_execz .LBB110_289
; %bb.288:
	scratch_load_dwordx4 v[2:5], off, s60
	v_mov_b32_e32 v6, 0
	v_mov_b32_e32 v7, v6
	;; [unrolled: 1-line block ×4, first 2 shown]
	v_accvgpr_read_b32 v0, a95
	scratch_store_dwordx4 off, v[6:9], off offset:64
	s_waitcnt vmcnt(1)
	ds_write_b128 v0, v[2:5]
.LBB110_289:
	s_or_b64 exec, exec, s[0:1]
	s_waitcnt lgkmcnt(0)
	; wave barrier
	scratch_load_dwordx4 v[96:99], off, off offset:80
	scratch_load_dwordx4 v[100:103], off, off offset:96
	;; [unrolled: 1-line block ×30, first 2 shown]
	v_mov_b32_e32 v2, 0
	ds_read_b128 v[136:139], v2 offset:816
	ds_read_b128 v[144:147], v2 offset:832
	;; [unrolled: 1-line block ×20, first 2 shown]
	s_waitcnt vmcnt(29) lgkmcnt(14)
	v_mul_f64 v[0:1], v[136:137], v[98:99]
	s_waitcnt vmcnt(28)
	v_mul_f64 v[72:73], v[144:145], v[102:103]
	v_fmac_f64_e32 v[0:1], v[138:139], v[96:97]
	s_waitcnt vmcnt(27)
	v_mul_f64 v[74:75], v[148:149], v[106:107]
	v_fmac_f64_e32 v[72:73], v[146:147], v[100:101]
	v_add_f64 v[0:1], v[0:1], 0
	s_waitcnt vmcnt(26)
	v_mul_f64 v[76:77], v[164:165], v[110:111]
	v_fmac_f64_e32 v[74:75], v[150:151], v[104:105]
	v_add_f64 v[0:1], v[0:1], v[72:73]
	;; [unrolled: 4-line block ×4, first 2 shown]
	s_waitcnt vmcnt(23) lgkmcnt(13)
	v_mul_f64 v[82:83], v[200:201], v[158:159]
	v_fmac_f64_e32 v[80:81], v[190:191], v[152:153]
	v_add_f64 v[0:1], v[0:1], v[78:79]
	s_waitcnt vmcnt(22) lgkmcnt(12)
	v_mul_f64 v[84:85], v[208:209], v[162:163]
	v_fmac_f64_e32 v[82:83], v[202:203], v[156:157]
	v_add_f64 v[0:1], v[0:1], v[80:81]
	;; [unrolled: 4-line block ×9, first 2 shown]
	s_waitcnt vmcnt(14) lgkmcnt(4)
	v_mul_f64 v[120:121], v[68:69], v[6:7]
	v_fmac_f64_e32 v[118:119], v[252:253], v[204:205]
	v_accvgpr_write_b32 a99, v7
	v_add_f64 v[0:1], v[0:1], v[116:117]
	v_fmac_f64_e32 v[120:121], v[70:71], v[4:5]
	v_accvgpr_write_b32 a98, v6
	v_accvgpr_write_b32 a97, v5
	;; [unrolled: 1-line block ×3, first 2 shown]
	v_add_f64 v[0:1], v[0:1], v[118:119]
	ds_read_b128 v[116:119], v2 offset:1088
	s_waitcnt vmcnt(13)
	v_mov_b64_e32 v[4:5], v[8:9]
	v_mov_b64_e32 v[6:7], v[10:11]
	s_waitcnt lgkmcnt(4)
	v_mul_f64 v[76:77], v[64:65], v[6:7]
	scratch_load_dwordx4 v[72:75], off, off offset:560
	v_add_f64 v[0:1], v[0:1], v[120:121]
	v_fmac_f64_e32 v[76:77], v[66:67], v[4:5]
	v_add_f64 v[0:1], v[0:1], v[76:77]
	scratch_load_dwordx4 v[76:79], off, off offset:576
	ds_read_b128 v[120:123], v2 offset:1104
	s_waitcnt vmcnt(14) lgkmcnt(1)
	v_mul_f64 v[80:81], v[116:117], v[236:237]
	v_fmac_f64_e32 v[80:81], v[118:119], v[234:235]
	v_add_f64 v[0:1], v[0:1], v[80:81]
	scratch_load_dwordx4 v[80:83], off, off offset:592
	s_waitcnt vmcnt(14) lgkmcnt(0)
	v_mul_f64 v[84:85], v[120:121], v[18:19]
	v_fmac_f64_e32 v[84:85], v[122:123], v[16:17]
	s_waitcnt vmcnt(13)
	v_mul_f64 v[88:89], v[124:125], v[22:23]
	v_add_f64 v[0:1], v[0:1], v[84:85]
	v_fmac_f64_e32 v[88:89], v[126:127], v[20:21]
	scratch_load_dwordx4 v[84:87], off, off offset:608
	v_add_f64 v[0:1], v[0:1], v[88:89]
	s_waitcnt vmcnt(13)
	v_mul_f64 v[88:89], v[128:129], v[26:27]
	v_fmac_f64_e32 v[88:89], v[130:131], v[24:25]
	v_add_f64 v[0:1], v[0:1], v[88:89]
	scratch_load_dwordx4 v[88:91], off, off offset:624
	s_waitcnt vmcnt(13)
	v_mul_f64 v[92:93], v[132:133], v[30:31]
	v_fmac_f64_e32 v[92:93], v[134:135], v[28:29]
	v_add_f64 v[0:1], v[0:1], v[92:93]
	scratch_load_dwordx4 v[92:95], off, off offset:640
	v_mul_f64 v[98:99], v[138:139], v[98:99]
	v_fma_f64 v[240:241], v[136:137], v[96:97], -v[98:99]
	v_mul_f64 v[96:97], v[146:147], v[102:103]
	ds_read_b128 v[140:143], v2 offset:1168
	ds_read_b128 v[136:139], v2 offset:1184
	v_fma_f64 v[246:247], v[144:145], v[100:101], -v[96:97]
	scratch_load_dwordx4 v[100:103], off, off offset:656
	scratch_load_dwordx4 v[96:99], off, off offset:672
	s_waitcnt vmcnt(15) lgkmcnt(1)
	v_mul_f64 v[144:145], v[140:141], v[34:35]
	v_fmac_f64_e32 v[144:145], v[142:143], v[32:33]
	v_mul_f64 v[106:107], v[150:151], v[106:107]
	v_add_f64 v[0:1], v[0:1], v[144:145]
	s_waitcnt vmcnt(14) lgkmcnt(0)
	v_mul_f64 v[144:145], v[136:137], v[38:39]
	v_fma_f64 v[248:249], v[148:149], v[104:105], -v[106:107]
	v_mul_f64 v[104:105], v[166:167], v[110:111]
	v_fmac_f64_e32 v[144:145], v[138:139], v[36:37]
	v_fma_f64 v[254:255], v[164:165], v[108:109], -v[104:105]
	scratch_load_dwordx4 v[104:107], off, off offset:688
	v_add_f64 v[0:1], v[0:1], v[144:145]
	ds_read_b128 v[144:147], v2 offset:1200
	ds_read_b128 v[148:151], v2 offset:1216
	v_mul_f64 v[108:109], v[178:179], v[114:115]
	v_fma_f64 v[232:233], v[176:177], v[112:113], -v[108:109]
	scratch_load_dwordx4 v[108:111], off, off offset:704
	s_waitcnt vmcnt(15) lgkmcnt(1)
	v_mul_f64 v[112:113], v[144:145], v[42:43]
	v_fmac_f64_e32 v[112:113], v[146:147], v[40:41]
	v_add_f64 v[0:1], v[0:1], v[112:113]
	v_mul_f64 v[112:113], v[190:191], v[154:155]
	v_fma_f64 v[238:239], v[188:189], v[152:153], -v[112:113]
	scratch_load_dwordx4 v[112:115], off, off offset:720
	ds_read_b128 v[152:155], v2 offset:1232
	s_waitcnt vmcnt(15) lgkmcnt(1)
	v_mul_f64 v[164:165], v[148:149], v[46:47]
	v_mul_f64 v[158:159], v[202:203], v[158:159]
	v_fmac_f64_e32 v[164:165], v[150:151], v[44:45]
	v_fma_f64 v[12:13], v[200:201], v[156:157], -v[158:159]
	ds_read_b128 v[156:159], v2 offset:1248
	s_waitcnt vmcnt(14) lgkmcnt(1)
	v_mul_f64 v[6:7], v[152:153], v[50:51]
	v_add_f64 v[0:1], v[0:1], v[164:165]
	v_fmac_f64_e32 v[6:7], v[154:155], v[48:49]
	v_accvgpr_write_b32 a103, v11
	v_add_f64 v[0:1], v[0:1], v[6:7]
	v_mul_f64 v[6:7], v[210:211], v[162:163]
	v_accvgpr_write_b32 a102, v10
	v_accvgpr_write_b32 a101, v9
	;; [unrolled: 1-line block ×3, first 2 shown]
	v_fma_f64 v[8:9], v[208:209], v[160:161], -v[6:7]
	ds_read_b128 v[160:163], v2 offset:1264
	ds_read_b128 v[164:167], v2 offset:1280
	s_waitcnt vmcnt(13) lgkmcnt(2)
	v_mul_f64 v[6:7], v[156:157], v[54:55]
	v_fmac_f64_e32 v[6:7], v[158:159], v[52:53]
	v_add_f64 v[0:1], v[0:1], v[6:7]
	s_waitcnt vmcnt(12) lgkmcnt(1)
	v_mul_f64 v[6:7], v[160:161], v[62:63]
	v_fmac_f64_e32 v[6:7], v[162:163], v[60:61]
	v_add_f64 v[0:1], v[0:1], v[6:7]
	v_mul_f64 v[6:7], v[214:215], v[170:171]
	v_fma_f64 v[10:11], v[212:213], v[168:169], -v[6:7]
	s_waitcnt vmcnt(11) lgkmcnt(0)
	v_mul_f64 v[6:7], v[164:165], v[58:59]
	v_fmac_f64_e32 v[6:7], v[166:167], v[56:57]
	ds_read_b128 v[168:171], v2 offset:1296
	v_add_f64 v[0:1], v[0:1], v[6:7]
	v_mul_f64 v[6:7], v[218:219], v[174:175]
	v_fma_f64 v[4:5], v[216:217], v[172:173], -v[6:7]
	ds_read_b128 v[172:175], v2 offset:1312
	s_waitcnt vmcnt(10) lgkmcnt(1)
	v_mul_f64 v[6:7], v[168:169], v[74:75]
	ds_read_b128 v[176:179], v2 offset:1328
	v_fmac_f64_e32 v[6:7], v[170:171], v[72:73]
	v_add_f64 v[0:1], v[0:1], v[6:7]
	s_waitcnt vmcnt(9) lgkmcnt(1)
	v_mul_f64 v[6:7], v[172:173], v[78:79]
	v_fmac_f64_e32 v[6:7], v[174:175], v[76:77]
	v_add_f64 v[0:1], v[0:1], v[6:7]
	v_mul_f64 v[6:7], v[222:223], v[182:183]
	v_fma_f64 v[14:15], v[220:221], v[180:181], -v[6:7]
	ds_read_b128 v[180:183], v2 offset:1344
	s_waitcnt vmcnt(8) lgkmcnt(1)
	v_mul_f64 v[6:7], v[176:177], v[82:83]
	v_fmac_f64_e32 v[6:7], v[178:179], v[80:81]
	v_add_f64 v[0:1], v[0:1], v[6:7]
	v_mul_f64 v[6:7], v[226:227], v[186:187]
	v_fma_f64 v[6:7], v[224:225], v[184:185], -v[6:7]
	ds_read_b128 v[184:187], v2 offset:1360
	s_waitcnt vmcnt(7) lgkmcnt(1)
	v_mul_f64 v[188:189], v[180:181], v[86:87]
	v_fmac_f64_e32 v[188:189], v[182:183], v[84:85]
	v_add_f64 v[0:1], v[0:1], v[188:189]
	ds_read_b128 v[188:191], v2 offset:1376
	s_waitcnt vmcnt(6) lgkmcnt(1)
	v_mul_f64 v[200:201], v[184:185], v[90:91]
	v_fmac_f64_e32 v[200:201], v[186:187], v[88:89]
	v_add_f64 v[200:201], v[0:1], v[200:201]
	v_mul_f64 v[0:1], v[230:231], v[194:195]
	v_fma_f64 v[0:1], v[228:229], v[192:193], -v[0:1]
	ds_read_b128 v[192:195], v2 offset:1392
	s_waitcnt vmcnt(5) lgkmcnt(1)
	v_mul_f64 v[202:203], v[188:189], v[94:95]
	v_fmac_f64_e32 v[202:203], v[190:191], v[92:93]
	v_mul_f64 v[198:199], v[244:245], v[198:199]
	v_fma_f64 v[242:243], v[242:243], v[196:197], -v[198:199]
	ds_read_b128 v[196:199], v2 offset:1408
	v_add_f64 v[200:201], v[200:201], v[202:203]
	s_waitcnt vmcnt(4) lgkmcnt(1)
	v_mul_f64 v[202:203], v[192:193], v[102:103]
	v_fmac_f64_e32 v[202:203], v[194:195], v[100:101]
	v_add_f64 v[208:209], v[200:201], v[202:203]
	ds_read_b128 v[200:203], v2 offset:1424
	v_mul_f64 v[206:207], v[252:253], v[206:207]
	v_fma_f64 v[250:251], v[250:251], v[204:205], -v[206:207]
	ds_read_b128 v[204:207], v2 offset:1440
	s_waitcnt vmcnt(3) lgkmcnt(2)
	v_mul_f64 v[210:211], v[196:197], v[98:99]
	v_fmac_f64_e32 v[210:211], v[198:199], v[96:97]
	v_add_f64 v[208:209], v[208:209], v[210:211]
	s_waitcnt vmcnt(2) lgkmcnt(1)
	v_mul_f64 v[210:211], v[200:201], v[106:107]
	v_fmac_f64_e32 v[210:211], v[202:203], v[104:105]
	v_add_f64 v[208:209], v[208:209], v[210:211]
	;; [unrolled: 4-line block ×3, first 2 shown]
	ds_read_b128 v[208:211], v2 offset:1456
	ds_read_b128 v[216:219], v2 offset:1472
	;; [unrolled: 1-line block ×3, first 2 shown]
	s_waitcnt vmcnt(0) lgkmcnt(2)
	v_mul_f64 v[214:215], v[208:209], v[114:115]
	v_fmac_f64_e32 v[214:215], v[210:211], v[112:113]
	v_add_f64 v[220:221], v[212:213], v[214:215]
	scratch_load_dwordx4 v[212:215], off, off offset:736
	s_waitcnt vmcnt(0) lgkmcnt(1)
	v_mul_f64 v[222:223], v[216:217], v[214:215]
	v_fmac_f64_e32 v[222:223], v[218:219], v[212:213]
	v_add_f64 v[228:229], v[220:221], v[222:223]
	scratch_load_dwordx4 v[220:223], off, off offset:752
	s_waitcnt vmcnt(0) lgkmcnt(0)
	v_mul_f64 v[230:231], v[224:225], v[222:223]
	v_fmac_f64_e32 v[230:231], v[226:227], v[220:221]
	v_add_f64 v[244:245], v[228:229], v[230:231]
	v_add_f64 v[228:229], v[240:241], 0
	;; [unrolled: 1-line block ×8, first 2 shown]
	scratch_load_dwordx4 v[228:231], off, off offset:64
	v_add_f64 v[8:9], v[12:13], v[8:9]
	v_add_f64 v[8:9], v[8:9], v[10:11]
	;; [unrolled: 1-line block ×5, first 2 shown]
	v_accvgpr_read_b32 v6, a96
	v_accvgpr_read_b32 v8, a98
	;; [unrolled: 1-line block ×3, first 2 shown]
	v_add_f64 v[0:1], v[4:5], v[0:1]
	v_accvgpr_read_b32 v7, a97
	v_mul_f64 v[4:5], v[70:71], v[8:9]
	v_add_f64 v[0:1], v[0:1], v[242:243]
	v_fma_f64 v[4:5], v[68:69], v[6:7], -v[4:5]
	v_accvgpr_read_b32 v6, a100
	v_add_f64 v[0:1], v[0:1], v[250:251]
	v_accvgpr_read_b32 v8, a102
	v_accvgpr_read_b32 v9, a103
	v_add_f64 v[0:1], v[0:1], v[4:5]
	v_accvgpr_read_b32 v7, a101
	v_mul_f64 v[4:5], v[66:67], v[8:9]
	v_fma_f64 v[4:5], v[64:65], v[6:7], -v[4:5]
	v_add_f64 v[0:1], v[0:1], v[4:5]
	v_mul_f64 v[4:5], v[118:119], v[236:237]
	v_fma_f64 v[4:5], v[116:117], v[234:235], -v[4:5]
	v_add_f64 v[0:1], v[0:1], v[4:5]
	;; [unrolled: 3-line block ×27, first 2 shown]
	s_waitcnt vmcnt(0)
	v_add_f64 v[4:5], v[228:229], -v[0:1]
	v_accvgpr_read_b32 v0, a94
	v_add_f64 v[6:7], v[230:231], -v[244:245]
	v_cmp_lt_u32_e32 vcc, 2, v0
	scratch_store_dwordx4 off, v[4:7], off offset:64
	s_and_saveexec_b64 s[0:1], vcc
	s_cbranch_execz .LBB110_291
; %bb.290:
	scratch_load_dwordx4 v[6:9], off, s61
	v_mov_b32_e32 v3, v2
	v_mov_b32_e32 v4, v2
	;; [unrolled: 1-line block ×3, first 2 shown]
	v_accvgpr_read_b32 v0, a95
	scratch_store_dwordx4 off, v[2:5], off offset:48
	s_waitcnt vmcnt(1)
	ds_write_b128 v0, v[6:9]
.LBB110_291:
	s_or_b64 exec, exec, s[0:1]
	s_waitcnt lgkmcnt(0)
	; wave barrier
	scratch_load_dwordx4 v[72:75], off, off offset:64
	scratch_load_dwordx4 v[76:79], off, off offset:80
	;; [unrolled: 1-line block ×17, first 2 shown]
	ds_read_b128 v[176:179], v2 offset:800
	ds_read_b128 v[192:195], v2 offset:816
	;; [unrolled: 1-line block ×3, first 2 shown]
	scratch_load_dwordx4 v[20:23], off, off offset:336
	ds_read_b128 v[236:239], v2 offset:848
	ds_read_b128 v[232:235], v2 offset:864
	ds_read_b128 v[228:231], v2 offset:880
	ds_read_b128 v[220:223], v2 offset:896
	ds_read_b128 v[208:211], v2 offset:912
	scratch_load_dwordx4 v[168:171], off, off offset:352
	ds_read_b128 v[224:227], v2 offset:928
	ds_read_b128 v[212:215], v2 offset:944
	;; [unrolled: 1-line block ×3, first 2 shown]
	scratch_load_dwordx4 v[12:15], off, off offset:368
	ds_read_b128 v[216:219], v2 offset:976
	ds_read_b128 v[204:207], v2 offset:992
	;; [unrolled: 1-line block ×5, first 2 shown]
	scratch_load_dwordx4 v[28:31], off, off offset:384
	ds_read_b128 v[32:35], v2 offset:1056
	scratch_load_dwordx4 v[36:39], off, off offset:400
	scratch_load_dwordx4 v[40:43], off, off offset:416
	;; [unrolled: 1-line block ×9, first 2 shown]
	ds_read_b128 v[132:135], v2 offset:1072
	s_waitcnt lgkmcnt(2)
	v_accvgpr_write_b32 a103, v19
	v_accvgpr_write_b32 a102, v18
	v_accvgpr_write_b32 a101, v17
	v_accvgpr_write_b32 a100, v16
	ds_read_b128 v[172:175], v2 offset:1136
	s_waitcnt vmcnt(29)
	v_mul_f64 v[0:1], v[176:177], v[74:75]
	s_waitcnt vmcnt(28)
	v_mul_f64 v[136:137], v[192:193], v[78:79]
	v_fmac_f64_e32 v[0:1], v[178:179], v[72:73]
	s_waitcnt vmcnt(27)
	v_mul_f64 v[138:139], v[188:189], v[82:83]
	v_fmac_f64_e32 v[136:137], v[194:195], v[76:77]
	v_add_f64 v[0:1], v[0:1], 0
	s_waitcnt vmcnt(26)
	v_mul_f64 v[140:141], v[236:237], v[86:87]
	v_fmac_f64_e32 v[138:139], v[190:191], v[80:81]
	v_add_f64 v[0:1], v[0:1], v[136:137]
	;; [unrolled: 4-line block ×14, first 2 shown]
	v_fmac_f64_e32 v[164:165], v[18:19], v[4:5]
	v_add_f64 v[0:1], v[0:1], v[162:163]
	s_waitcnt vmcnt(13) lgkmcnt(2)
	v_mul_f64 v[140:141], v[32:33], v[26:27]
	scratch_load_dwordx4 v[136:139], off, off offset:544
	v_add_f64 v[0:1], v[0:1], v[164:165]
	v_fmac_f64_e32 v[140:141], v[34:35], v[24:25]
	v_add_f64 v[0:1], v[0:1], v[140:141]
	ds_read_b128 v[160:163], v2 offset:1088
	scratch_load_dwordx4 v[140:143], off, off offset:560
	ds_read_b128 v[164:167], v2 offset:1104
	s_waitcnt vmcnt(13)
	v_mov_b64_e32 v[16:17], v[168:169]
	v_mov_b64_e32 v[18:19], v[170:171]
	ds_read_b128 v[168:171], v2 offset:1120
	s_waitcnt lgkmcnt(4)
	v_mul_f64 v[144:145], v[132:133], v[22:23]
	v_fmac_f64_e32 v[144:145], v[134:135], v[20:21]
	s_waitcnt lgkmcnt(2)
	v_mul_f64 v[148:149], v[160:161], v[18:19]
	v_add_f64 v[0:1], v[0:1], v[144:145]
	v_fmac_f64_e32 v[148:149], v[162:163], v[16:17]
	s_waitcnt vmcnt(12) lgkmcnt(1)
	v_mul_f64 v[152:153], v[164:165], v[14:15]
	scratch_load_dwordx4 v[144:147], off, off offset:576
	v_add_f64 v[0:1], v[0:1], v[148:149]
	v_fmac_f64_e32 v[152:153], v[166:167], v[12:13]
	scratch_load_dwordx4 v[148:151], off, off offset:592
	v_add_f64 v[0:1], v[0:1], v[152:153]
	s_waitcnt vmcnt(13) lgkmcnt(0)
	v_mul_f64 v[152:153], v[168:169], v[30:31]
	v_fmac_f64_e32 v[152:153], v[170:171], v[28:29]
	v_add_f64 v[0:1], v[0:1], v[152:153]
	scratch_load_dwordx4 v[152:155], off, off offset:608
	s_waitcnt vmcnt(13)
	v_mul_f64 v[156:157], v[172:173], v[38:39]
	v_fmac_f64_e32 v[156:157], v[174:175], v[36:37]
	v_mul_f64 v[74:75], v[178:179], v[74:75]
	v_add_f64 v[0:1], v[0:1], v[156:157]
	scratch_load_dwordx4 v[156:159], off, off offset:624
	v_fma_f64 v[240:241], v[176:177], v[72:73], -v[74:75]
	v_mul_f64 v[72:73], v[194:195], v[78:79]
	ds_read_b128 v[180:183], v2 offset:1152
	ds_read_b128 v[176:179], v2 offset:1168
	v_fma_f64 v[242:243], v[192:193], v[76:77], -v[72:73]
	scratch_load_dwordx4 v[76:79], off, off offset:640
	scratch_load_dwordx4 v[72:75], off, off offset:656
	v_mul_f64 v[82:83], v[190:191], v[82:83]
	v_fma_f64 v[244:245], v[188:189], v[80:81], -v[82:83]
	v_mul_f64 v[80:81], v[238:239], v[86:87]
	v_fma_f64 v[236:237], v[236:237], v[84:85], -v[80:81]
	scratch_load_dwordx4 v[80:83], off, off offset:672
	ds_read_b128 v[188:191], v2 offset:1184
	v_mul_f64 v[84:85], v[234:235], v[90:91]
	s_waitcnt vmcnt(16) lgkmcnt(2)
	v_mul_f64 v[192:193], v[180:181], v[42:43]
	v_fma_f64 v[238:239], v[232:233], v[88:89], -v[84:85]
	scratch_load_dwordx4 v[84:87], off, off offset:688
	v_fmac_f64_e32 v[192:193], v[182:183], v[40:41]
	v_add_f64 v[0:1], v[0:1], v[192:193]
	s_waitcnt vmcnt(16) lgkmcnt(1)
	v_mul_f64 v[192:193], v[176:177], v[46:47]
	v_fmac_f64_e32 v[192:193], v[178:179], v[44:45]
	v_add_f64 v[0:1], v[0:1], v[192:193]
	ds_read_b128 v[192:195], v2 offset:1200
	s_waitcnt vmcnt(15) lgkmcnt(1)
	v_mul_f64 v[88:89], v[188:189], v[50:51]
	v_fmac_f64_e32 v[88:89], v[190:191], v[48:49]
	v_add_f64 v[0:1], v[0:1], v[88:89]
	v_mul_f64 v[88:89], v[230:231], v[94:95]
	v_fma_f64 v[246:247], v[228:229], v[92:93], -v[88:89]
	scratch_load_dwordx4 v[88:91], off, off offset:704
	scratch_load_dwordx4 v[232:235], off, off offset:752
	ds_read_b128 v[92:95], v2 offset:1216
	v_mul_f64 v[98:99], v[222:223], v[98:99]
	v_fma_f64 v[248:249], v[220:221], v[96:97], -v[98:99]
	ds_read_b128 v[96:99], v2 offset:1232
	v_mul_f64 v[102:103], v[210:211], v[102:103]
	s_waitcnt vmcnt(16) lgkmcnt(2)
	v_mul_f64 v[228:229], v[192:193], v[54:55]
	v_fma_f64 v[254:255], v[208:209], v[100:101], -v[102:103]
	ds_read_b128 v[100:103], v2 offset:1248
	ds_read_b128 v[208:211], v2 offset:1264
	v_fmac_f64_e32 v[228:229], v[194:195], v[52:53]
	s_waitcnt vmcnt(15) lgkmcnt(3)
	v_mul_f64 v[220:221], v[92:93], v[58:59]
	v_add_f64 v[0:1], v[0:1], v[228:229]
	v_fmac_f64_e32 v[220:221], v[94:95], v[56:57]
	v_mul_f64 v[106:107], v[226:227], v[106:107]
	v_add_f64 v[0:1], v[0:1], v[220:221]
	s_waitcnt vmcnt(14) lgkmcnt(2)
	v_mul_f64 v[220:221], v[96:97], v[62:63]
	v_fma_f64 v[250:251], v[224:225], v[104:105], -v[106:107]
	ds_read_b128 v[104:107], v2 offset:1280
	v_fmac_f64_e32 v[220:221], v[98:99], v[60:61]
	v_mul_f64 v[110:111], v[214:215], v[110:111]
	v_add_f64 v[0:1], v[0:1], v[220:221]
	s_waitcnt vmcnt(13) lgkmcnt(2)
	v_mul_f64 v[220:221], v[100:101], v[70:71]
	v_fma_f64 v[8:9], v[212:213], v[108:109], -v[110:111]
	ds_read_b128 v[108:111], v2 offset:1296
	v_fmac_f64_e32 v[220:221], v[102:103], v[68:69]
	v_accvgpr_write_b32 a99, v7
	v_add_f64 v[0:1], v[0:1], v[220:221]
	s_waitcnt vmcnt(12) lgkmcnt(2)
	v_mul_f64 v[220:221], v[208:209], v[66:67]
	v_accvgpr_write_b32 a98, v6
	v_accvgpr_write_b32 a97, v5
	;; [unrolled: 1-line block ×3, first 2 shown]
	v_fmac_f64_e32 v[220:221], v[210:211], v[64:65]
	s_waitcnt vmcnt(11) lgkmcnt(1)
	v_mul_f64 v[6:7], v[104:105], v[138:139]
	v_add_f64 v[0:1], v[0:1], v[220:221]
	v_fmac_f64_e32 v[6:7], v[106:107], v[136:137]
	v_add_f64 v[0:1], v[0:1], v[6:7]
	s_waitcnt vmcnt(10) lgkmcnt(0)
	v_mul_f64 v[6:7], v[108:109], v[142:143]
	v_fmac_f64_e32 v[6:7], v[110:111], v[140:141]
	ds_read_b128 v[212:215], v2 offset:1312
	v_add_f64 v[0:1], v[0:1], v[6:7]
	v_mul_f64 v[6:7], v[202:203], v[114:115]
	v_fma_f64 v[6:7], v[200:201], v[112:113], -v[6:7]
	ds_read_b128 v[112:115], v2 offset:1328
	v_mul_f64 v[118:119], v[218:219], v[118:119]
	v_fma_f64 v[4:5], v[216:217], v[116:117], -v[118:119]
	ds_read_b128 v[116:119], v2 offset:1344
	s_waitcnt vmcnt(9) lgkmcnt(2)
	v_mul_f64 v[200:201], v[212:213], v[146:147]
	v_fmac_f64_e32 v[200:201], v[214:215], v[144:145]
	s_waitcnt vmcnt(8) lgkmcnt(1)
	v_mul_f64 v[10:11], v[112:113], v[150:151]
	v_add_f64 v[0:1], v[0:1], v[200:201]
	v_fmac_f64_e32 v[10:11], v[114:115], v[148:149]
	v_add_f64 v[0:1], v[0:1], v[10:11]
	ds_read_b128 v[200:203], v2 offset:1360
	s_waitcnt vmcnt(7) lgkmcnt(1)
	v_mul_f64 v[10:11], v[116:117], v[154:155]
	v_fmac_f64_e32 v[10:11], v[118:119], v[152:153]
	v_add_f64 v[10:11], v[0:1], v[10:11]
	v_mul_f64 v[0:1], v[206:207], v[122:123]
	v_fma_f64 v[0:1], v[204:205], v[120:121], -v[0:1]
	ds_read_b128 v[120:123], v2 offset:1376
	v_mul_f64 v[126:127], v[198:199], v[126:127]
	v_fma_f64 v[124:125], v[196:197], v[124:125], -v[126:127]
	s_waitcnt vmcnt(6) lgkmcnt(1)
	v_mul_f64 v[204:205], v[200:201], v[158:159]
	v_accvgpr_write_b32 a104, v124
	v_fmac_f64_e32 v[204:205], v[202:203], v[156:157]
	v_accvgpr_write_b32 a105, v125
	ds_read_b128 v[124:127], v2 offset:1392
	s_waitcnt vmcnt(5) lgkmcnt(1)
	v_mul_f64 v[196:197], v[120:121], v[78:79]
	v_add_f64 v[10:11], v[10:11], v[204:205]
	v_fmac_f64_e32 v[196:197], v[122:123], v[76:77]
	v_add_f64 v[10:11], v[10:11], v[196:197]
	ds_read_b128 v[196:199], v2 offset:1408
	v_mul_f64 v[130:131], v[186:187], v[130:131]
	v_fma_f64 v[252:253], v[184:185], v[128:129], -v[130:131]
	ds_read_b128 v[128:131], v2 offset:1424
	s_waitcnt vmcnt(4) lgkmcnt(2)
	v_mul_f64 v[184:185], v[124:125], v[74:75]
	v_fmac_f64_e32 v[184:185], v[126:127], v[72:73]
	v_add_f64 v[10:11], v[10:11], v[184:185]
	s_waitcnt vmcnt(3) lgkmcnt(1)
	v_mul_f64 v[184:185], v[196:197], v[82:83]
	v_fmac_f64_e32 v[184:185], v[198:199], v[80:81]
	v_add_f64 v[10:11], v[10:11], v[184:185]
	;; [unrolled: 4-line block ×3, first 2 shown]
	ds_read_b128 v[184:187], v2 offset:1440
	ds_read_b128 v[216:219], v2 offset:1456
	ds_read_b128 v[224:227], v2 offset:1472
	s_waitcnt vmcnt(1) lgkmcnt(2)
	v_mul_f64 v[204:205], v[184:185], v[90:91]
	v_fmac_f64_e32 v[204:205], v[186:187], v[88:89]
	v_add_f64 v[10:11], v[10:11], v[204:205]
	scratch_load_dwordx4 v[204:207], off, off offset:720
	s_waitcnt vmcnt(0) lgkmcnt(1)
	v_mul_f64 v[220:221], v[216:217], v[206:207]
	v_fmac_f64_e32 v[220:221], v[218:219], v[204:205]
	v_add_f64 v[10:11], v[10:11], v[220:221]
	scratch_load_dwordx4 v[220:223], off, off offset:736
	s_waitcnt vmcnt(0) lgkmcnt(0)
	v_mul_f64 v[228:229], v[224:225], v[222:223]
	v_fmac_f64_e32 v[228:229], v[226:227], v[220:221]
	v_add_f64 v[10:11], v[10:11], v[228:229]
	ds_read_b128 v[228:231], v2 offset:1488
	s_waitcnt lgkmcnt(0)
	v_mul_f64 v[2:3], v[228:229], v[234:235]
	v_fmac_f64_e32 v[2:3], v[230:231], v[232:233]
	v_add_f64 v[2:3], v[10:11], v[2:3]
	v_add_f64 v[10:11], v[240:241], 0
	;; [unrolled: 1-line block ×6, first 2 shown]
	scratch_load_dwordx4 v[236:239], off, off offset:48
	v_add_f64 v[10:11], v[10:11], v[246:247]
	v_add_f64 v[10:11], v[10:11], v[248:249]
	;; [unrolled: 1-line block ×8, first 2 shown]
	v_accvgpr_read_b32 v0, a104
	v_accvgpr_read_b32 v6, a96
	v_accvgpr_read_b32 v243, a103
	v_accvgpr_read_b32 v1, a105
	v_accvgpr_read_b32 v8, a98
	v_accvgpr_read_b32 v9, a99
	v_accvgpr_read_b32 v242, a102
	v_add_f64 v[0:1], v[254:255], v[0:1]
	v_accvgpr_read_b32 v7, a97
	v_accvgpr_read_b32 v241, a101
	;; [unrolled: 1-line block ×3, first 2 shown]
	v_mul_f64 v[4:5], v[242:243], v[8:9]
	v_add_f64 v[0:1], v[0:1], v[252:253]
	v_fma_f64 v[4:5], v[240:241], v[6:7], -v[4:5]
	v_add_f64 v[0:1], v[0:1], v[4:5]
	v_mul_f64 v[4:5], v[34:35], v[26:27]
	v_fma_f64 v[4:5], v[32:33], v[24:25], -v[4:5]
	v_add_f64 v[0:1], v[0:1], v[4:5]
	v_mul_f64 v[4:5], v[134:135], v[22:23]
	;; [unrolled: 3-line block ×28, first 2 shown]
	v_fma_f64 v[4:5], v[228:229], v[232:233], -v[4:5]
	v_add_f64 v[0:1], v[0:1], v[4:5]
	s_waitcnt vmcnt(0)
	v_add_f64 v[4:5], v[236:237], -v[0:1]
	v_accvgpr_read_b32 v0, a94
	v_add_f64 v[6:7], v[238:239], -v[2:3]
	v_cmp_lt_u32_e32 vcc, 1, v0
	scratch_store_dwordx4 off, v[4:7], off offset:48
	s_and_saveexec_b64 s[0:1], vcc
	s_cbranch_execz .LBB110_293
; %bb.292:
	scratch_load_dwordx4 v[2:5], off, s62
	v_mov_b32_e32 v6, 0
	v_mov_b32_e32 v7, v6
	v_mov_b32_e32 v8, v6
	v_mov_b32_e32 v9, v6
	v_accvgpr_read_b32 v0, a95
	scratch_store_dwordx4 off, v[6:9], off offset:32
	s_waitcnt vmcnt(1)
	ds_write_b128 v0, v[2:5]
.LBB110_293:
	s_or_b64 exec, exec, s[0:1]
	s_waitcnt lgkmcnt(0)
	; wave barrier
	scratch_load_dwordx4 v[80:83], off, off offset:48
	scratch_load_dwordx4 v[84:87], off, off offset:64
	;; [unrolled: 1-line block ×29, first 2 shown]
	v_mov_b32_e32 v2, 0
	ds_read_b128 v[132:135], v2 offset:784
	ds_read_b128 v[136:139], v2 offset:800
	;; [unrolled: 1-line block ×22, first 2 shown]
	s_waitcnt vmcnt(28) lgkmcnt(14)
	v_mul_f64 v[0:1], v[132:133], v[82:83]
	s_waitcnt vmcnt(27)
	v_mul_f64 v[56:57], v[136:137], v[86:87]
	v_fmac_f64_e32 v[0:1], v[134:135], v[80:81]
	s_waitcnt vmcnt(26)
	v_mul_f64 v[58:59], v[140:141], v[90:91]
	v_fmac_f64_e32 v[56:57], v[138:139], v[84:85]
	v_add_f64 v[0:1], v[0:1], 0
	s_waitcnt vmcnt(25)
	v_mul_f64 v[60:61], v[148:149], v[94:95]
	v_fmac_f64_e32 v[58:59], v[142:143], v[88:89]
	v_add_f64 v[0:1], v[0:1], v[56:57]
	;; [unrolled: 4-line block ×6, first 2 shown]
	s_waitcnt vmcnt(20) lgkmcnt(13)
	v_mul_f64 v[70:71], v[204:205], v[154:155]
	v_fmac_f64_e32 v[68:69], v[198:199], v[144:145]
	v_add_f64 v[0:1], v[0:1], v[66:67]
	s_waitcnt vmcnt(19) lgkmcnt(12)
	v_mul_f64 v[72:73], v[208:209], v[158:159]
	v_fmac_f64_e32 v[70:71], v[206:207], v[152:153]
	v_add_f64 v[0:1], v[0:1], v[68:69]
	;; [unrolled: 4-line block ×8, first 2 shown]
	v_fmac_f64_e32 v[112:113], v[244:245], v[192:193]
	v_add_f64 v[0:1], v[0:1], v[110:111]
	s_waitcnt vmcnt(12) lgkmcnt(5)
	v_mul_f64 v[60:61], v[250:251], v[202:203]
	scratch_load_dwordx4 v[56:59], off, off offset:512
	ds_read_b128 v[108:111], v2 offset:1072
	v_add_f64 v[0:1], v[0:1], v[112:113]
	v_fmac_f64_e32 v[60:61], v[252:253], v[200:201]
	v_add_f64 v[0:1], v[0:1], v[60:61]
	s_waitcnt vmcnt(12) lgkmcnt(5)
	v_mul_f64 v[64:65], v[52:53], v[6:7]
	scratch_load_dwordx4 v[60:63], off, off offset:528
	v_accvgpr_write_b32 a99, v7
	v_fmac_f64_e32 v[64:65], v[54:55], v[4:5]
	v_accvgpr_write_b32 a98, v6
	v_accvgpr_write_b32 a97, v5
	;; [unrolled: 1-line block ×3, first 2 shown]
	ds_read_b128 v[112:115], v2 offset:1088
	s_waitcnt vmcnt(12)
	v_mov_b64_e32 v[4:5], v[8:9]
	v_mov_b64_e32 v[6:7], v[10:11]
	s_waitcnt lgkmcnt(1)
	v_mul_f64 v[68:69], v[108:109], v[6:7]
	v_fmac_f64_e32 v[68:69], v[110:111], v[4:5]
	s_waitcnt vmcnt(11)
	v_mov_b64_e32 v[4:5], v[12:13]
	v_add_f64 v[0:1], v[0:1], v[64:65]
	v_mov_b64_e32 v[6:7], v[14:15]
	scratch_load_dwordx4 v[64:67], off, off offset:544
	v_add_f64 v[0:1], v[0:1], v[68:69]
	s_waitcnt lgkmcnt(0)
	v_mul_f64 v[68:69], v[112:113], v[6:7]
	v_fmac_f64_e32 v[68:69], v[114:115], v[4:5]
	v_add_f64 v[0:1], v[0:1], v[68:69]
	scratch_load_dwordx4 v[68:71], off, off offset:560
	s_waitcnt vmcnt(12)
	v_mul_f64 v[76:77], v[116:117], v[236:237]
	scratch_load_dwordx4 v[72:75], off, off offset:576
	v_fmac_f64_e32 v[76:77], v[118:119], v[234:235]
	v_add_f64 v[0:1], v[0:1], v[76:77]
	s_waitcnt vmcnt(12)
	v_mul_f64 v[76:77], v[120:121], v[22:23]
	v_fmac_f64_e32 v[76:77], v[122:123], v[20:21]
	v_add_f64 v[0:1], v[0:1], v[76:77]
	scratch_load_dwordx4 v[76:79], off, off offset:592
	v_mul_f64 v[82:83], v[134:135], v[82:83]
	v_fma_f64 v[240:241], v[132:133], v[80:81], -v[82:83]
	scratch_load_dwordx4 v[80:83], off, off offset:608
	v_mul_f64 v[86:87], v[138:139], v[86:87]
	v_fma_f64 v[246:247], v[136:137], v[84:85], -v[86:87]
	scratch_load_dwordx4 v[84:87], off, off offset:624
	v_mul_f64 v[90:91], v[142:143], v[90:91]
	s_waitcnt vmcnt(14)
	v_mul_f64 v[132:133], v[124:125], v[26:27]
	v_fma_f64 v[248:249], v[140:141], v[88:89], -v[90:91]
	scratch_load_dwordx4 v[88:91], off, off offset:640
	v_fmac_f64_e32 v[132:133], v[126:127], v[24:25]
	s_waitcnt vmcnt(14)
	v_mul_f64 v[136:137], v[128:129], v[30:31]
	v_mul_f64 v[94:95], v[150:151], v[94:95]
	v_add_f64 v[0:1], v[0:1], v[132:133]
	v_fmac_f64_e32 v[136:137], v[130:131], v[28:29]
	v_fma_f64 v[254:255], v[148:149], v[92:93], -v[94:95]
	v_mul_f64 v[92:93], v[162:163], v[98:99]
	ds_read_b128 v[132:135], v2 offset:1168
	v_add_f64 v[0:1], v[0:1], v[136:137]
	ds_read_b128 v[136:139], v2 offset:1184
	v_fma_f64 v[232:233], v[160:161], v[96:97], -v[92:93]
	scratch_load_dwordx4 v[96:99], off, off offset:656
	scratch_load_dwordx4 v[92:95], off, off offset:672
	v_mul_f64 v[102:103], v[174:175], v[102:103]
	v_fma_f64 v[238:239], v[172:173], v[100:101], -v[102:103]
	scratch_load_dwordx4 v[100:103], off, off offset:688
	v_mul_f64 v[106:107], v[186:187], v[106:107]
	v_fma_f64 v[16:17], v[184:185], v[104:105], -v[106:107]
	scratch_load_dwordx4 v[104:107], off, off offset:704
	s_waitcnt vmcnt(17) lgkmcnt(1)
	v_mul_f64 v[140:141], v[132:133], v[34:35]
	v_fmac_f64_e32 v[140:141], v[134:135], v[32:33]
	v_add_f64 v[0:1], v[0:1], v[140:141]
	ds_read_b128 v[140:143], v2 offset:1200
	v_accvgpr_write_b32 a107, v15
	v_mul_f64 v[6:7], v[198:199], v[146:147]
	v_accvgpr_write_b32 a106, v14
	v_accvgpr_write_b32 a105, v13
	;; [unrolled: 1-line block ×3, first 2 shown]
	v_fma_f64 v[12:13], v[196:197], v[144:145], -v[6:7]
	ds_read_b128 v[144:147], v2 offset:1216
	s_waitcnt vmcnt(16) lgkmcnt(2)
	v_mul_f64 v[148:149], v[136:137], v[38:39]
	v_fmac_f64_e32 v[148:149], v[138:139], v[36:37]
	v_add_f64 v[0:1], v[0:1], v[148:149]
	s_waitcnt vmcnt(15) lgkmcnt(1)
	v_mul_f64 v[6:7], v[140:141], v[42:43]
	ds_read_b128 v[148:151], v2 offset:1232
	v_fmac_f64_e32 v[6:7], v[142:143], v[40:41]
	v_add_f64 v[0:1], v[0:1], v[6:7]
	s_waitcnt vmcnt(14) lgkmcnt(1)
	v_mul_f64 v[6:7], v[144:145], v[46:47]
	v_fmac_f64_e32 v[6:7], v[146:147], v[44:45]
	v_accvgpr_write_b32 a103, v11
	v_add_f64 v[0:1], v[0:1], v[6:7]
	v_mul_f64 v[6:7], v[206:207], v[154:155]
	v_accvgpr_write_b32 a102, v10
	v_accvgpr_write_b32 a101, v9
	;; [unrolled: 1-line block ×3, first 2 shown]
	v_fma_f64 v[10:11], v[204:205], v[152:153], -v[6:7]
	ds_read_b128 v[152:155], v2 offset:1248
	s_waitcnt vmcnt(13) lgkmcnt(1)
	v_mul_f64 v[6:7], v[148:149], v[50:51]
	v_fmac_f64_e32 v[6:7], v[150:151], v[48:49]
	v_add_f64 v[0:1], v[0:1], v[6:7]
	v_mul_f64 v[6:7], v[210:211], v[158:159]
	v_fma_f64 v[8:9], v[208:209], v[156:157], -v[6:7]
	ds_read_b128 v[156:159], v2 offset:1264
	ds_read_b128 v[160:163], v2 offset:1280
	s_waitcnt vmcnt(12) lgkmcnt(2)
	v_mul_f64 v[6:7], v[152:153], v[58:59]
	v_fmac_f64_e32 v[6:7], v[154:155], v[56:57]
	v_add_f64 v[0:1], v[0:1], v[6:7]
	s_waitcnt vmcnt(11) lgkmcnt(1)
	v_mul_f64 v[6:7], v[156:157], v[62:63]
	v_fmac_f64_e32 v[6:7], v[158:159], v[60:61]
	v_add_f64 v[0:1], v[0:1], v[6:7]
	v_mul_f64 v[6:7], v[214:215], v[166:167]
	v_fma_f64 v[14:15], v[212:213], v[164:165], -v[6:7]
	ds_read_b128 v[164:167], v2 offset:1296
	v_mul_f64 v[170:171], v[218:219], v[170:171]
	v_fma_f64 v[4:5], v[216:217], v[168:169], -v[170:171]
	ds_read_b128 v[168:171], v2 offset:1312
	s_waitcnt vmcnt(10) lgkmcnt(2)
	v_mul_f64 v[6:7], v[160:161], v[66:67]
	v_fmac_f64_e32 v[6:7], v[162:163], v[64:65]
	v_add_f64 v[0:1], v[0:1], v[6:7]
	s_waitcnt vmcnt(9) lgkmcnt(1)
	v_mul_f64 v[6:7], v[164:165], v[70:71]
	ds_read_b128 v[172:175], v2 offset:1328
	v_fmac_f64_e32 v[6:7], v[166:167], v[68:69]
	v_add_f64 v[0:1], v[0:1], v[6:7]
	s_waitcnt vmcnt(8) lgkmcnt(1)
	v_mul_f64 v[6:7], v[168:169], v[74:75]
	v_fmac_f64_e32 v[6:7], v[170:171], v[72:73]
	v_add_f64 v[0:1], v[0:1], v[6:7]
	v_mul_f64 v[6:7], v[222:223], v[178:179]
	v_fma_f64 v[18:19], v[220:221], v[176:177], -v[6:7]
	ds_read_b128 v[176:179], v2 offset:1344
	s_waitcnt vmcnt(7) lgkmcnt(1)
	v_mul_f64 v[6:7], v[172:173], v[78:79]
	v_fmac_f64_e32 v[6:7], v[174:175], v[76:77]
	v_add_f64 v[0:1], v[0:1], v[6:7]
	v_mul_f64 v[6:7], v[226:227], v[182:183]
	v_fma_f64 v[6:7], v[224:225], v[180:181], -v[6:7]
	ds_read_b128 v[180:183], v2 offset:1360
	s_waitcnt vmcnt(6) lgkmcnt(1)
	v_mul_f64 v[184:185], v[176:177], v[82:83]
	v_fmac_f64_e32 v[184:185], v[178:179], v[80:81]
	v_add_f64 v[0:1], v[0:1], v[184:185]
	ds_read_b128 v[184:187], v2 offset:1376
	s_waitcnt vmcnt(5) lgkmcnt(1)
	v_mul_f64 v[196:197], v[180:181], v[86:87]
	v_fmac_f64_e32 v[196:197], v[182:183], v[84:85]
	v_add_f64 v[196:197], v[0:1], v[196:197]
	v_mul_f64 v[0:1], v[230:231], v[190:191]
	v_fma_f64 v[0:1], v[228:229], v[188:189], -v[0:1]
	ds_read_b128 v[188:191], v2 offset:1392
	s_waitcnt vmcnt(4) lgkmcnt(1)
	v_mul_f64 v[198:199], v[184:185], v[90:91]
	v_fmac_f64_e32 v[198:199], v[186:187], v[88:89]
	v_mul_f64 v[194:195], v[244:245], v[194:195]
	v_fma_f64 v[242:243], v[242:243], v[192:193], -v[194:195]
	ds_read_b128 v[192:195], v2 offset:1408
	v_add_f64 v[196:197], v[196:197], v[198:199]
	s_waitcnt vmcnt(3) lgkmcnt(1)
	v_mul_f64 v[198:199], v[188:189], v[98:99]
	v_fmac_f64_e32 v[198:199], v[190:191], v[96:97]
	v_add_f64 v[204:205], v[196:197], v[198:199]
	ds_read_b128 v[196:199], v2 offset:1424
	v_mul_f64 v[202:203], v[252:253], v[202:203]
	v_fma_f64 v[250:251], v[250:251], v[200:201], -v[202:203]
	ds_read_b128 v[200:203], v2 offset:1440
	s_waitcnt vmcnt(2) lgkmcnt(2)
	v_mul_f64 v[206:207], v[192:193], v[94:95]
	v_fmac_f64_e32 v[206:207], v[194:195], v[92:93]
	v_add_f64 v[204:205], v[204:205], v[206:207]
	s_waitcnt vmcnt(1) lgkmcnt(1)
	v_mul_f64 v[206:207], v[196:197], v[102:103]
	v_fmac_f64_e32 v[206:207], v[198:199], v[100:101]
	v_add_f64 v[204:205], v[204:205], v[206:207]
	;; [unrolled: 4-line block ×3, first 2 shown]
	scratch_load_dwordx4 v[204:207], off, off offset:720
	ds_read_b128 v[208:211], v2 offset:1456
	ds_read_b128 v[216:219], v2 offset:1472
	;; [unrolled: 1-line block ×3, first 2 shown]
	s_waitcnt vmcnt(0) lgkmcnt(2)
	v_mul_f64 v[214:215], v[208:209], v[206:207]
	v_fmac_f64_e32 v[214:215], v[210:211], v[204:205]
	v_add_f64 v[220:221], v[212:213], v[214:215]
	scratch_load_dwordx4 v[212:215], off, off offset:736
	s_waitcnt vmcnt(0) lgkmcnt(1)
	v_mul_f64 v[222:223], v[216:217], v[214:215]
	v_fmac_f64_e32 v[222:223], v[218:219], v[212:213]
	v_add_f64 v[228:229], v[220:221], v[222:223]
	scratch_load_dwordx4 v[220:223], off, off offset:752
	s_waitcnt vmcnt(0) lgkmcnt(0)
	v_mul_f64 v[230:231], v[224:225], v[222:223]
	v_fmac_f64_e32 v[230:231], v[226:227], v[220:221]
	v_add_f64 v[244:245], v[228:229], v[230:231]
	v_add_f64 v[228:229], v[240:241], 0
	;; [unrolled: 1-line block ×8, first 2 shown]
	scratch_load_dwordx4 v[228:231], off, off offset:32
	v_add_f64 v[12:13], v[16:17], v[12:13]
	v_add_f64 v[10:11], v[12:13], v[10:11]
	;; [unrolled: 1-line block ×7, first 2 shown]
	v_accvgpr_read_b32 v6, a96
	v_accvgpr_read_b32 v8, a98
	;; [unrolled: 1-line block ×3, first 2 shown]
	v_add_f64 v[0:1], v[4:5], v[0:1]
	v_accvgpr_read_b32 v7, a97
	v_mul_f64 v[4:5], v[54:55], v[8:9]
	v_add_f64 v[0:1], v[0:1], v[242:243]
	v_fma_f64 v[4:5], v[52:53], v[6:7], -v[4:5]
	v_accvgpr_read_b32 v6, a100
	v_add_f64 v[0:1], v[0:1], v[250:251]
	v_accvgpr_read_b32 v8, a102
	v_accvgpr_read_b32 v9, a103
	v_add_f64 v[0:1], v[0:1], v[4:5]
	v_accvgpr_read_b32 v7, a101
	v_mul_f64 v[4:5], v[110:111], v[8:9]
	v_fma_f64 v[4:5], v[108:109], v[6:7], -v[4:5]
	v_accvgpr_read_b32 v6, a104
	v_accvgpr_read_b32 v8, a106
	;; [unrolled: 1-line block ×3, first 2 shown]
	v_add_f64 v[0:1], v[0:1], v[4:5]
	v_accvgpr_read_b32 v7, a105
	v_mul_f64 v[4:5], v[114:115], v[8:9]
	v_fma_f64 v[4:5], v[112:113], v[6:7], -v[4:5]
	v_add_f64 v[0:1], v[0:1], v[4:5]
	v_mul_f64 v[4:5], v[118:119], v[236:237]
	v_fma_f64 v[4:5], v[116:117], v[234:235], -v[4:5]
	v_add_f64 v[0:1], v[0:1], v[4:5]
	;; [unrolled: 3-line block ×26, first 2 shown]
	s_waitcnt vmcnt(0)
	v_add_f64 v[4:5], v[228:229], -v[0:1]
	v_accvgpr_read_b32 v0, a94
	v_add_f64 v[6:7], v[230:231], -v[244:245]
	v_cmp_ne_u32_e32 vcc, 0, v0
	scratch_store_dwordx4 off, v[4:7], off offset:32
	s_and_saveexec_b64 s[0:1], vcc
	s_cbranch_execz .LBB110_295
; %bb.294:
	scratch_load_dwordx4 v[6:9], off, off offset:16
	v_mov_b32_e32 v3, v2
	v_mov_b32_e32 v4, v2
	;; [unrolled: 1-line block ×3, first 2 shown]
	v_accvgpr_read_b32 v0, a95
	scratch_store_dwordx4 off, v[2:5], off offset:16
	s_waitcnt vmcnt(1)
	ds_write_b128 v0, v[6:9]
.LBB110_295:
	s_or_b64 exec, exec, s[0:1]
	s_waitcnt lgkmcnt(0)
	; wave barrier
	scratch_load_dwordx4 v[80:83], off, off offset:32
	scratch_load_dwordx4 v[84:87], off, off offset:48
	;; [unrolled: 1-line block ×17, first 2 shown]
	ds_read_b128 v[136:139], v2 offset:768
	ds_read_b128 v[132:135], v2 offset:784
	scratch_load_dwordx4 v[4:7], off, off offset:304
	ds_read_b128 v[236:239], v2 offset:800
	ds_read_b128 v[228:231], v2 offset:816
	;; [unrolled: 1-line block ×5, first 2 shown]
	scratch_load_dwordx4 v[8:11], off, off offset:320
	ds_read_b128 v[232:235], v2 offset:880
	ds_read_b128 v[224:227], v2 offset:896
	;; [unrolled: 1-line block ×3, first 2 shown]
	scratch_load_dwordx4 v[12:15], off, off offset:336
	ds_read_b128 v[216:219], v2 offset:928
	ds_read_b128 v[172:175], v2 offset:944
	;; [unrolled: 1-line block ×5, first 2 shown]
	scratch_load_dwordx4 v[16:19], off, off offset:352
	ds_read_b128 v[208:211], v2 offset:1008
	ds_read_b128 v[204:207], v2 offset:1024
	;; [unrolled: 1-line block ×3, first 2 shown]
	scratch_load_dwordx4 v[24:27], off, off offset:368
	scratch_load_dwordx4 v[28:31], off, off offset:384
	scratch_load_dwordx4 v[32:35], off, off offset:400
	scratch_load_dwordx4 v[36:39], off, off offset:416
	scratch_load_dwordx4 v[40:43], off, off offset:432
	scratch_load_dwordx4 v[44:47], off, off offset:448
	scratch_load_dwordx4 v[48:51], off, off offset:464
	scratch_load_dwordx4 v[56:59], off, off offset:480
	scratch_load_dwordx4 v[52:55], off, off offset:496
	ds_read_b128 v[124:127], v2 offset:1120
	ds_read_b128 v[128:131], v2 offset:1136
	s_and_b64 vcc, exec, s[10:11]
	ds_read_b128 v[120:123], v2 offset:1104
	s_waitcnt vmcnt(29) lgkmcnt(14)
	v_mul_f64 v[0:1], v[136:137], v[82:83]
	s_waitcnt vmcnt(28)
	v_mul_f64 v[60:61], v[132:133], v[86:87]
	v_fmac_f64_e32 v[0:1], v[138:139], v[80:81]
	s_waitcnt vmcnt(27)
	v_mul_f64 v[62:63], v[236:237], v[90:91]
	v_fmac_f64_e32 v[60:61], v[134:135], v[84:85]
	v_add_f64 v[0:1], v[0:1], 0
	s_waitcnt vmcnt(26)
	v_mul_f64 v[64:65], v[228:229], v[94:95]
	v_fmac_f64_e32 v[62:63], v[238:239], v[88:89]
	v_add_f64 v[0:1], v[0:1], v[60:61]
	;; [unrolled: 4-line block ×5, first 2 shown]
	s_waitcnt vmcnt(22) lgkmcnt(13)
	v_mul_f64 v[72:73], v[232:233], v[146:147]
	v_fmac_f64_e32 v[70:71], v[150:151], v[104:105]
	v_add_f64 v[0:1], v[0:1], v[68:69]
	s_waitcnt vmcnt(21) lgkmcnt(12)
	v_mul_f64 v[74:75], v[224:225], v[154:155]
	v_fmac_f64_e32 v[72:73], v[234:235], v[144:145]
	v_add_f64 v[0:1], v[0:1], v[70:71]
	;; [unrolled: 4-line block ×9, first 2 shown]
	v_fmac_f64_e32 v[116:117], v[210:211], v[192:193]
	v_add_f64 v[0:1], v[0:1], v[114:115]
	s_waitcnt vmcnt(13) lgkmcnt(4)
	v_mul_f64 v[60:61], v[204:205], v[202:203]
	v_add_f64 v[0:1], v[0:1], v[116:117]
	v_fmac_f64_e32 v[60:61], v[206:207], v[200:201]
	v_add_f64 v[0:1], v[0:1], v[60:61]
	scratch_load_dwordx4 v[60:63], off, off offset:512
	ds_read_b128 v[108:111], v2 offset:1056
	ds_read_b128 v[112:115], v2 offset:1072
	s_waitcnt vmcnt(13) lgkmcnt(5)
	v_mul_f64 v[64:65], v[20:21], v[6:7]
	v_accvgpr_write_b32 a97, v7
	v_fmac_f64_e32 v[64:65], v[22:23], v[4:5]
	v_accvgpr_write_b32 a96, v6
	v_accvgpr_write_b32 a95, v5
	;; [unrolled: 1-line block ×3, first 2 shown]
	s_waitcnt vmcnt(12)
	v_mov_b64_e32 v[4:5], v[8:9]
	v_mov_b64_e32 v[6:7], v[10:11]
	s_waitcnt lgkmcnt(1)
	v_mul_f64 v[68:69], v[108:109], v[6:7]
	ds_read_b128 v[116:119], v2 offset:1088
	v_add_f64 v[0:1], v[0:1], v[64:65]
	v_fmac_f64_e32 v[68:69], v[110:111], v[4:5]
	scratch_load_dwordx4 v[64:67], off, off offset:528
	v_add_f64 v[0:1], v[0:1], v[68:69]
	s_waitcnt vmcnt(12)
	v_mov_b64_e32 v[4:5], v[12:13]
	scratch_load_dwordx4 v[68:71], off, off offset:544
	v_mov_b64_e32 v[6:7], v[14:15]
	s_waitcnt lgkmcnt(1)
	v_mul_f64 v[72:73], v[112:113], v[6:7]
	v_fmac_f64_e32 v[72:73], v[114:115], v[4:5]
	s_waitcnt vmcnt(12) lgkmcnt(0)
	v_mul_f64 v[76:77], v[116:117], v[18:19]
	v_add_f64 v[0:1], v[0:1], v[72:73]
	v_fmac_f64_e32 v[76:77], v[118:119], v[16:17]
	scratch_load_dwordx4 v[72:75], off, off offset:560
	v_add_f64 v[0:1], v[0:1], v[76:77]
	s_waitcnt vmcnt(12)
	v_mul_f64 v[76:77], v[120:121], v[26:27]
	v_fmac_f64_e32 v[76:77], v[122:123], v[24:25]
	v_add_f64 v[0:1], v[0:1], v[76:77]
	scratch_load_dwordx4 v[76:79], off, off offset:576
	v_mul_f64 v[82:83], v[138:139], v[82:83]
	v_fma_f64 v[240:241], v[136:137], v[80:81], -v[82:83]
	scratch_load_dwordx4 v[80:83], off, off offset:592
	v_mul_f64 v[86:87], v[134:135], v[86:87]
	v_fma_f64 v[244:245], v[132:133], v[84:85], -v[86:87]
	;; [unrolled: 3-line block ×4, first 2 shown]
	scratch_load_dwordx4 v[92:95], off, off offset:640
	s_waitcnt vmcnt(16)
	v_mul_f64 v[136:137], v[124:125], v[30:31]
	v_fmac_f64_e32 v[136:137], v[126:127], v[28:29]
	s_waitcnt vmcnt(15)
	v_mul_f64 v[242:243], v[128:129], v[34:35]
	v_add_f64 v[0:1], v[0:1], v[136:137]
	v_fmac_f64_e32 v[242:243], v[130:131], v[32:33]
	v_mul_f64 v[98:99], v[222:223], v[98:99]
	v_add_f64 v[0:1], v[0:1], v[242:243]
	v_fma_f64 v[242:243], v[220:221], v[96:97], -v[98:99]
	scratch_load_dwordx4 v[96:99], off, off offset:656
	v_mul_f64 v[102:103], v[142:143], v[102:103]
	v_fma_f64 v[252:253], v[140:141], v[100:101], -v[102:103]
	scratch_load_dwordx4 v[100:103], off, off offset:672
	v_mul_f64 v[106:107], v[150:151], v[106:107]
	v_fma_f64 v[254:255], v[148:149], v[104:105], -v[106:107]
	scratch_load_dwordx4 v[104:107], off, off offset:688
	ds_read_b128 v[132:135], v2 offset:1152
	ds_read_b128 v[136:139], v2 offset:1168
	;; [unrolled: 1-line block ×3, first 2 shown]
	v_mul_f64 v[146:147], v[234:235], v[146:147]
	v_fma_f64 v[232:233], v[232:233], v[144:145], -v[146:147]
	s_waitcnt vmcnt(17) lgkmcnt(2)
	v_mul_f64 v[228:229], v[132:133], v[38:39]
	v_fmac_f64_e32 v[228:229], v[134:135], v[36:37]
	s_waitcnt vmcnt(16) lgkmcnt(1)
	v_mul_f64 v[220:221], v[136:137], v[42:43]
	v_add_f64 v[0:1], v[0:1], v[228:229]
	v_fmac_f64_e32 v[220:221], v[138:139], v[40:41]
	ds_read_b128 v[144:147], v2 offset:1200
	s_waitcnt vmcnt(15) lgkmcnt(1)
	v_mul_f64 v[148:149], v[140:141], v[46:47]
	v_add_f64 v[0:1], v[0:1], v[220:221]
	v_fmac_f64_e32 v[148:149], v[142:143], v[44:45]
	v_add_f64 v[0:1], v[0:1], v[148:149]
	ds_read_b128 v[148:151], v2 offset:1216
	v_mul_f64 v[154:155], v[226:227], v[154:155]
	v_fma_f64 v[234:235], v[224:225], v[152:153], -v[154:155]
	ds_read_b128 v[152:155], v2 offset:1232
	v_accvgpr_write_b32 a105, v15
	v_mul_f64 v[158:159], v[162:163], v[158:159]
	v_accvgpr_write_b32 a104, v14
	v_accvgpr_write_b32 a103, v13
	;; [unrolled: 1-line block ×3, first 2 shown]
	s_waitcnt vmcnt(14) lgkmcnt(2)
	v_mul_f64 v[220:221], v[144:145], v[50:51]
	v_fma_f64 v[12:13], v[160:161], v[156:157], -v[158:159]
	ds_read_b128 v[156:159], v2 offset:1248
	ds_read_b128 v[160:163], v2 offset:1264
	v_fmac_f64_e32 v[220:221], v[146:147], v[48:49]
	v_add_f64 v[0:1], v[0:1], v[220:221]
	s_waitcnt vmcnt(13) lgkmcnt(3)
	v_mul_f64 v[220:221], v[148:149], v[58:59]
	v_fmac_f64_e32 v[220:221], v[150:151], v[56:57]
	s_waitcnt vmcnt(12) lgkmcnt(2)
	v_mul_f64 v[6:7], v[152:153], v[54:55]
	v_add_f64 v[0:1], v[0:1], v[220:221]
	v_fmac_f64_e32 v[6:7], v[154:155], v[52:53]
	v_add_f64 v[0:1], v[0:1], v[6:7]
	s_waitcnt vmcnt(11) lgkmcnt(1)
	v_mul_f64 v[6:7], v[156:157], v[62:63]
	v_fmac_f64_e32 v[6:7], v[158:159], v[60:61]
	v_accvgpr_write_b32 a101, v11
	v_add_f64 v[0:1], v[0:1], v[6:7]
	v_mul_f64 v[6:7], v[218:219], v[166:167]
	v_accvgpr_write_b32 a100, v10
	v_accvgpr_write_b32 a99, v9
	;; [unrolled: 1-line block ×3, first 2 shown]
	v_fma_f64 v[8:9], v[216:217], v[164:165], -v[6:7]
	ds_read_b128 v[164:167], v2 offset:1280
	s_waitcnt vmcnt(10) lgkmcnt(1)
	v_mul_f64 v[216:217], v[160:161], v[66:67]
	v_mul_f64 v[170:171], v[174:175], v[170:171]
	v_fmac_f64_e32 v[216:217], v[162:163], v[64:65]
	v_fma_f64 v[6:7], v[172:173], v[168:169], -v[170:171]
	ds_read_b128 v[168:171], v2 offset:1296
	s_waitcnt vmcnt(9) lgkmcnt(1)
	v_mul_f64 v[10:11], v[164:165], v[70:71]
	v_add_f64 v[0:1], v[0:1], v[216:217]
	v_fmac_f64_e32 v[10:11], v[166:167], v[68:69]
	v_add_f64 v[0:1], v[0:1], v[10:11]
	ds_read_b128 v[172:175], v2 offset:1312
	v_mul_f64 v[10:11], v[214:215], v[178:179]
	v_fma_f64 v[10:11], v[212:213], v[176:177], -v[10:11]
	ds_read_b128 v[176:179], v2 offset:1328
	v_mul_f64 v[182:183], v[186:187], v[182:183]
	s_waitcnt vmcnt(8) lgkmcnt(2)
	v_mul_f64 v[212:213], v[168:169], v[74:75]
	v_fma_f64 v[4:5], v[184:185], v[180:181], -v[182:183]
	ds_read_b128 v[180:183], v2 offset:1344
	ds_read_b128 v[184:187], v2 offset:1360
	v_fmac_f64_e32 v[212:213], v[170:171], v[72:73]
	v_add_f64 v[0:1], v[0:1], v[212:213]
	s_waitcnt vmcnt(7) lgkmcnt(3)
	v_mul_f64 v[212:213], v[172:173], v[78:79]
	v_fmac_f64_e32 v[212:213], v[174:175], v[76:77]
	s_waitcnt vmcnt(6) lgkmcnt(2)
	v_mul_f64 v[14:15], v[176:177], v[82:83]
	v_add_f64 v[0:1], v[0:1], v[212:213]
	v_fmac_f64_e32 v[14:15], v[178:179], v[80:81]
	v_add_f64 v[0:1], v[0:1], v[14:15]
	s_waitcnt vmcnt(5) lgkmcnt(1)
	v_mul_f64 v[14:15], v[180:181], v[86:87]
	v_fmac_f64_e32 v[14:15], v[182:183], v[84:85]
	v_add_f64 v[0:1], v[0:1], v[14:15]
	v_mul_f64 v[14:15], v[198:199], v[190:191]
	v_fma_f64 v[14:15], v[196:197], v[188:189], -v[14:15]
	ds_read_b128 v[188:191], v2 offset:1376
	v_mul_f64 v[194:195], v[210:211], v[194:195]
	s_waitcnt vmcnt(4) lgkmcnt(1)
	v_mul_f64 v[196:197], v[184:185], v[90:91]
	v_fma_f64 v[192:193], v[208:209], v[192:193], -v[194:195]
	v_fmac_f64_e32 v[196:197], v[186:187], v[88:89]
	v_accvgpr_write_b32 a106, v192
	v_add_f64 v[0:1], v[0:1], v[196:197]
	v_accvgpr_write_b32 a107, v193
	ds_read_b128 v[192:195], v2 offset:1392
	s_waitcnt vmcnt(3) lgkmcnt(1)
	v_mul_f64 v[196:197], v[188:189], v[94:95]
	v_fmac_f64_e32 v[196:197], v[190:191], v[92:93]
	v_add_f64 v[0:1], v[0:1], v[196:197]
	ds_read_b128 v[196:199], v2 offset:1408
	v_mul_f64 v[202:203], v[206:207], v[202:203]
	v_fma_f64 v[250:251], v[204:205], v[200:201], -v[202:203]
	ds_read_b128 v[200:203], v2 offset:1424
	s_waitcnt vmcnt(2) lgkmcnt(2)
	v_mul_f64 v[204:205], v[192:193], v[98:99]
	v_fmac_f64_e32 v[204:205], v[194:195], v[96:97]
	v_add_f64 v[0:1], v[0:1], v[204:205]
	s_waitcnt vmcnt(1) lgkmcnt(1)
	v_mul_f64 v[204:205], v[196:197], v[102:103]
	v_fmac_f64_e32 v[204:205], v[198:199], v[100:101]
	v_add_f64 v[0:1], v[0:1], v[204:205]
	;; [unrolled: 4-line block ×3, first 2 shown]
	scratch_load_dwordx4 v[204:207], off, off offset:704
	ds_read_b128 v[208:211], v2 offset:1440
	ds_read_b128 v[216:219], v2 offset:1456
	;; [unrolled: 1-line block ×3, first 2 shown]
	s_waitcnt vmcnt(0) lgkmcnt(2)
	v_mul_f64 v[212:213], v[208:209], v[206:207]
	v_fmac_f64_e32 v[212:213], v[210:211], v[204:205]
	v_add_f64 v[0:1], v[0:1], v[212:213]
	scratch_load_dwordx4 v[212:215], off, off offset:720
	s_waitcnt vmcnt(0) lgkmcnt(1)
	v_mul_f64 v[220:221], v[216:217], v[214:215]
	v_fmac_f64_e32 v[220:221], v[218:219], v[212:213]
	v_add_f64 v[0:1], v[0:1], v[220:221]
	scratch_load_dwordx4 v[220:223], off, off offset:736
	;; [unrolled: 5-line block ×3, first 2 shown]
	ds_read_b128 v[0:3], v2 offset:1488
	s_waitcnt vmcnt(0) lgkmcnt(0)
	v_mul_f64 v[238:239], v[0:1], v[230:231]
	v_fmac_f64_e32 v[238:239], v[2:3], v[228:229]
	v_add_f64 v[236:237], v[236:237], v[238:239]
	v_add_f64 v[238:239], v[240:241], 0
	;; [unrolled: 1-line block ×11, first 2 shown]
	scratch_load_dwordx4 v[232:235], off, off offset:16
	v_add_f64 v[8:9], v[12:13], v[8:9]
	v_add_f64 v[6:7], v[8:9], v[6:7]
	;; [unrolled: 1-line block ×4, first 2 shown]
	v_accvgpr_read_b32 v8, a94
	v_add_f64 v[252:253], v[4:5], v[14:15]
	v_accvgpr_read_b32 v4, a106
	v_accvgpr_read_b32 v10, a96
	;; [unrolled: 1-line block ×5, first 2 shown]
	v_mul_f64 v[6:7], v[22:23], v[10:11]
	v_add_f64 v[4:5], v[252:253], v[4:5]
	v_fma_f64 v[6:7], v[20:21], v[8:9], -v[6:7]
	v_accvgpr_read_b32 v8, a98
	v_add_f64 v[4:5], v[4:5], v[250:251]
	v_accvgpr_read_b32 v10, a100
	v_accvgpr_read_b32 v11, a101
	v_add_f64 v[4:5], v[4:5], v[6:7]
	v_accvgpr_read_b32 v9, a99
	v_mul_f64 v[6:7], v[110:111], v[10:11]
	v_fma_f64 v[6:7], v[108:109], v[8:9], -v[6:7]
	v_accvgpr_read_b32 v8, a102
	v_accvgpr_read_b32 v10, a104
	;; [unrolled: 1-line block ×3, first 2 shown]
	v_add_f64 v[4:5], v[4:5], v[6:7]
	v_accvgpr_read_b32 v9, a103
	v_mul_f64 v[6:7], v[114:115], v[10:11]
	v_fma_f64 v[6:7], v[112:113], v[8:9], -v[6:7]
	v_add_f64 v[4:5], v[4:5], v[6:7]
	v_mul_f64 v[6:7], v[118:119], v[18:19]
	v_fma_f64 v[6:7], v[116:117], v[16:17], -v[6:7]
	v_add_f64 v[4:5], v[4:5], v[6:7]
	;; [unrolled: 3-line block ×25, first 2 shown]
	v_mul_f64 v[6:7], v[226:227], v[222:223]
	v_fma_f64 v[6:7], v[224:225], v[220:221], -v[6:7]
	v_mul_f64 v[2:3], v[2:3], v[230:231]
	v_add_f64 v[4:5], v[4:5], v[6:7]
	v_fma_f64 v[0:1], v[0:1], v[228:229], -v[2:3]
	v_add_f64 v[0:1], v[4:5], v[0:1]
	s_waitcnt vmcnt(0)
	v_add_f64 v[0:1], v[232:233], -v[0:1]
	v_add_f64 v[2:3], v[234:235], -v[236:237]
	scratch_store_dwordx4 off, v[0:3], off offset:16
	s_cbranch_vccz .LBB110_388
; %bb.296:
	s_nop 0
	v_mov_b32_e32 v0, 0
	global_load_dword v1, v0, s[8:9] offset:180
	s_waitcnt vmcnt(0)
	v_readfirstlane_b32 s0, v1
	s_add_i32 s0, s0, -1
	s_cmp_lg_u32 s0, 45
	s_cbranch_scc0 .LBB110_298
; %bb.297:
	s_lshl_b32 s0, s0, 4
	s_add_i32 s0, s0, 16
	scratch_load_dwordx4 v[2:5], off, s0
	scratch_load_dwordx4 v[6:9], off, s17
	s_waitcnt vmcnt(1)
	scratch_store_dwordx4 off, v[2:5], s17
	s_waitcnt vmcnt(1)
	scratch_store_dwordx4 off, v[6:9], s0
.LBB110_298:
	global_load_dword v0, v0, s[8:9] offset:176
	s_waitcnt vmcnt(0)
	v_readfirstlane_b32 s0, v0
	s_add_i32 s0, s0, -1
	s_cmp_eq_u32 s0, 44
	s_cbranch_scc1 .LBB110_300
; %bb.299:
	s_lshl_b32 s0, s0, 4
	s_add_i32 s0, s0, 16
	scratch_load_dwordx4 v[0:3], off, s0
	scratch_load_dwordx4 v[4:7], off, s18
	s_waitcnt vmcnt(1)
	scratch_store_dwordx4 off, v[0:3], s18
	s_waitcnt vmcnt(1)
	scratch_store_dwordx4 off, v[4:7], s0
.LBB110_300:
	v_mov_b32_e32 v0, 0
	global_load_dword v1, v0, s[8:9] offset:172
	s_waitcnt vmcnt(0)
	v_readfirstlane_b32 s0, v1
	s_add_i32 s0, s0, -1
	s_cmp_eq_u32 s0, 43
	s_cbranch_scc1 .LBB110_302
; %bb.301:
	s_lshl_b32 s0, s0, 4
	s_add_i32 s0, s0, 16
	scratch_load_dwordx4 v[2:5], off, s0
	scratch_load_dwordx4 v[6:9], off, s19
	s_waitcnt vmcnt(1)
	scratch_store_dwordx4 off, v[2:5], s19
	s_waitcnt vmcnt(1)
	scratch_store_dwordx4 off, v[6:9], s0
.LBB110_302:
	global_load_dword v0, v0, s[8:9] offset:168
	s_waitcnt vmcnt(0)
	v_readfirstlane_b32 s0, v0
	s_add_i32 s0, s0, -1
	s_cmp_eq_u32 s0, 42
	s_cbranch_scc1 .LBB110_304
; %bb.303:
	s_lshl_b32 s0, s0, 4
	s_add_i32 s0, s0, 16
	scratch_load_dwordx4 v[0:3], off, s0
	scratch_load_dwordx4 v[4:7], off, s20
	s_waitcnt vmcnt(1)
	scratch_store_dwordx4 off, v[0:3], s20
	s_waitcnt vmcnt(1)
	scratch_store_dwordx4 off, v[4:7], s0
.LBB110_304:
	v_mov_b32_e32 v0, 0
	global_load_dword v1, v0, s[8:9] offset:164
	s_waitcnt vmcnt(0)
	v_readfirstlane_b32 s0, v1
	s_add_i32 s0, s0, -1
	s_cmp_eq_u32 s0, 41
	s_cbranch_scc1 .LBB110_306
; %bb.305:
	s_lshl_b32 s0, s0, 4
	s_add_i32 s0, s0, 16
	scratch_load_dwordx4 v[2:5], off, s0
	scratch_load_dwordx4 v[6:9], off, s21
	s_waitcnt vmcnt(1)
	scratch_store_dwordx4 off, v[2:5], s21
	s_waitcnt vmcnt(1)
	scratch_store_dwordx4 off, v[6:9], s0
.LBB110_306:
	;; [unrolled: 33-line block ×22, first 2 shown]
	global_load_dword v0, v0, s[8:9]
	s_waitcnt vmcnt(0)
	v_readfirstlane_b32 s0, v0
	s_add_i32 s0, s0, -1
	s_cmp_eq_u32 s0, 0
	s_cbranch_scc1 .LBB110_388
; %bb.387:
	s_lshl_b32 s0, s0, 4
	s_add_i32 s0, s0, 16
	scratch_load_dwordx4 v[0:3], off, s0
	scratch_load_dwordx4 v[4:7], off, off offset:16
	s_waitcnt vmcnt(1)
	scratch_store_dwordx4 off, v[0:3], off offset:16
	s_waitcnt vmcnt(1)
	scratch_store_dwordx4 off, v[4:7], s0
.LBB110_388:
	scratch_load_dwordx4 v[0:3], off, off offset:16
	s_nop 0
	v_accvgpr_read_b32 v5, a1
	v_accvgpr_read_b32 v4, a0
	s_waitcnt vmcnt(0)
	flat_store_dwordx4 v[4:5], v[0:3]
	scratch_load_dwordx4 v[0:3], off, s62
	v_accvgpr_read_b32 v5, a3
	v_accvgpr_read_b32 v4, a2
	s_waitcnt vmcnt(0)
	flat_store_dwordx4 v[4:5], v[0:3]
	scratch_load_dwordx4 v[0:3], off, s61
	;; [unrolled: 5-line block ×46, first 2 shown]
	v_accvgpr_read_b32 v4, a92
	v_accvgpr_read_b32 v5, a93
	s_waitcnt vmcnt(0)
	flat_store_dwordx4 v[4:5], v[0:3]
	s_endpgm
	.section	.rodata,"a",@progbits
	.p2align	6, 0x0
	.amdhsa_kernel _ZN9rocsolver6v33100L18getri_kernel_smallILi47E19rocblas_complex_numIdEPKPS3_EEvT1_iilPiilS8_bb
		.amdhsa_group_segment_fixed_size 1512
		.amdhsa_private_segment_fixed_size 784
		.amdhsa_kernarg_size 60
		.amdhsa_user_sgpr_count 2
		.amdhsa_user_sgpr_dispatch_ptr 0
		.amdhsa_user_sgpr_queue_ptr 0
		.amdhsa_user_sgpr_kernarg_segment_ptr 1
		.amdhsa_user_sgpr_dispatch_id 0
		.amdhsa_user_sgpr_kernarg_preload_length 0
		.amdhsa_user_sgpr_kernarg_preload_offset 0
		.amdhsa_user_sgpr_private_segment_size 0
		.amdhsa_uses_dynamic_stack 0
		.amdhsa_enable_private_segment 1
		.amdhsa_system_sgpr_workgroup_id_x 1
		.amdhsa_system_sgpr_workgroup_id_y 0
		.amdhsa_system_sgpr_workgroup_id_z 0
		.amdhsa_system_sgpr_workgroup_info 0
		.amdhsa_system_vgpr_workitem_id 0
		.amdhsa_next_free_vgpr 364
		.amdhsa_next_free_sgpr 80
		.amdhsa_accum_offset 256
		.amdhsa_reserve_vcc 1
		.amdhsa_float_round_mode_32 0
		.amdhsa_float_round_mode_16_64 0
		.amdhsa_float_denorm_mode_32 3
		.amdhsa_float_denorm_mode_16_64 3
		.amdhsa_dx10_clamp 1
		.amdhsa_ieee_mode 1
		.amdhsa_fp16_overflow 0
		.amdhsa_tg_split 0
		.amdhsa_exception_fp_ieee_invalid_op 0
		.amdhsa_exception_fp_denorm_src 0
		.amdhsa_exception_fp_ieee_div_zero 0
		.amdhsa_exception_fp_ieee_overflow 0
		.amdhsa_exception_fp_ieee_underflow 0
		.amdhsa_exception_fp_ieee_inexact 0
		.amdhsa_exception_int_div_zero 0
	.end_amdhsa_kernel
	.section	.text._ZN9rocsolver6v33100L18getri_kernel_smallILi47E19rocblas_complex_numIdEPKPS3_EEvT1_iilPiilS8_bb,"axG",@progbits,_ZN9rocsolver6v33100L18getri_kernel_smallILi47E19rocblas_complex_numIdEPKPS3_EEvT1_iilPiilS8_bb,comdat
.Lfunc_end110:
	.size	_ZN9rocsolver6v33100L18getri_kernel_smallILi47E19rocblas_complex_numIdEPKPS3_EEvT1_iilPiilS8_bb, .Lfunc_end110-_ZN9rocsolver6v33100L18getri_kernel_smallILi47E19rocblas_complex_numIdEPKPS3_EEvT1_iilPiilS8_bb
                                        ; -- End function
	.set _ZN9rocsolver6v33100L18getri_kernel_smallILi47E19rocblas_complex_numIdEPKPS3_EEvT1_iilPiilS8_bb.num_vgpr, 256
	.set _ZN9rocsolver6v33100L18getri_kernel_smallILi47E19rocblas_complex_numIdEPKPS3_EEvT1_iilPiilS8_bb.num_agpr, 108
	.set _ZN9rocsolver6v33100L18getri_kernel_smallILi47E19rocblas_complex_numIdEPKPS3_EEvT1_iilPiilS8_bb.numbered_sgpr, 80
	.set _ZN9rocsolver6v33100L18getri_kernel_smallILi47E19rocblas_complex_numIdEPKPS3_EEvT1_iilPiilS8_bb.num_named_barrier, 0
	.set _ZN9rocsolver6v33100L18getri_kernel_smallILi47E19rocblas_complex_numIdEPKPS3_EEvT1_iilPiilS8_bb.private_seg_size, 784
	.set _ZN9rocsolver6v33100L18getri_kernel_smallILi47E19rocblas_complex_numIdEPKPS3_EEvT1_iilPiilS8_bb.uses_vcc, 1
	.set _ZN9rocsolver6v33100L18getri_kernel_smallILi47E19rocblas_complex_numIdEPKPS3_EEvT1_iilPiilS8_bb.uses_flat_scratch, 0
	.set _ZN9rocsolver6v33100L18getri_kernel_smallILi47E19rocblas_complex_numIdEPKPS3_EEvT1_iilPiilS8_bb.has_dyn_sized_stack, 0
	.set _ZN9rocsolver6v33100L18getri_kernel_smallILi47E19rocblas_complex_numIdEPKPS3_EEvT1_iilPiilS8_bb.has_recursion, 0
	.set _ZN9rocsolver6v33100L18getri_kernel_smallILi47E19rocblas_complex_numIdEPKPS3_EEvT1_iilPiilS8_bb.has_indirect_call, 0
	.section	.AMDGPU.csdata,"",@progbits
; Kernel info:
; codeLenInByte = 94168
; TotalNumSgprs: 86
; NumVgprs: 256
; NumAgprs: 108
; TotalNumVgprs: 364
; ScratchSize: 784
; MemoryBound: 0
; FloatMode: 240
; IeeeMode: 1
; LDSByteSize: 1512 bytes/workgroup (compile time only)
; SGPRBlocks: 10
; VGPRBlocks: 45
; NumSGPRsForWavesPerEU: 86
; NumVGPRsForWavesPerEU: 364
; AccumOffset: 256
; Occupancy: 1
; WaveLimiterHint : 1
; COMPUTE_PGM_RSRC2:SCRATCH_EN: 1
; COMPUTE_PGM_RSRC2:USER_SGPR: 2
; COMPUTE_PGM_RSRC2:TRAP_HANDLER: 0
; COMPUTE_PGM_RSRC2:TGID_X_EN: 1
; COMPUTE_PGM_RSRC2:TGID_Y_EN: 0
; COMPUTE_PGM_RSRC2:TGID_Z_EN: 0
; COMPUTE_PGM_RSRC2:TIDIG_COMP_CNT: 0
; COMPUTE_PGM_RSRC3_GFX90A:ACCUM_OFFSET: 63
; COMPUTE_PGM_RSRC3_GFX90A:TG_SPLIT: 0
	.section	.text._ZN9rocsolver6v33100L18getri_kernel_smallILi48E19rocblas_complex_numIdEPKPS3_EEvT1_iilPiilS8_bb,"axG",@progbits,_ZN9rocsolver6v33100L18getri_kernel_smallILi48E19rocblas_complex_numIdEPKPS3_EEvT1_iilPiilS8_bb,comdat
	.globl	_ZN9rocsolver6v33100L18getri_kernel_smallILi48E19rocblas_complex_numIdEPKPS3_EEvT1_iilPiilS8_bb ; -- Begin function _ZN9rocsolver6v33100L18getri_kernel_smallILi48E19rocblas_complex_numIdEPKPS3_EEvT1_iilPiilS8_bb
	.p2align	8
	.type	_ZN9rocsolver6v33100L18getri_kernel_smallILi48E19rocblas_complex_numIdEPKPS3_EEvT1_iilPiilS8_bb,@function
_ZN9rocsolver6v33100L18getri_kernel_smallILi48E19rocblas_complex_numIdEPKPS3_EEvT1_iilPiilS8_bb: ; @_ZN9rocsolver6v33100L18getri_kernel_smallILi48E19rocblas_complex_numIdEPKPS3_EEvT1_iilPiilS8_bb
; %bb.0:
	v_mov_b32_e32 v240, v0
	v_cmp_gt_u32_e32 vcc, 48, v240
	s_and_saveexec_b64 s[4:5], vcc
	s_cbranch_execz .LBB111_206
; %bb.1:
	s_load_dword s14, s[0:1], 0x38
	s_load_dwordx2 s[8:9], s[0:1], 0x0
	s_load_dwordx4 s[4:7], s[0:1], 0x28
	s_waitcnt lgkmcnt(0)
	s_bitcmp1_b32 s14, 8
	s_cselect_b64 s[10:11], -1, 0
	s_ashr_i32 s3, s2, 31
	s_lshl_b64 s[12:13], s[2:3], 3
	s_add_u32 s8, s8, s12
	s_addc_u32 s9, s9, s13
	s_load_dwordx2 s[12:13], s[8:9], 0x0
	s_bfe_u32 s8, s14, 0x10008
	s_cmp_eq_u32 s8, 0
                                        ; implicit-def: $sgpr8_sgpr9
	s_cbranch_scc1 .LBB111_3
; %bb.2:
	s_load_dword s8, s[0:1], 0x20
	s_load_dwordx2 s[14:15], s[0:1], 0x18
	s_mul_i32 s9, s4, s3
	s_mul_hi_u32 s16, s4, s2
	s_add_i32 s16, s16, s9
	s_mul_i32 s5, s5, s2
	s_add_i32 s5, s16, s5
	s_mul_i32 s4, s4, s2
	s_waitcnt lgkmcnt(0)
	s_ashr_i32 s9, s8, 31
	s_lshl_b64 s[4:5], s[4:5], 2
	s_add_u32 s14, s14, s4
	s_addc_u32 s15, s15, s5
	s_lshl_b64 s[4:5], s[8:9], 2
	s_add_u32 s8, s14, s4
	s_addc_u32 s9, s15, s5
.LBB111_3:
	s_load_dwordx2 s[4:5], s[0:1], 0x8
	s_load_dword s14, s[0:1], 0x38
	v_lshlrev_b32_e32 v14, 4, v240
	v_mov_b32_e32 v15, 0
	s_movk_i32 s15, 0x80
	s_waitcnt lgkmcnt(0)
	s_ashr_i32 s1, s4, 31
	s_mov_b32 s0, s4
	s_lshl_b64 s[0:1], s[0:1], 4
	s_add_u32 s0, s12, s0
	s_addc_u32 s1, s13, s1
	v_lshl_add_u64 v[0:1], s[0:1], 0, v[14:15]
	flat_load_dwordx4 v[2:5], v[0:1]
	s_mov_b32 s12, s5
	s_ashr_i32 s13, s5, 31
	v_accvgpr_write_b32 a0, v0
	v_accvgpr_write_b32 a1, v1
	v_lshl_add_u64 v[0:1], s[12:13], 4, v[0:1]
	s_add_i32 s4, s5, s5
	v_add_u32_e32 v6, s4, v240
	v_accvgpr_write_b32 a3, v1
	v_ashrrev_i32_e32 v7, 31, v6
	v_accvgpr_write_b32 a2, v0
	s_movk_i32 s4, 0x50
	s_movk_i32 s12, 0x60
	;; [unrolled: 1-line block ×39, first 2 shown]
	s_add_i32 s59, s4, 16
	s_add_i32 s58, s12, 16
	;; [unrolled: 1-line block ×30, first 2 shown]
	s_waitcnt vmcnt(0) lgkmcnt(0)
	scratch_store_dwordx4 off, v[2:5], off offset:16
	flat_load_dwordx4 v[2:5], v[0:1]
	v_lshl_add_u64 v[0:1], v[6:7], 4, s[0:1]
	v_add_u32_e32 v6, s5, v6
	v_accvgpr_write_b32 a5, v1
	v_ashrrev_i32_e32 v7, 31, v6
	v_accvgpr_write_b32 a4, v0
	s_add_i32 s25, s72, 16
	s_add_i32 s24, s73, 16
	;; [unrolled: 1-line block ×10, first 2 shown]
	s_mov_b32 s63, 32
	s_mov_b32 s62, 48
	;; [unrolled: 1-line block ×3, first 2 shown]
	s_movk_i32 s60, 0x50
	s_waitcnt vmcnt(0) lgkmcnt(0)
	scratch_store_dwordx4 off, v[2:5], off offset:32
	flat_load_dwordx4 v[2:5], v[0:1]
	v_lshl_add_u64 v[0:1], v[6:7], 4, s[0:1]
	v_add_u32_e32 v6, s5, v6
	v_accvgpr_write_b32 a7, v1
	v_ashrrev_i32_e32 v7, 31, v6
	v_accvgpr_write_b32 a6, v0
	s_waitcnt vmcnt(0) lgkmcnt(0)
	scratch_store_dwordx4 off, v[2:5], off offset:48
	flat_load_dwordx4 v[2:5], v[0:1]
	v_lshl_add_u64 v[0:1], v[6:7], 4, s[0:1]
	v_add_u32_e32 v6, s5, v6
	v_accvgpr_write_b32 a9, v1
	v_ashrrev_i32_e32 v7, 31, v6
	v_accvgpr_write_b32 a8, v0
	;; [unrolled: 8-line block ×44, first 2 shown]
	s_movk_i32 s5, 0x130
	s_add_i32 s45, s5, 16
	s_mov_b64 s[4:5], -1
	s_waitcnt vmcnt(0) lgkmcnt(0)
	scratch_store_dwordx4 off, v[2:5], off offset:736
	flat_load_dwordx4 v[2:5], v[0:1]
	v_lshl_add_u64 v[0:1], v[6:7], 4, s[0:1]
	s_movk_i32 s0, 0x110
	s_movk_i32 s1, 0x120
	v_accvgpr_write_b32 a95, v1
	s_add_i32 s47, s0, 16
	s_add_i32 s46, s1, 16
	v_accvgpr_write_b32 a94, v0
	s_bitcmp0_b32 s14, 0
	s_waitcnt vmcnt(0) lgkmcnt(0)
	scratch_store_dwordx4 off, v[2:5], off offset:752
	flat_load_dwordx4 v[2:5], v[0:1]
	s_waitcnt vmcnt(0) lgkmcnt(0)
	scratch_store_dwordx4 off, v[2:5], off offset:768
	s_cbranch_scc1 .LBB111_204
; %bb.4:
	v_cmp_eq_u32_e64 s[0:1], 0, v240
	s_and_saveexec_b64 s[4:5], s[0:1]
; %bb.5:
	v_mov_b32_e32 v0, 0
	ds_write_b32 v0, v0 offset:1536
; %bb.6:
	s_or_b64 exec, exec, s[4:5]
	s_waitcnt lgkmcnt(0)
	; wave barrier
	scratch_load_dwordx4 v[2:5], v14, off offset:16
	s_waitcnt vmcnt(0)
	v_cmp_eq_f64_e32 vcc, 0, v[2:3]
	v_cmp_eq_f64_e64 s[4:5], 0, v[4:5]
	s_and_b64 s[4:5], vcc, s[4:5]
	s_and_saveexec_b64 s[12:13], s[4:5]
	s_cbranch_execz .LBB111_10
; %bb.7:
	v_mov_b32_e32 v1, 0
	ds_read_b32 v0, v1 offset:1536
	v_add_u32_e32 v2, 1, v240
	s_waitcnt lgkmcnt(0)
	v_readfirstlane_b32 s4, v0
	s_cmp_eq_u32 s4, 0
	s_cselect_b64 s[14:15], -1, 0
	v_cmp_gt_i32_e32 vcc, s4, v2
	s_or_b64 s[14:15], s[14:15], vcc
	s_and_b64 exec, exec, s[14:15]
	s_cbranch_execz .LBB111_10
; %bb.8:
	s_mov_b64 s[14:15], 0
	v_mov_b32_e32 v3, s4
.LBB111_9:                              ; =>This Inner Loop Header: Depth=1
	ds_cmpst_rtn_b32 v3, v1, v3, v2 offset:1536
	s_waitcnt lgkmcnt(0)
	v_cmp_ne_u32_e32 vcc, 0, v3
	v_cmp_le_i32_e64 s[4:5], v3, v2
	s_and_b64 s[4:5], vcc, s[4:5]
	s_and_b64 s[4:5], exec, s[4:5]
	s_or_b64 s[14:15], s[4:5], s[14:15]
	s_andn2_b64 exec, exec, s[14:15]
	s_cbranch_execnz .LBB111_9
.LBB111_10:
	s_or_b64 exec, exec, s[12:13]
	v_mov_b32_e32 v2, 0
	; wave barrier
	ds_read_b32 v1, v2 offset:1536
	s_and_saveexec_b64 s[4:5], s[0:1]
	s_cbranch_execz .LBB111_12
; %bb.11:
	s_lshl_b64 s[12:13], s[2:3], 2
	s_add_u32 s12, s6, s12
	s_addc_u32 s13, s7, s13
	s_waitcnt lgkmcnt(0)
	global_store_dword v2, v1, s[12:13]
.LBB111_12:
	s_or_b64 exec, exec, s[4:5]
	s_waitcnt lgkmcnt(0)
	v_cmp_ne_u32_e32 vcc, 0, v1
	s_mov_b64 s[4:5], 0
	s_cbranch_vccnz .LBB111_204
; %bb.13:
	v_add_u32_e32 v15, 16, v14
	scratch_load_dwordx4 v[2:5], v15, off
                                        ; implicit-def: $vgpr6_vgpr7
                                        ; implicit-def: $vgpr10_vgpr11
	s_waitcnt vmcnt(0)
	v_cmp_ngt_f64_e64 s[4:5], |v[2:3]|, |v[4:5]|
	s_and_saveexec_b64 s[12:13], s[4:5]
	s_xor_b64 s[4:5], exec, s[12:13]
	s_cbranch_execz .LBB111_15
; %bb.14:
	v_div_scale_f64 v[6:7], s[12:13], v[4:5], v[4:5], v[2:3]
	v_rcp_f64_e32 v[8:9], v[6:7]
	v_div_scale_f64 v[10:11], vcc, v[2:3], v[4:5], v[2:3]
	v_fma_f64 v[12:13], -v[6:7], v[8:9], 1.0
	v_fmac_f64_e32 v[8:9], v[8:9], v[12:13]
	v_fma_f64 v[12:13], -v[6:7], v[8:9], 1.0
	v_fmac_f64_e32 v[8:9], v[8:9], v[12:13]
	v_mul_f64 v[12:13], v[10:11], v[8:9]
	v_fma_f64 v[6:7], -v[6:7], v[12:13], v[10:11]
	v_div_fmas_f64 v[6:7], v[6:7], v[8:9], v[12:13]
	v_div_fixup_f64 v[6:7], v[6:7], v[4:5], v[2:3]
	v_fmac_f64_e32 v[4:5], v[2:3], v[6:7]
	v_div_scale_f64 v[2:3], s[12:13], v[4:5], v[4:5], 1.0
	v_rcp_f64_e32 v[8:9], v[2:3]
	s_nop 0
	v_fma_f64 v[10:11], -v[2:3], v[8:9], 1.0
	v_fmac_f64_e32 v[8:9], v[8:9], v[10:11]
	v_fma_f64 v[10:11], -v[2:3], v[8:9], 1.0
	v_fmac_f64_e32 v[8:9], v[8:9], v[10:11]
	v_div_scale_f64 v[10:11], vcc, 1.0, v[4:5], 1.0
	v_mul_f64 v[12:13], v[10:11], v[8:9]
	v_fma_f64 v[2:3], -v[2:3], v[12:13], v[10:11]
	s_nop 1
	v_div_fmas_f64 v[2:3], v[2:3], v[8:9], v[12:13]
	v_div_fixup_f64 v[8:9], v[2:3], v[4:5], 1.0
	v_mul_f64 v[6:7], v[6:7], v[8:9]
	v_xor_b32_e32 v9, 0x80000000, v9
	v_xor_b32_e32 v11, 0x80000000, v7
	v_mov_b32_e32 v10, v6
                                        ; implicit-def: $vgpr2_vgpr3
.LBB111_15:
	s_andn2_saveexec_b64 s[4:5], s[4:5]
	s_cbranch_execz .LBB111_17
; %bb.16:
	v_div_scale_f64 v[6:7], s[12:13], v[2:3], v[2:3], v[4:5]
	v_rcp_f64_e32 v[8:9], v[6:7]
	v_div_scale_f64 v[10:11], vcc, v[4:5], v[2:3], v[4:5]
	v_fma_f64 v[12:13], -v[6:7], v[8:9], 1.0
	v_fmac_f64_e32 v[8:9], v[8:9], v[12:13]
	v_fma_f64 v[12:13], -v[6:7], v[8:9], 1.0
	v_fmac_f64_e32 v[8:9], v[8:9], v[12:13]
	v_mul_f64 v[12:13], v[10:11], v[8:9]
	v_fma_f64 v[6:7], -v[6:7], v[12:13], v[10:11]
	v_div_fmas_f64 v[6:7], v[6:7], v[8:9], v[12:13]
	v_div_fixup_f64 v[8:9], v[6:7], v[2:3], v[4:5]
	v_fmac_f64_e32 v[2:3], v[4:5], v[8:9]
	v_div_scale_f64 v[4:5], s[12:13], v[2:3], v[2:3], 1.0
	v_rcp_f64_e32 v[6:7], v[4:5]
	s_nop 0
	v_fma_f64 v[10:11], -v[4:5], v[6:7], 1.0
	v_fmac_f64_e32 v[6:7], v[6:7], v[10:11]
	v_fma_f64 v[10:11], -v[4:5], v[6:7], 1.0
	v_fmac_f64_e32 v[6:7], v[6:7], v[10:11]
	v_div_scale_f64 v[10:11], vcc, 1.0, v[2:3], 1.0
	v_mul_f64 v[12:13], v[10:11], v[6:7]
	v_fma_f64 v[4:5], -v[4:5], v[12:13], v[10:11]
	s_nop 1
	v_div_fmas_f64 v[4:5], v[4:5], v[6:7], v[12:13]
	v_div_fixup_f64 v[6:7], v[4:5], v[2:3], 1.0
	v_xor_b32_e32 v11, 0x80000000, v7
	v_mov_b32_e32 v10, v6
	v_mul_f64 v[8:9], v[8:9], -v[6:7]
.LBB111_17:
	s_or_b64 exec, exec, s[4:5]
	scratch_store_dwordx4 v15, v[6:9], off
	scratch_load_dwordx4 v[2:5], off, s63
	v_xor_b32_e32 v13, 0x80000000, v9
	v_mov_b32_e32 v12, v8
	v_add_u32_e32 v1, 0x300, v14
	ds_write_b128 v14, v[10:13]
	s_waitcnt vmcnt(0)
	ds_write_b128 v14, v[2:5] offset:768
	s_waitcnt lgkmcnt(0)
	; wave barrier
	s_and_saveexec_b64 s[4:5], s[0:1]
	s_cbranch_execz .LBB111_19
; %bb.18:
	scratch_load_dwordx4 v[2:5], v15, off
	ds_read_b128 v[6:9], v1
	v_mov_b32_e32 v0, 0
	ds_read_b128 v[10:13], v0 offset:16
	s_waitcnt vmcnt(0) lgkmcnt(1)
	v_mul_f64 v[16:17], v[8:9], v[4:5]
	v_mul_f64 v[4:5], v[6:7], v[4:5]
	v_fma_f64 v[6:7], v[6:7], v[2:3], -v[16:17]
	v_fmac_f64_e32 v[4:5], v[8:9], v[2:3]
	v_add_f64 v[2:3], v[6:7], 0
	v_add_f64 v[6:7], v[4:5], 0
	s_waitcnt lgkmcnt(0)
	v_mul_f64 v[8:9], v[6:7], v[12:13]
	v_mul_f64 v[4:5], v[2:3], v[12:13]
	v_fma_f64 v[2:3], v[2:3], v[10:11], -v[8:9]
	v_fmac_f64_e32 v[4:5], v[6:7], v[10:11]
	scratch_store_dwordx4 off, v[2:5], off offset:32
.LBB111_19:
	s_or_b64 exec, exec, s[4:5]
	; wave barrier
	scratch_load_dwordx4 v[2:5], off, s62
	v_cmp_gt_u32_e32 vcc, 2, v240
	s_waitcnt vmcnt(0)
	ds_write_b128 v1, v[2:5]
	s_waitcnt lgkmcnt(0)
	; wave barrier
	s_and_saveexec_b64 s[4:5], vcc
	s_cbranch_execz .LBB111_23
; %bb.20:
	scratch_load_dwordx4 v[2:5], v15, off
	ds_read_b128 v[6:9], v1
	s_waitcnt vmcnt(0) lgkmcnt(0)
	v_mul_f64 v[10:11], v[8:9], v[4:5]
	v_mul_f64 v[12:13], v[6:7], v[4:5]
	v_fma_f64 v[4:5], v[6:7], v[2:3], -v[10:11]
	v_fmac_f64_e32 v[12:13], v[8:9], v[2:3]
	v_add_f64 v[4:5], v[4:5], 0
	v_add_f64 v[2:3], v[12:13], 0
	s_and_saveexec_b64 s[12:13], s[0:1]
	s_cbranch_execz .LBB111_22
; %bb.21:
	scratch_load_dwordx4 v[6:9], off, off offset:32
	v_mov_b32_e32 v0, 0
	ds_read_b128 v[10:13], v0 offset:784
	s_waitcnt vmcnt(0) lgkmcnt(0)
	v_mul_f64 v[16:17], v[10:11], v[8:9]
	v_mul_f64 v[8:9], v[12:13], v[8:9]
	v_fmac_f64_e32 v[16:17], v[12:13], v[6:7]
	v_fma_f64 v[6:7], v[10:11], v[6:7], -v[8:9]
	v_add_f64 v[2:3], v[2:3], v[16:17]
	v_add_f64 v[4:5], v[4:5], v[6:7]
.LBB111_22:
	s_or_b64 exec, exec, s[12:13]
	v_mov_b32_e32 v0, 0
	ds_read_b128 v[6:9], v0 offset:32
	s_waitcnt lgkmcnt(0)
	v_mul_f64 v[12:13], v[2:3], v[8:9]
	v_mul_f64 v[10:11], v[4:5], v[8:9]
	v_fma_f64 v[8:9], v[4:5], v[6:7], -v[12:13]
	v_fmac_f64_e32 v[10:11], v[2:3], v[6:7]
	scratch_store_dwordx4 off, v[8:11], off offset:48
.LBB111_23:
	s_or_b64 exec, exec, s[4:5]
	; wave barrier
	scratch_load_dwordx4 v[2:5], off, s61
	v_cmp_gt_u32_e32 vcc, 3, v240
	v_add_u32_e32 v6, -1, v240
	s_waitcnt vmcnt(0)
	ds_write_b128 v1, v[2:5]
	s_waitcnt lgkmcnt(0)
	; wave barrier
	s_and_saveexec_b64 s[0:1], vcc
	s_cbranch_execz .LBB111_27
; %bb.24:
	v_add_u32_e32 v7, -1, v240
	v_add_u32_e32 v8, 0x300, v14
	v_add_u32_e32 v9, 16, v14
	v_mov_b64_e32 v[2:3], 0
	s_mov_b64 s[4:5], 0
	v_mov_b64_e32 v[4:5], 0
.LBB111_25:                             ; =>This Inner Loop Header: Depth=1
	scratch_load_dwordx4 v[10:13], v9, off
	ds_read_b128 v[16:19], v8
	v_add_u32_e32 v7, 1, v7
	v_cmp_lt_u32_e32 vcc, 1, v7
	v_add_u32_e32 v8, 16, v8
	v_add_u32_e32 v9, 16, v9
	s_or_b64 s[4:5], vcc, s[4:5]
	s_waitcnt vmcnt(0) lgkmcnt(0)
	v_mul_f64 v[20:21], v[18:19], v[12:13]
	v_mul_f64 v[12:13], v[16:17], v[12:13]
	v_fma_f64 v[16:17], v[16:17], v[10:11], -v[20:21]
	v_fmac_f64_e32 v[12:13], v[18:19], v[10:11]
	v_add_f64 v[4:5], v[4:5], v[16:17]
	v_add_f64 v[2:3], v[2:3], v[12:13]
	s_andn2_b64 exec, exec, s[4:5]
	s_cbranch_execnz .LBB111_25
; %bb.26:
	s_or_b64 exec, exec, s[4:5]
	v_mov_b32_e32 v0, 0
	ds_read_b128 v[8:11], v0 offset:48
	s_waitcnt lgkmcnt(0)
	v_mul_f64 v[16:17], v[2:3], v[10:11]
	v_mul_f64 v[12:13], v[4:5], v[10:11]
	v_fma_f64 v[10:11], v[4:5], v[8:9], -v[16:17]
	v_fmac_f64_e32 v[12:13], v[2:3], v[8:9]
	scratch_store_dwordx4 off, v[10:13], off offset:64
.LBB111_27:
	s_or_b64 exec, exec, s[0:1]
	; wave barrier
	scratch_load_dwordx4 v[2:5], off, s60
	v_cmp_gt_u32_e32 vcc, 4, v240
	s_waitcnt vmcnt(0)
	ds_write_b128 v1, v[2:5]
	s_waitcnt lgkmcnt(0)
	; wave barrier
	s_and_saveexec_b64 s[0:1], vcc
	s_cbranch_execz .LBB111_31
; %bb.28:
	v_add_u32_e32 v7, -1, v240
	v_add_u32_e32 v8, 0x300, v14
	v_add_u32_e32 v9, 16, v14
	v_mov_b64_e32 v[2:3], 0
	s_mov_b64 s[4:5], 0
	v_mov_b64_e32 v[4:5], 0
.LBB111_29:                             ; =>This Inner Loop Header: Depth=1
	scratch_load_dwordx4 v[10:13], v9, off
	ds_read_b128 v[16:19], v8
	v_add_u32_e32 v7, 1, v7
	v_cmp_lt_u32_e32 vcc, 2, v7
	v_add_u32_e32 v8, 16, v8
	v_add_u32_e32 v9, 16, v9
	s_or_b64 s[4:5], vcc, s[4:5]
	s_waitcnt vmcnt(0) lgkmcnt(0)
	v_mul_f64 v[20:21], v[18:19], v[12:13]
	v_mul_f64 v[12:13], v[16:17], v[12:13]
	v_fma_f64 v[16:17], v[16:17], v[10:11], -v[20:21]
	v_fmac_f64_e32 v[12:13], v[18:19], v[10:11]
	v_add_f64 v[4:5], v[4:5], v[16:17]
	v_add_f64 v[2:3], v[2:3], v[12:13]
	s_andn2_b64 exec, exec, s[4:5]
	s_cbranch_execnz .LBB111_29
; %bb.30:
	s_or_b64 exec, exec, s[4:5]
	v_mov_b32_e32 v0, 0
	ds_read_b128 v[8:11], v0 offset:64
	s_waitcnt lgkmcnt(0)
	v_mul_f64 v[16:17], v[2:3], v[10:11]
	v_mul_f64 v[12:13], v[4:5], v[10:11]
	v_fma_f64 v[10:11], v[4:5], v[8:9], -v[16:17]
	v_fmac_f64_e32 v[12:13], v[2:3], v[8:9]
	scratch_store_dwordx4 off, v[10:13], off offset:80
.LBB111_31:
	s_or_b64 exec, exec, s[0:1]
	; wave barrier
	scratch_load_dwordx4 v[2:5], off, s59
	v_cmp_gt_u32_e32 vcc, 5, v240
	;; [unrolled: 45-line block ×19, first 2 shown]
	s_waitcnt vmcnt(0)
	ds_write_b128 v1, v[2:5]
	s_waitcnt lgkmcnt(0)
	; wave barrier
	s_and_saveexec_b64 s[0:1], vcc
	s_cbranch_execz .LBB111_103
; %bb.100:
	v_add_u32_e32 v7, -1, v240
	v_add_u32_e32 v8, 0x300, v14
	v_add_u32_e32 v9, 16, v14
	v_mov_b64_e32 v[2:3], 0
	s_mov_b64 s[4:5], 0
	v_mov_b64_e32 v[4:5], 0
.LBB111_101:                            ; =>This Inner Loop Header: Depth=1
	scratch_load_dwordx4 v[10:13], v9, off
	ds_read_b128 v[16:19], v8
	v_add_u32_e32 v7, 1, v7
	v_cmp_lt_u32_e32 vcc, 20, v7
	v_add_u32_e32 v8, 16, v8
	v_add_u32_e32 v9, 16, v9
	s_or_b64 s[4:5], vcc, s[4:5]
	s_waitcnt vmcnt(0) lgkmcnt(0)
	v_mul_f64 v[20:21], v[18:19], v[12:13]
	v_mul_f64 v[12:13], v[16:17], v[12:13]
	v_fma_f64 v[16:17], v[16:17], v[10:11], -v[20:21]
	v_fmac_f64_e32 v[12:13], v[18:19], v[10:11]
	v_add_f64 v[4:5], v[4:5], v[16:17]
	v_add_f64 v[2:3], v[2:3], v[12:13]
	s_andn2_b64 exec, exec, s[4:5]
	s_cbranch_execnz .LBB111_101
; %bb.102:
	s_or_b64 exec, exec, s[4:5]
	v_mov_b32_e32 v0, 0
	ds_read_b128 v[8:11], v0 offset:352
	s_waitcnt lgkmcnt(0)
	v_mul_f64 v[16:17], v[2:3], v[10:11]
	v_mul_f64 v[12:13], v[4:5], v[10:11]
	v_fma_f64 v[10:11], v[4:5], v[8:9], -v[16:17]
	v_fmac_f64_e32 v[12:13], v[2:3], v[8:9]
	scratch_store_dwordx4 off, v[10:13], off offset:368
.LBB111_103:
	s_or_b64 exec, exec, s[0:1]
	; wave barrier
	scratch_load_dwordx4 v[2:5], off, s41
	v_cmp_gt_u32_e32 vcc, 23, v240
	s_waitcnt vmcnt(0)
	ds_write_b128 v1, v[2:5]
	s_waitcnt lgkmcnt(0)
	; wave barrier
	s_and_saveexec_b64 s[0:1], vcc
	s_cbranch_execz .LBB111_107
; %bb.104:
	v_add_u32_e32 v7, -1, v240
	v_add_u32_e32 v8, 0x300, v14
	v_add_u32_e32 v9, 16, v14
	v_mov_b64_e32 v[2:3], 0
	s_mov_b64 s[4:5], 0
	v_mov_b64_e32 v[4:5], 0
.LBB111_105:                            ; =>This Inner Loop Header: Depth=1
	scratch_load_dwordx4 v[10:13], v9, off
	ds_read_b128 v[16:19], v8
	v_add_u32_e32 v7, 1, v7
	v_cmp_lt_u32_e32 vcc, 21, v7
	v_add_u32_e32 v8, 16, v8
	v_add_u32_e32 v9, 16, v9
	s_or_b64 s[4:5], vcc, s[4:5]
	s_waitcnt vmcnt(0) lgkmcnt(0)
	v_mul_f64 v[20:21], v[18:19], v[12:13]
	v_mul_f64 v[12:13], v[16:17], v[12:13]
	v_fma_f64 v[16:17], v[16:17], v[10:11], -v[20:21]
	v_fmac_f64_e32 v[12:13], v[18:19], v[10:11]
	v_add_f64 v[4:5], v[4:5], v[16:17]
	v_add_f64 v[2:3], v[2:3], v[12:13]
	s_andn2_b64 exec, exec, s[4:5]
	s_cbranch_execnz .LBB111_105
; %bb.106:
	s_or_b64 exec, exec, s[4:5]
	v_mov_b32_e32 v0, 0
	ds_read_b128 v[8:11], v0 offset:368
	s_waitcnt lgkmcnt(0)
	v_mul_f64 v[16:17], v[2:3], v[10:11]
	v_mul_f64 v[12:13], v[4:5], v[10:11]
	v_fma_f64 v[10:11], v[4:5], v[8:9], -v[16:17]
	v_fmac_f64_e32 v[12:13], v[2:3], v[8:9]
	scratch_store_dwordx4 off, v[10:13], off offset:384
.LBB111_107:
	s_or_b64 exec, exec, s[0:1]
	; wave barrier
	scratch_load_dwordx4 v[2:5], off, s40
	v_cmp_gt_u32_e32 vcc, 24, v240
	;; [unrolled: 45-line block ×24, first 2 shown]
	s_waitcnt vmcnt(0)
	ds_write_b128 v1, v[2:5]
	s_waitcnt lgkmcnt(0)
	; wave barrier
	s_and_saveexec_b64 s[0:1], vcc
	s_cbranch_execz .LBB111_199
; %bb.196:
	v_add_u32_e32 v7, -1, v240
	v_add_u32_e32 v8, 0x300, v14
	v_add_u32_e32 v9, 16, v14
	v_mov_b64_e32 v[2:3], 0
	s_mov_b64 s[4:5], 0
	v_mov_b64_e32 v[4:5], 0
.LBB111_197:                            ; =>This Inner Loop Header: Depth=1
	scratch_load_dwordx4 v[10:13], v9, off
	ds_read_b128 v[16:19], v8
	v_add_u32_e32 v7, 1, v7
	v_cmp_lt_u32_e32 vcc, 44, v7
	v_add_u32_e32 v8, 16, v8
	v_add_u32_e32 v9, 16, v9
	s_or_b64 s[4:5], vcc, s[4:5]
	s_waitcnt vmcnt(0) lgkmcnt(0)
	v_mul_f64 v[20:21], v[18:19], v[12:13]
	v_mul_f64 v[12:13], v[16:17], v[12:13]
	v_fma_f64 v[16:17], v[16:17], v[10:11], -v[20:21]
	v_fmac_f64_e32 v[12:13], v[18:19], v[10:11]
	v_add_f64 v[4:5], v[4:5], v[16:17]
	v_add_f64 v[2:3], v[2:3], v[12:13]
	s_andn2_b64 exec, exec, s[4:5]
	s_cbranch_execnz .LBB111_197
; %bb.198:
	s_or_b64 exec, exec, s[4:5]
	v_mov_b32_e32 v0, 0
	ds_read_b128 v[8:11], v0 offset:736
	s_waitcnt lgkmcnt(0)
	v_mul_f64 v[16:17], v[2:3], v[10:11]
	v_mul_f64 v[12:13], v[4:5], v[10:11]
	v_fma_f64 v[10:11], v[4:5], v[8:9], -v[16:17]
	v_fmac_f64_e32 v[12:13], v[2:3], v[8:9]
	scratch_store_dwordx4 off, v[10:13], off offset:752
.LBB111_199:
	s_or_b64 exec, exec, s[0:1]
	; wave barrier
	scratch_load_dwordx4 v[2:5], off, s16
	v_cmp_ne_u32_e32 vcc, 47, v240
	s_waitcnt vmcnt(0)
	ds_write_b128 v1, v[2:5]
	s_waitcnt lgkmcnt(0)
	; wave barrier
	s_and_saveexec_b64 s[0:1], vcc
	s_cbranch_execz .LBB111_203
; %bb.200:
	v_add_u32_e32 v1, 0x300, v14
	v_add_u32_e32 v7, 16, v14
	v_mov_b64_e32 v[2:3], 0
	s_mov_b64 s[4:5], 0
	v_mov_b64_e32 v[4:5], 0
.LBB111_201:                            ; =>This Inner Loop Header: Depth=1
	scratch_load_dwordx4 v[8:11], v7, off
	ds_read_b128 v[12:15], v1
	v_add_u32_e32 v6, 1, v6
	v_cmp_lt_u32_e32 vcc, 45, v6
	v_add_u32_e32 v1, 16, v1
	v_add_u32_e32 v7, 16, v7
	s_or_b64 s[4:5], vcc, s[4:5]
	s_waitcnt vmcnt(0) lgkmcnt(0)
	v_mul_f64 v[16:17], v[14:15], v[10:11]
	v_mul_f64 v[10:11], v[12:13], v[10:11]
	v_fma_f64 v[12:13], v[12:13], v[8:9], -v[16:17]
	v_fmac_f64_e32 v[10:11], v[14:15], v[8:9]
	v_add_f64 v[4:5], v[4:5], v[12:13]
	v_add_f64 v[2:3], v[2:3], v[10:11]
	s_andn2_b64 exec, exec, s[4:5]
	s_cbranch_execnz .LBB111_201
; %bb.202:
	s_or_b64 exec, exec, s[4:5]
	v_mov_b32_e32 v0, 0
	ds_read_b128 v[6:9], v0 offset:752
	s_waitcnt lgkmcnt(0)
	v_mul_f64 v[12:13], v[2:3], v[8:9]
	v_mul_f64 v[10:11], v[4:5], v[8:9]
	v_fma_f64 v[8:9], v[4:5], v[6:7], -v[12:13]
	v_fmac_f64_e32 v[10:11], v[2:3], v[6:7]
	scratch_store_dwordx4 off, v[8:11], off offset:768
.LBB111_203:
	s_or_b64 exec, exec, s[0:1]
	s_mov_b64 s[4:5], -1
	; wave barrier
.LBB111_204:
	s_and_b64 vcc, exec, s[4:5]
	s_cbranch_vccz .LBB111_206
; %bb.205:
	s_lshl_b64 s[0:1], s[2:3], 2
	s_add_u32 s0, s6, s0
	s_addc_u32 s1, s7, s1
	v_mov_b32_e32 v0, 0
	global_load_dword v0, v0, s[0:1]
	s_waitcnt vmcnt(0)
	v_cmp_ne_u32_e32 vcc, 0, v0
	s_cbranch_vccz .LBB111_207
.LBB111_206:
	s_endpgm
.LBB111_207:
	v_mov_b32_e32 v0, 0x300
	v_lshl_add_u32 v0, v240, 4, v0
	v_accvgpr_write_b32 a97, v0
	v_cmp_eq_u32_e32 vcc, 47, v240
	s_and_saveexec_b64 s[0:1], vcc
	s_cbranch_execz .LBB111_209
; %bb.208:
	scratch_load_dwordx4 v[2:5], off, s17
	v_mov_b32_e32 v6, 0
	v_mov_b32_e32 v7, v6
	;; [unrolled: 1-line block ×4, first 2 shown]
	v_accvgpr_read_b32 v0, a97
	scratch_store_dwordx4 off, v[6:9], off offset:752
	s_waitcnt vmcnt(1)
	ds_write_b128 v0, v[2:5]
.LBB111_209:
	s_or_b64 exec, exec, s[0:1]
	s_waitcnt lgkmcnt(0)
	; wave barrier
	scratch_load_dwordx4 v[4:7], off, off offset:768
	scratch_load_dwordx4 v[8:11], off, off offset:752
	v_mov_b32_e32 v2, 0
	ds_read_b128 v[12:15], v2 offset:1520
	v_cmp_lt_u32_e32 vcc, 45, v240
	s_waitcnt vmcnt(1) lgkmcnt(0)
	v_mul_f64 v[16:17], v[12:13], v[6:7]
	v_mul_f64 v[6:7], v[14:15], v[6:7]
	v_fmac_f64_e32 v[16:17], v[14:15], v[4:5]
	v_fma_f64 v[4:5], v[12:13], v[4:5], -v[6:7]
	v_add_f64 v[6:7], v[16:17], 0
	v_add_f64 v[4:5], v[4:5], 0
	s_waitcnt vmcnt(0)
	v_add_f64 v[4:5], v[8:9], -v[4:5]
	v_add_f64 v[6:7], v[10:11], -v[6:7]
	scratch_store_dwordx4 off, v[4:7], off offset:752
	s_and_saveexec_b64 s[0:1], vcc
	s_cbranch_execz .LBB111_211
; %bb.210:
	scratch_load_dwordx4 v[6:9], off, s18
	v_mov_b32_e32 v3, v2
	v_mov_b32_e32 v4, v2
	;; [unrolled: 1-line block ×3, first 2 shown]
	v_accvgpr_read_b32 v0, a97
	scratch_store_dwordx4 off, v[2:5], off offset:736
	s_waitcnt vmcnt(1)
	ds_write_b128 v0, v[6:9]
.LBB111_211:
	s_or_b64 exec, exec, s[0:1]
	s_waitcnt lgkmcnt(0)
	; wave barrier
	scratch_load_dwordx4 v[4:7], off, off offset:752
	scratch_load_dwordx4 v[8:11], off, off offset:768
	;; [unrolled: 1-line block ×3, first 2 shown]
	ds_read_b128 v[16:19], v2 offset:1504
	ds_read_b128 v[20:23], v2 offset:1520
	v_cmp_lt_u32_e32 vcc, 44, v240
	s_waitcnt vmcnt(2) lgkmcnt(1)
	v_mul_f64 v[2:3], v[16:17], v[6:7]
	v_mul_f64 v[6:7], v[18:19], v[6:7]
	s_waitcnt vmcnt(1) lgkmcnt(0)
	v_mul_f64 v[24:25], v[20:21], v[10:11]
	v_mul_f64 v[10:11], v[22:23], v[10:11]
	v_fmac_f64_e32 v[2:3], v[18:19], v[4:5]
	v_fma_f64 v[4:5], v[16:17], v[4:5], -v[6:7]
	v_fmac_f64_e32 v[24:25], v[22:23], v[8:9]
	v_fma_f64 v[6:7], v[20:21], v[8:9], -v[10:11]
	v_add_f64 v[2:3], v[2:3], 0
	v_add_f64 v[4:5], v[4:5], 0
	;; [unrolled: 1-line block ×4, first 2 shown]
	s_waitcnt vmcnt(0)
	v_add_f64 v[2:3], v[12:13], -v[2:3]
	v_add_f64 v[4:5], v[14:15], -v[8:9]
	scratch_store_dwordx4 off, v[2:5], off offset:736
	s_and_saveexec_b64 s[0:1], vcc
	s_cbranch_execz .LBB111_213
; %bb.212:
	scratch_load_dwordx4 v[2:5], off, s19
	v_mov_b32_e32 v6, 0
	v_mov_b32_e32 v7, v6
	;; [unrolled: 1-line block ×4, first 2 shown]
	v_accvgpr_read_b32 v0, a97
	scratch_store_dwordx4 off, v[6:9], off offset:720
	s_waitcnt vmcnt(1)
	ds_write_b128 v0, v[2:5]
.LBB111_213:
	s_or_b64 exec, exec, s[0:1]
	s_waitcnt lgkmcnt(0)
	; wave barrier
	scratch_load_dwordx4 v[4:7], off, off offset:736
	scratch_load_dwordx4 v[8:11], off, off offset:752
	;; [unrolled: 1-line block ×4, first 2 shown]
	v_mov_b32_e32 v2, 0
	ds_read_b128 v[20:23], v2 offset:1488
	ds_read_b128 v[24:27], v2 offset:1504
	ds_read_b128 v[28:31], v2 offset:1520
	v_cmp_lt_u32_e32 vcc, 43, v240
	s_waitcnt vmcnt(3) lgkmcnt(2)
	v_mul_f64 v[32:33], v[20:21], v[6:7]
	v_mul_f64 v[6:7], v[22:23], v[6:7]
	s_waitcnt vmcnt(2) lgkmcnt(1)
	v_mul_f64 v[34:35], v[24:25], v[10:11]
	v_mul_f64 v[10:11], v[26:27], v[10:11]
	v_fmac_f64_e32 v[32:33], v[22:23], v[4:5]
	v_fma_f64 v[4:5], v[20:21], v[4:5], -v[6:7]
	s_waitcnt vmcnt(1) lgkmcnt(0)
	v_mul_f64 v[36:37], v[28:29], v[14:15]
	v_mul_f64 v[14:15], v[30:31], v[14:15]
	v_fmac_f64_e32 v[34:35], v[26:27], v[8:9]
	v_fma_f64 v[6:7], v[24:25], v[8:9], -v[10:11]
	v_add_f64 v[10:11], v[32:33], 0
	v_add_f64 v[4:5], v[4:5], 0
	v_fmac_f64_e32 v[36:37], v[30:31], v[12:13]
	v_fma_f64 v[8:9], v[28:29], v[12:13], -v[14:15]
	v_add_f64 v[10:11], v[10:11], v[34:35]
	v_add_f64 v[4:5], v[4:5], v[6:7]
	;; [unrolled: 1-line block ×4, first 2 shown]
	s_waitcnt vmcnt(0)
	v_add_f64 v[4:5], v[16:17], -v[4:5]
	v_add_f64 v[6:7], v[18:19], -v[6:7]
	scratch_store_dwordx4 off, v[4:7], off offset:720
	s_and_saveexec_b64 s[0:1], vcc
	s_cbranch_execz .LBB111_215
; %bb.214:
	scratch_load_dwordx4 v[6:9], off, s20
	v_mov_b32_e32 v3, v2
	v_mov_b32_e32 v4, v2
	v_mov_b32_e32 v5, v2
	v_accvgpr_read_b32 v0, a97
	scratch_store_dwordx4 off, v[2:5], off offset:704
	s_waitcnt vmcnt(1)
	ds_write_b128 v0, v[6:9]
.LBB111_215:
	s_or_b64 exec, exec, s[0:1]
	s_waitcnt lgkmcnt(0)
	; wave barrier
	scratch_load_dwordx4 v[4:7], off, off offset:720
	scratch_load_dwordx4 v[8:11], off, off offset:736
	;; [unrolled: 1-line block ×5, first 2 shown]
	ds_read_b128 v[24:27], v2 offset:1472
	ds_read_b128 v[28:31], v2 offset:1488
	;; [unrolled: 1-line block ×4, first 2 shown]
	v_cmp_lt_u32_e32 vcc, 42, v240
	s_waitcnt vmcnt(4) lgkmcnt(3)
	v_mul_f64 v[2:3], v[24:25], v[6:7]
	v_mul_f64 v[6:7], v[26:27], v[6:7]
	s_waitcnt vmcnt(3) lgkmcnt(2)
	v_mul_f64 v[40:41], v[28:29], v[10:11]
	v_mul_f64 v[10:11], v[30:31], v[10:11]
	v_fmac_f64_e32 v[2:3], v[26:27], v[4:5]
	v_fma_f64 v[4:5], v[24:25], v[4:5], -v[6:7]
	s_waitcnt vmcnt(2) lgkmcnt(1)
	v_mul_f64 v[42:43], v[32:33], v[14:15]
	v_mul_f64 v[14:15], v[34:35], v[14:15]
	v_fmac_f64_e32 v[40:41], v[30:31], v[8:9]
	v_fma_f64 v[6:7], v[28:29], v[8:9], -v[10:11]
	v_add_f64 v[2:3], v[2:3], 0
	v_add_f64 v[4:5], v[4:5], 0
	s_waitcnt vmcnt(1) lgkmcnt(0)
	v_mul_f64 v[44:45], v[36:37], v[18:19]
	v_mul_f64 v[18:19], v[38:39], v[18:19]
	v_fmac_f64_e32 v[42:43], v[34:35], v[12:13]
	v_fma_f64 v[8:9], v[32:33], v[12:13], -v[14:15]
	v_add_f64 v[2:3], v[2:3], v[40:41]
	v_add_f64 v[4:5], v[4:5], v[6:7]
	v_fmac_f64_e32 v[44:45], v[38:39], v[16:17]
	v_fma_f64 v[10:11], v[36:37], v[16:17], -v[18:19]
	v_add_f64 v[2:3], v[2:3], v[42:43]
	v_add_f64 v[4:5], v[4:5], v[8:9]
	;; [unrolled: 1-line block ×4, first 2 shown]
	s_waitcnt vmcnt(0)
	v_add_f64 v[2:3], v[20:21], -v[2:3]
	v_add_f64 v[4:5], v[22:23], -v[6:7]
	scratch_store_dwordx4 off, v[2:5], off offset:704
	s_and_saveexec_b64 s[0:1], vcc
	s_cbranch_execz .LBB111_217
; %bb.216:
	scratch_load_dwordx4 v[2:5], off, s21
	v_mov_b32_e32 v6, 0
	v_mov_b32_e32 v7, v6
	;; [unrolled: 1-line block ×4, first 2 shown]
	v_accvgpr_read_b32 v0, a97
	scratch_store_dwordx4 off, v[6:9], off offset:688
	s_waitcnt vmcnt(1)
	ds_write_b128 v0, v[2:5]
.LBB111_217:
	s_or_b64 exec, exec, s[0:1]
	s_waitcnt lgkmcnt(0)
	; wave barrier
	scratch_load_dwordx4 v[4:7], off, off offset:704
	scratch_load_dwordx4 v[8:11], off, off offset:720
	;; [unrolled: 1-line block ×6, first 2 shown]
	v_mov_b32_e32 v2, 0
	ds_read_b128 v[28:31], v2 offset:1456
	ds_read_b128 v[32:35], v2 offset:1472
	;; [unrolled: 1-line block ×5, first 2 shown]
	v_cmp_lt_u32_e32 vcc, 41, v240
	s_waitcnt vmcnt(5) lgkmcnt(4)
	v_mul_f64 v[48:49], v[28:29], v[6:7]
	v_mul_f64 v[6:7], v[30:31], v[6:7]
	s_waitcnt vmcnt(4) lgkmcnt(3)
	v_mul_f64 v[50:51], v[32:33], v[10:11]
	s_waitcnt vmcnt(3) lgkmcnt(2)
	v_mul_f64 v[52:53], v[36:37], v[14:15]
	v_mul_f64 v[10:11], v[34:35], v[10:11]
	;; [unrolled: 1-line block ×3, first 2 shown]
	v_fmac_f64_e32 v[48:49], v[30:31], v[4:5]
	v_fma_f64 v[4:5], v[28:29], v[4:5], -v[6:7]
	v_fmac_f64_e32 v[50:51], v[34:35], v[8:9]
	v_fma_f64 v[6:7], v[32:33], v[8:9], -v[10:11]
	v_fma_f64 v[8:9], v[36:37], v[12:13], -v[14:15]
	v_add_f64 v[14:15], v[48:49], 0
	v_add_f64 v[4:5], v[4:5], 0
	s_waitcnt vmcnt(2) lgkmcnt(1)
	v_mul_f64 v[54:55], v[40:41], v[18:19]
	v_mul_f64 v[18:19], v[42:43], v[18:19]
	v_fmac_f64_e32 v[52:53], v[38:39], v[12:13]
	v_add_f64 v[14:15], v[14:15], v[50:51]
	v_add_f64 v[4:5], v[4:5], v[6:7]
	s_waitcnt vmcnt(1) lgkmcnt(0)
	v_mul_f64 v[56:57], v[44:45], v[22:23]
	v_mul_f64 v[22:23], v[46:47], v[22:23]
	v_fmac_f64_e32 v[54:55], v[42:43], v[16:17]
	v_fma_f64 v[10:11], v[40:41], v[16:17], -v[18:19]
	v_add_f64 v[6:7], v[14:15], v[52:53]
	v_add_f64 v[4:5], v[4:5], v[8:9]
	v_fmac_f64_e32 v[56:57], v[46:47], v[20:21]
	v_fma_f64 v[12:13], v[44:45], v[20:21], -v[22:23]
	v_add_f64 v[6:7], v[6:7], v[54:55]
	v_add_f64 v[4:5], v[4:5], v[10:11]
	;; [unrolled: 1-line block ×4, first 2 shown]
	s_waitcnt vmcnt(0)
	v_add_f64 v[4:5], v[24:25], -v[4:5]
	v_add_f64 v[6:7], v[26:27], -v[6:7]
	scratch_store_dwordx4 off, v[4:7], off offset:688
	s_and_saveexec_b64 s[0:1], vcc
	s_cbranch_execz .LBB111_219
; %bb.218:
	scratch_load_dwordx4 v[6:9], off, s22
	v_mov_b32_e32 v3, v2
	v_mov_b32_e32 v4, v2
	;; [unrolled: 1-line block ×3, first 2 shown]
	v_accvgpr_read_b32 v0, a97
	scratch_store_dwordx4 off, v[2:5], off offset:672
	s_waitcnt vmcnt(1)
	ds_write_b128 v0, v[6:9]
.LBB111_219:
	s_or_b64 exec, exec, s[0:1]
	s_waitcnt lgkmcnt(0)
	; wave barrier
	scratch_load_dwordx4 v[4:7], off, off offset:688
	scratch_load_dwordx4 v[8:11], off, off offset:704
	;; [unrolled: 1-line block ×7, first 2 shown]
	ds_read_b128 v[32:35], v2 offset:1440
	ds_read_b128 v[36:39], v2 offset:1456
	;; [unrolled: 1-line block ×6, first 2 shown]
	v_cmp_lt_u32_e32 vcc, 40, v240
	s_waitcnt vmcnt(6) lgkmcnt(5)
	v_mul_f64 v[2:3], v[32:33], v[6:7]
	v_mul_f64 v[6:7], v[34:35], v[6:7]
	s_waitcnt vmcnt(5) lgkmcnt(4)
	v_mul_f64 v[56:57], v[36:37], v[10:11]
	v_mul_f64 v[10:11], v[38:39], v[10:11]
	v_fmac_f64_e32 v[2:3], v[34:35], v[4:5]
	v_fma_f64 v[4:5], v[32:33], v[4:5], -v[6:7]
	s_waitcnt vmcnt(4) lgkmcnt(3)
	v_mul_f64 v[58:59], v[40:41], v[14:15]
	v_mul_f64 v[14:15], v[42:43], v[14:15]
	v_fmac_f64_e32 v[56:57], v[38:39], v[8:9]
	v_fma_f64 v[6:7], v[36:37], v[8:9], -v[10:11]
	v_add_f64 v[2:3], v[2:3], 0
	v_add_f64 v[4:5], v[4:5], 0
	s_waitcnt vmcnt(3) lgkmcnt(2)
	v_mul_f64 v[60:61], v[44:45], v[18:19]
	v_mul_f64 v[18:19], v[46:47], v[18:19]
	v_fmac_f64_e32 v[58:59], v[42:43], v[12:13]
	v_fma_f64 v[8:9], v[40:41], v[12:13], -v[14:15]
	v_add_f64 v[2:3], v[2:3], v[56:57]
	v_add_f64 v[4:5], v[4:5], v[6:7]
	;; [unrolled: 7-line block ×4, first 2 shown]
	v_fmac_f64_e32 v[64:65], v[54:55], v[24:25]
	v_fma_f64 v[14:15], v[52:53], v[24:25], -v[26:27]
	v_add_f64 v[2:3], v[2:3], v[62:63]
	v_add_f64 v[4:5], v[4:5], v[12:13]
	;; [unrolled: 1-line block ×4, first 2 shown]
	s_waitcnt vmcnt(0)
	v_add_f64 v[2:3], v[28:29], -v[2:3]
	v_add_f64 v[4:5], v[30:31], -v[6:7]
	scratch_store_dwordx4 off, v[2:5], off offset:672
	s_and_saveexec_b64 s[0:1], vcc
	s_cbranch_execz .LBB111_221
; %bb.220:
	scratch_load_dwordx4 v[2:5], off, s23
	v_mov_b32_e32 v6, 0
	v_mov_b32_e32 v7, v6
	;; [unrolled: 1-line block ×4, first 2 shown]
	v_accvgpr_read_b32 v0, a97
	scratch_store_dwordx4 off, v[6:9], off offset:656
	s_waitcnt vmcnt(1)
	ds_write_b128 v0, v[2:5]
.LBB111_221:
	s_or_b64 exec, exec, s[0:1]
	v_mov_b32_e32 v2, 0
	s_waitcnt lgkmcnt(0)
	; wave barrier
	ds_read_b128 v[4:7], v2 offset:1424
	ds_read_b128 v[8:11], v2 offset:1440
	;; [unrolled: 1-line block ×4, first 2 shown]
	scratch_load_dwordx4 v[20:23], off, off offset:672
	scratch_load_dwordx4 v[40:43], off, off offset:736
	v_cmp_lt_u32_e32 vcc, 39, v240
	scratch_load_dwordx4 v[48:51], off, off offset:752
	scratch_load_dwordx4 v[56:59], off, off offset:768
	s_waitcnt vmcnt(3) lgkmcnt(3)
	v_mul_f64 v[24:25], v[4:5], v[22:23]
	v_fmac_f64_e32 v[24:25], v[6:7], v[20:21]
	v_add_f64 v[28:29], v[24:25], 0
	scratch_load_dwordx4 v[24:27], off, off offset:688
	v_mul_f64 v[6:7], v[6:7], v[22:23]
	v_fma_f64 v[4:5], v[4:5], v[20:21], -v[6:7]
	v_add_f64 v[4:5], v[4:5], 0
	s_waitcnt vmcnt(0) lgkmcnt(2)
	v_mul_f64 v[30:31], v[8:9], v[26:27]
	v_fmac_f64_e32 v[30:31], v[10:11], v[24:25]
	v_add_f64 v[32:33], v[28:29], v[30:31]
	scratch_load_dwordx4 v[28:31], off, off offset:704
	v_mul_f64 v[6:7], v[10:11], v[26:27]
	v_fma_f64 v[6:7], v[8:9], v[24:25], -v[6:7]
	v_add_f64 v[4:5], v[4:5], v[6:7]
	;; [unrolled: 8-line block ×3, first 2 shown]
	s_waitcnt vmcnt(0) lgkmcnt(0)
	v_mul_f64 v[38:39], v[16:17], v[34:35]
	v_fmac_f64_e32 v[38:39], v[18:19], v[32:33]
	v_add_f64 v[44:45], v[36:37], v[38:39]
	ds_read_b128 v[36:39], v2 offset:1488
	v_mul_f64 v[6:7], v[18:19], v[34:35]
	v_fma_f64 v[6:7], v[16:17], v[32:33], -v[6:7]
	v_add_f64 v[4:5], v[4:5], v[6:7]
	s_waitcnt lgkmcnt(0)
	v_mul_f64 v[46:47], v[36:37], v[42:43]
	v_fmac_f64_e32 v[46:47], v[38:39], v[40:41]
	v_add_f64 v[52:53], v[44:45], v[46:47]
	ds_read_b128 v[44:47], v2 offset:1504
	v_mul_f64 v[6:7], v[38:39], v[42:43]
	v_fma_f64 v[6:7], v[36:37], v[40:41], -v[6:7]
	v_add_f64 v[4:5], v[4:5], v[6:7]
	s_waitcnt lgkmcnt(0)
	;; [unrolled: 8-line block ×3, first 2 shown]
	v_mul_f64 v[6:7], v[54:55], v[58:59]
	v_fma_f64 v[6:7], v[52:53], v[56:57], -v[6:7]
	v_add_f64 v[8:9], v[4:5], v[6:7]
	scratch_load_dwordx4 v[4:7], off, off offset:656
	v_mul_f64 v[62:63], v[52:53], v[58:59]
	v_fmac_f64_e32 v[62:63], v[54:55], v[56:57]
	v_add_f64 v[60:61], v[60:61], v[62:63]
	s_waitcnt vmcnt(0)
	v_add_f64 v[4:5], v[4:5], -v[8:9]
	v_add_f64 v[6:7], v[6:7], -v[60:61]
	scratch_store_dwordx4 off, v[4:7], off offset:656
	s_and_saveexec_b64 s[0:1], vcc
	s_cbranch_execz .LBB111_223
; %bb.222:
	scratch_load_dwordx4 v[6:9], off, s24
	v_mov_b32_e32 v3, v2
	v_mov_b32_e32 v4, v2
	v_mov_b32_e32 v5, v2
	v_accvgpr_read_b32 v0, a97
	scratch_store_dwordx4 off, v[2:5], off offset:640
	s_waitcnt vmcnt(1)
	ds_write_b128 v0, v[6:9]
.LBB111_223:
	s_or_b64 exec, exec, s[0:1]
	s_waitcnt lgkmcnt(0)
	; wave barrier
	ds_read_b128 v[4:7], v2 offset:1408
	ds_read_b128 v[8:11], v2 offset:1424
	ds_read_b128 v[12:15], v2 offset:1440
	ds_read_b128 v[16:19], v2 offset:1456
	scratch_load_dwordx4 v[20:23], off, off offset:656
	scratch_load_dwordx4 v[40:43], off, off offset:720
	v_cmp_lt_u32_e32 vcc, 38, v240
	scratch_load_dwordx4 v[48:51], off, off offset:736
	scratch_load_dwordx4 v[56:59], off, off offset:752
	scratch_load_dwordx4 v[64:67], off, off offset:768
	s_waitcnt vmcnt(4) lgkmcnt(3)
	v_mul_f64 v[24:25], v[4:5], v[22:23]
	v_fmac_f64_e32 v[24:25], v[6:7], v[20:21]
	v_add_f64 v[28:29], v[24:25], 0
	scratch_load_dwordx4 v[24:27], off, off offset:672
	s_waitcnt vmcnt(0) lgkmcnt(2)
	v_mul_f64 v[30:31], v[8:9], v[26:27]
	v_fmac_f64_e32 v[30:31], v[10:11], v[24:25]
	v_add_f64 v[32:33], v[28:29], v[30:31]
	scratch_load_dwordx4 v[28:31], off, off offset:688
	;; [unrolled: 5-line block ×3, first 2 shown]
	s_waitcnt vmcnt(0) lgkmcnt(0)
	v_mul_f64 v[38:39], v[16:17], v[34:35]
	v_fmac_f64_e32 v[38:39], v[18:19], v[32:33]
	v_add_f64 v[44:45], v[36:37], v[38:39]
	ds_read_b128 v[36:39], v2 offset:1472
	s_waitcnt lgkmcnt(0)
	v_mul_f64 v[46:47], v[36:37], v[42:43]
	v_fmac_f64_e32 v[46:47], v[38:39], v[40:41]
	v_add_f64 v[52:53], v[44:45], v[46:47]
	ds_read_b128 v[44:47], v2 offset:1488
	s_waitcnt lgkmcnt(0)
	;; [unrolled: 5-line block ×4, first 2 shown]
	v_mul_f64 v[2:3], v[60:61], v[66:67]
	v_fmac_f64_e32 v[2:3], v[62:63], v[64:65]
	v_add_f64 v[68:69], v[68:69], v[2:3]
	v_mul_f64 v[2:3], v[6:7], v[22:23]
	v_fma_f64 v[2:3], v[4:5], v[20:21], -v[2:3]
	v_mul_f64 v[4:5], v[10:11], v[26:27]
	v_add_f64 v[2:3], v[2:3], 0
	v_fma_f64 v[4:5], v[8:9], v[24:25], -v[4:5]
	v_add_f64 v[2:3], v[2:3], v[4:5]
	v_mul_f64 v[4:5], v[14:15], v[30:31]
	v_fma_f64 v[4:5], v[12:13], v[28:29], -v[4:5]
	v_add_f64 v[2:3], v[2:3], v[4:5]
	v_mul_f64 v[4:5], v[18:19], v[34:35]
	;; [unrolled: 3-line block ×6, first 2 shown]
	v_fma_f64 v[4:5], v[60:61], v[64:65], -v[4:5]
	v_add_f64 v[6:7], v[2:3], v[4:5]
	scratch_load_dwordx4 v[2:5], off, off offset:640
	s_waitcnt vmcnt(0)
	v_add_f64 v[2:3], v[2:3], -v[6:7]
	v_add_f64 v[4:5], v[4:5], -v[68:69]
	scratch_store_dwordx4 off, v[2:5], off offset:640
	s_and_saveexec_b64 s[0:1], vcc
	s_cbranch_execz .LBB111_225
; %bb.224:
	scratch_load_dwordx4 v[2:5], off, s25
	v_mov_b32_e32 v6, 0
	v_mov_b32_e32 v7, v6
	;; [unrolled: 1-line block ×4, first 2 shown]
	v_accvgpr_read_b32 v0, a97
	scratch_store_dwordx4 off, v[6:9], off offset:624
	s_waitcnt vmcnt(1)
	ds_write_b128 v0, v[2:5]
.LBB111_225:
	s_or_b64 exec, exec, s[0:1]
	s_waitcnt lgkmcnt(0)
	; wave barrier
	scratch_load_dwordx4 v[4:7], off, off offset:640
	scratch_load_dwordx4 v[8:11], off, off offset:656
	;; [unrolled: 1-line block ×10, first 2 shown]
	v_mov_b32_e32 v2, 0
	ds_read_b128 v[44:47], v2 offset:1392
	ds_read_b128 v[48:51], v2 offset:1408
	;; [unrolled: 1-line block ×9, first 2 shown]
	v_cmp_lt_u32_e32 vcc, 37, v240
	s_waitcnt vmcnt(9) lgkmcnt(8)
	v_mul_f64 v[80:81], v[44:45], v[6:7]
	v_mul_f64 v[6:7], v[46:47], v[6:7]
	s_waitcnt vmcnt(8) lgkmcnt(7)
	v_mul_f64 v[82:83], v[48:49], v[10:11]
	s_waitcnt vmcnt(7) lgkmcnt(6)
	;; [unrolled: 2-line block ×3, first 2 shown]
	v_mul_f64 v[88:89], v[60:61], v[22:23]
	v_mul_f64 v[10:11], v[50:51], v[10:11]
	;; [unrolled: 1-line block ×4, first 2 shown]
	v_fmac_f64_e32 v[80:81], v[46:47], v[4:5]
	v_fma_f64 v[4:5], v[44:45], v[4:5], -v[6:7]
	v_fmac_f64_e32 v[82:83], v[50:51], v[8:9]
	v_fmac_f64_e32 v[84:85], v[54:55], v[12:13]
	v_fma_f64 v[6:7], v[48:49], v[8:9], -v[10:11]
	v_fma_f64 v[8:9], v[52:53], v[12:13], -v[14:15]
	;; [unrolled: 1-line block ×3, first 2 shown]
	v_add_f64 v[22:23], v[80:81], 0
	v_add_f64 v[4:5], v[4:5], 0
	v_mul_f64 v[86:87], v[56:57], v[18:19]
	v_mul_f64 v[18:19], v[58:59], v[18:19]
	v_add_f64 v[22:23], v[22:23], v[82:83]
	v_add_f64 v[4:5], v[4:5], v[6:7]
	v_fmac_f64_e32 v[86:87], v[58:59], v[16:17]
	v_fma_f64 v[10:11], v[56:57], v[16:17], -v[18:19]
	v_add_f64 v[6:7], v[22:23], v[84:85]
	v_add_f64 v[4:5], v[4:5], v[8:9]
	s_waitcnt vmcnt(4) lgkmcnt(3)
	v_mul_f64 v[90:91], v[64:65], v[26:27]
	v_mul_f64 v[26:27], v[66:67], v[26:27]
	v_fmac_f64_e32 v[88:89], v[62:63], v[20:21]
	v_add_f64 v[6:7], v[6:7], v[86:87]
	v_add_f64 v[4:5], v[4:5], v[10:11]
	s_waitcnt vmcnt(3) lgkmcnt(2)
	v_mul_f64 v[92:93], v[68:69], v[30:31]
	v_mul_f64 v[30:31], v[70:71], v[30:31]
	v_fmac_f64_e32 v[90:91], v[66:67], v[24:25]
	v_fma_f64 v[14:15], v[64:65], v[24:25], -v[26:27]
	v_add_f64 v[6:7], v[6:7], v[88:89]
	v_add_f64 v[4:5], v[4:5], v[12:13]
	s_waitcnt vmcnt(2) lgkmcnt(1)
	v_mul_f64 v[94:95], v[72:73], v[34:35]
	v_mul_f64 v[34:35], v[74:75], v[34:35]
	v_fmac_f64_e32 v[92:93], v[70:71], v[28:29]
	v_fma_f64 v[16:17], v[68:69], v[28:29], -v[30:31]
	;; [unrolled: 7-line block ×3, first 2 shown]
	v_add_f64 v[6:7], v[6:7], v[92:93]
	v_add_f64 v[4:5], v[4:5], v[16:17]
	v_fmac_f64_e32 v[96:97], v[78:79], v[36:37]
	v_fma_f64 v[20:21], v[76:77], v[36:37], -v[38:39]
	v_add_f64 v[6:7], v[6:7], v[94:95]
	v_add_f64 v[4:5], v[4:5], v[18:19]
	;; [unrolled: 1-line block ×4, first 2 shown]
	s_waitcnt vmcnt(0)
	v_add_f64 v[4:5], v[40:41], -v[4:5]
	v_add_f64 v[6:7], v[42:43], -v[6:7]
	scratch_store_dwordx4 off, v[4:7], off offset:624
	s_and_saveexec_b64 s[0:1], vcc
	s_cbranch_execz .LBB111_227
; %bb.226:
	scratch_load_dwordx4 v[6:9], off, s26
	v_mov_b32_e32 v3, v2
	v_mov_b32_e32 v4, v2
	;; [unrolled: 1-line block ×3, first 2 shown]
	v_accvgpr_read_b32 v0, a97
	scratch_store_dwordx4 off, v[2:5], off offset:608
	s_waitcnt vmcnt(1)
	ds_write_b128 v0, v[6:9]
.LBB111_227:
	s_or_b64 exec, exec, s[0:1]
	s_waitcnt lgkmcnt(0)
	; wave barrier
	scratch_load_dwordx4 v[4:7], off, off offset:624
	scratch_load_dwordx4 v[8:11], off, off offset:640
	;; [unrolled: 1-line block ×11, first 2 shown]
	ds_read_b128 v[48:51], v2 offset:1376
	ds_read_b128 v[52:55], v2 offset:1392
	;; [unrolled: 1-line block ×10, first 2 shown]
	v_cmp_lt_u32_e32 vcc, 36, v240
	s_waitcnt vmcnt(10) lgkmcnt(9)
	v_mul_f64 v[2:3], v[48:49], v[6:7]
	v_mul_f64 v[6:7], v[50:51], v[6:7]
	s_waitcnt vmcnt(9) lgkmcnt(8)
	v_mul_f64 v[88:89], v[52:53], v[10:11]
	v_mul_f64 v[10:11], v[54:55], v[10:11]
	v_fmac_f64_e32 v[2:3], v[50:51], v[4:5]
	v_fma_f64 v[4:5], v[48:49], v[4:5], -v[6:7]
	s_waitcnt vmcnt(8) lgkmcnt(7)
	v_mul_f64 v[90:91], v[56:57], v[14:15]
	v_mul_f64 v[14:15], v[58:59], v[14:15]
	v_fmac_f64_e32 v[88:89], v[54:55], v[8:9]
	v_fma_f64 v[6:7], v[52:53], v[8:9], -v[10:11]
	v_add_f64 v[2:3], v[2:3], 0
	v_add_f64 v[4:5], v[4:5], 0
	s_waitcnt vmcnt(7) lgkmcnt(6)
	v_mul_f64 v[92:93], v[60:61], v[18:19]
	v_mul_f64 v[18:19], v[62:63], v[18:19]
	v_fmac_f64_e32 v[90:91], v[58:59], v[12:13]
	v_fma_f64 v[8:9], v[56:57], v[12:13], -v[14:15]
	v_add_f64 v[2:3], v[2:3], v[88:89]
	v_add_f64 v[4:5], v[4:5], v[6:7]
	s_waitcnt vmcnt(6) lgkmcnt(5)
	v_mul_f64 v[94:95], v[64:65], v[22:23]
	v_mul_f64 v[22:23], v[66:67], v[22:23]
	v_fmac_f64_e32 v[92:93], v[62:63], v[16:17]
	v_fma_f64 v[10:11], v[60:61], v[16:17], -v[18:19]
	v_add_f64 v[2:3], v[2:3], v[90:91]
	v_add_f64 v[4:5], v[4:5], v[8:9]
	s_waitcnt vmcnt(5) lgkmcnt(4)
	v_mul_f64 v[96:97], v[68:69], v[26:27]
	v_mul_f64 v[26:27], v[70:71], v[26:27]
	v_fmac_f64_e32 v[94:95], v[66:67], v[20:21]
	v_fma_f64 v[12:13], v[64:65], v[20:21], -v[22:23]
	v_add_f64 v[2:3], v[2:3], v[92:93]
	v_add_f64 v[4:5], v[4:5], v[10:11]
	s_waitcnt vmcnt(4) lgkmcnt(3)
	v_mul_f64 v[98:99], v[72:73], v[30:31]
	v_mul_f64 v[30:31], v[74:75], v[30:31]
	v_fmac_f64_e32 v[96:97], v[70:71], v[24:25]
	v_fma_f64 v[14:15], v[68:69], v[24:25], -v[26:27]
	v_add_f64 v[2:3], v[2:3], v[94:95]
	v_add_f64 v[4:5], v[4:5], v[12:13]
	s_waitcnt vmcnt(3) lgkmcnt(2)
	v_mul_f64 v[100:101], v[76:77], v[34:35]
	v_mul_f64 v[34:35], v[78:79], v[34:35]
	v_fmac_f64_e32 v[98:99], v[74:75], v[28:29]
	v_fma_f64 v[16:17], v[72:73], v[28:29], -v[30:31]
	v_add_f64 v[2:3], v[2:3], v[96:97]
	v_add_f64 v[4:5], v[4:5], v[14:15]
	s_waitcnt vmcnt(2) lgkmcnt(1)
	v_mul_f64 v[102:103], v[80:81], v[38:39]
	v_mul_f64 v[38:39], v[82:83], v[38:39]
	v_fmac_f64_e32 v[100:101], v[78:79], v[32:33]
	v_fma_f64 v[18:19], v[76:77], v[32:33], -v[34:35]
	v_add_f64 v[2:3], v[2:3], v[98:99]
	v_add_f64 v[4:5], v[4:5], v[16:17]
	s_waitcnt vmcnt(1) lgkmcnt(0)
	v_mul_f64 v[104:105], v[84:85], v[42:43]
	v_mul_f64 v[42:43], v[86:87], v[42:43]
	v_fmac_f64_e32 v[102:103], v[82:83], v[36:37]
	v_fma_f64 v[20:21], v[80:81], v[36:37], -v[38:39]
	v_add_f64 v[2:3], v[2:3], v[100:101]
	v_add_f64 v[4:5], v[4:5], v[18:19]
	v_fmac_f64_e32 v[104:105], v[86:87], v[40:41]
	v_fma_f64 v[22:23], v[84:85], v[40:41], -v[42:43]
	v_add_f64 v[2:3], v[2:3], v[102:103]
	v_add_f64 v[4:5], v[4:5], v[20:21]
	;; [unrolled: 1-line block ×4, first 2 shown]
	s_waitcnt vmcnt(0)
	v_add_f64 v[2:3], v[44:45], -v[2:3]
	v_add_f64 v[4:5], v[46:47], -v[6:7]
	scratch_store_dwordx4 off, v[2:5], off offset:608
	s_and_saveexec_b64 s[0:1], vcc
	s_cbranch_execz .LBB111_229
; %bb.228:
	scratch_load_dwordx4 v[2:5], off, s27
	v_mov_b32_e32 v6, 0
	v_mov_b32_e32 v7, v6
	;; [unrolled: 1-line block ×4, first 2 shown]
	v_accvgpr_read_b32 v0, a97
	scratch_store_dwordx4 off, v[6:9], off offset:592
	s_waitcnt vmcnt(1)
	ds_write_b128 v0, v[2:5]
.LBB111_229:
	s_or_b64 exec, exec, s[0:1]
	s_waitcnt lgkmcnt(0)
	; wave barrier
	scratch_load_dwordx4 v[4:7], off, off offset:608
	scratch_load_dwordx4 v[8:11], off, off offset:624
	;; [unrolled: 1-line block ×12, first 2 shown]
	v_mov_b32_e32 v2, 0
	ds_read_b128 v[52:55], v2 offset:1360
	ds_read_b128 v[56:59], v2 offset:1376
	ds_read_b128 v[60:63], v2 offset:1392
	ds_read_b128 v[64:67], v2 offset:1408
	ds_read_b128 v[68:71], v2 offset:1424
	ds_read_b128 v[72:75], v2 offset:1440
	ds_read_b128 v[76:79], v2 offset:1456
	ds_read_b128 v[80:83], v2 offset:1472
	ds_read_b128 v[84:87], v2 offset:1488
	ds_read_b128 v[88:91], v2 offset:1504
	ds_read_b128 v[92:95], v2 offset:1520
	v_cmp_lt_u32_e32 vcc, 35, v240
	s_waitcnt vmcnt(11) lgkmcnt(10)
	v_mul_f64 v[96:97], v[52:53], v[6:7]
	v_mul_f64 v[6:7], v[54:55], v[6:7]
	s_waitcnt vmcnt(10) lgkmcnt(9)
	v_mul_f64 v[98:99], v[56:57], v[10:11]
	s_waitcnt vmcnt(9) lgkmcnt(8)
	v_mul_f64 v[100:101], v[60:61], v[14:15]
	v_mul_f64 v[10:11], v[58:59], v[10:11]
	s_waitcnt vmcnt(6) lgkmcnt(5)
	v_mul_f64 v[106:107], v[72:73], v[26:27]
	v_mul_f64 v[14:15], v[62:63], v[14:15]
	;; [unrolled: 1-line block ×3, first 2 shown]
	v_fmac_f64_e32 v[96:97], v[54:55], v[4:5]
	v_fma_f64 v[4:5], v[52:53], v[4:5], -v[6:7]
	v_fmac_f64_e32 v[98:99], v[58:59], v[8:9]
	v_fma_f64 v[6:7], v[56:57], v[8:9], -v[10:11]
	v_fma_f64 v[8:9], v[60:61], v[12:13], -v[14:15]
	;; [unrolled: 1-line block ×3, first 2 shown]
	v_add_f64 v[26:27], v[96:97], 0
	v_add_f64 v[4:5], v[4:5], 0
	v_mul_f64 v[102:103], v[64:65], v[18:19]
	v_mul_f64 v[18:19], v[66:67], v[18:19]
	v_fmac_f64_e32 v[100:101], v[62:63], v[12:13]
	v_add_f64 v[26:27], v[26:27], v[98:99]
	v_add_f64 v[4:5], v[4:5], v[6:7]
	v_mul_f64 v[104:105], v[68:69], v[22:23]
	v_mul_f64 v[22:23], v[70:71], v[22:23]
	v_fmac_f64_e32 v[102:103], v[66:67], v[16:17]
	v_fma_f64 v[10:11], v[64:65], v[16:17], -v[18:19]
	v_add_f64 v[6:7], v[26:27], v[100:101]
	v_add_f64 v[4:5], v[4:5], v[8:9]
	v_fmac_f64_e32 v[104:105], v[70:71], v[20:21]
	v_fma_f64 v[12:13], v[68:69], v[20:21], -v[22:23]
	v_add_f64 v[6:7], v[6:7], v[102:103]
	v_add_f64 v[4:5], v[4:5], v[10:11]
	s_waitcnt vmcnt(5) lgkmcnt(4)
	v_mul_f64 v[108:109], v[76:77], v[30:31]
	v_mul_f64 v[30:31], v[78:79], v[30:31]
	v_fmac_f64_e32 v[106:107], v[74:75], v[24:25]
	v_add_f64 v[6:7], v[6:7], v[104:105]
	v_add_f64 v[4:5], v[4:5], v[12:13]
	s_waitcnt vmcnt(4) lgkmcnt(3)
	v_mul_f64 v[110:111], v[80:81], v[34:35]
	v_mul_f64 v[34:35], v[82:83], v[34:35]
	v_fmac_f64_e32 v[108:109], v[78:79], v[28:29]
	v_fma_f64 v[16:17], v[76:77], v[28:29], -v[30:31]
	v_add_f64 v[6:7], v[6:7], v[106:107]
	v_add_f64 v[4:5], v[4:5], v[14:15]
	s_waitcnt vmcnt(3) lgkmcnt(2)
	v_mul_f64 v[112:113], v[84:85], v[38:39]
	v_mul_f64 v[38:39], v[86:87], v[38:39]
	v_fmac_f64_e32 v[110:111], v[82:83], v[32:33]
	v_fma_f64 v[18:19], v[80:81], v[32:33], -v[34:35]
	;; [unrolled: 7-line block ×4, first 2 shown]
	v_add_f64 v[6:7], v[6:7], v[112:113]
	v_add_f64 v[4:5], v[4:5], v[20:21]
	v_fmac_f64_e32 v[116:117], v[94:95], v[44:45]
	v_fma_f64 v[24:25], v[92:93], v[44:45], -v[46:47]
	v_add_f64 v[6:7], v[6:7], v[114:115]
	v_add_f64 v[4:5], v[4:5], v[22:23]
	;; [unrolled: 1-line block ×4, first 2 shown]
	s_waitcnt vmcnt(0)
	v_add_f64 v[4:5], v[48:49], -v[4:5]
	v_add_f64 v[6:7], v[50:51], -v[6:7]
	scratch_store_dwordx4 off, v[4:7], off offset:592
	s_and_saveexec_b64 s[0:1], vcc
	s_cbranch_execz .LBB111_231
; %bb.230:
	scratch_load_dwordx4 v[6:9], off, s28
	v_mov_b32_e32 v3, v2
	v_mov_b32_e32 v4, v2
	;; [unrolled: 1-line block ×3, first 2 shown]
	v_accvgpr_read_b32 v0, a97
	scratch_store_dwordx4 off, v[2:5], off offset:576
	s_waitcnt vmcnt(1)
	ds_write_b128 v0, v[6:9]
.LBB111_231:
	s_or_b64 exec, exec, s[0:1]
	s_waitcnt lgkmcnt(0)
	; wave barrier
	scratch_load_dwordx4 v[4:7], off, off offset:592
	scratch_load_dwordx4 v[8:11], off, off offset:608
	;; [unrolled: 1-line block ×12, first 2 shown]
	ds_read_b128 v[52:55], v2 offset:1344
	ds_read_b128 v[56:59], v2 offset:1360
	;; [unrolled: 1-line block ×4, first 2 shown]
	scratch_load_dwordx4 v[68:71], off, off offset:576
	ds_read_b128 v[72:75], v2 offset:1408
	ds_read_b128 v[76:79], v2 offset:1424
	;; [unrolled: 1-line block ×8, first 2 shown]
	v_cmp_lt_u32_e32 vcc, 34, v240
	s_waitcnt vmcnt(12) lgkmcnt(11)
	v_mul_f64 v[2:3], v[52:53], v[6:7]
	s_waitcnt vmcnt(11) lgkmcnt(10)
	v_mul_f64 v[104:105], v[56:57], v[10:11]
	v_fmac_f64_e32 v[2:3], v[54:55], v[4:5]
	s_waitcnt vmcnt(10) lgkmcnt(9)
	v_mul_f64 v[106:107], v[60:61], v[14:15]
	v_mul_f64 v[6:7], v[54:55], v[6:7]
	v_fmac_f64_e32 v[104:105], v[58:59], v[8:9]
	v_add_f64 v[2:3], v[2:3], 0
	s_waitcnt vmcnt(9) lgkmcnt(8)
	v_mul_f64 v[108:109], v[64:65], v[18:19]
	v_mul_f64 v[10:11], v[58:59], v[10:11]
	v_fmac_f64_e32 v[106:107], v[62:63], v[12:13]
	v_fma_f64 v[4:5], v[52:53], v[4:5], -v[6:7]
	v_add_f64 v[2:3], v[2:3], v[104:105]
	s_waitcnt vmcnt(8) lgkmcnt(7)
	v_mul_f64 v[110:111], v[72:73], v[22:23]
	v_mul_f64 v[14:15], v[62:63], v[14:15]
	v_fmac_f64_e32 v[108:109], v[66:67], v[16:17]
	v_fma_f64 v[6:7], v[56:57], v[8:9], -v[10:11]
	v_add_f64 v[4:5], v[4:5], 0
	v_add_f64 v[2:3], v[2:3], v[106:107]
	s_waitcnt vmcnt(7) lgkmcnt(6)
	v_mul_f64 v[112:113], v[76:77], v[26:27]
	v_mul_f64 v[18:19], v[66:67], v[18:19]
	v_fmac_f64_e32 v[110:111], v[74:75], v[20:21]
	v_fma_f64 v[8:9], v[60:61], v[12:13], -v[14:15]
	v_add_f64 v[4:5], v[4:5], v[6:7]
	v_add_f64 v[2:3], v[2:3], v[108:109]
	s_waitcnt vmcnt(6) lgkmcnt(5)
	v_mul_f64 v[114:115], v[80:81], v[30:31]
	v_mul_f64 v[22:23], v[74:75], v[22:23]
	v_fmac_f64_e32 v[112:113], v[78:79], v[24:25]
	v_fma_f64 v[10:11], v[64:65], v[16:17], -v[18:19]
	v_add_f64 v[4:5], v[4:5], v[8:9]
	v_add_f64 v[2:3], v[2:3], v[110:111]
	s_waitcnt vmcnt(5) lgkmcnt(4)
	v_mul_f64 v[116:117], v[84:85], v[34:35]
	v_mul_f64 v[26:27], v[78:79], v[26:27]
	v_fmac_f64_e32 v[114:115], v[82:83], v[28:29]
	v_fma_f64 v[12:13], v[72:73], v[20:21], -v[22:23]
	v_add_f64 v[4:5], v[4:5], v[10:11]
	v_add_f64 v[2:3], v[2:3], v[112:113]
	s_waitcnt vmcnt(4) lgkmcnt(3)
	v_mul_f64 v[118:119], v[88:89], v[38:39]
	v_mul_f64 v[30:31], v[82:83], v[30:31]
	v_fmac_f64_e32 v[116:117], v[86:87], v[32:33]
	v_fma_f64 v[14:15], v[76:77], v[24:25], -v[26:27]
	v_add_f64 v[4:5], v[4:5], v[12:13]
	v_add_f64 v[2:3], v[2:3], v[114:115]
	s_waitcnt vmcnt(3) lgkmcnt(2)
	v_mul_f64 v[120:121], v[92:93], v[42:43]
	v_mul_f64 v[34:35], v[86:87], v[34:35]
	v_fmac_f64_e32 v[118:119], v[90:91], v[36:37]
	v_fma_f64 v[16:17], v[80:81], v[28:29], -v[30:31]
	v_add_f64 v[4:5], v[4:5], v[14:15]
	v_add_f64 v[2:3], v[2:3], v[116:117]
	s_waitcnt vmcnt(2) lgkmcnt(1)
	v_mul_f64 v[122:123], v[96:97], v[46:47]
	v_mul_f64 v[38:39], v[90:91], v[38:39]
	v_fmac_f64_e32 v[120:121], v[94:95], v[40:41]
	v_fma_f64 v[18:19], v[84:85], v[32:33], -v[34:35]
	v_add_f64 v[4:5], v[4:5], v[16:17]
	v_add_f64 v[2:3], v[2:3], v[118:119]
	s_waitcnt vmcnt(1) lgkmcnt(0)
	v_mul_f64 v[124:125], v[100:101], v[50:51]
	v_mul_f64 v[42:43], v[94:95], v[42:43]
	v_fmac_f64_e32 v[122:123], v[98:99], v[44:45]
	v_fma_f64 v[20:21], v[88:89], v[36:37], -v[38:39]
	v_add_f64 v[4:5], v[4:5], v[18:19]
	v_add_f64 v[2:3], v[2:3], v[120:121]
	v_mul_f64 v[46:47], v[98:99], v[46:47]
	v_fmac_f64_e32 v[124:125], v[102:103], v[48:49]
	v_fma_f64 v[22:23], v[92:93], v[40:41], -v[42:43]
	v_add_f64 v[4:5], v[4:5], v[20:21]
	v_add_f64 v[2:3], v[2:3], v[122:123]
	;; [unrolled: 1-line block ×4, first 2 shown]
	v_fma_f64 v[2:3], v[96:97], v[44:45], -v[46:47]
	v_add_f64 v[2:3], v[4:5], v[2:3]
	v_mul_f64 v[4:5], v[102:103], v[50:51]
	v_fma_f64 v[4:5], v[100:101], v[48:49], -v[4:5]
	v_add_f64 v[2:3], v[2:3], v[4:5]
	s_waitcnt vmcnt(0)
	v_add_f64 v[2:3], v[68:69], -v[2:3]
	v_add_f64 v[4:5], v[70:71], -v[6:7]
	scratch_store_dwordx4 off, v[2:5], off offset:576
	s_and_saveexec_b64 s[0:1], vcc
	s_cbranch_execz .LBB111_233
; %bb.232:
	scratch_load_dwordx4 v[2:5], off, s29
	v_mov_b32_e32 v6, 0
	v_mov_b32_e32 v7, v6
	;; [unrolled: 1-line block ×4, first 2 shown]
	v_accvgpr_read_b32 v0, a97
	scratch_store_dwordx4 off, v[6:9], off offset:560
	s_waitcnt vmcnt(1)
	ds_write_b128 v0, v[2:5]
.LBB111_233:
	s_or_b64 exec, exec, s[0:1]
	s_waitcnt lgkmcnt(0)
	; wave barrier
	scratch_load_dwordx4 v[4:7], off, off offset:576
	scratch_load_dwordx4 v[8:11], off, off offset:592
	;; [unrolled: 1-line block ×14, first 2 shown]
	v_mov_b32_e32 v2, 0
	ds_read_b128 v[60:63], v2 offset:1328
	ds_read_b128 v[64:67], v2 offset:1344
	;; [unrolled: 1-line block ×13, first 2 shown]
	v_cmp_lt_u32_e32 vcc, 33, v240
	s_waitcnt vmcnt(13) lgkmcnt(12)
	v_mul_f64 v[112:113], v[60:61], v[6:7]
	v_mul_f64 v[6:7], v[62:63], v[6:7]
	s_waitcnt vmcnt(12) lgkmcnt(11)
	v_mul_f64 v[114:115], v[64:65], v[10:11]
	v_mul_f64 v[10:11], v[66:67], v[10:11]
	v_fmac_f64_e32 v[112:113], v[62:63], v[4:5]
	v_fma_f64 v[4:5], v[60:61], v[4:5], -v[6:7]
	s_waitcnt vmcnt(11) lgkmcnt(10)
	v_mul_f64 v[116:117], v[68:69], v[14:15]
	v_mul_f64 v[14:15], v[70:71], v[14:15]
	v_fma_f64 v[6:7], v[64:65], v[8:9], -v[10:11]
	v_add_f64 v[4:5], v[4:5], 0
	s_waitcnt vmcnt(10) lgkmcnt(9)
	v_mul_f64 v[118:119], v[72:73], v[18:19]
	v_mul_f64 v[18:19], v[74:75], v[18:19]
	v_fmac_f64_e32 v[114:115], v[66:67], v[8:9]
	v_fma_f64 v[8:9], v[68:69], v[12:13], -v[14:15]
	v_add_f64 v[4:5], v[4:5], v[6:7]
	s_waitcnt vmcnt(9) lgkmcnt(8)
	v_mul_f64 v[120:121], v[76:77], v[22:23]
	v_mul_f64 v[22:23], v[78:79], v[22:23]
	v_fma_f64 v[10:11], v[72:73], v[16:17], -v[18:19]
	v_add_f64 v[4:5], v[4:5], v[8:9]
	s_waitcnt vmcnt(8) lgkmcnt(7)
	v_mul_f64 v[122:123], v[80:81], v[26:27]
	v_mul_f64 v[26:27], v[82:83], v[26:27]
	v_fmac_f64_e32 v[116:117], v[70:71], v[12:13]
	v_fma_f64 v[12:13], v[76:77], v[20:21], -v[22:23]
	v_add_f64 v[22:23], v[112:113], 0
	v_add_f64 v[4:5], v[4:5], v[10:11]
	s_waitcnt vmcnt(7) lgkmcnt(6)
	v_mul_f64 v[124:125], v[84:85], v[30:31]
	v_mul_f64 v[30:31], v[86:87], v[30:31]
	v_fma_f64 v[14:15], v[80:81], v[24:25], -v[26:27]
	v_add_f64 v[22:23], v[22:23], v[114:115]
	v_add_f64 v[4:5], v[4:5], v[12:13]
	s_waitcnt vmcnt(6) lgkmcnt(5)
	v_mul_f64 v[126:127], v[88:89], v[34:35]
	v_mul_f64 v[34:35], v[90:91], v[34:35]
	v_fmac_f64_e32 v[118:119], v[74:75], v[16:17]
	v_fma_f64 v[16:17], v[84:85], v[28:29], -v[30:31]
	v_add_f64 v[6:7], v[22:23], v[116:117]
	v_add_f64 v[4:5], v[4:5], v[14:15]
	s_waitcnt vmcnt(5) lgkmcnt(4)
	v_mul_f64 v[128:129], v[92:93], v[38:39]
	v_mul_f64 v[38:39], v[94:95], v[38:39]
	v_fmac_f64_e32 v[120:121], v[78:79], v[20:21]
	v_fma_f64 v[18:19], v[88:89], v[32:33], -v[34:35]
	v_add_f64 v[6:7], v[6:7], v[118:119]
	v_add_f64 v[4:5], v[4:5], v[16:17]
	v_fmac_f64_e32 v[122:123], v[82:83], v[24:25]
	v_fma_f64 v[20:21], v[92:93], v[36:37], -v[38:39]
	v_add_f64 v[6:7], v[6:7], v[120:121]
	v_add_f64 v[4:5], v[4:5], v[18:19]
	s_waitcnt vmcnt(4) lgkmcnt(3)
	v_mul_f64 v[8:9], v[98:99], v[42:43]
	v_fmac_f64_e32 v[124:125], v[86:87], v[28:29]
	v_add_f64 v[6:7], v[6:7], v[122:123]
	v_add_f64 v[4:5], v[4:5], v[20:21]
	v_fma_f64 v[8:9], v[96:97], v[40:41], -v[8:9]
	v_fmac_f64_e32 v[126:127], v[90:91], v[32:33]
	v_add_f64 v[6:7], v[6:7], v[124:125]
	v_add_f64 v[4:5], v[4:5], v[8:9]
	s_waitcnt vmcnt(3) lgkmcnt(2)
	v_mul_f64 v[8:9], v[102:103], v[46:47]
	v_mul_f64 v[130:131], v[96:97], v[42:43]
	v_fmac_f64_e32 v[128:129], v[94:95], v[36:37]
	v_add_f64 v[6:7], v[6:7], v[126:127]
	v_fma_f64 v[8:9], v[100:101], v[44:45], -v[8:9]
	v_mul_f64 v[132:133], v[100:101], v[46:47]
	v_fmac_f64_e32 v[130:131], v[98:99], v[40:41]
	v_add_f64 v[6:7], v[6:7], v[128:129]
	v_add_f64 v[4:5], v[4:5], v[8:9]
	s_waitcnt vmcnt(2) lgkmcnt(1)
	v_mul_f64 v[8:9], v[106:107], v[50:51]
	v_mul_f64 v[134:135], v[104:105], v[50:51]
	v_fmac_f64_e32 v[132:133], v[102:103], v[44:45]
	v_add_f64 v[6:7], v[6:7], v[130:131]
	v_fma_f64 v[8:9], v[104:105], v[48:49], -v[8:9]
	s_waitcnt vmcnt(1) lgkmcnt(0)
	v_mul_f64 v[136:137], v[108:109], v[54:55]
	v_fmac_f64_e32 v[134:135], v[106:107], v[48:49]
	v_add_f64 v[6:7], v[6:7], v[132:133]
	v_add_f64 v[4:5], v[4:5], v[8:9]
	v_mul_f64 v[8:9], v[110:111], v[54:55]
	v_fmac_f64_e32 v[136:137], v[110:111], v[52:53]
	v_add_f64 v[6:7], v[6:7], v[134:135]
	v_fma_f64 v[8:9], v[108:109], v[52:53], -v[8:9]
	v_add_f64 v[6:7], v[6:7], v[136:137]
	v_add_f64 v[4:5], v[4:5], v[8:9]
	s_waitcnt vmcnt(0)
	v_add_f64 v[4:5], v[56:57], -v[4:5]
	v_add_f64 v[6:7], v[58:59], -v[6:7]
	scratch_store_dwordx4 off, v[4:7], off offset:560
	s_and_saveexec_b64 s[0:1], vcc
	s_cbranch_execz .LBB111_235
; %bb.234:
	scratch_load_dwordx4 v[6:9], off, s30
	v_mov_b32_e32 v3, v2
	v_mov_b32_e32 v4, v2
	;; [unrolled: 1-line block ×3, first 2 shown]
	v_accvgpr_read_b32 v0, a97
	scratch_store_dwordx4 off, v[2:5], off offset:544
	s_waitcnt vmcnt(1)
	ds_write_b128 v0, v[6:9]
.LBB111_235:
	s_or_b64 exec, exec, s[0:1]
	s_waitcnt lgkmcnt(0)
	; wave barrier
	scratch_load_dwordx4 v[4:7], off, off offset:560
	scratch_load_dwordx4 v[8:11], off, off offset:576
	;; [unrolled: 1-line block ×14, first 2 shown]
	ds_read_b128 v[60:63], v2 offset:1312
	ds_read_b128 v[64:67], v2 offset:1328
	;; [unrolled: 1-line block ×14, first 2 shown]
	scratch_load_dwordx4 v[116:119], off, off offset:544
	v_cmp_lt_u32_e32 vcc, 32, v240
	s_waitcnt vmcnt(14) lgkmcnt(13)
	v_mul_f64 v[2:3], v[60:61], v[6:7]
	s_waitcnt vmcnt(13) lgkmcnt(12)
	v_mul_f64 v[120:121], v[64:65], v[10:11]
	v_fmac_f64_e32 v[2:3], v[62:63], v[4:5]
	s_waitcnt vmcnt(12) lgkmcnt(11)
	v_mul_f64 v[122:123], v[68:69], v[14:15]
	v_fmac_f64_e32 v[120:121], v[66:67], v[8:9]
	v_add_f64 v[2:3], v[2:3], 0
	s_waitcnt vmcnt(11) lgkmcnt(10)
	v_mul_f64 v[124:125], v[72:73], v[18:19]
	v_fmac_f64_e32 v[122:123], v[70:71], v[12:13]
	v_add_f64 v[2:3], v[2:3], v[120:121]
	;; [unrolled: 4-line block ×4, first 2 shown]
	s_waitcnt vmcnt(8) lgkmcnt(7)
	v_mul_f64 v[130:131], v[84:85], v[30:31]
	v_mul_f64 v[6:7], v[62:63], v[6:7]
	v_fmac_f64_e32 v[128:129], v[82:83], v[24:25]
	v_add_f64 v[2:3], v[2:3], v[126:127]
	s_waitcnt vmcnt(7) lgkmcnt(6)
	v_mul_f64 v[132:133], v[88:89], v[34:35]
	v_mul_f64 v[10:11], v[66:67], v[10:11]
	v_fmac_f64_e32 v[130:131], v[86:87], v[28:29]
	v_fma_f64 v[4:5], v[60:61], v[4:5], -v[6:7]
	v_add_f64 v[2:3], v[2:3], v[128:129]
	s_waitcnt vmcnt(6) lgkmcnt(5)
	v_mul_f64 v[134:135], v[92:93], v[38:39]
	v_mul_f64 v[14:15], v[70:71], v[14:15]
	v_fmac_f64_e32 v[132:133], v[90:91], v[32:33]
	v_fma_f64 v[6:7], v[64:65], v[8:9], -v[10:11]
	v_add_f64 v[4:5], v[4:5], 0
	v_add_f64 v[2:3], v[2:3], v[130:131]
	s_waitcnt vmcnt(5) lgkmcnt(4)
	v_mul_f64 v[136:137], v[96:97], v[42:43]
	v_mul_f64 v[18:19], v[74:75], v[18:19]
	v_fmac_f64_e32 v[134:135], v[94:95], v[36:37]
	v_fma_f64 v[8:9], v[68:69], v[12:13], -v[14:15]
	v_add_f64 v[4:5], v[4:5], v[6:7]
	;; [unrolled: 7-line block ×6, first 2 shown]
	v_add_f64 v[2:3], v[2:3], v[140:141]
	v_fmac_f64_e32 v[144:145], v[114:115], v[56:57]
	v_fma_f64 v[18:19], v[88:89], v[32:33], -v[34:35]
	v_add_f64 v[4:5], v[4:5], v[16:17]
	v_add_f64 v[2:3], v[2:3], v[142:143]
	;; [unrolled: 1-line block ×4, first 2 shown]
	v_mul_f64 v[4:5], v[94:95], v[38:39]
	v_fma_f64 v[4:5], v[92:93], v[36:37], -v[4:5]
	v_add_f64 v[2:3], v[2:3], v[4:5]
	v_mul_f64 v[4:5], v[98:99], v[42:43]
	v_fma_f64 v[4:5], v[96:97], v[40:41], -v[4:5]
	v_add_f64 v[2:3], v[2:3], v[4:5]
	;; [unrolled: 3-line block ×6, first 2 shown]
	s_waitcnt vmcnt(0)
	v_add_f64 v[2:3], v[116:117], -v[2:3]
	v_add_f64 v[4:5], v[118:119], -v[6:7]
	scratch_store_dwordx4 off, v[2:5], off offset:544
	s_and_saveexec_b64 s[0:1], vcc
	s_cbranch_execz .LBB111_237
; %bb.236:
	scratch_load_dwordx4 v[2:5], off, s31
	v_mov_b32_e32 v6, 0
	v_mov_b32_e32 v7, v6
	;; [unrolled: 1-line block ×4, first 2 shown]
	v_accvgpr_read_b32 v0, a97
	scratch_store_dwordx4 off, v[6:9], off offset:528
	s_waitcnt vmcnt(1)
	ds_write_b128 v0, v[2:5]
.LBB111_237:
	s_or_b64 exec, exec, s[0:1]
	s_waitcnt lgkmcnt(0)
	; wave barrier
	scratch_load_dwordx4 v[4:7], off, off offset:544
	scratch_load_dwordx4 v[8:11], off, off offset:560
	;; [unrolled: 1-line block ×16, first 2 shown]
	v_mov_b32_e32 v2, 0
	ds_read_b128 v[68:71], v2 offset:1296
	ds_read_b128 v[72:75], v2 offset:1312
	;; [unrolled: 1-line block ×15, first 2 shown]
	v_cmp_lt_u32_e32 vcc, 31, v240
	s_waitcnt vmcnt(15) lgkmcnt(14)
	v_mul_f64 v[128:129], v[68:69], v[6:7]
	v_mul_f64 v[6:7], v[70:71], v[6:7]
	s_waitcnt vmcnt(14) lgkmcnt(13)
	v_mul_f64 v[130:131], v[72:73], v[10:11]
	v_mul_f64 v[10:11], v[74:75], v[10:11]
	v_fmac_f64_e32 v[128:129], v[70:71], v[4:5]
	v_fma_f64 v[4:5], v[68:69], v[4:5], -v[6:7]
	s_waitcnt vmcnt(13) lgkmcnt(12)
	v_mul_f64 v[132:133], v[76:77], v[14:15]
	v_mul_f64 v[14:15], v[78:79], v[14:15]
	v_fma_f64 v[6:7], v[72:73], v[8:9], -v[10:11]
	v_add_f64 v[4:5], v[4:5], 0
	s_waitcnt vmcnt(12) lgkmcnt(11)
	v_mul_f64 v[134:135], v[80:81], v[18:19]
	v_mul_f64 v[18:19], v[82:83], v[18:19]
	v_fmac_f64_e32 v[130:131], v[74:75], v[8:9]
	v_fma_f64 v[8:9], v[76:77], v[12:13], -v[14:15]
	v_add_f64 v[4:5], v[4:5], v[6:7]
	s_waitcnt vmcnt(11) lgkmcnt(10)
	v_mul_f64 v[136:137], v[84:85], v[22:23]
	v_mul_f64 v[22:23], v[86:87], v[22:23]
	v_fma_f64 v[10:11], v[80:81], v[16:17], -v[18:19]
	v_add_f64 v[4:5], v[4:5], v[8:9]
	s_waitcnt vmcnt(10) lgkmcnt(9)
	v_mul_f64 v[138:139], v[88:89], v[26:27]
	v_mul_f64 v[26:27], v[90:91], v[26:27]
	v_fmac_f64_e32 v[132:133], v[78:79], v[12:13]
	v_fma_f64 v[12:13], v[84:85], v[20:21], -v[22:23]
	v_add_f64 v[4:5], v[4:5], v[10:11]
	v_fma_f64 v[14:15], v[88:89], v[24:25], -v[26:27]
	v_add_f64 v[4:5], v[4:5], v[12:13]
	s_waitcnt vmcnt(9) lgkmcnt(8)
	v_mul_f64 v[8:9], v[94:95], v[30:31]
	v_add_f64 v[4:5], v[4:5], v[14:15]
	v_fma_f64 v[8:9], v[92:93], v[28:29], -v[8:9]
	v_add_f64 v[4:5], v[4:5], v[8:9]
	s_waitcnt vmcnt(8) lgkmcnt(7)
	v_mul_f64 v[8:9], v[98:99], v[34:35]
	v_fma_f64 v[8:9], v[96:97], v[32:33], -v[8:9]
	v_fmac_f64_e32 v[134:135], v[82:83], v[16:17]
	v_add_f64 v[16:17], v[128:129], 0
	v_add_f64 v[4:5], v[4:5], v[8:9]
	s_waitcnt vmcnt(7) lgkmcnt(6)
	v_mul_f64 v[8:9], v[102:103], v[38:39]
	v_add_f64 v[16:17], v[16:17], v[130:131]
	v_fma_f64 v[8:9], v[100:101], v[36:37], -v[8:9]
	v_add_f64 v[6:7], v[16:17], v[132:133]
	v_add_f64 v[4:5], v[4:5], v[8:9]
	s_waitcnt vmcnt(6) lgkmcnt(5)
	v_mul_f64 v[8:9], v[106:107], v[42:43]
	v_fmac_f64_e32 v[136:137], v[86:87], v[20:21]
	v_add_f64 v[6:7], v[6:7], v[134:135]
	v_fma_f64 v[8:9], v[104:105], v[40:41], -v[8:9]
	v_mul_f64 v[140:141], v[92:93], v[30:31]
	v_fmac_f64_e32 v[138:139], v[90:91], v[24:25]
	v_add_f64 v[6:7], v[6:7], v[136:137]
	v_add_f64 v[4:5], v[4:5], v[8:9]
	s_waitcnt vmcnt(5) lgkmcnt(4)
	v_mul_f64 v[8:9], v[110:111], v[46:47]
	v_mul_f64 v[142:143], v[96:97], v[34:35]
	v_fmac_f64_e32 v[140:141], v[94:95], v[28:29]
	v_add_f64 v[6:7], v[6:7], v[138:139]
	v_fma_f64 v[8:9], v[108:109], v[44:45], -v[8:9]
	v_mul_f64 v[144:145], v[100:101], v[38:39]
	v_fmac_f64_e32 v[142:143], v[98:99], v[32:33]
	v_add_f64 v[6:7], v[6:7], v[140:141]
	v_add_f64 v[4:5], v[4:5], v[8:9]
	s_waitcnt vmcnt(4) lgkmcnt(3)
	v_mul_f64 v[8:9], v[114:115], v[50:51]
	;; [unrolled: 10-line block ×4, first 2 shown]
	v_mul_f64 v[154:155], v[120:121], v[58:59]
	v_fmac_f64_e32 v[152:153], v[118:119], v[52:53]
	v_add_f64 v[6:7], v[6:7], v[150:151]
	v_fma_f64 v[8:9], v[120:121], v[56:57], -v[8:9]
	s_waitcnt vmcnt(1) lgkmcnt(0)
	v_mul_f64 v[156:157], v[124:125], v[62:63]
	v_fmac_f64_e32 v[154:155], v[122:123], v[56:57]
	v_add_f64 v[6:7], v[6:7], v[152:153]
	v_add_f64 v[4:5], v[4:5], v[8:9]
	v_mul_f64 v[8:9], v[126:127], v[62:63]
	v_fmac_f64_e32 v[156:157], v[126:127], v[60:61]
	v_add_f64 v[6:7], v[6:7], v[154:155]
	v_fma_f64 v[8:9], v[124:125], v[60:61], -v[8:9]
	v_add_f64 v[6:7], v[6:7], v[156:157]
	v_add_f64 v[4:5], v[4:5], v[8:9]
	s_waitcnt vmcnt(0)
	v_add_f64 v[4:5], v[64:65], -v[4:5]
	v_add_f64 v[6:7], v[66:67], -v[6:7]
	scratch_store_dwordx4 off, v[4:7], off offset:528
	s_and_saveexec_b64 s[0:1], vcc
	s_cbranch_execz .LBB111_239
; %bb.238:
	scratch_load_dwordx4 v[6:9], off, s33
	v_mov_b32_e32 v3, v2
	v_mov_b32_e32 v4, v2
	;; [unrolled: 1-line block ×3, first 2 shown]
	v_accvgpr_read_b32 v0, a97
	scratch_store_dwordx4 off, v[2:5], off offset:512
	s_waitcnt vmcnt(1)
	ds_write_b128 v0, v[6:9]
.LBB111_239:
	s_or_b64 exec, exec, s[0:1]
	s_waitcnt lgkmcnt(0)
	; wave barrier
	ds_read_b128 v[16:19], v2 offset:1280
	ds_read_b128 v[12:15], v2 offset:1296
	;; [unrolled: 1-line block ×4, first 2 shown]
	scratch_load_dwordx4 v[20:23], off, off offset:528
	scratch_load_dwordx4 v[40:43], off, off offset:592
	;; [unrolled: 1-line block ×10, first 2 shown]
	v_cmp_lt_u32_e32 vcc, 30, v240
	scratch_load_dwordx4 v[48:51], off, off offset:608
	scratch_load_dwordx4 v[56:59], off, off offset:624
	;; [unrolled: 1-line block ×3, first 2 shown]
	s_waitcnt vmcnt(12) lgkmcnt(3)
	v_mul_f64 v[24:25], v[16:17], v[22:23]
	v_fmac_f64_e32 v[24:25], v[18:19], v[20:21]
	v_add_f64 v[28:29], v[24:25], 0
	scratch_load_dwordx4 v[24:27], off, off offset:544
	s_waitcnt vmcnt(0) lgkmcnt(2)
	v_mul_f64 v[30:31], v[12:13], v[26:27]
	v_fmac_f64_e32 v[30:31], v[14:15], v[24:25]
	v_add_f64 v[32:33], v[28:29], v[30:31]
	scratch_load_dwordx4 v[28:31], off, off offset:560
	v_mul_f64 v[14:15], v[14:15], v[26:27]
	v_fma_f64 v[12:13], v[12:13], v[24:25], -v[14:15]
	s_waitcnt vmcnt(0) lgkmcnt(1)
	v_mul_f64 v[34:35], v[8:9], v[30:31]
	v_fmac_f64_e32 v[34:35], v[10:11], v[28:29]
	v_add_f64 v[36:37], v[32:33], v[34:35]
	scratch_load_dwordx4 v[32:35], off, off offset:576
	v_mul_f64 v[10:11], v[10:11], v[30:31]
	v_fma_f64 v[8:9], v[8:9], v[28:29], -v[10:11]
	s_waitcnt vmcnt(0) lgkmcnt(0)
	v_mul_f64 v[38:39], v[4:5], v[34:35]
	v_fmac_f64_e32 v[38:39], v[6:7], v[32:33]
	v_add_f64 v[44:45], v[36:37], v[38:39]
	ds_read_b128 v[36:39], v2 offset:1344
	v_mul_f64 v[6:7], v[6:7], v[34:35]
	v_fma_f64 v[4:5], v[4:5], v[32:33], -v[6:7]
	s_waitcnt lgkmcnt(0)
	v_mul_f64 v[46:47], v[36:37], v[42:43]
	v_fmac_f64_e32 v[46:47], v[38:39], v[40:41]
	v_add_f64 v[52:53], v[44:45], v[46:47]
	ds_read_b128 v[44:47], v2 offset:1360
	s_waitcnt lgkmcnt(0)
	v_mul_f64 v[54:55], v[44:45], v[50:51]
	v_fmac_f64_e32 v[54:55], v[46:47], v[48:49]
	v_add_f64 v[60:61], v[52:53], v[54:55]
	ds_read_b128 v[52:55], v2 offset:1376
	s_waitcnt lgkmcnt(0)
	v_mul_f64 v[62:63], v[52:53], v[58:59]
	v_fmac_f64_e32 v[62:63], v[54:55], v[56:57]
	v_add_f64 v[64:65], v[60:61], v[62:63]
	ds_read_b128 v[60:63], v2 offset:1392
	s_waitcnt lgkmcnt(0)
	v_mul_f64 v[70:71], v[60:61], v[68:69]
	v_fmac_f64_e32 v[70:71], v[62:63], v[66:67]
	v_add_f64 v[64:65], v[64:65], v[70:71]
	ds_read_b128 v[70:73], v2 offset:1408
	s_waitcnt lgkmcnt(0)
	v_mul_f64 v[78:79], v[70:71], v[76:77]
	v_fmac_f64_e32 v[78:79], v[72:73], v[74:75]
	v_add_f64 v[64:65], v[64:65], v[78:79]
	ds_read_b128 v[78:81], v2 offset:1424
	s_waitcnt lgkmcnt(0)
	v_mul_f64 v[86:87], v[78:79], v[84:85]
	v_fmac_f64_e32 v[86:87], v[80:81], v[82:83]
	v_add_f64 v[64:65], v[64:65], v[86:87]
	ds_read_b128 v[86:89], v2 offset:1440
	s_waitcnt lgkmcnt(0)
	v_mul_f64 v[94:95], v[86:87], v[92:93]
	v_fmac_f64_e32 v[94:95], v[88:89], v[90:91]
	v_add_f64 v[64:65], v[64:65], v[94:95]
	ds_read_b128 v[94:97], v2 offset:1456
	s_waitcnt lgkmcnt(0)
	v_mul_f64 v[102:103], v[94:95], v[100:101]
	v_fmac_f64_e32 v[102:103], v[96:97], v[98:99]
	v_add_f64 v[64:65], v[64:65], v[102:103]
	ds_read_b128 v[102:105], v2 offset:1472
	s_waitcnt lgkmcnt(0)
	v_mul_f64 v[110:111], v[102:103], v[108:109]
	v_fmac_f64_e32 v[110:111], v[104:105], v[106:107]
	v_add_f64 v[64:65], v[64:65], v[110:111]
	ds_read_b128 v[110:113], v2 offset:1488
	s_waitcnt lgkmcnt(0)
	v_mul_f64 v[118:119], v[110:111], v[116:117]
	v_fmac_f64_e32 v[118:119], v[112:113], v[114:115]
	v_add_f64 v[64:65], v[64:65], v[118:119]
	ds_read_b128 v[118:121], v2 offset:1504
	s_waitcnt lgkmcnt(0)
	v_mul_f64 v[126:127], v[118:119], v[124:125]
	v_fmac_f64_e32 v[126:127], v[120:121], v[122:123]
	v_add_f64 v[64:65], v[64:65], v[126:127]
	ds_read_b128 v[126:129], v2 offset:1520
	s_waitcnt lgkmcnt(0)
	v_mul_f64 v[2:3], v[126:127], v[132:133]
	v_fmac_f64_e32 v[2:3], v[128:129], v[130:131]
	v_add_f64 v[64:65], v[64:65], v[2:3]
	v_mul_f64 v[2:3], v[18:19], v[22:23]
	v_fma_f64 v[2:3], v[16:17], v[20:21], -v[2:3]
	v_add_f64 v[2:3], v[2:3], 0
	v_add_f64 v[2:3], v[2:3], v[12:13]
	;; [unrolled: 1-line block ×4, first 2 shown]
	v_mul_f64 v[4:5], v[38:39], v[42:43]
	v_fma_f64 v[4:5], v[36:37], v[40:41], -v[4:5]
	v_add_f64 v[2:3], v[2:3], v[4:5]
	v_mul_f64 v[4:5], v[46:47], v[50:51]
	v_fma_f64 v[4:5], v[44:45], v[48:49], -v[4:5]
	v_add_f64 v[2:3], v[2:3], v[4:5]
	;; [unrolled: 3-line block ×12, first 2 shown]
	scratch_load_dwordx4 v[2:5], off, off offset:512
	s_waitcnt vmcnt(0)
	v_add_f64 v[2:3], v[2:3], -v[6:7]
	v_add_f64 v[4:5], v[4:5], -v[64:65]
	scratch_store_dwordx4 off, v[2:5], off offset:512
	s_and_saveexec_b64 s[0:1], vcc
	s_cbranch_execz .LBB111_241
; %bb.240:
	scratch_load_dwordx4 v[2:5], off, s34
	v_mov_b32_e32 v6, 0
	v_mov_b32_e32 v7, v6
	v_mov_b32_e32 v8, v6
	v_mov_b32_e32 v9, v6
	v_accvgpr_read_b32 v0, a97
	scratch_store_dwordx4 off, v[6:9], off offset:496
	s_waitcnt vmcnt(1)
	ds_write_b128 v0, v[2:5]
.LBB111_241:
	s_or_b64 exec, exec, s[0:1]
	v_mov_b32_e32 v2, 0
	s_waitcnt lgkmcnt(0)
	; wave barrier
	ds_read_b128 v[16:19], v2 offset:1264
	ds_read_b128 v[12:15], v2 offset:1280
	;; [unrolled: 1-line block ×4, first 2 shown]
	scratch_load_dwordx4 v[20:23], off, off offset:512
	scratch_load_dwordx4 v[40:43], off, off offset:576
	;; [unrolled: 1-line block ×11, first 2 shown]
	v_cmp_lt_u32_e32 vcc, 29, v240
	scratch_load_dwordx4 v[48:51], off, off offset:592
	scratch_load_dwordx4 v[56:59], off, off offset:608
	;; [unrolled: 1-line block ×3, first 2 shown]
	s_waitcnt vmcnt(13) lgkmcnt(3)
	v_mul_f64 v[24:25], v[16:17], v[22:23]
	v_fmac_f64_e32 v[24:25], v[18:19], v[20:21]
	v_add_f64 v[28:29], v[24:25], 0
	scratch_load_dwordx4 v[24:27], off, off offset:528
	v_mul_f64 v[18:19], v[18:19], v[22:23]
	v_fma_f64 v[16:17], v[16:17], v[20:21], -v[18:19]
	v_add_f64 v[16:17], v[16:17], 0
	s_waitcnt vmcnt(0) lgkmcnt(2)
	v_mul_f64 v[30:31], v[12:13], v[26:27]
	v_fmac_f64_e32 v[30:31], v[14:15], v[24:25]
	v_add_f64 v[32:33], v[28:29], v[30:31]
	scratch_load_dwordx4 v[28:31], off, off offset:544
	v_mul_f64 v[14:15], v[14:15], v[26:27]
	v_fma_f64 v[12:13], v[12:13], v[24:25], -v[14:15]
	v_add_f64 v[12:13], v[16:17], v[12:13]
	;; [unrolled: 8-line block ×3, first 2 shown]
	s_waitcnt vmcnt(0) lgkmcnt(0)
	v_mul_f64 v[38:39], v[4:5], v[34:35]
	v_fmac_f64_e32 v[38:39], v[6:7], v[32:33]
	v_add_f64 v[44:45], v[36:37], v[38:39]
	ds_read_b128 v[36:39], v2 offset:1328
	v_mul_f64 v[6:7], v[6:7], v[34:35]
	v_fma_f64 v[4:5], v[4:5], v[32:33], -v[6:7]
	v_add_f64 v[4:5], v[8:9], v[4:5]
	s_waitcnt lgkmcnt(0)
	v_mul_f64 v[46:47], v[36:37], v[42:43]
	v_fmac_f64_e32 v[46:47], v[38:39], v[40:41]
	v_add_f64 v[52:53], v[44:45], v[46:47]
	ds_read_b128 v[44:47], v2 offset:1344
	v_mul_f64 v[6:7], v[38:39], v[42:43]
	v_fma_f64 v[6:7], v[36:37], v[40:41], -v[6:7]
	v_add_f64 v[4:5], v[4:5], v[6:7]
	s_waitcnt lgkmcnt(0)
	;; [unrolled: 8-line block ×13, first 2 shown]
	v_mul_f64 v[6:7], v[136:137], v[140:141]
	v_fma_f64 v[6:7], v[134:135], v[138:139], -v[6:7]
	v_add_f64 v[8:9], v[4:5], v[6:7]
	scratch_load_dwordx4 v[4:7], off, off offset:496
	v_mul_f64 v[142:143], v[134:135], v[140:141]
	v_fmac_f64_e32 v[142:143], v[136:137], v[138:139]
	v_add_f64 v[72:73], v[72:73], v[142:143]
	s_waitcnt vmcnt(0)
	v_add_f64 v[4:5], v[4:5], -v[8:9]
	v_add_f64 v[6:7], v[6:7], -v[72:73]
	scratch_store_dwordx4 off, v[4:7], off offset:496
	s_and_saveexec_b64 s[0:1], vcc
	s_cbranch_execz .LBB111_243
; %bb.242:
	scratch_load_dwordx4 v[6:9], off, s35
	v_mov_b32_e32 v3, v2
	v_mov_b32_e32 v4, v2
	;; [unrolled: 1-line block ×3, first 2 shown]
	v_accvgpr_read_b32 v0, a97
	scratch_store_dwordx4 off, v[2:5], off offset:480
	s_waitcnt vmcnt(1)
	ds_write_b128 v0, v[6:9]
.LBB111_243:
	s_or_b64 exec, exec, s[0:1]
	s_waitcnt lgkmcnt(0)
	; wave barrier
	ds_read_b128 v[16:19], v2 offset:1248
	ds_read_b128 v[12:15], v2 offset:1264
	;; [unrolled: 1-line block ×4, first 2 shown]
	scratch_load_dwordx4 v[20:23], off, off offset:496
	scratch_load_dwordx4 v[40:43], off, off offset:560
	;; [unrolled: 1-line block ×12, first 2 shown]
	v_cmp_lt_u32_e32 vcc, 28, v240
	scratch_load_dwordx4 v[48:51], off, off offset:576
	scratch_load_dwordx4 v[56:59], off, off offset:592
	;; [unrolled: 1-line block ×3, first 2 shown]
	s_waitcnt vmcnt(14) lgkmcnt(3)
	v_mul_f64 v[24:25], v[16:17], v[22:23]
	v_fmac_f64_e32 v[24:25], v[18:19], v[20:21]
	v_add_f64 v[28:29], v[24:25], 0
	scratch_load_dwordx4 v[24:27], off, off offset:512
	s_waitcnt vmcnt(0) lgkmcnt(2)
	v_mul_f64 v[30:31], v[12:13], v[26:27]
	v_fmac_f64_e32 v[30:31], v[14:15], v[24:25]
	v_add_f64 v[32:33], v[28:29], v[30:31]
	scratch_load_dwordx4 v[28:31], off, off offset:528
	v_mul_f64 v[14:15], v[14:15], v[26:27]
	v_fma_f64 v[12:13], v[12:13], v[24:25], -v[14:15]
	s_waitcnt vmcnt(0) lgkmcnt(1)
	v_mul_f64 v[34:35], v[8:9], v[30:31]
	v_fmac_f64_e32 v[34:35], v[10:11], v[28:29]
	v_add_f64 v[36:37], v[32:33], v[34:35]
	scratch_load_dwordx4 v[32:35], off, off offset:544
	v_mul_f64 v[10:11], v[10:11], v[30:31]
	v_fma_f64 v[8:9], v[8:9], v[28:29], -v[10:11]
	s_waitcnt vmcnt(0) lgkmcnt(0)
	v_mul_f64 v[38:39], v[4:5], v[34:35]
	v_fmac_f64_e32 v[38:39], v[6:7], v[32:33]
	v_add_f64 v[44:45], v[36:37], v[38:39]
	ds_read_b128 v[36:39], v2 offset:1312
	v_mul_f64 v[6:7], v[6:7], v[34:35]
	v_fma_f64 v[4:5], v[4:5], v[32:33], -v[6:7]
	s_waitcnt lgkmcnt(0)
	v_mul_f64 v[46:47], v[36:37], v[42:43]
	v_fmac_f64_e32 v[46:47], v[38:39], v[40:41]
	v_add_f64 v[52:53], v[44:45], v[46:47]
	ds_read_b128 v[44:47], v2 offset:1328
	s_waitcnt lgkmcnt(0)
	v_mul_f64 v[54:55], v[44:45], v[50:51]
	v_fmac_f64_e32 v[54:55], v[46:47], v[48:49]
	v_add_f64 v[60:61], v[52:53], v[54:55]
	ds_read_b128 v[52:55], v2 offset:1344
	;; [unrolled: 5-line block ×13, first 2 shown]
	s_waitcnt lgkmcnt(0)
	v_mul_f64 v[2:3], v[142:143], v[148:149]
	v_fmac_f64_e32 v[2:3], v[144:145], v[146:147]
	v_add_f64 v[80:81], v[80:81], v[2:3]
	v_mul_f64 v[2:3], v[18:19], v[22:23]
	v_fma_f64 v[2:3], v[16:17], v[20:21], -v[2:3]
	v_add_f64 v[2:3], v[2:3], 0
	v_add_f64 v[2:3], v[2:3], v[12:13]
	;; [unrolled: 1-line block ×4, first 2 shown]
	v_mul_f64 v[4:5], v[38:39], v[42:43]
	v_fma_f64 v[4:5], v[36:37], v[40:41], -v[4:5]
	v_add_f64 v[2:3], v[2:3], v[4:5]
	v_mul_f64 v[4:5], v[46:47], v[50:51]
	v_fma_f64 v[4:5], v[44:45], v[48:49], -v[4:5]
	v_add_f64 v[2:3], v[2:3], v[4:5]
	;; [unrolled: 3-line block ×14, first 2 shown]
	scratch_load_dwordx4 v[2:5], off, off offset:480
	s_waitcnt vmcnt(0)
	v_add_f64 v[2:3], v[2:3], -v[6:7]
	v_add_f64 v[4:5], v[4:5], -v[80:81]
	scratch_store_dwordx4 off, v[2:5], off offset:480
	s_and_saveexec_b64 s[0:1], vcc
	s_cbranch_execz .LBB111_245
; %bb.244:
	scratch_load_dwordx4 v[2:5], off, s36
	v_mov_b32_e32 v6, 0
	v_mov_b32_e32 v7, v6
	;; [unrolled: 1-line block ×4, first 2 shown]
	v_accvgpr_read_b32 v0, a97
	scratch_store_dwordx4 off, v[6:9], off offset:464
	s_waitcnt vmcnt(1)
	ds_write_b128 v0, v[2:5]
.LBB111_245:
	s_or_b64 exec, exec, s[0:1]
	v_mov_b32_e32 v2, 0
	s_waitcnt lgkmcnt(0)
	; wave barrier
	ds_read_b128 v[16:19], v2 offset:1232
	ds_read_b128 v[12:15], v2 offset:1248
	;; [unrolled: 1-line block ×4, first 2 shown]
	scratch_load_dwordx4 v[20:23], off, off offset:480
	scratch_load_dwordx4 v[40:43], off, off offset:544
	;; [unrolled: 1-line block ×13, first 2 shown]
	v_cmp_lt_u32_e32 vcc, 27, v240
	scratch_load_dwordx4 v[48:51], off, off offset:560
	scratch_load_dwordx4 v[56:59], off, off offset:576
	;; [unrolled: 1-line block ×3, first 2 shown]
	s_waitcnt vmcnt(15) lgkmcnt(3)
	v_mul_f64 v[24:25], v[16:17], v[22:23]
	v_fmac_f64_e32 v[24:25], v[18:19], v[20:21]
	v_add_f64 v[28:29], v[24:25], 0
	scratch_load_dwordx4 v[24:27], off, off offset:496
	v_mul_f64 v[18:19], v[18:19], v[22:23]
	v_fma_f64 v[16:17], v[16:17], v[20:21], -v[18:19]
	v_add_f64 v[16:17], v[16:17], 0
	s_waitcnt vmcnt(0) lgkmcnt(2)
	v_mul_f64 v[30:31], v[12:13], v[26:27]
	v_fmac_f64_e32 v[30:31], v[14:15], v[24:25]
	v_add_f64 v[32:33], v[28:29], v[30:31]
	scratch_load_dwordx4 v[28:31], off, off offset:512
	v_mul_f64 v[14:15], v[14:15], v[26:27]
	v_fma_f64 v[12:13], v[12:13], v[24:25], -v[14:15]
	v_add_f64 v[12:13], v[16:17], v[12:13]
	;; [unrolled: 8-line block ×3, first 2 shown]
	s_waitcnt vmcnt(0) lgkmcnt(0)
	v_mul_f64 v[38:39], v[4:5], v[34:35]
	v_fmac_f64_e32 v[38:39], v[6:7], v[32:33]
	v_add_f64 v[44:45], v[36:37], v[38:39]
	ds_read_b128 v[36:39], v2 offset:1296
	v_mul_f64 v[6:7], v[6:7], v[34:35]
	v_fma_f64 v[4:5], v[4:5], v[32:33], -v[6:7]
	v_add_f64 v[4:5], v[8:9], v[4:5]
	s_waitcnt lgkmcnt(0)
	v_mul_f64 v[46:47], v[36:37], v[42:43]
	v_fmac_f64_e32 v[46:47], v[38:39], v[40:41]
	v_add_f64 v[52:53], v[44:45], v[46:47]
	ds_read_b128 v[44:47], v2 offset:1312
	v_mul_f64 v[6:7], v[38:39], v[42:43]
	v_fma_f64 v[6:7], v[36:37], v[40:41], -v[6:7]
	v_add_f64 v[4:5], v[4:5], v[6:7]
	s_waitcnt lgkmcnt(0)
	;; [unrolled: 8-line block ×15, first 2 shown]
	v_mul_f64 v[6:7], v[152:153], v[156:157]
	v_fma_f64 v[6:7], v[150:151], v[154:155], -v[6:7]
	v_add_f64 v[8:9], v[4:5], v[6:7]
	scratch_load_dwordx4 v[4:7], off, off offset:464
	v_mul_f64 v[158:159], v[150:151], v[156:157]
	v_fmac_f64_e32 v[158:159], v[152:153], v[154:155]
	v_add_f64 v[88:89], v[88:89], v[158:159]
	s_waitcnt vmcnt(0)
	v_add_f64 v[4:5], v[4:5], -v[8:9]
	v_add_f64 v[6:7], v[6:7], -v[88:89]
	scratch_store_dwordx4 off, v[4:7], off offset:464
	s_and_saveexec_b64 s[0:1], vcc
	s_cbranch_execz .LBB111_247
; %bb.246:
	scratch_load_dwordx4 v[6:9], off, s37
	v_mov_b32_e32 v3, v2
	v_mov_b32_e32 v4, v2
	;; [unrolled: 1-line block ×3, first 2 shown]
	v_accvgpr_read_b32 v0, a97
	scratch_store_dwordx4 off, v[2:5], off offset:448
	s_waitcnt vmcnt(1)
	ds_write_b128 v0, v[6:9]
.LBB111_247:
	s_or_b64 exec, exec, s[0:1]
	s_waitcnt lgkmcnt(0)
	; wave barrier
	ds_read_b128 v[16:19], v2 offset:1216
	ds_read_b128 v[12:15], v2 offset:1232
	;; [unrolled: 1-line block ×4, first 2 shown]
	scratch_load_dwordx4 v[20:23], off, off offset:464
	scratch_load_dwordx4 v[40:43], off, off offset:528
	;; [unrolled: 1-line block ×14, first 2 shown]
	v_cmp_lt_u32_e32 vcc, 26, v240
	scratch_load_dwordx4 v[48:51], off, off offset:544
	scratch_load_dwordx4 v[56:59], off, off offset:560
	;; [unrolled: 1-line block ×3, first 2 shown]
	s_waitcnt vmcnt(16) lgkmcnt(3)
	v_mul_f64 v[24:25], v[16:17], v[22:23]
	v_fmac_f64_e32 v[24:25], v[18:19], v[20:21]
	v_add_f64 v[28:29], v[24:25], 0
	scratch_load_dwordx4 v[24:27], off, off offset:480
	s_waitcnt vmcnt(0) lgkmcnt(2)
	v_mul_f64 v[30:31], v[12:13], v[26:27]
	v_fmac_f64_e32 v[30:31], v[14:15], v[24:25]
	v_add_f64 v[32:33], v[28:29], v[30:31]
	scratch_load_dwordx4 v[28:31], off, off offset:496
	v_mul_f64 v[14:15], v[14:15], v[26:27]
	v_fma_f64 v[12:13], v[12:13], v[24:25], -v[14:15]
	s_waitcnt vmcnt(0) lgkmcnt(1)
	v_mul_f64 v[34:35], v[8:9], v[30:31]
	v_fmac_f64_e32 v[34:35], v[10:11], v[28:29]
	v_add_f64 v[36:37], v[32:33], v[34:35]
	scratch_load_dwordx4 v[32:35], off, off offset:512
	v_mul_f64 v[10:11], v[10:11], v[30:31]
	v_fma_f64 v[8:9], v[8:9], v[28:29], -v[10:11]
	s_waitcnt vmcnt(0) lgkmcnt(0)
	v_mul_f64 v[38:39], v[4:5], v[34:35]
	v_fmac_f64_e32 v[38:39], v[6:7], v[32:33]
	v_add_f64 v[44:45], v[36:37], v[38:39]
	ds_read_b128 v[36:39], v2 offset:1280
	v_mul_f64 v[6:7], v[6:7], v[34:35]
	v_fma_f64 v[4:5], v[4:5], v[32:33], -v[6:7]
	s_waitcnt lgkmcnt(0)
	v_mul_f64 v[46:47], v[36:37], v[42:43]
	v_fmac_f64_e32 v[46:47], v[38:39], v[40:41]
	v_add_f64 v[52:53], v[44:45], v[46:47]
	ds_read_b128 v[44:47], v2 offset:1296
	s_waitcnt lgkmcnt(0)
	v_mul_f64 v[54:55], v[44:45], v[50:51]
	v_fmac_f64_e32 v[54:55], v[46:47], v[48:49]
	v_add_f64 v[60:61], v[52:53], v[54:55]
	ds_read_b128 v[52:55], v2 offset:1312
	;; [unrolled: 5-line block ×15, first 2 shown]
	s_waitcnt lgkmcnt(0)
	v_mul_f64 v[2:3], v[158:159], v[164:165]
	v_fmac_f64_e32 v[2:3], v[160:161], v[162:163]
	v_add_f64 v[96:97], v[96:97], v[2:3]
	v_mul_f64 v[2:3], v[18:19], v[22:23]
	v_fma_f64 v[2:3], v[16:17], v[20:21], -v[2:3]
	v_add_f64 v[2:3], v[2:3], 0
	v_add_f64 v[2:3], v[2:3], v[12:13]
	;; [unrolled: 1-line block ×4, first 2 shown]
	v_mul_f64 v[4:5], v[38:39], v[42:43]
	v_fma_f64 v[4:5], v[36:37], v[40:41], -v[4:5]
	v_add_f64 v[2:3], v[2:3], v[4:5]
	v_mul_f64 v[4:5], v[46:47], v[50:51]
	v_fma_f64 v[4:5], v[44:45], v[48:49], -v[4:5]
	v_add_f64 v[2:3], v[2:3], v[4:5]
	;; [unrolled: 3-line block ×16, first 2 shown]
	scratch_load_dwordx4 v[2:5], off, off offset:448
	s_waitcnt vmcnt(0)
	v_add_f64 v[2:3], v[2:3], -v[6:7]
	v_add_f64 v[4:5], v[4:5], -v[96:97]
	scratch_store_dwordx4 off, v[2:5], off offset:448
	s_and_saveexec_b64 s[0:1], vcc
	s_cbranch_execz .LBB111_249
; %bb.248:
	scratch_load_dwordx4 v[2:5], off, s38
	v_mov_b32_e32 v6, 0
	v_mov_b32_e32 v7, v6
	;; [unrolled: 1-line block ×4, first 2 shown]
	v_accvgpr_read_b32 v0, a97
	scratch_store_dwordx4 off, v[6:9], off offset:432
	s_waitcnt vmcnt(1)
	ds_write_b128 v0, v[2:5]
.LBB111_249:
	s_or_b64 exec, exec, s[0:1]
	v_mov_b32_e32 v2, 0
	s_waitcnt lgkmcnt(0)
	; wave barrier
	ds_read_b128 v[16:19], v2 offset:1200
	ds_read_b128 v[12:15], v2 offset:1216
	;; [unrolled: 1-line block ×4, first 2 shown]
	scratch_load_dwordx4 v[20:23], off, off offset:448
	scratch_load_dwordx4 v[40:43], off, off offset:512
	;; [unrolled: 1-line block ×15, first 2 shown]
	v_cmp_lt_u32_e32 vcc, 25, v240
	scratch_load_dwordx4 v[48:51], off, off offset:528
	scratch_load_dwordx4 v[56:59], off, off offset:544
	;; [unrolled: 1-line block ×3, first 2 shown]
	s_waitcnt vmcnt(17) lgkmcnt(3)
	v_mul_f64 v[24:25], v[16:17], v[22:23]
	v_fmac_f64_e32 v[24:25], v[18:19], v[20:21]
	v_add_f64 v[28:29], v[24:25], 0
	scratch_load_dwordx4 v[24:27], off, off offset:464
	v_mul_f64 v[18:19], v[18:19], v[22:23]
	v_fma_f64 v[16:17], v[16:17], v[20:21], -v[18:19]
	v_add_f64 v[16:17], v[16:17], 0
	s_waitcnt vmcnt(0) lgkmcnt(2)
	v_mul_f64 v[30:31], v[12:13], v[26:27]
	v_fmac_f64_e32 v[30:31], v[14:15], v[24:25]
	v_add_f64 v[32:33], v[28:29], v[30:31]
	scratch_load_dwordx4 v[28:31], off, off offset:480
	v_mul_f64 v[14:15], v[14:15], v[26:27]
	v_fma_f64 v[12:13], v[12:13], v[24:25], -v[14:15]
	v_add_f64 v[12:13], v[16:17], v[12:13]
	;; [unrolled: 8-line block ×3, first 2 shown]
	s_waitcnt vmcnt(0) lgkmcnt(0)
	v_mul_f64 v[38:39], v[4:5], v[34:35]
	v_fmac_f64_e32 v[38:39], v[6:7], v[32:33]
	v_add_f64 v[44:45], v[36:37], v[38:39]
	ds_read_b128 v[36:39], v2 offset:1264
	v_mul_f64 v[6:7], v[6:7], v[34:35]
	v_fma_f64 v[4:5], v[4:5], v[32:33], -v[6:7]
	v_add_f64 v[4:5], v[8:9], v[4:5]
	s_waitcnt lgkmcnt(0)
	v_mul_f64 v[46:47], v[36:37], v[42:43]
	v_fmac_f64_e32 v[46:47], v[38:39], v[40:41]
	v_add_f64 v[52:53], v[44:45], v[46:47]
	ds_read_b128 v[44:47], v2 offset:1280
	v_mul_f64 v[6:7], v[38:39], v[42:43]
	v_fma_f64 v[6:7], v[36:37], v[40:41], -v[6:7]
	v_add_f64 v[4:5], v[4:5], v[6:7]
	s_waitcnt lgkmcnt(0)
	;; [unrolled: 8-line block ×17, first 2 shown]
	v_mul_f64 v[6:7], v[168:169], v[172:173]
	v_fma_f64 v[6:7], v[166:167], v[170:171], -v[6:7]
	v_add_f64 v[8:9], v[4:5], v[6:7]
	scratch_load_dwordx4 v[4:7], off, off offset:432
	v_mul_f64 v[174:175], v[166:167], v[172:173]
	v_fmac_f64_e32 v[174:175], v[168:169], v[170:171]
	v_add_f64 v[104:105], v[104:105], v[174:175]
	s_waitcnt vmcnt(0)
	v_add_f64 v[4:5], v[4:5], -v[8:9]
	v_add_f64 v[6:7], v[6:7], -v[104:105]
	scratch_store_dwordx4 off, v[4:7], off offset:432
	s_and_saveexec_b64 s[0:1], vcc
	s_cbranch_execz .LBB111_251
; %bb.250:
	scratch_load_dwordx4 v[6:9], off, s39
	v_mov_b32_e32 v3, v2
	v_mov_b32_e32 v4, v2
	;; [unrolled: 1-line block ×3, first 2 shown]
	v_accvgpr_read_b32 v0, a97
	scratch_store_dwordx4 off, v[2:5], off offset:416
	s_waitcnt vmcnt(1)
	ds_write_b128 v0, v[6:9]
.LBB111_251:
	s_or_b64 exec, exec, s[0:1]
	s_waitcnt lgkmcnt(0)
	; wave barrier
	ds_read_b128 v[16:19], v2 offset:1184
	ds_read_b128 v[12:15], v2 offset:1200
	;; [unrolled: 1-line block ×4, first 2 shown]
	scratch_load_dwordx4 v[20:23], off, off offset:432
	scratch_load_dwordx4 v[40:43], off, off offset:496
	;; [unrolled: 1-line block ×16, first 2 shown]
	v_cmp_lt_u32_e32 vcc, 24, v240
	scratch_load_dwordx4 v[48:51], off, off offset:512
	scratch_load_dwordx4 v[56:59], off, off offset:528
	;; [unrolled: 1-line block ×3, first 2 shown]
	s_waitcnt vmcnt(18) lgkmcnt(3)
	v_mul_f64 v[24:25], v[16:17], v[22:23]
	v_fmac_f64_e32 v[24:25], v[18:19], v[20:21]
	v_add_f64 v[28:29], v[24:25], 0
	scratch_load_dwordx4 v[24:27], off, off offset:448
	s_waitcnt vmcnt(0) lgkmcnt(2)
	v_mul_f64 v[30:31], v[12:13], v[26:27]
	v_fmac_f64_e32 v[30:31], v[14:15], v[24:25]
	v_add_f64 v[32:33], v[28:29], v[30:31]
	scratch_load_dwordx4 v[28:31], off, off offset:464
	v_mul_f64 v[14:15], v[14:15], v[26:27]
	v_fma_f64 v[12:13], v[12:13], v[24:25], -v[14:15]
	s_waitcnt vmcnt(0) lgkmcnt(1)
	v_mul_f64 v[34:35], v[8:9], v[30:31]
	v_fmac_f64_e32 v[34:35], v[10:11], v[28:29]
	v_add_f64 v[36:37], v[32:33], v[34:35]
	scratch_load_dwordx4 v[32:35], off, off offset:480
	v_mul_f64 v[10:11], v[10:11], v[30:31]
	v_fma_f64 v[8:9], v[8:9], v[28:29], -v[10:11]
	s_waitcnt vmcnt(0) lgkmcnt(0)
	v_mul_f64 v[38:39], v[4:5], v[34:35]
	v_fmac_f64_e32 v[38:39], v[6:7], v[32:33]
	v_add_f64 v[44:45], v[36:37], v[38:39]
	ds_read_b128 v[36:39], v2 offset:1248
	v_mul_f64 v[6:7], v[6:7], v[34:35]
	v_fma_f64 v[4:5], v[4:5], v[32:33], -v[6:7]
	s_waitcnt lgkmcnt(0)
	v_mul_f64 v[46:47], v[36:37], v[42:43]
	v_fmac_f64_e32 v[46:47], v[38:39], v[40:41]
	v_add_f64 v[52:53], v[44:45], v[46:47]
	ds_read_b128 v[44:47], v2 offset:1264
	s_waitcnt lgkmcnt(0)
	v_mul_f64 v[54:55], v[44:45], v[50:51]
	v_fmac_f64_e32 v[54:55], v[46:47], v[48:49]
	v_add_f64 v[60:61], v[52:53], v[54:55]
	ds_read_b128 v[52:55], v2 offset:1280
	;; [unrolled: 5-line block ×17, first 2 shown]
	s_waitcnt lgkmcnt(0)
	v_mul_f64 v[2:3], v[174:175], v[180:181]
	v_fmac_f64_e32 v[2:3], v[176:177], v[178:179]
	v_add_f64 v[120:121], v[120:121], v[2:3]
	v_mul_f64 v[2:3], v[18:19], v[22:23]
	v_fma_f64 v[2:3], v[16:17], v[20:21], -v[2:3]
	v_add_f64 v[2:3], v[2:3], 0
	v_add_f64 v[2:3], v[2:3], v[12:13]
	;; [unrolled: 1-line block ×4, first 2 shown]
	v_mul_f64 v[4:5], v[38:39], v[42:43]
	v_fma_f64 v[4:5], v[36:37], v[40:41], -v[4:5]
	v_add_f64 v[2:3], v[2:3], v[4:5]
	v_mul_f64 v[4:5], v[46:47], v[50:51]
	v_fma_f64 v[4:5], v[44:45], v[48:49], -v[4:5]
	v_add_f64 v[2:3], v[2:3], v[4:5]
	v_mul_f64 v[4:5], v[54:55], v[58:59]
	v_fma_f64 v[4:5], v[52:53], v[56:57], -v[4:5]
	v_add_f64 v[2:3], v[2:3], v[4:5]
	v_mul_f64 v[4:5], v[62:63], v[66:67]
	v_fma_f64 v[4:5], v[60:61], v[64:65], -v[4:5]
	v_add_f64 v[2:3], v[2:3], v[4:5]
	v_mul_f64 v[4:5], v[70:71], v[74:75]
	v_fma_f64 v[4:5], v[68:69], v[72:73], -v[4:5]
	v_add_f64 v[2:3], v[2:3], v[4:5]
	v_mul_f64 v[4:5], v[78:79], v[82:83]
	v_fma_f64 v[4:5], v[76:77], v[80:81], -v[4:5]
	v_add_f64 v[2:3], v[2:3], v[4:5]
	v_mul_f64 v[4:5], v[86:87], v[90:91]
	v_fma_f64 v[4:5], v[84:85], v[88:89], -v[4:5]
	v_add_f64 v[2:3], v[2:3], v[4:5]
	v_mul_f64 v[4:5], v[94:95], v[98:99]
	v_fma_f64 v[4:5], v[92:93], v[96:97], -v[4:5]
	v_add_f64 v[2:3], v[2:3], v[4:5]
	v_mul_f64 v[4:5], v[102:103], v[106:107]
	v_fma_f64 v[4:5], v[100:101], v[104:105], -v[4:5]
	v_add_f64 v[2:3], v[2:3], v[4:5]
	v_mul_f64 v[4:5], v[110:111], v[114:115]
	v_fma_f64 v[4:5], v[108:109], v[112:113], -v[4:5]
	v_add_f64 v[2:3], v[2:3], v[4:5]
	v_mul_f64 v[4:5], v[118:119], v[124:125]
	v_fma_f64 v[4:5], v[116:117], v[122:123], -v[4:5]
	v_add_f64 v[2:3], v[2:3], v[4:5]
	v_mul_f64 v[4:5], v[128:129], v[132:133]
	v_fma_f64 v[4:5], v[126:127], v[130:131], -v[4:5]
	v_add_f64 v[2:3], v[2:3], v[4:5]
	v_mul_f64 v[4:5], v[136:137], v[140:141]
	v_fma_f64 v[4:5], v[134:135], v[138:139], -v[4:5]
	v_add_f64 v[2:3], v[2:3], v[4:5]
	v_mul_f64 v[4:5], v[144:145], v[148:149]
	v_fma_f64 v[4:5], v[142:143], v[146:147], -v[4:5]
	v_add_f64 v[2:3], v[2:3], v[4:5]
	v_mul_f64 v[4:5], v[152:153], v[156:157]
	v_fma_f64 v[4:5], v[150:151], v[154:155], -v[4:5]
	v_add_f64 v[2:3], v[2:3], v[4:5]
	v_mul_f64 v[4:5], v[160:161], v[164:165]
	v_fma_f64 v[4:5], v[158:159], v[162:163], -v[4:5]
	v_add_f64 v[2:3], v[2:3], v[4:5]
	v_mul_f64 v[4:5], v[168:169], v[172:173]
	v_fma_f64 v[4:5], v[166:167], v[170:171], -v[4:5]
	v_add_f64 v[2:3], v[2:3], v[4:5]
	v_mul_f64 v[4:5], v[176:177], v[180:181]
	v_fma_f64 v[4:5], v[174:175], v[178:179], -v[4:5]
	v_add_f64 v[6:7], v[2:3], v[4:5]
	scratch_load_dwordx4 v[2:5], off, off offset:416
	s_waitcnt vmcnt(0)
	v_add_f64 v[2:3], v[2:3], -v[6:7]
	v_add_f64 v[4:5], v[4:5], -v[120:121]
	scratch_store_dwordx4 off, v[2:5], off offset:416
	s_and_saveexec_b64 s[0:1], vcc
	s_cbranch_execz .LBB111_253
; %bb.252:
	scratch_load_dwordx4 v[2:5], off, s40
	v_mov_b32_e32 v6, 0
	v_mov_b32_e32 v7, v6
	;; [unrolled: 1-line block ×4, first 2 shown]
	v_accvgpr_read_b32 v0, a97
	scratch_store_dwordx4 off, v[6:9], off offset:400
	s_waitcnt vmcnt(1)
	ds_write_b128 v0, v[2:5]
.LBB111_253:
	s_or_b64 exec, exec, s[0:1]
	v_mov_b32_e32 v2, 0
	s_waitcnt lgkmcnt(0)
	; wave barrier
	ds_read_b128 v[16:19], v2 offset:1168
	ds_read_b128 v[12:15], v2 offset:1184
	;; [unrolled: 1-line block ×4, first 2 shown]
	scratch_load_dwordx4 v[20:23], off, off offset:416
	scratch_load_dwordx4 v[40:43], off, off offset:480
	;; [unrolled: 1-line block ×17, first 2 shown]
	v_cmp_lt_u32_e32 vcc, 23, v240
	scratch_load_dwordx4 v[48:51], off, off offset:496
	scratch_load_dwordx4 v[56:59], off, off offset:512
	;; [unrolled: 1-line block ×3, first 2 shown]
	s_waitcnt vmcnt(19) lgkmcnt(3)
	v_mul_f64 v[24:25], v[16:17], v[22:23]
	v_fmac_f64_e32 v[24:25], v[18:19], v[20:21]
	v_add_f64 v[28:29], v[24:25], 0
	scratch_load_dwordx4 v[24:27], off, off offset:432
	v_mul_f64 v[18:19], v[18:19], v[22:23]
	v_fma_f64 v[16:17], v[16:17], v[20:21], -v[18:19]
	v_add_f64 v[16:17], v[16:17], 0
	s_waitcnt vmcnt(0) lgkmcnt(2)
	v_mul_f64 v[30:31], v[12:13], v[26:27]
	v_fmac_f64_e32 v[30:31], v[14:15], v[24:25]
	v_add_f64 v[32:33], v[28:29], v[30:31]
	scratch_load_dwordx4 v[28:31], off, off offset:448
	v_mul_f64 v[14:15], v[14:15], v[26:27]
	v_fma_f64 v[12:13], v[12:13], v[24:25], -v[14:15]
	v_add_f64 v[12:13], v[16:17], v[12:13]
	;; [unrolled: 8-line block ×3, first 2 shown]
	s_waitcnt vmcnt(0) lgkmcnt(0)
	v_mul_f64 v[38:39], v[4:5], v[34:35]
	v_fmac_f64_e32 v[38:39], v[6:7], v[32:33]
	v_add_f64 v[44:45], v[36:37], v[38:39]
	ds_read_b128 v[36:39], v2 offset:1232
	v_mul_f64 v[6:7], v[6:7], v[34:35]
	v_fma_f64 v[4:5], v[4:5], v[32:33], -v[6:7]
	v_add_f64 v[4:5], v[8:9], v[4:5]
	s_waitcnt lgkmcnt(0)
	v_mul_f64 v[46:47], v[36:37], v[42:43]
	v_fmac_f64_e32 v[46:47], v[38:39], v[40:41]
	v_add_f64 v[52:53], v[44:45], v[46:47]
	ds_read_b128 v[44:47], v2 offset:1248
	v_mul_f64 v[6:7], v[38:39], v[42:43]
	v_fma_f64 v[6:7], v[36:37], v[40:41], -v[6:7]
	v_add_f64 v[4:5], v[4:5], v[6:7]
	s_waitcnt lgkmcnt(0)
	;; [unrolled: 8-line block ×19, first 2 shown]
	v_mul_f64 v[6:7], v[184:185], v[188:189]
	v_fma_f64 v[6:7], v[182:183], v[186:187], -v[6:7]
	v_add_f64 v[8:9], v[4:5], v[6:7]
	scratch_load_dwordx4 v[4:7], off, off offset:400
	v_mul_f64 v[190:191], v[182:183], v[188:189]
	v_fmac_f64_e32 v[190:191], v[184:185], v[186:187]
	v_add_f64 v[128:129], v[128:129], v[190:191]
	s_waitcnt vmcnt(0)
	v_add_f64 v[4:5], v[4:5], -v[8:9]
	v_add_f64 v[6:7], v[6:7], -v[128:129]
	scratch_store_dwordx4 off, v[4:7], off offset:400
	s_and_saveexec_b64 s[0:1], vcc
	s_cbranch_execz .LBB111_255
; %bb.254:
	scratch_load_dwordx4 v[6:9], off, s41
	v_mov_b32_e32 v3, v2
	v_mov_b32_e32 v4, v2
	v_mov_b32_e32 v5, v2
	v_accvgpr_read_b32 v0, a97
	scratch_store_dwordx4 off, v[2:5], off offset:384
	s_waitcnt vmcnt(1)
	ds_write_b128 v0, v[6:9]
.LBB111_255:
	s_or_b64 exec, exec, s[0:1]
	s_waitcnt lgkmcnt(0)
	; wave barrier
	ds_read_b128 v[16:19], v2 offset:1152
	ds_read_b128 v[12:15], v2 offset:1168
	;; [unrolled: 1-line block ×4, first 2 shown]
	scratch_load_dwordx4 v[20:23], off, off offset:400
	scratch_load_dwordx4 v[40:43], off, off offset:464
	;; [unrolled: 1-line block ×18, first 2 shown]
	v_cmp_lt_u32_e32 vcc, 22, v240
	scratch_load_dwordx4 v[48:51], off, off offset:480
	scratch_load_dwordx4 v[56:59], off, off offset:496
	;; [unrolled: 1-line block ×3, first 2 shown]
	s_waitcnt vmcnt(20) lgkmcnt(3)
	v_mul_f64 v[24:25], v[16:17], v[22:23]
	v_fmac_f64_e32 v[24:25], v[18:19], v[20:21]
	v_add_f64 v[28:29], v[24:25], 0
	scratch_load_dwordx4 v[24:27], off, off offset:416
	s_waitcnt vmcnt(0) lgkmcnt(2)
	v_mul_f64 v[30:31], v[12:13], v[26:27]
	v_fmac_f64_e32 v[30:31], v[14:15], v[24:25]
	v_add_f64 v[32:33], v[28:29], v[30:31]
	scratch_load_dwordx4 v[28:31], off, off offset:432
	v_mul_f64 v[14:15], v[14:15], v[26:27]
	v_fma_f64 v[12:13], v[12:13], v[24:25], -v[14:15]
	s_waitcnt vmcnt(0) lgkmcnt(1)
	v_mul_f64 v[34:35], v[8:9], v[30:31]
	v_fmac_f64_e32 v[34:35], v[10:11], v[28:29]
	v_add_f64 v[36:37], v[32:33], v[34:35]
	scratch_load_dwordx4 v[32:35], off, off offset:448
	v_mul_f64 v[10:11], v[10:11], v[30:31]
	v_fma_f64 v[8:9], v[8:9], v[28:29], -v[10:11]
	s_waitcnt vmcnt(0) lgkmcnt(0)
	v_mul_f64 v[38:39], v[4:5], v[34:35]
	v_fmac_f64_e32 v[38:39], v[6:7], v[32:33]
	v_add_f64 v[44:45], v[36:37], v[38:39]
	ds_read_b128 v[36:39], v2 offset:1216
	v_mul_f64 v[6:7], v[6:7], v[34:35]
	v_fma_f64 v[4:5], v[4:5], v[32:33], -v[6:7]
	s_waitcnt lgkmcnt(0)
	v_mul_f64 v[46:47], v[36:37], v[42:43]
	v_fmac_f64_e32 v[46:47], v[38:39], v[40:41]
	v_add_f64 v[52:53], v[44:45], v[46:47]
	ds_read_b128 v[44:47], v2 offset:1232
	s_waitcnt lgkmcnt(0)
	v_mul_f64 v[54:55], v[44:45], v[50:51]
	v_fmac_f64_e32 v[54:55], v[46:47], v[48:49]
	v_add_f64 v[60:61], v[52:53], v[54:55]
	ds_read_b128 v[52:55], v2 offset:1248
	;; [unrolled: 5-line block ×19, first 2 shown]
	s_waitcnt lgkmcnt(0)
	v_mul_f64 v[2:3], v[190:191], v[196:197]
	v_fmac_f64_e32 v[2:3], v[192:193], v[194:195]
	v_add_f64 v[148:149], v[148:149], v[2:3]
	v_mul_f64 v[2:3], v[18:19], v[22:23]
	v_fma_f64 v[2:3], v[16:17], v[20:21], -v[2:3]
	v_add_f64 v[2:3], v[2:3], 0
	v_add_f64 v[2:3], v[2:3], v[12:13]
	;; [unrolled: 1-line block ×4, first 2 shown]
	v_mul_f64 v[4:5], v[38:39], v[42:43]
	v_fma_f64 v[4:5], v[36:37], v[40:41], -v[4:5]
	v_add_f64 v[2:3], v[2:3], v[4:5]
	v_mul_f64 v[4:5], v[46:47], v[50:51]
	v_fma_f64 v[4:5], v[44:45], v[48:49], -v[4:5]
	v_add_f64 v[2:3], v[2:3], v[4:5]
	;; [unrolled: 3-line block ×20, first 2 shown]
	scratch_load_dwordx4 v[2:5], off, off offset:384
	s_waitcnt vmcnt(0)
	v_add_f64 v[2:3], v[2:3], -v[6:7]
	v_add_f64 v[4:5], v[4:5], -v[148:149]
	scratch_store_dwordx4 off, v[2:5], off offset:384
	s_and_saveexec_b64 s[0:1], vcc
	s_cbranch_execz .LBB111_257
; %bb.256:
	scratch_load_dwordx4 v[2:5], off, s42
	v_mov_b32_e32 v6, 0
	v_mov_b32_e32 v7, v6
	;; [unrolled: 1-line block ×4, first 2 shown]
	v_accvgpr_read_b32 v0, a97
	scratch_store_dwordx4 off, v[6:9], off offset:368
	s_waitcnt vmcnt(1)
	ds_write_b128 v0, v[2:5]
.LBB111_257:
	s_or_b64 exec, exec, s[0:1]
	v_mov_b32_e32 v2, 0
	s_waitcnt lgkmcnt(0)
	; wave barrier
	ds_read_b128 v[16:19], v2 offset:1136
	ds_read_b128 v[12:15], v2 offset:1152
	;; [unrolled: 1-line block ×4, first 2 shown]
	scratch_load_dwordx4 v[20:23], off, off offset:384
	scratch_load_dwordx4 v[40:43], off, off offset:448
	;; [unrolled: 1-line block ×19, first 2 shown]
	v_cmp_lt_u32_e32 vcc, 21, v240
	scratch_load_dwordx4 v[48:51], off, off offset:464
	scratch_load_dwordx4 v[56:59], off, off offset:480
	;; [unrolled: 1-line block ×3, first 2 shown]
	s_waitcnt vmcnt(21) lgkmcnt(3)
	v_mul_f64 v[24:25], v[16:17], v[22:23]
	v_fmac_f64_e32 v[24:25], v[18:19], v[20:21]
	v_add_f64 v[28:29], v[24:25], 0
	scratch_load_dwordx4 v[24:27], off, off offset:400
	v_mul_f64 v[18:19], v[18:19], v[22:23]
	v_fma_f64 v[16:17], v[16:17], v[20:21], -v[18:19]
	v_add_f64 v[16:17], v[16:17], 0
	s_waitcnt vmcnt(0) lgkmcnt(2)
	v_mul_f64 v[30:31], v[12:13], v[26:27]
	v_fmac_f64_e32 v[30:31], v[14:15], v[24:25]
	v_add_f64 v[32:33], v[28:29], v[30:31]
	scratch_load_dwordx4 v[28:31], off, off offset:416
	v_mul_f64 v[14:15], v[14:15], v[26:27]
	v_fma_f64 v[12:13], v[12:13], v[24:25], -v[14:15]
	v_add_f64 v[12:13], v[16:17], v[12:13]
	s_waitcnt vmcnt(0) lgkmcnt(1)
	v_mul_f64 v[34:35], v[8:9], v[30:31]
	v_fmac_f64_e32 v[34:35], v[10:11], v[28:29]
	v_add_f64 v[36:37], v[32:33], v[34:35]
	scratch_load_dwordx4 v[32:35], off, off offset:432
	v_mul_f64 v[10:11], v[10:11], v[30:31]
	v_fma_f64 v[8:9], v[8:9], v[28:29], -v[10:11]
	v_add_f64 v[8:9], v[12:13], v[8:9]
	s_waitcnt vmcnt(0) lgkmcnt(0)
	v_mul_f64 v[38:39], v[4:5], v[34:35]
	v_fmac_f64_e32 v[38:39], v[6:7], v[32:33]
	v_add_f64 v[44:45], v[36:37], v[38:39]
	ds_read_b128 v[36:39], v2 offset:1200
	v_mul_f64 v[6:7], v[6:7], v[34:35]
	v_fma_f64 v[4:5], v[4:5], v[32:33], -v[6:7]
	v_add_f64 v[4:5], v[8:9], v[4:5]
	s_waitcnt lgkmcnt(0)
	v_mul_f64 v[46:47], v[36:37], v[42:43]
	v_fmac_f64_e32 v[46:47], v[38:39], v[40:41]
	v_add_f64 v[52:53], v[44:45], v[46:47]
	ds_read_b128 v[44:47], v2 offset:1216
	v_mul_f64 v[6:7], v[38:39], v[42:43]
	v_fma_f64 v[6:7], v[36:37], v[40:41], -v[6:7]
	v_add_f64 v[4:5], v[4:5], v[6:7]
	s_waitcnt lgkmcnt(0)
	;; [unrolled: 8-line block ×21, first 2 shown]
	v_mul_f64 v[6:7], v[200:201], v[204:205]
	v_fma_f64 v[6:7], v[198:199], v[202:203], -v[6:7]
	v_add_f64 v[8:9], v[4:5], v[6:7]
	scratch_load_dwordx4 v[4:7], off, off offset:368
	v_mul_f64 v[206:207], v[198:199], v[204:205]
	v_fmac_f64_e32 v[206:207], v[200:201], v[202:203]
	v_add_f64 v[144:145], v[144:145], v[206:207]
	s_waitcnt vmcnt(0)
	v_add_f64 v[4:5], v[4:5], -v[8:9]
	v_add_f64 v[6:7], v[6:7], -v[144:145]
	scratch_store_dwordx4 off, v[4:7], off offset:368
	s_and_saveexec_b64 s[0:1], vcc
	s_cbranch_execz .LBB111_259
; %bb.258:
	scratch_load_dwordx4 v[6:9], off, s43
	v_mov_b32_e32 v3, v2
	v_mov_b32_e32 v4, v2
	;; [unrolled: 1-line block ×3, first 2 shown]
	v_accvgpr_read_b32 v0, a97
	scratch_store_dwordx4 off, v[2:5], off offset:352
	s_waitcnt vmcnt(1)
	ds_write_b128 v0, v[6:9]
.LBB111_259:
	s_or_b64 exec, exec, s[0:1]
	s_waitcnt lgkmcnt(0)
	; wave barrier
	ds_read_b128 v[16:19], v2 offset:1120
	ds_read_b128 v[12:15], v2 offset:1136
	;; [unrolled: 1-line block ×4, first 2 shown]
	scratch_load_dwordx4 v[20:23], off, off offset:368
	scratch_load_dwordx4 v[40:43], off, off offset:432
	;; [unrolled: 1-line block ×20, first 2 shown]
	v_cmp_lt_u32_e32 vcc, 20, v240
	scratch_load_dwordx4 v[48:51], off, off offset:448
	scratch_load_dwordx4 v[56:59], off, off offset:464
	;; [unrolled: 1-line block ×3, first 2 shown]
	s_waitcnt vmcnt(22) lgkmcnt(3)
	v_mul_f64 v[24:25], v[16:17], v[22:23]
	v_fmac_f64_e32 v[24:25], v[18:19], v[20:21]
	v_add_f64 v[28:29], v[24:25], 0
	scratch_load_dwordx4 v[24:27], off, off offset:384
	s_waitcnt vmcnt(0) lgkmcnt(2)
	v_mul_f64 v[30:31], v[12:13], v[26:27]
	v_fmac_f64_e32 v[30:31], v[14:15], v[24:25]
	v_add_f64 v[32:33], v[28:29], v[30:31]
	scratch_load_dwordx4 v[28:31], off, off offset:400
	v_mul_f64 v[14:15], v[14:15], v[26:27]
	v_fma_f64 v[12:13], v[12:13], v[24:25], -v[14:15]
	s_waitcnt vmcnt(0) lgkmcnt(1)
	v_mul_f64 v[34:35], v[8:9], v[30:31]
	v_fmac_f64_e32 v[34:35], v[10:11], v[28:29]
	v_add_f64 v[36:37], v[32:33], v[34:35]
	scratch_load_dwordx4 v[32:35], off, off offset:416
	v_mul_f64 v[10:11], v[10:11], v[30:31]
	v_fma_f64 v[8:9], v[8:9], v[28:29], -v[10:11]
	s_waitcnt vmcnt(0) lgkmcnt(0)
	v_mul_f64 v[38:39], v[4:5], v[34:35]
	v_fmac_f64_e32 v[38:39], v[6:7], v[32:33]
	v_add_f64 v[44:45], v[36:37], v[38:39]
	ds_read_b128 v[36:39], v2 offset:1184
	v_mul_f64 v[6:7], v[6:7], v[34:35]
	v_fma_f64 v[4:5], v[4:5], v[32:33], -v[6:7]
	s_waitcnt lgkmcnt(0)
	v_mul_f64 v[46:47], v[36:37], v[42:43]
	v_fmac_f64_e32 v[46:47], v[38:39], v[40:41]
	v_add_f64 v[52:53], v[44:45], v[46:47]
	ds_read_b128 v[44:47], v2 offset:1200
	s_waitcnt lgkmcnt(0)
	v_mul_f64 v[54:55], v[44:45], v[50:51]
	v_fmac_f64_e32 v[54:55], v[46:47], v[48:49]
	v_add_f64 v[60:61], v[52:53], v[54:55]
	ds_read_b128 v[52:55], v2 offset:1216
	;; [unrolled: 5-line block ×21, first 2 shown]
	s_waitcnt lgkmcnt(0)
	v_mul_f64 v[2:3], v[206:207], v[212:213]
	v_fmac_f64_e32 v[2:3], v[208:209], v[210:211]
	v_add_f64 v[168:169], v[168:169], v[2:3]
	v_mul_f64 v[2:3], v[18:19], v[22:23]
	v_fma_f64 v[2:3], v[16:17], v[20:21], -v[2:3]
	v_add_f64 v[2:3], v[2:3], 0
	v_add_f64 v[2:3], v[2:3], v[12:13]
	;; [unrolled: 1-line block ×4, first 2 shown]
	v_mul_f64 v[4:5], v[38:39], v[42:43]
	v_fma_f64 v[4:5], v[36:37], v[40:41], -v[4:5]
	v_add_f64 v[2:3], v[2:3], v[4:5]
	v_mul_f64 v[4:5], v[46:47], v[50:51]
	v_fma_f64 v[4:5], v[44:45], v[48:49], -v[4:5]
	v_add_f64 v[2:3], v[2:3], v[4:5]
	;; [unrolled: 3-line block ×22, first 2 shown]
	scratch_load_dwordx4 v[2:5], off, off offset:352
	s_waitcnt vmcnt(0)
	v_add_f64 v[2:3], v[2:3], -v[6:7]
	v_add_f64 v[4:5], v[4:5], -v[168:169]
	scratch_store_dwordx4 off, v[2:5], off offset:352
	s_and_saveexec_b64 s[0:1], vcc
	s_cbranch_execz .LBB111_261
; %bb.260:
	scratch_load_dwordx4 v[2:5], off, s44
	v_mov_b32_e32 v6, 0
	v_mov_b32_e32 v7, v6
	;; [unrolled: 1-line block ×4, first 2 shown]
	v_accvgpr_read_b32 v0, a97
	scratch_store_dwordx4 off, v[6:9], off offset:336
	s_waitcnt vmcnt(1)
	ds_write_b128 v0, v[2:5]
.LBB111_261:
	s_or_b64 exec, exec, s[0:1]
	v_mov_b32_e32 v2, 0
	s_waitcnt lgkmcnt(0)
	; wave barrier
	ds_read_b128 v[16:19], v2 offset:1104
	ds_read_b128 v[12:15], v2 offset:1120
	;; [unrolled: 1-line block ×4, first 2 shown]
	scratch_load_dwordx4 v[20:23], off, off offset:352
	scratch_load_dwordx4 v[40:43], off, off offset:416
	scratch_load_dwordx4 v[72:75], off, off offset:480
	scratch_load_dwordx4 v[80:83], off, off offset:496
	scratch_load_dwordx4 v[88:91], off, off offset:512
	scratch_load_dwordx4 v[96:99], off, off offset:528
	scratch_load_dwordx4 v[104:107], off, off offset:544
	scratch_load_dwordx4 v[112:115], off, off offset:560
	scratch_load_dwordx4 v[120:123], off, off offset:576
	scratch_load_dwordx4 v[128:131], off, off offset:592
	scratch_load_dwordx4 v[136:139], off, off offset:608
	scratch_load_dwordx4 v[144:147], off, off offset:624
	scratch_load_dwordx4 v[152:155], off, off offset:640
	scratch_load_dwordx4 v[162:165], off, off offset:656
	scratch_load_dwordx4 v[170:173], off, off offset:672
	scratch_load_dwordx4 v[178:181], off, off offset:688
	scratch_load_dwordx4 v[186:189], off, off offset:704
	scratch_load_dwordx4 v[194:197], off, off offset:720
	scratch_load_dwordx4 v[202:205], off, off offset:736
	scratch_load_dwordx4 v[210:213], off, off offset:752
	scratch_load_dwordx4 v[218:221], off, off offset:768
	v_cmp_lt_u32_e32 vcc, 19, v240
	scratch_load_dwordx4 v[48:51], off, off offset:432
	scratch_load_dwordx4 v[56:59], off, off offset:448
	;; [unrolled: 1-line block ×3, first 2 shown]
	s_waitcnt vmcnt(23) lgkmcnt(3)
	v_mul_f64 v[24:25], v[16:17], v[22:23]
	v_fmac_f64_e32 v[24:25], v[18:19], v[20:21]
	v_add_f64 v[28:29], v[24:25], 0
	scratch_load_dwordx4 v[24:27], off, off offset:368
	v_mul_f64 v[18:19], v[18:19], v[22:23]
	v_fma_f64 v[16:17], v[16:17], v[20:21], -v[18:19]
	v_add_f64 v[16:17], v[16:17], 0
	s_waitcnt vmcnt(0) lgkmcnt(2)
	v_mul_f64 v[30:31], v[12:13], v[26:27]
	v_fmac_f64_e32 v[30:31], v[14:15], v[24:25]
	v_add_f64 v[32:33], v[28:29], v[30:31]
	scratch_load_dwordx4 v[28:31], off, off offset:384
	v_mul_f64 v[14:15], v[14:15], v[26:27]
	v_fma_f64 v[12:13], v[12:13], v[24:25], -v[14:15]
	v_add_f64 v[12:13], v[16:17], v[12:13]
	;; [unrolled: 8-line block ×3, first 2 shown]
	s_waitcnt vmcnt(0) lgkmcnt(0)
	v_mul_f64 v[38:39], v[4:5], v[34:35]
	v_fmac_f64_e32 v[38:39], v[6:7], v[32:33]
	v_add_f64 v[44:45], v[36:37], v[38:39]
	ds_read_b128 v[36:39], v2 offset:1168
	v_mul_f64 v[6:7], v[6:7], v[34:35]
	v_fma_f64 v[4:5], v[4:5], v[32:33], -v[6:7]
	v_add_f64 v[4:5], v[8:9], v[4:5]
	s_waitcnt lgkmcnt(0)
	v_mul_f64 v[46:47], v[36:37], v[42:43]
	v_fmac_f64_e32 v[46:47], v[38:39], v[40:41]
	v_add_f64 v[52:53], v[44:45], v[46:47]
	ds_read_b128 v[44:47], v2 offset:1184
	v_mul_f64 v[6:7], v[38:39], v[42:43]
	v_fma_f64 v[6:7], v[36:37], v[40:41], -v[6:7]
	v_add_f64 v[4:5], v[4:5], v[6:7]
	s_waitcnt lgkmcnt(0)
	;; [unrolled: 8-line block ×23, first 2 shown]
	v_mul_f64 v[6:7], v[216:217], v[220:221]
	v_fma_f64 v[6:7], v[214:215], v[218:219], -v[6:7]
	v_add_f64 v[8:9], v[4:5], v[6:7]
	scratch_load_dwordx4 v[4:7], off, off offset:336
	v_mul_f64 v[222:223], v[214:215], v[220:221]
	v_fmac_f64_e32 v[222:223], v[216:217], v[218:219]
	v_add_f64 v[160:161], v[160:161], v[222:223]
	s_waitcnt vmcnt(0)
	v_add_f64 v[4:5], v[4:5], -v[8:9]
	v_add_f64 v[6:7], v[6:7], -v[160:161]
	scratch_store_dwordx4 off, v[4:7], off offset:336
	s_and_saveexec_b64 s[0:1], vcc
	s_cbranch_execz .LBB111_263
; %bb.262:
	scratch_load_dwordx4 v[6:9], off, s45
	v_mov_b32_e32 v3, v2
	v_mov_b32_e32 v4, v2
	;; [unrolled: 1-line block ×3, first 2 shown]
	v_accvgpr_read_b32 v0, a97
	scratch_store_dwordx4 off, v[2:5], off offset:320
	s_waitcnt vmcnt(1)
	ds_write_b128 v0, v[6:9]
.LBB111_263:
	s_or_b64 exec, exec, s[0:1]
	s_waitcnt lgkmcnt(0)
	; wave barrier
	ds_read_b128 v[16:19], v2 offset:1088
	ds_read_b128 v[12:15], v2 offset:1104
	;; [unrolled: 1-line block ×4, first 2 shown]
	scratch_load_dwordx4 v[20:23], off, off offset:336
	scratch_load_dwordx4 v[40:43], off, off offset:400
	;; [unrolled: 1-line block ×22, first 2 shown]
	v_cmp_lt_u32_e32 vcc, 18, v240
	scratch_load_dwordx4 v[48:51], off, off offset:416
	scratch_load_dwordx4 v[56:59], off, off offset:432
	scratch_load_dwordx4 v[64:67], off, off offset:448
	s_waitcnt vmcnt(24) lgkmcnt(3)
	v_mul_f64 v[24:25], v[16:17], v[22:23]
	v_fmac_f64_e32 v[24:25], v[18:19], v[20:21]
	v_add_f64 v[28:29], v[24:25], 0
	scratch_load_dwordx4 v[24:27], off, off offset:352
	s_waitcnt vmcnt(0) lgkmcnt(2)
	v_mul_f64 v[30:31], v[12:13], v[26:27]
	v_fmac_f64_e32 v[30:31], v[14:15], v[24:25]
	v_add_f64 v[32:33], v[28:29], v[30:31]
	scratch_load_dwordx4 v[28:31], off, off offset:368
	v_mul_f64 v[14:15], v[14:15], v[26:27]
	v_fma_f64 v[12:13], v[12:13], v[24:25], -v[14:15]
	s_waitcnt vmcnt(0) lgkmcnt(1)
	v_mul_f64 v[34:35], v[8:9], v[30:31]
	v_fmac_f64_e32 v[34:35], v[10:11], v[28:29]
	v_add_f64 v[36:37], v[32:33], v[34:35]
	scratch_load_dwordx4 v[32:35], off, off offset:384
	v_mul_f64 v[10:11], v[10:11], v[30:31]
	v_fma_f64 v[8:9], v[8:9], v[28:29], -v[10:11]
	s_waitcnt vmcnt(0) lgkmcnt(0)
	v_mul_f64 v[38:39], v[4:5], v[34:35]
	v_fmac_f64_e32 v[38:39], v[6:7], v[32:33]
	v_add_f64 v[44:45], v[36:37], v[38:39]
	ds_read_b128 v[36:39], v2 offset:1152
	v_mul_f64 v[6:7], v[6:7], v[34:35]
	v_fma_f64 v[4:5], v[4:5], v[32:33], -v[6:7]
	s_waitcnt lgkmcnt(0)
	v_mul_f64 v[46:47], v[36:37], v[42:43]
	v_fmac_f64_e32 v[46:47], v[38:39], v[40:41]
	v_add_f64 v[52:53], v[44:45], v[46:47]
	ds_read_b128 v[44:47], v2 offset:1168
	s_waitcnt lgkmcnt(0)
	v_mul_f64 v[54:55], v[44:45], v[50:51]
	v_fmac_f64_e32 v[54:55], v[46:47], v[48:49]
	v_add_f64 v[60:61], v[52:53], v[54:55]
	ds_read_b128 v[52:55], v2 offset:1184
	;; [unrolled: 5-line block ×23, first 2 shown]
	s_waitcnt lgkmcnt(0)
	v_mul_f64 v[2:3], v[222:223], v[228:229]
	v_fmac_f64_e32 v[2:3], v[224:225], v[226:227]
	v_add_f64 v[176:177], v[176:177], v[2:3]
	v_mul_f64 v[2:3], v[18:19], v[22:23]
	v_fma_f64 v[2:3], v[16:17], v[20:21], -v[2:3]
	v_add_f64 v[2:3], v[2:3], 0
	v_add_f64 v[2:3], v[2:3], v[12:13]
	;; [unrolled: 1-line block ×4, first 2 shown]
	v_mul_f64 v[4:5], v[38:39], v[42:43]
	v_fma_f64 v[4:5], v[36:37], v[40:41], -v[4:5]
	v_add_f64 v[2:3], v[2:3], v[4:5]
	v_mul_f64 v[4:5], v[46:47], v[50:51]
	v_fma_f64 v[4:5], v[44:45], v[48:49], -v[4:5]
	v_add_f64 v[2:3], v[2:3], v[4:5]
	;; [unrolled: 3-line block ×24, first 2 shown]
	scratch_load_dwordx4 v[2:5], off, off offset:320
	s_waitcnt vmcnt(0)
	v_add_f64 v[2:3], v[2:3], -v[6:7]
	v_add_f64 v[4:5], v[4:5], -v[176:177]
	scratch_store_dwordx4 off, v[2:5], off offset:320
	s_and_saveexec_b64 s[0:1], vcc
	s_cbranch_execz .LBB111_265
; %bb.264:
	scratch_load_dwordx4 v[2:5], off, s46
	v_mov_b32_e32 v6, 0
	v_mov_b32_e32 v7, v6
	;; [unrolled: 1-line block ×4, first 2 shown]
	v_accvgpr_read_b32 v0, a97
	scratch_store_dwordx4 off, v[6:9], off offset:304
	s_waitcnt vmcnt(1)
	ds_write_b128 v0, v[2:5]
.LBB111_265:
	s_or_b64 exec, exec, s[0:1]
	v_mov_b32_e32 v2, 0
	s_waitcnt lgkmcnt(0)
	; wave barrier
	ds_read_b128 v[16:19], v2 offset:1072
	ds_read_b128 v[12:15], v2 offset:1088
	;; [unrolled: 1-line block ×4, first 2 shown]
	scratch_load_dwordx4 v[20:23], off, off offset:320
	scratch_load_dwordx4 v[40:43], off, off offset:384
	scratch_load_dwordx4 v[72:75], off, off offset:448
	scratch_load_dwordx4 v[80:83], off, off offset:464
	scratch_load_dwordx4 v[88:91], off, off offset:480
	scratch_load_dwordx4 v[96:99], off, off offset:496
	scratch_load_dwordx4 v[104:107], off, off offset:512
	scratch_load_dwordx4 v[112:115], off, off offset:528
	scratch_load_dwordx4 v[120:123], off, off offset:544
	scratch_load_dwordx4 v[128:131], off, off offset:560
	scratch_load_dwordx4 v[136:139], off, off offset:576
	scratch_load_dwordx4 v[144:147], off, off offset:592
	scratch_load_dwordx4 v[152:155], off, off offset:608
	scratch_load_dwordx4 v[160:163], off, off offset:624
	scratch_load_dwordx4 v[168:171], off, off offset:640
	scratch_load_dwordx4 v[178:181], off, off offset:656
	scratch_load_dwordx4 v[186:189], off, off offset:672
	scratch_load_dwordx4 v[194:197], off, off offset:688
	scratch_load_dwordx4 v[202:205], off, off offset:704
	scratch_load_dwordx4 v[210:213], off, off offset:720
	scratch_load_dwordx4 v[218:221], off, off offset:736
	scratch_load_dwordx4 v[226:229], off, off offset:752
	scratch_load_dwordx4 v[234:237], off, off offset:768
	v_cmp_lt_u32_e32 vcc, 17, v240
	scratch_load_dwordx4 v[48:51], off, off offset:400
	scratch_load_dwordx4 v[56:59], off, off offset:416
	scratch_load_dwordx4 v[64:67], off, off offset:432
	s_waitcnt vmcnt(25) lgkmcnt(3)
	v_mul_f64 v[24:25], v[16:17], v[22:23]
	v_fmac_f64_e32 v[24:25], v[18:19], v[20:21]
	v_add_f64 v[28:29], v[24:25], 0
	scratch_load_dwordx4 v[24:27], off, off offset:336
	v_mul_f64 v[18:19], v[18:19], v[22:23]
	v_fma_f64 v[16:17], v[16:17], v[20:21], -v[18:19]
	v_add_f64 v[16:17], v[16:17], 0
	s_waitcnt vmcnt(0) lgkmcnt(2)
	v_mul_f64 v[30:31], v[12:13], v[26:27]
	v_fmac_f64_e32 v[30:31], v[14:15], v[24:25]
	v_add_f64 v[32:33], v[28:29], v[30:31]
	scratch_load_dwordx4 v[28:31], off, off offset:352
	v_mul_f64 v[14:15], v[14:15], v[26:27]
	v_fma_f64 v[12:13], v[12:13], v[24:25], -v[14:15]
	v_add_f64 v[12:13], v[16:17], v[12:13]
	;; [unrolled: 8-line block ×3, first 2 shown]
	s_waitcnt vmcnt(0) lgkmcnt(0)
	v_mul_f64 v[38:39], v[4:5], v[34:35]
	v_fmac_f64_e32 v[38:39], v[6:7], v[32:33]
	v_add_f64 v[44:45], v[36:37], v[38:39]
	ds_read_b128 v[36:39], v2 offset:1136
	v_mul_f64 v[6:7], v[6:7], v[34:35]
	v_fma_f64 v[4:5], v[4:5], v[32:33], -v[6:7]
	v_add_f64 v[4:5], v[8:9], v[4:5]
	s_waitcnt lgkmcnt(0)
	v_mul_f64 v[46:47], v[36:37], v[42:43]
	v_fmac_f64_e32 v[46:47], v[38:39], v[40:41]
	v_add_f64 v[52:53], v[44:45], v[46:47]
	ds_read_b128 v[44:47], v2 offset:1152
	v_mul_f64 v[6:7], v[38:39], v[42:43]
	v_fma_f64 v[6:7], v[36:37], v[40:41], -v[6:7]
	v_add_f64 v[4:5], v[4:5], v[6:7]
	s_waitcnt lgkmcnt(0)
	;; [unrolled: 8-line block ×25, first 2 shown]
	v_mul_f64 v[6:7], v[232:233], v[236:237]
	v_fma_f64 v[6:7], v[230:231], v[234:235], -v[6:7]
	v_add_f64 v[8:9], v[4:5], v[6:7]
	scratch_load_dwordx4 v[4:7], off, off offset:304
	v_mul_f64 v[238:239], v[230:231], v[236:237]
	v_fmac_f64_e32 v[238:239], v[232:233], v[234:235]
	v_add_f64 v[176:177], v[176:177], v[238:239]
	s_waitcnt vmcnt(0)
	v_add_f64 v[4:5], v[4:5], -v[8:9]
	v_add_f64 v[6:7], v[6:7], -v[176:177]
	scratch_store_dwordx4 off, v[4:7], off offset:304
	s_and_saveexec_b64 s[0:1], vcc
	s_cbranch_execz .LBB111_267
; %bb.266:
	scratch_load_dwordx4 v[6:9], off, s47
	v_mov_b32_e32 v3, v2
	v_mov_b32_e32 v4, v2
	;; [unrolled: 1-line block ×3, first 2 shown]
	v_accvgpr_read_b32 v0, a97
	scratch_store_dwordx4 off, v[2:5], off offset:288
	s_waitcnt vmcnt(1)
	ds_write_b128 v0, v[6:9]
.LBB111_267:
	s_or_b64 exec, exec, s[0:1]
	s_waitcnt lgkmcnt(0)
	; wave barrier
	ds_read_b128 v[16:19], v2 offset:1056
	ds_read_b128 v[12:15], v2 offset:1072
	ds_read_b128 v[8:11], v2 offset:1088
	ds_read_b128 v[4:7], v2 offset:1104
	scratch_load_dwordx4 v[20:23], off, off offset:304
	scratch_load_dwordx4 v[40:43], off, off offset:368
	;; [unrolled: 1-line block ×24, first 2 shown]
	v_cmp_lt_u32_e32 vcc, 16, v240
	scratch_load_dwordx4 v[48:51], off, off offset:384
	scratch_load_dwordx4 v[56:59], off, off offset:400
	;; [unrolled: 1-line block ×3, first 2 shown]
	ds_read_b128 v[252:255], v2 offset:1520
	s_waitcnt vmcnt(26) lgkmcnt(4)
	v_mul_f64 v[24:25], v[16:17], v[22:23]
	v_fmac_f64_e32 v[24:25], v[18:19], v[20:21]
	v_add_f64 v[28:29], v[24:25], 0
	scratch_load_dwordx4 v[24:27], off, off offset:320
	s_waitcnt vmcnt(0) lgkmcnt(3)
	v_mul_f64 v[30:31], v[12:13], v[26:27]
	v_fmac_f64_e32 v[30:31], v[14:15], v[24:25]
	v_add_f64 v[32:33], v[28:29], v[30:31]
	scratch_load_dwordx4 v[28:31], off, off offset:336
	v_mul_f64 v[14:15], v[14:15], v[26:27]
	v_fma_f64 v[12:13], v[12:13], v[24:25], -v[14:15]
	s_waitcnt vmcnt(0) lgkmcnt(2)
	v_mul_f64 v[34:35], v[8:9], v[30:31]
	v_fmac_f64_e32 v[34:35], v[10:11], v[28:29]
	v_add_f64 v[36:37], v[32:33], v[34:35]
	scratch_load_dwordx4 v[32:35], off, off offset:352
	v_mul_f64 v[10:11], v[10:11], v[30:31]
	v_fma_f64 v[8:9], v[8:9], v[28:29], -v[10:11]
	s_waitcnt vmcnt(0) lgkmcnt(1)
	v_mul_f64 v[38:39], v[4:5], v[34:35]
	v_fmac_f64_e32 v[38:39], v[6:7], v[32:33]
	v_add_f64 v[44:45], v[36:37], v[38:39]
	ds_read_b128 v[36:39], v2 offset:1120
	v_mul_f64 v[6:7], v[6:7], v[34:35]
	v_fma_f64 v[4:5], v[4:5], v[32:33], -v[6:7]
	s_waitcnt lgkmcnt(0)
	v_mul_f64 v[46:47], v[36:37], v[42:43]
	v_fmac_f64_e32 v[46:47], v[38:39], v[40:41]
	v_add_f64 v[52:53], v[44:45], v[46:47]
	ds_read_b128 v[44:47], v2 offset:1136
	s_waitcnt lgkmcnt(0)
	v_mul_f64 v[54:55], v[44:45], v[50:51]
	v_fmac_f64_e32 v[54:55], v[46:47], v[48:49]
	v_add_f64 v[60:61], v[52:53], v[54:55]
	ds_read_b128 v[52:55], v2 offset:1152
	;; [unrolled: 5-line block ×24, first 2 shown]
	v_mul_f64 v[2:3], v[252:253], v[244:245]
	v_fmac_f64_e32 v[2:3], v[254:255], v[242:243]
	s_waitcnt lgkmcnt(0)
	v_mul_f64 v[238:239], v[230:231], v[236:237]
	v_fmac_f64_e32 v[238:239], v[232:233], v[234:235]
	v_add_f64 v[184:185], v[184:185], v[238:239]
	v_add_f64 v[184:185], v[184:185], v[2:3]
	v_mul_f64 v[2:3], v[18:19], v[22:23]
	v_fma_f64 v[2:3], v[16:17], v[20:21], -v[2:3]
	v_add_f64 v[2:3], v[2:3], 0
	v_add_f64 v[2:3], v[2:3], v[12:13]
	;; [unrolled: 1-line block ×4, first 2 shown]
	v_mul_f64 v[4:5], v[38:39], v[42:43]
	v_fma_f64 v[4:5], v[36:37], v[40:41], -v[4:5]
	v_add_f64 v[2:3], v[2:3], v[4:5]
	v_mul_f64 v[4:5], v[46:47], v[50:51]
	v_fma_f64 v[4:5], v[44:45], v[48:49], -v[4:5]
	v_add_f64 v[2:3], v[2:3], v[4:5]
	;; [unrolled: 3-line block ×26, first 2 shown]
	scratch_load_dwordx4 v[2:5], off, off offset:288
	s_waitcnt vmcnt(0)
	v_add_f64 v[2:3], v[2:3], -v[6:7]
	v_add_f64 v[4:5], v[4:5], -v[184:185]
	scratch_store_dwordx4 off, v[2:5], off offset:288
	s_and_saveexec_b64 s[0:1], vcc
	s_cbranch_execz .LBB111_269
; %bb.268:
	scratch_load_dwordx4 v[2:5], off, s48
	v_mov_b32_e32 v6, 0
	v_mov_b32_e32 v7, v6
	;; [unrolled: 1-line block ×4, first 2 shown]
	v_accvgpr_read_b32 v0, a97
	scratch_store_dwordx4 off, v[6:9], off offset:272
	s_waitcnt vmcnt(1)
	ds_write_b128 v0, v[2:5]
.LBB111_269:
	s_or_b64 exec, exec, s[0:1]
	s_waitcnt lgkmcnt(0)
	; wave barrier
	scratch_load_dwordx4 v[16:19], off, off offset:288
	scratch_load_dwordx4 v[12:15], off, off offset:304
	;; [unrolled: 1-line block ×32, first 2 shown]
	v_mov_b32_e32 v2, 0
	ds_read_b128 v[132:135], v2 offset:1040
	ds_read_b128 v[136:139], v2 offset:1056
	;; [unrolled: 1-line block ×17, first 2 shown]
	v_cmp_lt_u32_e32 vcc, 15, v240
	s_waitcnt vmcnt(31) lgkmcnt(14)
	v_mul_f64 v[200:201], v[132:133], v[18:19]
	s_waitcnt vmcnt(30)
	v_mul_f64 v[202:203], v[136:137], v[14:15]
	v_fmac_f64_e32 v[200:201], v[134:135], v[16:17]
	s_waitcnt vmcnt(29)
	v_mul_f64 v[204:205], v[140:141], v[10:11]
	v_fmac_f64_e32 v[202:203], v[138:139], v[12:13]
	v_add_f64 v[200:201], v[200:201], 0
	s_waitcnt vmcnt(28) lgkmcnt(13)
	v_mul_f64 v[206:207], v[144:145], v[6:7]
	v_fmac_f64_e32 v[204:205], v[142:143], v[8:9]
	v_add_f64 v[200:201], v[200:201], v[202:203]
	s_waitcnt vmcnt(27) lgkmcnt(12)
	;; [unrolled: 4-line block ×12, first 2 shown]
	v_mul_f64 v[228:229], v[188:189], v[62:63]
	v_fmac_f64_e32 v[226:227], v[186:187], v[56:57]
	v_add_f64 v[200:201], v[200:201], v[224:225]
	v_fmac_f64_e32 v[228:229], v[190:191], v[60:61]
	v_add_f64 v[200:201], v[200:201], v[226:227]
	s_waitcnt vmcnt(16) lgkmcnt(1)
	v_mul_f64 v[202:203], v[192:193], v[66:67]
	v_add_f64 v[200:201], v[200:201], v[228:229]
	v_fmac_f64_e32 v[202:203], v[194:195], v[64:65]
	s_waitcnt vmcnt(15) lgkmcnt(0)
	v_mul_f64 v[206:207], v[196:197], v[70:71]
	v_add_f64 v[204:205], v[200:201], v[202:203]
	ds_read_b128 v[200:203], v2 offset:1312
	v_fmac_f64_e32 v[206:207], v[198:199], v[68:69]
	v_add_f64 v[208:209], v[204:205], v[206:207]
	ds_read_b128 v[204:207], v2 offset:1328
	v_mul_f64 v[18:19], v[134:135], v[18:19]
	s_waitcnt vmcnt(14) lgkmcnt(1)
	v_mul_f64 v[210:211], v[200:201], v[74:75]
	v_fmac_f64_e32 v[210:211], v[202:203], v[72:73]
	v_add_f64 v[212:213], v[208:209], v[210:211]
	s_waitcnt vmcnt(13) lgkmcnt(0)
	v_mul_f64 v[214:215], v[204:205], v[78:79]
	ds_read_b128 v[208:211], v2 offset:1344
	v_fmac_f64_e32 v[214:215], v[206:207], v[76:77]
	v_add_f64 v[216:217], v[212:213], v[214:215]
	ds_read_b128 v[212:215], v2 offset:1360
	v_fma_f64 v[244:245], v[132:133], v[16:17], -v[18:19]
	s_waitcnt vmcnt(12) lgkmcnt(1)
	v_mul_f64 v[218:219], v[208:209], v[82:83]
	v_fmac_f64_e32 v[218:219], v[210:211], v[80:81]
	v_add_f64 v[220:221], v[216:217], v[218:219]
	s_waitcnt vmcnt(11) lgkmcnt(0)
	v_mul_f64 v[222:223], v[212:213], v[86:87]
	ds_read_b128 v[216:219], v2 offset:1376
	v_fmac_f64_e32 v[222:223], v[214:215], v[84:85]
	v_add_f64 v[224:225], v[220:221], v[222:223]
	ds_read_b128 v[220:223], v2 offset:1392
	ds_read_b128 v[16:19], v2 offset:1472
	s_waitcnt vmcnt(10) lgkmcnt(2)
	v_mul_f64 v[226:227], v[216:217], v[90:91]
	v_fmac_f64_e32 v[226:227], v[218:219], v[88:89]
	v_add_f64 v[228:229], v[224:225], v[226:227]
	s_waitcnt vmcnt(9) lgkmcnt(1)
	v_mul_f64 v[230:231], v[220:221], v[94:95]
	ds_read_b128 v[224:227], v2 offset:1408
	v_fmac_f64_e32 v[230:231], v[222:223], v[92:93]
	v_add_f64 v[232:233], v[228:229], v[230:231]
	ds_read_b128 v[228:231], v2 offset:1424
	v_mul_f64 v[14:15], v[138:139], v[14:15]
	s_waitcnt vmcnt(8) lgkmcnt(1)
	v_mul_f64 v[234:235], v[224:225], v[98:99]
	v_fmac_f64_e32 v[234:235], v[226:227], v[96:97]
	v_add_f64 v[236:237], v[232:233], v[234:235]
	s_waitcnt vmcnt(7) lgkmcnt(0)
	v_mul_f64 v[238:239], v[228:229], v[102:103]
	ds_read_b128 v[232:235], v2 offset:1440
	v_fmac_f64_e32 v[238:239], v[230:231], v[100:101]
	v_add_f64 v[242:243], v[236:237], v[238:239]
	ds_read_b128 v[236:239], v2 offset:1456
	v_fma_f64 v[136:137], v[136:137], v[12:13], -v[14:15]
	s_waitcnt vmcnt(6) lgkmcnt(1)
	v_mul_f64 v[132:133], v[232:233], v[106:107]
	v_fmac_f64_e32 v[132:133], v[234:235], v[104:105]
	v_add_f64 v[132:133], v[242:243], v[132:133]
	s_waitcnt vmcnt(5) lgkmcnt(0)
	v_mul_f64 v[134:135], v[236:237], v[110:111]
	v_fmac_f64_e32 v[134:135], v[238:239], v[108:109]
	v_add_f64 v[132:133], v[132:133], v[134:135]
	ds_read_b128 v[12:15], v2 offset:1488
	s_waitcnt vmcnt(4)
	v_mul_f64 v[134:135], v[16:17], v[114:115]
	v_fmac_f64_e32 v[134:135], v[18:19], v[112:113]
	v_add_f64 v[138:139], v[132:133], v[134:135]
	ds_read_b128 v[132:135], v2 offset:1504
	v_mul_f64 v[10:11], v[142:143], v[10:11]
	v_fma_f64 v[140:141], v[140:141], v[8:9], -v[10:11]
	ds_read_b128 v[8:11], v2 offset:1520
	s_waitcnt vmcnt(3) lgkmcnt(2)
	v_mul_f64 v[142:143], v[12:13], v[118:119]
	v_fmac_f64_e32 v[142:143], v[14:15], v[116:117]
	v_add_f64 v[138:139], v[138:139], v[142:143]
	s_waitcnt vmcnt(2) lgkmcnt(1)
	v_mul_f64 v[142:143], v[132:133], v[122:123]
	v_fmac_f64_e32 v[142:143], v[134:135], v[120:121]
	v_add_f64 v[138:139], v[138:139], v[142:143]
	;; [unrolled: 4-line block ×3, first 2 shown]
	v_add_f64 v[142:143], v[244:245], 0
	v_add_f64 v[136:137], v[142:143], v[136:137]
	v_mul_f64 v[6:7], v[146:147], v[6:7]
	v_add_f64 v[136:137], v[136:137], v[140:141]
	v_fma_f64 v[4:5], v[144:145], v[4:5], -v[6:7]
	v_mul_f64 v[6:7], v[150:151], v[22:23]
	v_add_f64 v[4:5], v[136:137], v[4:5]
	v_fma_f64 v[6:7], v[148:149], v[20:21], -v[6:7]
	v_add_f64 v[4:5], v[4:5], v[6:7]
	v_mul_f64 v[6:7], v[154:155], v[26:27]
	v_fma_f64 v[6:7], v[152:153], v[24:25], -v[6:7]
	v_add_f64 v[4:5], v[4:5], v[6:7]
	v_mul_f64 v[6:7], v[158:159], v[30:31]
	;; [unrolled: 3-line block ×26, first 2 shown]
	v_fma_f64 v[6:7], v[8:9], v[124:125], -v[6:7]
	v_add_f64 v[4:5], v[4:5], v[6:7]
	s_waitcnt vmcnt(0)
	v_add_f64 v[4:5], v[128:129], -v[4:5]
	v_add_f64 v[6:7], v[130:131], -v[138:139]
	scratch_store_dwordx4 off, v[4:7], off offset:272
	s_and_saveexec_b64 s[0:1], vcc
	s_cbranch_execz .LBB111_271
; %bb.270:
	scratch_load_dwordx4 v[6:9], off, s49
	v_mov_b32_e32 v3, v2
	v_mov_b32_e32 v4, v2
	;; [unrolled: 1-line block ×3, first 2 shown]
	v_accvgpr_read_b32 v0, a97
	scratch_store_dwordx4 off, v[2:5], off offset:256
	s_waitcnt vmcnt(1)
	ds_write_b128 v0, v[6:9]
.LBB111_271:
	s_or_b64 exec, exec, s[0:1]
	s_waitcnt lgkmcnt(0)
	; wave barrier
	scratch_load_dwordx4 v[140:143], off, off offset:272
	scratch_load_dwordx4 v[148:151], off, off offset:288
	;; [unrolled: 1-line block ×16, first 2 shown]
	ds_read_b128 v[188:191], v2 offset:1024
	ds_read_b128 v[184:187], v2 offset:1040
	scratch_load_dwordx4 v[56:59], off, off offset:528
	ds_read_b128 v[192:195], v2 offset:1056
	ds_read_b128 v[68:71], v2 offset:1072
	scratch_load_dwordx4 v[60:63], off, off offset:544
	ds_read_b128 v[88:91], v2 offset:1088
	ds_read_b128 v[84:87], v2 offset:1104
	;; [unrolled: 1-line block ×4, first 2 shown]
	scratch_load_dwordx4 v[64:67], off, off offset:560
	ds_read_b128 v[100:103], v2 offset:1152
	ds_read_b128 v[96:99], v2 offset:1168
	scratch_load_dwordx4 v[72:75], off, off offset:576
	ds_read_b128 v[116:119], v2 offset:1184
	ds_read_b128 v[112:115], v2 offset:1200
	;; [unrolled: 1-line block ×4, first 2 shown]
	scratch_load_dwordx4 v[92:95], off, off offset:592
	ds_read_b128 v[132:135], v2 offset:1248
	ds_read_b128 v[128:131], v2 offset:1264
	;; [unrolled: 1-line block ×3, first 2 shown]
	scratch_load_dwordx4 v[120:123], off, off offset:608
	scratch_load_dwordx4 v[136:139], off, off offset:624
	scratch_load_dwordx4 v[144:147], off, off offset:640
	scratch_load_dwordx4 v[156:159], off, off offset:656
	scratch_load_dwordx4 v[160:163], off, off offset:672
	scratch_load_dwordx4 v[164:167], off, off offset:688
	scratch_load_dwordx4 v[168:171], off, off offset:704
	scratch_load_dwordx4 v[172:175], off, off offset:720
	scratch_load_dwordx4 v[176:179], off, off offset:736
	scratch_load_dwordx4 v[180:183], off, off offset:752
	scratch_load_dwordx4 v[196:199], off, off offset:768
	v_cmp_lt_u32_e32 vcc, 14, v240
	s_waitcnt vmcnt(31) lgkmcnt(14)
	v_mul_f64 v[200:201], v[188:189], v[142:143]
	s_waitcnt vmcnt(30)
	v_mul_f64 v[202:203], v[184:185], v[150:151]
	v_fmac_f64_e32 v[200:201], v[190:191], v[140:141]
	s_waitcnt vmcnt(29)
	v_mul_f64 v[204:205], v[192:193], v[154:155]
	v_fmac_f64_e32 v[202:203], v[186:187], v[148:149]
	v_add_f64 v[200:201], v[200:201], 0
	s_waitcnt vmcnt(28) lgkmcnt(13)
	v_mul_f64 v[206:207], v[68:69], v[6:7]
	v_fmac_f64_e32 v[204:205], v[194:195], v[152:153]
	v_add_f64 v[200:201], v[200:201], v[202:203]
	s_waitcnt vmcnt(27) lgkmcnt(12)
	;; [unrolled: 4-line block ×13, first 2 shown]
	v_mul_f64 v[230:231], v[128:129], v[54:55]
	v_fmac_f64_e32 v[228:229], v[134:135], v[48:49]
	v_add_f64 v[200:201], v[200:201], v[226:227]
	v_add_f64 v[200:201], v[200:201], v[228:229]
	v_fmac_f64_e32 v[230:231], v[130:131], v[52:53]
	v_add_f64 v[204:205], v[200:201], v[230:231]
	ds_read_b128 v[200:203], v2 offset:1296
	s_waitcnt vmcnt(15) lgkmcnt(1)
	v_mul_f64 v[206:207], v[124:125], v[58:59]
	v_fmac_f64_e32 v[206:207], v[126:127], v[56:57]
	v_add_f64 v[208:209], v[204:205], v[206:207]
	ds_read_b128 v[204:207], v2 offset:1312
	s_waitcnt vmcnt(14) lgkmcnt(1)
	v_mul_f64 v[210:211], v[200:201], v[62:63]
	;; [unrolled: 5-line block ×10, first 2 shown]
	v_fmac_f64_e32 v[244:245], v[234:235], v[160:161]
	v_mul_f64 v[142:143], v[190:191], v[142:143]
	v_add_f64 v[244:245], v[242:243], v[244:245]
	v_fma_f64 v[242:243], v[188:189], v[140:141], -v[142:143]
	ds_read_b128 v[140:143], v2 offset:1456
	v_mul_f64 v[150:151], v[186:187], v[150:151]
	s_waitcnt vmcnt(5) lgkmcnt(1)
	v_mul_f64 v[188:189], v[236:237], v[166:167]
	v_fma_f64 v[252:253], v[184:185], v[148:149], -v[150:151]
	ds_read_b128 v[148:151], v2 offset:1472
	v_fmac_f64_e32 v[188:189], v[238:239], v[164:165]
	s_waitcnt vmcnt(4) lgkmcnt(1)
	v_mul_f64 v[184:185], v[140:141], v[170:171]
	v_add_f64 v[188:189], v[244:245], v[188:189]
	v_fmac_f64_e32 v[184:185], v[142:143], v[168:169]
	v_add_f64 v[188:189], v[188:189], v[184:185]
	ds_read_b128 v[184:187], v2 offset:1488
	v_mul_f64 v[154:155], v[194:195], v[154:155]
	s_waitcnt vmcnt(3) lgkmcnt(1)
	v_mul_f64 v[190:191], v[148:149], v[174:175]
	v_fma_f64 v[254:255], v[192:193], v[152:153], -v[154:155]
	ds_read_b128 v[152:155], v2 offset:1504
	v_fmac_f64_e32 v[190:191], v[150:151], v[172:173]
	v_add_f64 v[244:245], v[188:189], v[190:191]
	ds_read_b128 v[188:191], v2 offset:1520
	s_waitcnt vmcnt(2) lgkmcnt(2)
	v_mul_f64 v[192:193], v[184:185], v[178:179]
	v_fmac_f64_e32 v[192:193], v[186:187], v[176:177]
	v_add_f64 v[2:3], v[244:245], v[192:193]
	s_waitcnt vmcnt(1) lgkmcnt(1)
	v_mul_f64 v[192:193], v[152:153], v[182:183]
	v_fmac_f64_e32 v[192:193], v[154:155], v[180:181]
	v_add_f64 v[2:3], v[2:3], v[192:193]
	;; [unrolled: 4-line block ×3, first 2 shown]
	scratch_load_dwordx4 v[192:195], off, off offset:256
	v_add_f64 v[242:243], v[242:243], 0
	v_add_f64 v[242:243], v[242:243], v[252:253]
	v_mul_f64 v[6:7], v[70:71], v[6:7]
	v_add_f64 v[242:243], v[242:243], v[254:255]
	v_fma_f64 v[4:5], v[68:69], v[4:5], -v[6:7]
	v_mul_f64 v[6:7], v[90:91], v[10:11]
	v_add_f64 v[4:5], v[242:243], v[4:5]
	v_fma_f64 v[6:7], v[88:89], v[8:9], -v[6:7]
	v_add_f64 v[4:5], v[4:5], v[6:7]
	v_mul_f64 v[6:7], v[86:87], v[14:15]
	v_fma_f64 v[6:7], v[84:85], v[12:13], -v[6:7]
	v_add_f64 v[4:5], v[4:5], v[6:7]
	v_mul_f64 v[6:7], v[82:83], v[18:19]
	;; [unrolled: 3-line block ×27, first 2 shown]
	v_fma_f64 v[6:7], v[188:189], v[196:197], -v[6:7]
	v_add_f64 v[4:5], v[4:5], v[6:7]
	s_waitcnt vmcnt(0)
	v_add_f64 v[4:5], v[192:193], -v[4:5]
	v_add_f64 v[6:7], v[194:195], -v[2:3]
	scratch_store_dwordx4 off, v[4:7], off offset:256
	s_and_saveexec_b64 s[0:1], vcc
	s_cbranch_execz .LBB111_273
; %bb.272:
	scratch_load_dwordx4 v[2:5], off, s50
	v_mov_b32_e32 v6, 0
	v_mov_b32_e32 v7, v6
	;; [unrolled: 1-line block ×4, first 2 shown]
	v_accvgpr_read_b32 v0, a97
	scratch_store_dwordx4 off, v[6:9], off offset:240
	s_waitcnt vmcnt(1)
	ds_write_b128 v0, v[2:5]
.LBB111_273:
	s_or_b64 exec, exec, s[0:1]
	s_waitcnt lgkmcnt(0)
	; wave barrier
	scratch_load_dwordx4 v[108:111], off, off offset:256
	scratch_load_dwordx4 v[116:119], off, off offset:272
	;; [unrolled: 1-line block ×33, first 2 shown]
	v_mov_b32_e32 v2, 0
	ds_read_b128 v[220:223], v2 offset:1008
	ds_read_b128 v[224:227], v2 offset:1024
	ds_read_b128 v[234:237], v2 offset:1040
	ds_read_b128 v[242:245], v2 offset:1056
	ds_read_b128 v[252:255], v2 offset:1072
	ds_read_b128 v[176:179], v2 offset:1088
	ds_read_b128 v[172:175], v2 offset:1104
	ds_read_b128 v[168:171], v2 offset:1120
	ds_read_b128 v[164:167], v2 offset:1136
	ds_read_b128 v[160:163], v2 offset:1152
	ds_read_b128 v[156:159], v2 offset:1168
	ds_read_b128 v[152:155], v2 offset:1184
	ds_read_b128 v[148:151], v2 offset:1200
	ds_read_b128 v[144:147], v2 offset:1216
	ds_read_b128 v[140:143], v2 offset:1232
	ds_read_b128 v[136:139], v2 offset:1248
	v_cmp_lt_u32_e32 vcc, 13, v240
	s_waitcnt vmcnt(32) lgkmcnt(14)
	v_mul_f64 v[180:181], v[220:221], v[110:111]
	s_waitcnt vmcnt(31)
	v_mul_f64 v[182:183], v[224:225], v[118:119]
	v_fmac_f64_e32 v[180:181], v[222:223], v[108:109]
	s_waitcnt vmcnt(30) lgkmcnt(13)
	v_mul_f64 v[184:185], v[234:235], v[122:123]
	v_fmac_f64_e32 v[182:183], v[226:227], v[116:117]
	v_add_f64 v[180:181], v[180:181], 0
	s_waitcnt vmcnt(29) lgkmcnt(12)
	v_mul_f64 v[186:187], v[242:243], v[126:127]
	v_fmac_f64_e32 v[184:185], v[236:237], v[120:121]
	v_add_f64 v[180:181], v[180:181], v[182:183]
	;; [unrolled: 4-line block ×13, first 2 shown]
	v_fmac_f64_e32 v[208:209], v[142:143], v[40:41]
	v_add_f64 v[180:181], v[180:181], v[206:207]
	v_add_f64 v[184:185], v[180:181], v[208:209]
	ds_read_b128 v[180:183], v2 offset:1264
	s_waitcnt vmcnt(17) lgkmcnt(1)
	v_mul_f64 v[186:187], v[136:137], v[46:47]
	v_fmac_f64_e32 v[186:187], v[138:139], v[44:45]
	v_add_f64 v[188:189], v[184:185], v[186:187]
	ds_read_b128 v[184:187], v2 offset:1280
	s_waitcnt vmcnt(16) lgkmcnt(1)
	v_mul_f64 v[190:191], v[180:181], v[50:51]
	v_fmac_f64_e32 v[190:191], v[182:183], v[48:49]
	v_add_f64 v[192:193], v[188:189], v[190:191]
	ds_read_b128 v[188:191], v2 offset:1296
	s_waitcnt vmcnt(15) lgkmcnt(1)
	v_mul_f64 v[194:195], v[184:185], v[54:55]
	v_fmac_f64_e32 v[194:195], v[186:187], v[52:53]
	v_add_f64 v[196:197], v[192:193], v[194:195]
	ds_read_b128 v[192:195], v2 offset:1312
	s_waitcnt vmcnt(14) lgkmcnt(1)
	v_mul_f64 v[198:199], v[188:189], v[58:59]
	v_fmac_f64_e32 v[198:199], v[190:191], v[56:57]
	v_add_f64 v[200:201], v[196:197], v[198:199]
	ds_read_b128 v[196:199], v2 offset:1328
	s_waitcnt vmcnt(13) lgkmcnt(1)
	v_mul_f64 v[202:203], v[192:193], v[62:63]
	v_fmac_f64_e32 v[202:203], v[194:195], v[60:61]
	v_add_f64 v[204:205], v[200:201], v[202:203]
	ds_read_b128 v[200:203], v2 offset:1344
	s_waitcnt vmcnt(12) lgkmcnt(1)
	v_mul_f64 v[206:207], v[196:197], v[66:67]
	v_fmac_f64_e32 v[206:207], v[198:199], v[64:65]
	v_add_f64 v[208:209], v[204:205], v[206:207]
	ds_read_b128 v[204:207], v2 offset:1360
	s_waitcnt vmcnt(11) lgkmcnt(1)
	v_mul_f64 v[210:211], v[200:201], v[70:71]
	v_fmac_f64_e32 v[210:211], v[202:203], v[68:69]
	v_add_f64 v[212:213], v[208:209], v[210:211]
	ds_read_b128 v[208:211], v2 offset:1376
	s_waitcnt vmcnt(10) lgkmcnt(1)
	v_mul_f64 v[214:215], v[204:205], v[74:75]
	v_fmac_f64_e32 v[214:215], v[206:207], v[72:73]
	v_add_f64 v[216:217], v[212:213], v[214:215]
	ds_read_b128 v[212:215], v2 offset:1392
	s_waitcnt vmcnt(9) lgkmcnt(1)
	v_mul_f64 v[218:219], v[208:209], v[78:79]
	v_fmac_f64_e32 v[218:219], v[210:211], v[76:77]
	v_add_f64 v[228:229], v[216:217], v[218:219]
	ds_read_b128 v[216:219], v2 offset:1408
	s_waitcnt vmcnt(8) lgkmcnt(1)
	v_mul_f64 v[230:231], v[212:213], v[82:83]
	v_fmac_f64_e32 v[230:231], v[214:215], v[80:81]
	v_mul_f64 v[110:111], v[222:223], v[110:111]
	v_add_f64 v[228:229], v[228:229], v[230:231]
	v_fma_f64 v[230:231], v[220:221], v[108:109], -v[110:111]
	ds_read_b128 v[108:111], v2 offset:1424
	s_waitcnt vmcnt(7) lgkmcnt(1)
	v_mul_f64 v[220:221], v[216:217], v[86:87]
	v_mul_f64 v[118:119], v[226:227], v[118:119]
	v_fmac_f64_e32 v[220:221], v[218:219], v[84:85]
	v_fma_f64 v[232:233], v[224:225], v[116:117], -v[118:119]
	ds_read_b128 v[116:119], v2 offset:1440
	s_waitcnt vmcnt(6) lgkmcnt(1)
	v_mul_f64 v[222:223], v[108:109], v[90:91]
	v_add_f64 v[220:221], v[228:229], v[220:221]
	v_fmac_f64_e32 v[222:223], v[110:111], v[88:89]
	v_add_f64 v[224:225], v[220:221], v[222:223]
	ds_read_b128 v[220:223], v2 offset:1456
	v_mul_f64 v[122:123], v[236:237], v[122:123]
	v_fma_f64 v[234:235], v[234:235], v[120:121], -v[122:123]
	ds_read_b128 v[120:123], v2 offset:1472
	s_waitcnt vmcnt(5) lgkmcnt(2)
	v_mul_f64 v[226:227], v[116:117], v[94:95]
	v_fmac_f64_e32 v[226:227], v[118:119], v[92:93]
	v_mul_f64 v[126:127], v[244:245], v[126:127]
	v_add_f64 v[224:225], v[224:225], v[226:227]
	s_waitcnt vmcnt(4) lgkmcnt(1)
	v_mul_f64 v[226:227], v[220:221], v[98:99]
	v_fma_f64 v[236:237], v[242:243], v[124:125], -v[126:127]
	ds_read_b128 v[124:127], v2 offset:1488
	v_fmac_f64_e32 v[226:227], v[222:223], v[96:97]
	v_add_f64 v[228:229], v[224:225], v[226:227]
	s_waitcnt vmcnt(3) lgkmcnt(1)
	v_mul_f64 v[238:239], v[120:121], v[102:103]
	ds_read_b128 v[224:227], v2 offset:1504
	v_fmac_f64_e32 v[238:239], v[122:123], v[100:101]
	v_mul_f64 v[130:131], v[254:255], v[130:131]
	v_add_f64 v[228:229], v[228:229], v[238:239]
	v_fma_f64 v[238:239], v[252:253], v[128:129], -v[130:131]
	ds_read_b128 v[128:131], v2 offset:1520
	s_waitcnt vmcnt(2) lgkmcnt(2)
	v_mul_f64 v[242:243], v[124:125], v[106:107]
	v_fmac_f64_e32 v[242:243], v[126:127], v[104:105]
	v_add_f64 v[228:229], v[228:229], v[242:243]
	s_waitcnt vmcnt(1) lgkmcnt(1)
	v_mul_f64 v[242:243], v[224:225], v[114:115]
	v_fmac_f64_e32 v[242:243], v[226:227], v[112:113]
	v_add_f64 v[228:229], v[228:229], v[242:243]
	;; [unrolled: 4-line block ×3, first 2 shown]
	scratch_load_dwordx4 v[242:245], off, off offset:240
	v_add_f64 v[230:231], v[230:231], 0
	v_add_f64 v[230:231], v[230:231], v[232:233]
	v_add_f64 v[230:231], v[230:231], v[234:235]
	v_add_f64 v[230:231], v[230:231], v[236:237]
	v_mul_f64 v[6:7], v[178:179], v[6:7]
	v_add_f64 v[230:231], v[230:231], v[238:239]
	v_fma_f64 v[4:5], v[176:177], v[4:5], -v[6:7]
	v_mul_f64 v[6:7], v[174:175], v[10:11]
	v_add_f64 v[4:5], v[230:231], v[4:5]
	v_fma_f64 v[6:7], v[172:173], v[8:9], -v[6:7]
	v_add_f64 v[4:5], v[4:5], v[6:7]
	v_mul_f64 v[6:7], v[170:171], v[14:15]
	v_fma_f64 v[6:7], v[168:169], v[12:13], -v[6:7]
	v_add_f64 v[4:5], v[4:5], v[6:7]
	v_mul_f64 v[6:7], v[166:167], v[18:19]
	;; [unrolled: 3-line block ×26, first 2 shown]
	v_fma_f64 v[6:7], v[128:129], v[132:133], -v[6:7]
	v_add_f64 v[4:5], v[4:5], v[6:7]
	s_waitcnt vmcnt(0)
	v_add_f64 v[4:5], v[242:243], -v[4:5]
	v_add_f64 v[6:7], v[244:245], -v[228:229]
	scratch_store_dwordx4 off, v[4:7], off offset:240
	s_and_saveexec_b64 s[0:1], vcc
	s_cbranch_execz .LBB111_275
; %bb.274:
	scratch_load_dwordx4 v[6:9], off, s51
	v_mov_b32_e32 v3, v2
	v_mov_b32_e32 v4, v2
	;; [unrolled: 1-line block ×3, first 2 shown]
	v_accvgpr_read_b32 v0, a97
	scratch_store_dwordx4 off, v[2:5], off offset:224
	s_waitcnt vmcnt(1)
	ds_write_b128 v0, v[6:9]
.LBB111_275:
	s_or_b64 exec, exec, s[0:1]
	s_waitcnt lgkmcnt(0)
	; wave barrier
	scratch_load_dwordx4 v[144:147], off, off offset:240
	scratch_load_dwordx4 v[152:155], off, off offset:256
	;; [unrolled: 1-line block ×16, first 2 shown]
	ds_read_b128 v[196:199], v2 offset:992
	ds_read_b128 v[188:191], v2 offset:1008
	ds_read_b128 v[180:183], v2 offset:1024
	scratch_load_dwordx4 v[48:51], off, off offset:496
	ds_read_b128 v[192:195], v2 offset:1040
	ds_read_b128 v[184:187], v2 offset:1056
	ds_read_b128 v[64:67], v2 offset:1072
	scratch_load_dwordx4 v[52:55], off, off offset:512
	;; [unrolled: 4-line block ×5, first 2 shown]
	ds_read_b128 v[116:119], v2 offset:1232
	ds_read_b128 v[112:115], v2 offset:1248
	scratch_load_dwordx4 v[108:111], off, off offset:576
	scratch_load_dwordx4 v[120:123], off, off offset:592
	;; [unrolled: 1-line block ×12, first 2 shown]
	v_cmp_lt_u32_e32 vcc, 12, v240
	s_waitcnt vmcnt(32) lgkmcnt(14)
	v_mul_f64 v[204:205], v[196:197], v[146:147]
	s_waitcnt vmcnt(31)
	v_mul_f64 v[206:207], v[188:189], v[154:155]
	v_fmac_f64_e32 v[204:205], v[198:199], v[144:145]
	s_waitcnt vmcnt(30)
	v_mul_f64 v[208:209], v[180:181], v[158:159]
	v_fmac_f64_e32 v[206:207], v[190:191], v[152:153]
	v_add_f64 v[204:205], v[204:205], 0
	s_waitcnt vmcnt(29) lgkmcnt(13)
	v_mul_f64 v[210:211], v[192:193], v[162:163]
	v_fmac_f64_e32 v[208:209], v[182:183], v[156:157]
	v_add_f64 v[204:205], v[204:205], v[206:207]
	s_waitcnt vmcnt(28) lgkmcnt(12)
	;; [unrolled: 4-line block ×12, first 2 shown]
	v_mul_f64 v[232:233], v[96:97], v[42:43]
	v_fmac_f64_e32 v[230:231], v[102:103], v[36:37]
	v_add_f64 v[204:205], v[204:205], v[228:229]
	v_fmac_f64_e32 v[232:233], v[98:99], v[40:41]
	v_add_f64 v[204:205], v[204:205], v[230:231]
	s_waitcnt vmcnt(17) lgkmcnt(1)
	v_mul_f64 v[206:207], v[116:117], v[46:47]
	v_add_f64 v[204:205], v[204:205], v[232:233]
	v_fmac_f64_e32 v[206:207], v[118:119], v[44:45]
	s_waitcnt vmcnt(16) lgkmcnt(0)
	v_mul_f64 v[210:211], v[112:113], v[50:51]
	v_add_f64 v[208:209], v[204:205], v[206:207]
	ds_read_b128 v[204:207], v2 offset:1264
	v_fmac_f64_e32 v[210:211], v[114:115], v[48:49]
	v_add_f64 v[212:213], v[208:209], v[210:211]
	ds_read_b128 v[208:211], v2 offset:1280
	v_mul_f64 v[146:147], v[198:199], v[146:147]
	s_waitcnt vmcnt(15) lgkmcnt(1)
	v_mul_f64 v[214:215], v[204:205], v[54:55]
	v_fmac_f64_e32 v[214:215], v[206:207], v[52:53]
	v_add_f64 v[216:217], v[212:213], v[214:215]
	s_waitcnt vmcnt(14) lgkmcnt(0)
	v_mul_f64 v[218:219], v[208:209], v[58:59]
	ds_read_b128 v[212:215], v2 offset:1296
	v_fmac_f64_e32 v[218:219], v[210:211], v[56:57]
	v_add_f64 v[220:221], v[216:217], v[218:219]
	ds_read_b128 v[216:219], v2 offset:1312
	v_mul_f64 v[154:155], v[190:191], v[154:155]
	s_waitcnt vmcnt(13) lgkmcnt(1)
	v_mul_f64 v[222:223], v[212:213], v[62:63]
	v_fmac_f64_e32 v[222:223], v[214:215], v[60:61]
	v_add_f64 v[224:225], v[220:221], v[222:223]
	s_waitcnt vmcnt(12) lgkmcnt(0)
	v_mul_f64 v[226:227], v[216:217], v[94:95]
	ds_read_b128 v[220:223], v2 offset:1328
	v_fmac_f64_e32 v[226:227], v[218:219], v[92:93]
	v_add_f64 v[228:229], v[224:225], v[226:227]
	ds_read_b128 v[224:227], v2 offset:1344
	v_fma_f64 v[252:253], v[188:189], v[152:153], -v[154:155]
	s_waitcnt vmcnt(11) lgkmcnt(1)
	v_mul_f64 v[230:231], v[220:221], v[110:111]
	v_fmac_f64_e32 v[230:231], v[222:223], v[108:109]
	v_add_f64 v[232:233], v[228:229], v[230:231]
	s_waitcnt vmcnt(10) lgkmcnt(0)
	v_mul_f64 v[234:235], v[224:225], v[122:123]
	ds_read_b128 v[228:231], v2 offset:1360
	v_fmac_f64_e32 v[234:235], v[226:227], v[120:121]
	v_add_f64 v[236:237], v[232:233], v[234:235]
	ds_read_b128 v[232:235], v2 offset:1376
	ds_read_b128 v[152:155], v2 offset:1424
	s_waitcnt vmcnt(9) lgkmcnt(2)
	v_mul_f64 v[238:239], v[228:229], v[126:127]
	v_fmac_f64_e32 v[238:239], v[230:231], v[124:125]
	v_add_f64 v[242:243], v[236:237], v[238:239]
	s_waitcnt vmcnt(8) lgkmcnt(1)
	v_mul_f64 v[244:245], v[232:233], v[130:131]
	ds_read_b128 v[236:239], v2 offset:1392
	v_fmac_f64_e32 v[244:245], v[234:235], v[128:129]
	v_add_f64 v[242:243], v[242:243], v[244:245]
	v_fma_f64 v[244:245], v[196:197], v[144:145], -v[146:147]
	ds_read_b128 v[144:147], v2 offset:1408
	s_waitcnt vmcnt(7) lgkmcnt(1)
	v_mul_f64 v[196:197], v[236:237], v[134:135]
	v_fmac_f64_e32 v[196:197], v[238:239], v[132:133]
	v_add_f64 v[188:189], v[242:243], v[196:197]
	v_mul_f64 v[158:159], v[182:183], v[158:159]
	s_waitcnt vmcnt(6) lgkmcnt(0)
	v_mul_f64 v[190:191], v[144:145], v[138:139]
	v_fmac_f64_e32 v[190:191], v[146:147], v[136:137]
	v_add_f64 v[196:197], v[188:189], v[190:191]
	ds_read_b128 v[188:191], v2 offset:1440
	v_fma_f64 v[242:243], v[180:181], v[156:157], -v[158:159]
	ds_read_b128 v[156:159], v2 offset:1456
	s_waitcnt vmcnt(5)
	v_mul_f64 v[198:199], v[152:153], v[142:143]
	v_fmac_f64_e32 v[198:199], v[154:155], v[140:141]
	s_waitcnt vmcnt(4) lgkmcnt(1)
	v_mul_f64 v[180:181], v[188:189], v[150:151]
	v_add_f64 v[196:197], v[196:197], v[198:199]
	v_fmac_f64_e32 v[180:181], v[190:191], v[148:149]
	v_mul_f64 v[162:163], v[194:195], v[162:163]
	v_add_f64 v[198:199], v[196:197], v[180:181]
	v_fma_f64 v[196:197], v[192:193], v[160:161], -v[162:163]
	ds_read_b128 v[160:163], v2 offset:1472
	s_waitcnt vmcnt(3) lgkmcnt(1)
	v_mul_f64 v[192:193], v[156:157], v[166:167]
	ds_read_b128 v[180:183], v2 offset:1488
	v_fmac_f64_e32 v[192:193], v[158:159], v[164:165]
	v_mul_f64 v[170:171], v[186:187], v[170:171]
	v_add_f64 v[192:193], v[198:199], v[192:193]
	v_fma_f64 v[198:199], v[184:185], v[168:169], -v[170:171]
	ds_read_b128 v[168:171], v2 offset:1504
	s_waitcnt vmcnt(2) lgkmcnt(2)
	v_mul_f64 v[184:185], v[160:161], v[174:175]
	v_fmac_f64_e32 v[184:185], v[162:163], v[172:173]
	s_waitcnt vmcnt(1) lgkmcnt(1)
	v_mul_f64 v[186:187], v[180:181], v[178:179]
	v_add_f64 v[184:185], v[192:193], v[184:185]
	v_fmac_f64_e32 v[186:187], v[182:183], v[176:177]
	v_add_f64 v[184:185], v[184:185], v[186:187]
	s_waitcnt vmcnt(0) lgkmcnt(0)
	v_mul_f64 v[186:187], v[168:169], v[202:203]
	v_fmac_f64_e32 v[186:187], v[170:171], v[200:201]
	v_add_f64 v[254:255], v[184:185], v[186:187]
	scratch_load_dwordx4 v[184:187], off, off offset:768
	ds_read_b128 v[192:195], v2 offset:1520
	v_add_f64 v[244:245], v[244:245], 0
	v_add_f64 v[244:245], v[244:245], v[252:253]
	;; [unrolled: 1-line block ×4, first 2 shown]
	v_mul_f64 v[6:7], v[66:67], v[6:7]
	v_add_f64 v[196:197], v[196:197], v[198:199]
	v_fma_f64 v[4:5], v[64:65], v[4:5], -v[6:7]
	v_mul_f64 v[6:7], v[78:79], v[10:11]
	v_add_f64 v[4:5], v[196:197], v[4:5]
	v_fma_f64 v[6:7], v[76:77], v[8:9], -v[6:7]
	v_add_f64 v[4:5], v[4:5], v[6:7]
	v_mul_f64 v[6:7], v[74:75], v[14:15]
	v_fma_f64 v[6:7], v[72:73], v[12:13], -v[6:7]
	v_add_f64 v[4:5], v[4:5], v[6:7]
	v_mul_f64 v[6:7], v[70:71], v[18:19]
	;; [unrolled: 3-line block ×23, first 2 shown]
	s_waitcnt vmcnt(0) lgkmcnt(0)
	v_mul_f64 v[2:3], v[192:193], v[186:187]
	v_fmac_f64_e32 v[2:3], v[194:195], v[184:185]
	v_add_f64 v[2:3], v[254:255], v[2:3]
	scratch_load_dwordx4 v[252:255], off, off offset:224
	v_fma_f64 v[6:7], v[156:157], v[164:165], -v[6:7]
	v_add_f64 v[4:5], v[4:5], v[6:7]
	v_mul_f64 v[6:7], v[162:163], v[174:175]
	v_fma_f64 v[6:7], v[160:161], v[172:173], -v[6:7]
	v_add_f64 v[4:5], v[4:5], v[6:7]
	v_mul_f64 v[6:7], v[182:183], v[178:179]
	;; [unrolled: 3-line block ×4, first 2 shown]
	v_fma_f64 v[6:7], v[192:193], v[184:185], -v[6:7]
	v_add_f64 v[4:5], v[4:5], v[6:7]
	s_waitcnt vmcnt(0)
	v_add_f64 v[4:5], v[252:253], -v[4:5]
	v_add_f64 v[6:7], v[254:255], -v[2:3]
	scratch_store_dwordx4 off, v[4:7], off offset:224
	s_and_saveexec_b64 s[0:1], vcc
	s_cbranch_execz .LBB111_277
; %bb.276:
	scratch_load_dwordx4 v[2:5], off, s52
	v_mov_b32_e32 v6, 0
	v_mov_b32_e32 v7, v6
	;; [unrolled: 1-line block ×4, first 2 shown]
	v_accvgpr_read_b32 v0, a97
	scratch_store_dwordx4 off, v[6:9], off offset:208
	s_waitcnt vmcnt(1)
	ds_write_b128 v0, v[2:5]
.LBB111_277:
	s_or_b64 exec, exec, s[0:1]
	s_waitcnt lgkmcnt(0)
	; wave barrier
	scratch_load_dwordx4 v[184:187], off, off offset:224
	scratch_load_dwordx4 v[188:191], off, off offset:240
	;; [unrolled: 1-line block ×32, first 2 shown]
	v_mov_b32_e32 v2, 0
	ds_read_b128 v[192:195], v2 offset:976
	ds_read_b128 v[204:207], v2 offset:992
	;; [unrolled: 1-line block ×16, first 2 shown]
	v_cmp_lt_u32_e32 vcc, 11, v240
	s_waitcnt vmcnt(31) lgkmcnt(14)
	v_mul_f64 v[104:105], v[192:193], v[186:187]
	s_waitcnt vmcnt(30)
	v_mul_f64 v[106:107], v[204:205], v[190:191]
	v_fmac_f64_e32 v[104:105], v[194:195], v[184:185]
	s_waitcnt vmcnt(29) lgkmcnt(13)
	v_mul_f64 v[112:113], v[216:217], v[198:199]
	v_fmac_f64_e32 v[106:107], v[206:207], v[188:189]
	v_add_f64 v[104:105], v[104:105], 0
	s_waitcnt vmcnt(28) lgkmcnt(12)
	v_mul_f64 v[114:115], v[224:225], v[202:203]
	v_fmac_f64_e32 v[112:113], v[218:219], v[196:197]
	v_add_f64 v[104:105], v[104:105], v[106:107]
	;; [unrolled: 4-line block ×10, first 2 shown]
	ds_read_b128 v[152:155], v2 offset:1232
	ds_read_b128 v[156:159], v2 offset:1248
	s_waitcnt vmcnt(19) lgkmcnt(5)
	v_mul_f64 v[164:165], v[124:125], v[26:27]
	v_fmac_f64_e32 v[162:163], v[134:135], v[20:21]
	v_add_f64 v[104:105], v[104:105], v[160:161]
	s_waitcnt vmcnt(18) lgkmcnt(4)
	v_mul_f64 v[166:167], v[120:121], v[30:31]
	v_fmac_f64_e32 v[164:165], v[126:127], v[24:25]
	v_add_f64 v[104:105], v[104:105], v[162:163]
	;; [unrolled: 4-line block ×4, first 2 shown]
	v_add_f64 v[112:113], v[104:105], v[168:169]
	v_fmac_f64_e32 v[170:171], v[110:111], v[36:37]
	scratch_load_dwordx4 v[104:107], off, off offset:736
	s_waitcnt vmcnt(16) lgkmcnt(1)
	v_mul_f64 v[114:115], v[152:153], v[42:43]
	v_add_f64 v[112:113], v[112:113], v[170:171]
	v_fmac_f64_e32 v[114:115], v[154:155], v[40:41]
	v_add_f64 v[128:129], v[112:113], v[114:115]
	scratch_load_dwordx4 v[112:115], off, off offset:752
	s_waitcnt vmcnt(16) lgkmcnt(0)
	v_mul_f64 v[130:131], v[156:157], v[46:47]
	v_fmac_f64_e32 v[130:131], v[158:159], v[44:45]
	v_add_f64 v[168:169], v[128:129], v[130:131]
	scratch_load_dwordx4 v[128:131], off, off offset:768
	ds_read_b128 v[160:163], v2 offset:1264
	ds_read_b128 v[164:167], v2 offset:1280
	v_mul_f64 v[186:187], v[194:195], v[186:187]
	v_fma_f64 v[246:247], v[192:193], v[184:185], -v[186:187]
	ds_read_b128 v[184:187], v2 offset:1360
	s_waitcnt vmcnt(16) lgkmcnt(2)
	v_mul_f64 v[170:171], v[160:161], v[50:51]
	v_fmac_f64_e32 v[170:171], v[162:163], v[48:49]
	s_waitcnt vmcnt(15) lgkmcnt(1)
	v_mul_f64 v[174:175], v[164:165], v[54:55]
	v_add_f64 v[172:173], v[168:169], v[170:171]
	ds_read_b128 v[168:171], v2 offset:1296
	v_fmac_f64_e32 v[174:175], v[166:167], v[52:53]
	v_add_f64 v[176:177], v[172:173], v[174:175]
	ds_read_b128 v[172:175], v2 offset:1312
	v_mul_f64 v[190:191], v[206:207], v[190:191]
	s_waitcnt vmcnt(14) lgkmcnt(1)
	v_mul_f64 v[178:179], v[168:169], v[58:59]
	v_fmac_f64_e32 v[178:179], v[170:171], v[56:57]
	v_add_f64 v[180:181], v[176:177], v[178:179]
	s_waitcnt vmcnt(13) lgkmcnt(0)
	v_mul_f64 v[182:183], v[172:173], v[62:63]
	ds_read_b128 v[176:179], v2 offset:1328
	v_fmac_f64_e32 v[182:183], v[174:175], v[60:61]
	v_add_f64 v[232:233], v[180:181], v[182:183]
	ds_read_b128 v[180:183], v2 offset:1344
	v_fma_f64 v[248:249], v[204:205], v[188:189], -v[190:191]
	s_waitcnt vmcnt(12) lgkmcnt(1)
	v_mul_f64 v[234:235], v[176:177], v[66:67]
	v_fmac_f64_e32 v[234:235], v[178:179], v[64:65]
	v_add_f64 v[232:233], v[232:233], v[234:235]
	s_waitcnt vmcnt(11) lgkmcnt(0)
	v_mul_f64 v[192:193], v[180:181], v[70:71]
	v_fmac_f64_e32 v[192:193], v[182:183], v[68:69]
	ds_read_b128 v[188:191], v2 offset:1376
	s_waitcnt vmcnt(10)
	v_mul_f64 v[194:195], v[184:185], v[74:75]
	v_add_f64 v[192:193], v[232:233], v[192:193]
	v_fmac_f64_e32 v[194:195], v[186:187], v[72:73]
	v_add_f64 v[204:205], v[192:193], v[194:195]
	ds_read_b128 v[192:195], v2 offset:1392
	v_mul_f64 v[198:199], v[218:219], v[198:199]
	v_fma_f64 v[250:251], v[216:217], v[196:197], -v[198:199]
	ds_read_b128 v[196:199], v2 offset:1408
	s_waitcnt vmcnt(9) lgkmcnt(2)
	v_mul_f64 v[206:207], v[188:189], v[78:79]
	v_fmac_f64_e32 v[206:207], v[190:191], v[76:77]
	v_add_f64 v[204:205], v[204:205], v[206:207]
	s_waitcnt vmcnt(8) lgkmcnt(1)
	v_mul_f64 v[206:207], v[192:193], v[82:83]
	v_fmac_f64_e32 v[206:207], v[194:195], v[80:81]
	v_mul_f64 v[202:203], v[226:227], v[202:203]
	v_add_f64 v[204:205], v[204:205], v[206:207]
	v_fma_f64 v[234:235], v[224:225], v[200:201], -v[202:203]
	ds_read_b128 v[200:203], v2 offset:1424
	s_waitcnt vmcnt(7) lgkmcnt(1)
	v_mul_f64 v[206:207], v[196:197], v[86:87]
	v_fmac_f64_e32 v[206:207], v[198:199], v[84:85]
	v_add_f64 v[216:217], v[204:205], v[206:207]
	ds_read_b128 v[204:207], v2 offset:1440
	v_mul_f64 v[210:211], v[230:231], v[210:211]
	v_fma_f64 v[236:237], v[228:229], v[208:209], -v[210:211]
	ds_read_b128 v[208:211], v2 offset:1456
	s_waitcnt vmcnt(6) lgkmcnt(2)
	v_mul_f64 v[218:219], v[200:201], v[90:91]
	v_fmac_f64_e32 v[218:219], v[202:203], v[88:89]
	v_add_f64 v[216:217], v[216:217], v[218:219]
	s_waitcnt vmcnt(5) lgkmcnt(1)
	v_mul_f64 v[218:219], v[204:205], v[94:95]
	v_fmac_f64_e32 v[218:219], v[206:207], v[92:93]
	v_mul_f64 v[214:215], v[244:245], v[214:215]
	v_fma_f64 v[238:239], v[242:243], v[212:213], -v[214:215]
	ds_read_b128 v[212:215], v2 offset:1472
	v_add_f64 v[216:217], v[216:217], v[218:219]
	s_waitcnt vmcnt(4) lgkmcnt(1)
	v_mul_f64 v[218:219], v[208:209], v[102:103]
	v_fmac_f64_e32 v[218:219], v[210:211], v[100:101]
	v_add_f64 v[224:225], v[216:217], v[218:219]
	ds_read_b128 v[216:219], v2 offset:1488
	v_mul_f64 v[222:223], v[254:255], v[222:223]
	v_fma_f64 v[242:243], v[252:253], v[220:221], -v[222:223]
	ds_read_b128 v[220:223], v2 offset:1504
	s_waitcnt vmcnt(3) lgkmcnt(2)
	v_mul_f64 v[226:227], v[212:213], v[98:99]
	v_fmac_f64_e32 v[226:227], v[214:215], v[96:97]
	v_add_f64 v[224:225], v[224:225], v[226:227]
	s_waitcnt vmcnt(2) lgkmcnt(1)
	v_mul_f64 v[226:227], v[216:217], v[106:107]
	v_fmac_f64_e32 v[226:227], v[218:219], v[104:105]
	v_add_f64 v[224:225], v[224:225], v[226:227]
	;; [unrolled: 4-line block ×3, first 2 shown]
	ds_read_b128 v[224:227], v2 offset:1520
	v_mul_f64 v[6:7], v[150:151], v[6:7]
	v_fma_f64 v[4:5], v[148:149], v[4:5], -v[6:7]
	v_mul_f64 v[6:7], v[146:147], v[10:11]
	v_fma_f64 v[6:7], v[144:145], v[8:9], -v[6:7]
	s_waitcnt vmcnt(0) lgkmcnt(0)
	v_mul_f64 v[230:231], v[224:225], v[130:131]
	v_fmac_f64_e32 v[230:231], v[226:227], v[128:129]
	v_add_f64 v[232:233], v[228:229], v[230:231]
	v_add_f64 v[228:229], v[246:247], 0
	v_add_f64 v[228:229], v[228:229], v[248:249]
	v_add_f64 v[252:253], v[228:229], v[250:251]
	scratch_load_dwordx4 v[228:231], off, off offset:208
	v_add_f64 v[234:235], v[252:253], v[234:235]
	v_add_f64 v[234:235], v[234:235], v[236:237]
	;; [unrolled: 1-line block ×6, first 2 shown]
	v_mul_f64 v[6:7], v[142:143], v[14:15]
	v_fma_f64 v[6:7], v[140:141], v[12:13], -v[6:7]
	v_add_f64 v[4:5], v[4:5], v[6:7]
	v_mul_f64 v[6:7], v[138:139], v[18:19]
	v_fma_f64 v[6:7], v[136:137], v[16:17], -v[6:7]
	v_add_f64 v[4:5], v[4:5], v[6:7]
	;; [unrolled: 3-line block ×26, first 2 shown]
	s_waitcnt vmcnt(0)
	v_add_f64 v[4:5], v[228:229], -v[4:5]
	v_add_f64 v[6:7], v[230:231], -v[232:233]
	scratch_store_dwordx4 off, v[4:7], off offset:208
	s_and_saveexec_b64 s[0:1], vcc
	s_cbranch_execz .LBB111_279
; %bb.278:
	scratch_load_dwordx4 v[6:9], off, s53
	v_mov_b32_e32 v3, v2
	v_mov_b32_e32 v4, v2
	;; [unrolled: 1-line block ×3, first 2 shown]
	v_accvgpr_read_b32 v0, a97
	scratch_store_dwordx4 off, v[2:5], off offset:192
	s_waitcnt vmcnt(1)
	ds_write_b128 v0, v[6:9]
.LBB111_279:
	s_or_b64 exec, exec, s[0:1]
	s_waitcnt lgkmcnt(0)
	; wave barrier
	scratch_load_dwordx4 v[140:143], off, off offset:208
	scratch_load_dwordx4 v[144:147], off, off offset:224
	;; [unrolled: 1-line block ×16, first 2 shown]
	ds_read_b128 v[208:211], v2 offset:960
	ds_read_b128 v[200:203], v2 offset:976
	;; [unrolled: 1-line block ×3, first 2 shown]
	scratch_load_dwordx4 v[40:43], off, off offset:464
	ds_read_b128 v[204:207], v2 offset:1008
	ds_read_b128 v[192:195], v2 offset:1024
	;; [unrolled: 1-line block ×3, first 2 shown]
	scratch_load_dwordx4 v[44:47], off, off offset:480
	ds_read_b128 v[196:199], v2 offset:1056
	ds_read_b128 v[64:67], v2 offset:1072
	;; [unrolled: 1-line block ×4, first 2 shown]
	scratch_load_dwordx4 v[48:51], off, off offset:496
	ds_read_b128 v[72:75], v2 offset:1120
	ds_read_b128 v[68:71], v2 offset:1136
	scratch_load_dwordx4 v[56:59], off, off offset:512
	ds_read_b128 v[92:95], v2 offset:1152
	ds_read_b128 v[88:91], v2 offset:1168
	;; [unrolled: 1-line block ×4, first 2 shown]
	scratch_load_dwordx4 v[76:79], off, off offset:528
	scratch_load_dwordx4 v[96:99], off, off offset:544
	;; [unrolled: 1-line block ×12, first 2 shown]
	ds_read_b128 v[168:171], v2 offset:1216
	v_accvgpr_write_b32 a96, v240
	v_cmp_lt_u32_e32 vcc, 10, v240
	s_waitcnt vmcnt(31) lgkmcnt(14)
	v_mul_f64 v[172:173], v[208:209], v[142:143]
	s_waitcnt vmcnt(30)
	v_mul_f64 v[174:175], v[200:201], v[146:147]
	v_fmac_f64_e32 v[172:173], v[210:211], v[140:141]
	s_waitcnt vmcnt(29)
	v_mul_f64 v[176:177], v[188:189], v[150:151]
	v_fmac_f64_e32 v[174:175], v[202:203], v[144:145]
	v_add_f64 v[172:173], v[172:173], 0
	s_waitcnt vmcnt(28) lgkmcnt(13)
	v_mul_f64 v[178:179], v[204:205], v[154:155]
	v_fmac_f64_e32 v[176:177], v[190:191], v[148:149]
	v_add_f64 v[172:173], v[172:173], v[174:175]
	s_waitcnt vmcnt(27) lgkmcnt(12)
	;; [unrolled: 4-line block ×10, first 2 shown]
	v_mul_f64 v[224:225], v[92:93], v[26:27]
	v_fmac_f64_e32 v[222:223], v[70:71], v[20:21]
	v_add_f64 v[172:173], v[172:173], v[220:221]
	ds_read_b128 v[212:215], v2 offset:1232
	s_waitcnt vmcnt(18) lgkmcnt(4)
	v_mul_f64 v[226:227], v[88:89], v[30:31]
	v_fmac_f64_e32 v[224:225], v[94:95], v[24:25]
	v_add_f64 v[172:173], v[172:173], v[222:223]
	ds_read_b128 v[216:219], v2 offset:1248
	ds_read_b128 v[220:223], v2 offset:1264
	s_waitcnt vmcnt(17) lgkmcnt(5)
	v_mul_f64 v[228:229], v[84:85], v[34:35]
	v_fmac_f64_e32 v[226:227], v[90:91], v[28:29]
	v_add_f64 v[172:173], v[172:173], v[224:225]
	s_waitcnt vmcnt(16) lgkmcnt(4)
	v_mul_f64 v[230:231], v[80:81], v[38:39]
	v_fmac_f64_e32 v[228:229], v[86:87], v[32:33]
	v_add_f64 v[172:173], v[172:173], v[226:227]
	v_add_f64 v[176:177], v[172:173], v[228:229]
	v_fmac_f64_e32 v[230:231], v[82:83], v[36:37]
	s_waitcnt vmcnt(15) lgkmcnt(3)
	v_mul_f64 v[178:179], v[168:169], v[42:43]
	v_add_f64 v[176:177], v[176:177], v[230:231]
	v_fmac_f64_e32 v[178:179], v[170:171], v[40:41]
	s_waitcnt vmcnt(14) lgkmcnt(2)
	v_mul_f64 v[182:183], v[212:213], v[46:47]
	;; [unrolled: 4-line block ×3, first 2 shown]
	v_add_f64 v[224:225], v[180:181], v[182:183]
	v_fmac_f64_e32 v[226:227], v[218:219], v[48:49]
	v_add_f64 v[228:229], v[224:225], v[226:227]
	ds_read_b128 v[224:227], v2 offset:1280
	s_waitcnt vmcnt(12) lgkmcnt(1)
	v_mul_f64 v[230:231], v[220:221], v[58:59]
	v_fmac_f64_e32 v[230:231], v[222:223], v[56:57]
	v_add_f64 v[232:233], v[228:229], v[230:231]
	ds_read_b128 v[228:231], v2 offset:1296
	s_waitcnt vmcnt(11) lgkmcnt(1)
	v_mul_f64 v[234:235], v[224:225], v[78:79]
	;; [unrolled: 5-line block ×4, first 2 shown]
	v_fmac_f64_e32 v[244:245], v[234:235], v[100:101]
	v_mul_f64 v[142:143], v[210:211], v[142:143]
	v_add_f64 v[242:243], v[242:243], v[244:245]
	v_fma_f64 v[244:245], v[208:209], v[140:141], -v[142:143]
	ds_read_b128 v[140:143], v2 offset:1344
	s_waitcnt vmcnt(8) lgkmcnt(1)
	v_mul_f64 v[208:209], v[236:237], v[106:107]
	v_fmac_f64_e32 v[208:209], v[238:239], v[104:105]
	v_mul_f64 v[146:147], v[202:203], v[146:147]
	v_add_f64 v[208:209], v[242:243], v[208:209]
	v_fma_f64 v[242:243], v[200:201], v[144:145], -v[146:147]
	ds_read_b128 v[144:147], v2 offset:1360
	s_waitcnt vmcnt(7) lgkmcnt(1)
	v_mul_f64 v[200:201], v[140:141], v[110:111]
	scratch_load_dwordx4 v[172:175], off, off offset:720
	scratch_load_dwordx4 v[176:179], off, off offset:736
	v_fmac_f64_e32 v[200:201], v[142:143], v[108:109]
	v_add_f64 v[208:209], v[208:209], v[200:201]
	ds_read_b128 v[200:203], v2 offset:1376
	v_mul_f64 v[150:151], v[190:191], v[150:151]
	v_fma_f64 v[246:247], v[188:189], v[148:149], -v[150:151]
	ds_read_b128 v[148:151], v2 offset:1392
	s_waitcnt vmcnt(8) lgkmcnt(2)
	v_mul_f64 v[210:211], v[144:145], v[114:115]
	v_fmac_f64_e32 v[210:211], v[146:147], v[112:113]
	s_waitcnt vmcnt(7) lgkmcnt(1)
	v_mul_f64 v[188:189], v[200:201], v[118:119]
	v_add_f64 v[208:209], v[208:209], v[210:211]
	v_fmac_f64_e32 v[188:189], v[202:203], v[116:117]
	v_mul_f64 v[154:155], v[206:207], v[154:155]
	s_waitcnt vmcnt(6) lgkmcnt(0)
	v_mul_f64 v[190:191], v[148:149], v[122:123]
	v_add_f64 v[188:189], v[208:209], v[188:189]
	v_fma_f64 v[248:249], v[204:205], v[152:153], -v[154:155]
	ds_read_b128 v[152:155], v2 offset:1408
	v_fmac_f64_e32 v[190:191], v[150:151], v[120:121]
	scratch_load_dwordx4 v[180:183], off, off offset:752
	v_add_f64 v[204:205], v[188:189], v[190:191]
	ds_read_b128 v[188:191], v2 offset:1424
	s_waitcnt vmcnt(6) lgkmcnt(1)
	v_mul_f64 v[206:207], v[152:153], v[126:127]
	v_mul_f64 v[158:159], v[194:195], v[158:159]
	v_fmac_f64_e32 v[206:207], v[154:155], v[124:125]
	v_fma_f64 v[250:251], v[192:193], v[156:157], -v[158:159]
	s_waitcnt vmcnt(5) lgkmcnt(0)
	v_mul_f64 v[192:193], v[188:189], v[130:131]
	v_add_f64 v[204:205], v[204:205], v[206:207]
	v_fmac_f64_e32 v[192:193], v[190:191], v[128:129]
	v_mul_f64 v[162:163], v[186:187], v[162:163]
	v_fma_f64 v[208:209], v[184:185], v[160:161], -v[162:163]
	v_add_f64 v[184:185], v[204:205], v[192:193]
	scratch_load_dwordx4 v[204:207], off, off offset:768
	ds_read_b128 v[156:159], v2 offset:1440
	ds_read_b128 v[160:163], v2 offset:1456
	v_mul_f64 v[166:167], v[198:199], v[166:167]
	v_fma_f64 v[210:211], v[196:197], v[164:165], -v[166:167]
	ds_read_b128 v[164:167], v2 offset:1488
	s_waitcnt vmcnt(5) lgkmcnt(2)
	v_mul_f64 v[186:187], v[156:157], v[138:139]
	v_fmac_f64_e32 v[186:187], v[158:159], v[136:137]
	v_add_f64 v[192:193], v[184:185], v[186:187]
	ds_read_b128 v[184:187], v2 offset:1472
	s_waitcnt vmcnt(4) lgkmcnt(2)
	v_mul_f64 v[194:195], v[160:161], v[134:135]
	v_fmac_f64_e32 v[194:195], v[162:163], v[132:133]
	v_add_f64 v[192:193], v[192:193], v[194:195]
	v_add_f64 v[244:245], v[244:245], 0
	;; [unrolled: 1-line block ×7, first 2 shown]
	v_mul_f64 v[6:7], v[66:67], v[6:7]
	v_add_f64 v[208:209], v[208:209], v[210:211]
	v_fma_f64 v[4:5], v[64:65], v[4:5], -v[6:7]
	v_mul_f64 v[6:7], v[62:63], v[10:11]
	v_add_f64 v[4:5], v[208:209], v[4:5]
	v_fma_f64 v[6:7], v[60:61], v[8:9], -v[6:7]
	v_add_f64 v[4:5], v[4:5], v[6:7]
	v_mul_f64 v[6:7], v[54:55], v[14:15]
	v_fma_f64 v[6:7], v[52:53], v[12:13], -v[6:7]
	v_add_f64 v[4:5], v[4:5], v[6:7]
	v_mul_f64 v[6:7], v[74:75], v[18:19]
	;; [unrolled: 3-line block ×8, first 2 shown]
	s_waitcnt vmcnt(3) lgkmcnt(0)
	v_mul_f64 v[194:195], v[184:185], v[174:175]
	v_fmac_f64_e32 v[194:195], v[186:187], v[172:173]
	v_add_f64 v[192:193], v[192:193], v[194:195]
	s_waitcnt vmcnt(2)
	v_mul_f64 v[194:195], v[164:165], v[178:179]
	v_fmac_f64_e32 v[194:195], v[166:167], v[176:177]
	v_add_f64 v[196:197], v[192:193], v[194:195]
	ds_read_b128 v[192:195], v2 offset:1504
	v_fma_f64 v[6:7], v[168:169], v[40:41], -v[6:7]
	v_add_f64 v[4:5], v[4:5], v[6:7]
	v_mul_f64 v[6:7], v[214:215], v[46:47]
	v_fma_f64 v[6:7], v[212:213], v[44:45], -v[6:7]
	v_add_f64 v[4:5], v[4:5], v[6:7]
	v_mul_f64 v[6:7], v[218:219], v[50:51]
	;; [unrolled: 3-line block ×4, first 2 shown]
	s_waitcnt vmcnt(1) lgkmcnt(0)
	v_mul_f64 v[198:199], v[192:193], v[182:183]
	v_fmac_f64_e32 v[198:199], v[194:195], v[180:181]
	v_add_f64 v[252:253], v[196:197], v[198:199]
	ds_read_b128 v[196:199], v2 offset:1520
	v_fma_f64 v[6:7], v[224:225], v[76:77], -v[6:7]
	v_add_f64 v[4:5], v[4:5], v[6:7]
	v_mul_f64 v[6:7], v[230:231], v[98:99]
	v_fma_f64 v[6:7], v[228:229], v[96:97], -v[6:7]
	v_add_f64 v[4:5], v[4:5], v[6:7]
	v_mul_f64 v[6:7], v[234:235], v[102:103]
	;; [unrolled: 3-line block ×3, first 2 shown]
	s_waitcnt vmcnt(0) lgkmcnt(0)
	v_mul_f64 v[2:3], v[196:197], v[206:207]
	v_fmac_f64_e32 v[2:3], v[198:199], v[204:205]
	v_add_f64 v[2:3], v[252:253], v[2:3]
	scratch_load_dwordx4 v[252:255], off, off offset:192
	v_fma_f64 v[6:7], v[236:237], v[104:105], -v[6:7]
	v_add_f64 v[4:5], v[4:5], v[6:7]
	v_mul_f64 v[6:7], v[142:143], v[110:111]
	v_fma_f64 v[6:7], v[140:141], v[108:109], -v[6:7]
	v_add_f64 v[4:5], v[4:5], v[6:7]
	v_mul_f64 v[6:7], v[146:147], v[114:115]
	;; [unrolled: 3-line block ×12, first 2 shown]
	v_fma_f64 v[6:7], v[196:197], v[204:205], -v[6:7]
	v_add_f64 v[4:5], v[4:5], v[6:7]
	s_waitcnt vmcnt(0)
	v_add_f64 v[4:5], v[252:253], -v[4:5]
	v_add_f64 v[6:7], v[254:255], -v[2:3]
	scratch_store_dwordx4 off, v[4:7], off offset:192
	s_and_saveexec_b64 s[0:1], vcc
	s_cbranch_execz .LBB111_281
; %bb.280:
	scratch_load_dwordx4 v[2:5], off, s54
	v_mov_b32_e32 v6, 0
	v_mov_b32_e32 v7, v6
	;; [unrolled: 1-line block ×4, first 2 shown]
	v_accvgpr_read_b32 v0, a97
	scratch_store_dwordx4 off, v[6:9], off offset:176
	s_waitcnt vmcnt(1)
	ds_write_b128 v0, v[2:5]
.LBB111_281:
	s_or_b64 exec, exec, s[0:1]
	s_waitcnt lgkmcnt(0)
	; wave barrier
	scratch_load_dwordx4 v[168:171], off, off offset:192
	scratch_load_dwordx4 v[172:175], off, off offset:208
	;; [unrolled: 1-line block ×32, first 2 shown]
	v_mov_b32_e32 v2, 0
	ds_read_b128 v[176:179], v2 offset:944
	ds_read_b128 v[188:191], v2 offset:960
	;; [unrolled: 1-line block ×17, first 2 shown]
	v_accvgpr_read_b32 v0, a96
	v_cmp_lt_u32_e32 vcc, 9, v0
	s_waitcnt vmcnt(31) lgkmcnt(14)
	v_mul_f64 v[104:105], v[176:177], v[170:171]
	s_waitcnt vmcnt(30)
	v_mul_f64 v[106:107], v[188:189], v[174:175]
	v_fmac_f64_e32 v[104:105], v[178:179], v[168:169]
	s_waitcnt vmcnt(29)
	v_mul_f64 v[108:109], v[200:201], v[182:183]
	v_fmac_f64_e32 v[106:107], v[190:191], v[172:173]
	v_add_f64 v[104:105], v[104:105], 0
	s_waitcnt vmcnt(28) lgkmcnt(13)
	v_mul_f64 v[110:111], v[212:213], v[186:187]
	v_fmac_f64_e32 v[108:109], v[202:203], v[180:181]
	v_add_f64 v[104:105], v[104:105], v[106:107]
	s_waitcnt vmcnt(27) lgkmcnt(12)
	;; [unrolled: 4-line block ×12, first 2 shown]
	v_mul_f64 v[156:157], v[112:113], v[26:27]
	v_fmac_f64_e32 v[154:155], v[118:119], v[20:21]
	v_add_f64 v[104:105], v[104:105], v[152:153]
	v_fmac_f64_e32 v[156:157], v[114:115], v[24:25]
	v_add_f64 v[104:105], v[104:105], v[154:155]
	s_waitcnt vmcnt(16) lgkmcnt(1)
	v_mul_f64 v[106:107], v[100:101], v[30:31]
	v_add_f64 v[104:105], v[104:105], v[156:157]
	v_fmac_f64_e32 v[106:107], v[102:103], v[28:29]
	v_add_f64 v[108:109], v[104:105], v[106:107]
	ds_read_b128 v[144:147], v2 offset:1216
	ds_read_b128 v[148:151], v2 offset:1232
	scratch_load_dwordx4 v[104:107], off, off offset:704
	s_waitcnt vmcnt(16) lgkmcnt(2)
	v_mul_f64 v[110:111], v[96:97], v[34:35]
	v_fmac_f64_e32 v[110:111], v[98:99], v[32:33]
	v_add_f64 v[120:121], v[108:109], v[110:111]
	scratch_load_dwordx4 v[108:111], off, off offset:720
	s_waitcnt vmcnt(16) lgkmcnt(1)
	v_mul_f64 v[122:123], v[144:145], v[38:39]
	v_fmac_f64_e32 v[122:123], v[146:147], v[36:37]
	v_add_f64 v[132:133], v[120:121], v[122:123]
	s_waitcnt vmcnt(15) lgkmcnt(0)
	v_mul_f64 v[134:135], v[148:149], v[42:43]
	scratch_load_dwordx4 v[120:123], off, off offset:736
	v_fmac_f64_e32 v[134:135], v[150:151], v[40:41]
	v_add_f64 v[160:161], v[132:133], v[134:135]
	scratch_load_dwordx4 v[132:135], off, off offset:752
	ds_read_b128 v[152:155], v2 offset:1248
	ds_read_b128 v[156:159], v2 offset:1264
	v_mul_f64 v[170:171], v[178:179], v[170:171]
	v_fma_f64 v[246:247], v[176:177], v[168:169], -v[170:171]
	ds_read_b128 v[168:171], v2 offset:1312
	s_waitcnt vmcnt(16) lgkmcnt(2)
	v_mul_f64 v[162:163], v[152:153], v[46:47]
	v_fmac_f64_e32 v[162:163], v[154:155], v[44:45]
	s_waitcnt vmcnt(15) lgkmcnt(1)
	v_mul_f64 v[166:167], v[156:157], v[50:51]
	v_add_f64 v[164:165], v[160:161], v[162:163]
	ds_read_b128 v[160:163], v2 offset:1280
	v_fmac_f64_e32 v[166:167], v[158:159], v[48:49]
	v_add_f64 v[232:233], v[164:165], v[166:167]
	ds_read_b128 v[164:167], v2 offset:1296
	v_mul_f64 v[174:175], v[190:191], v[174:175]
	s_waitcnt vmcnt(14) lgkmcnt(1)
	v_mul_f64 v[234:235], v[160:161], v[54:55]
	v_fmac_f64_e32 v[234:235], v[162:163], v[52:53]
	v_add_f64 v[232:233], v[232:233], v[234:235]
	s_waitcnt vmcnt(13) lgkmcnt(0)
	v_mul_f64 v[176:177], v[164:165], v[58:59]
	v_fmac_f64_e32 v[176:177], v[166:167], v[56:57]
	v_fma_f64 v[248:249], v[188:189], v[172:173], -v[174:175]
	ds_read_b128 v[172:175], v2 offset:1328
	s_waitcnt vmcnt(12)
	v_mul_f64 v[178:179], v[168:169], v[62:63]
	v_add_f64 v[176:177], v[232:233], v[176:177]
	v_fmac_f64_e32 v[178:179], v[170:171], v[60:61]
	v_add_f64 v[188:189], v[176:177], v[178:179]
	ds_read_b128 v[176:179], v2 offset:1344
	v_mul_f64 v[182:183], v[202:203], v[182:183]
	v_fma_f64 v[250:251], v[200:201], v[180:181], -v[182:183]
	ds_read_b128 v[180:183], v2 offset:1360
	s_waitcnt vmcnt(11) lgkmcnt(2)
	v_mul_f64 v[190:191], v[172:173], v[66:67]
	v_fmac_f64_e32 v[190:191], v[174:175], v[64:65]
	v_add_f64 v[188:189], v[188:189], v[190:191]
	s_waitcnt vmcnt(10) lgkmcnt(1)
	v_mul_f64 v[190:191], v[176:177], v[70:71]
	v_fmac_f64_e32 v[190:191], v[178:179], v[68:69]
	v_mul_f64 v[186:187], v[214:215], v[186:187]
	v_fma_f64 v[240:241], v[212:213], v[184:185], -v[186:187]
	ds_read_b128 v[184:187], v2 offset:1376
	v_add_f64 v[188:189], v[188:189], v[190:191]
	s_waitcnt vmcnt(9) lgkmcnt(1)
	v_mul_f64 v[190:191], v[180:181], v[74:75]
	v_fmac_f64_e32 v[190:191], v[182:183], v[72:73]
	v_add_f64 v[200:201], v[188:189], v[190:191]
	ds_read_b128 v[188:191], v2 offset:1392
	v_mul_f64 v[194:195], v[222:223], v[194:195]
	v_fma_f64 v[232:233], v[220:221], v[192:193], -v[194:195]
	ds_read_b128 v[192:195], v2 offset:1408
	s_waitcnt vmcnt(8) lgkmcnt(2)
	v_mul_f64 v[202:203], v[184:185], v[78:79]
	v_fmac_f64_e32 v[202:203], v[186:187], v[76:77]
	v_add_f64 v[200:201], v[200:201], v[202:203]
	s_waitcnt vmcnt(7) lgkmcnt(1)
	v_mul_f64 v[202:203], v[188:189], v[82:83]
	v_fmac_f64_e32 v[202:203], v[190:191], v[80:81]
	v_mul_f64 v[198:199], v[226:227], v[198:199]
	v_add_f64 v[200:201], v[200:201], v[202:203]
	v_fma_f64 v[234:235], v[224:225], v[196:197], -v[198:199]
	ds_read_b128 v[196:199], v2 offset:1424
	s_waitcnt vmcnt(6) lgkmcnt(1)
	v_mul_f64 v[202:203], v[192:193], v[86:87]
	v_fmac_f64_e32 v[202:203], v[194:195], v[84:85]
	v_add_f64 v[212:213], v[200:201], v[202:203]
	ds_read_b128 v[200:203], v2 offset:1440
	v_mul_f64 v[206:207], v[230:231], v[206:207]
	v_fma_f64 v[236:237], v[228:229], v[204:205], -v[206:207]
	ds_read_b128 v[204:207], v2 offset:1456
	s_waitcnt vmcnt(5) lgkmcnt(2)
	v_mul_f64 v[214:215], v[196:197], v[94:95]
	v_fmac_f64_e32 v[214:215], v[198:199], v[92:93]
	v_add_f64 v[212:213], v[212:213], v[214:215]
	s_waitcnt vmcnt(4) lgkmcnt(1)
	v_mul_f64 v[214:215], v[200:201], v[90:91]
	v_fmac_f64_e32 v[214:215], v[202:203], v[88:89]
	v_mul_f64 v[210:211], v[244:245], v[210:211]
	v_fma_f64 v[238:239], v[242:243], v[208:209], -v[210:211]
	ds_read_b128 v[208:211], v2 offset:1472
	v_add_f64 v[212:213], v[212:213], v[214:215]
	s_waitcnt vmcnt(3) lgkmcnt(1)
	v_mul_f64 v[214:215], v[204:205], v[106:107]
	v_fmac_f64_e32 v[214:215], v[206:207], v[104:105]
	v_add_f64 v[220:221], v[212:213], v[214:215]
	ds_read_b128 v[212:215], v2 offset:1488
	v_mul_f64 v[218:219], v[254:255], v[218:219]
	v_fma_f64 v[242:243], v[252:253], v[216:217], -v[218:219]
	ds_read_b128 v[216:219], v2 offset:1504
	ds_read_b128 v[224:227], v2 offset:1520
	s_waitcnt vmcnt(2) lgkmcnt(3)
	v_mul_f64 v[222:223], v[208:209], v[110:111]
	v_fmac_f64_e32 v[222:223], v[210:211], v[108:109]
	v_add_f64 v[220:221], v[220:221], v[222:223]
	s_waitcnt vmcnt(1) lgkmcnt(2)
	v_mul_f64 v[222:223], v[212:213], v[122:123]
	v_fmac_f64_e32 v[222:223], v[214:215], v[120:121]
	v_add_f64 v[220:221], v[220:221], v[222:223]
	;; [unrolled: 4-line block ×3, first 2 shown]
	scratch_load_dwordx4 v[220:223], off, off offset:768
	v_mul_f64 v[6:7], v[142:143], v[6:7]
	v_fma_f64 v[4:5], v[140:141], v[4:5], -v[6:7]
	v_mul_f64 v[6:7], v[138:139], v[10:11]
	v_fma_f64 v[6:7], v[136:137], v[8:9], -v[6:7]
	s_waitcnt vmcnt(0) lgkmcnt(0)
	v_mul_f64 v[230:231], v[224:225], v[222:223]
	v_fmac_f64_e32 v[230:231], v[226:227], v[220:221]
	v_add_f64 v[244:245], v[228:229], v[230:231]
	v_add_f64 v[228:229], v[246:247], 0
	;; [unrolled: 1-line block ×6, first 2 shown]
	scratch_load_dwordx4 v[228:231], off, off offset:176
	v_add_f64 v[232:233], v[252:253], v[234:235]
	v_add_f64 v[232:233], v[232:233], v[236:237]
	;; [unrolled: 1-line block ×6, first 2 shown]
	v_mul_f64 v[6:7], v[130:131], v[14:15]
	v_fma_f64 v[6:7], v[128:129], v[12:13], -v[6:7]
	v_add_f64 v[4:5], v[4:5], v[6:7]
	v_mul_f64 v[6:7], v[126:127], v[18:19]
	v_fma_f64 v[6:7], v[124:125], v[16:17], -v[6:7]
	v_add_f64 v[4:5], v[4:5], v[6:7]
	;; [unrolled: 3-line block ×26, first 2 shown]
	s_waitcnt vmcnt(0)
	v_add_f64 v[4:5], v[228:229], -v[4:5]
	v_add_f64 v[6:7], v[230:231], -v[244:245]
	scratch_store_dwordx4 off, v[4:7], off offset:176
	s_and_saveexec_b64 s[0:1], vcc
	s_cbranch_execz .LBB111_283
; %bb.282:
	scratch_load_dwordx4 v[6:9], off, s55
	v_mov_b32_e32 v3, v2
	v_mov_b32_e32 v4, v2
	v_mov_b32_e32 v5, v2
	v_accvgpr_read_b32 v0, a97
	scratch_store_dwordx4 off, v[2:5], off offset:160
	s_waitcnt vmcnt(1)
	ds_write_b128 v0, v[6:9]
.LBB111_283:
	s_or_b64 exec, exec, s[0:1]
	s_waitcnt lgkmcnt(0)
	; wave barrier
	scratch_load_dwordx4 v[168:171], off, off offset:176
	scratch_load_dwordx4 v[172:175], off, off offset:192
	;; [unrolled: 1-line block ×16, first 2 shown]
	ds_read_b128 v[232:235], v2 offset:928
	ds_read_b128 v[176:179], v2 offset:944
	scratch_load_dwordx4 v[32:35], off, off offset:432
	ds_read_b128 v[236:239], v2 offset:960
	ds_read_b128 v[188:191], v2 offset:976
	;; [unrolled: 1-line block ×5, first 2 shown]
	scratch_load_dwordx4 v[36:39], off, off offset:448
	ds_read_b128 v[224:227], v2 offset:1040
	ds_read_b128 v[220:223], v2 offset:1056
	;; [unrolled: 1-line block ×3, first 2 shown]
	scratch_load_dwordx4 v[40:43], off, off offset:464
	ds_read_b128 v[64:67], v2 offset:1088
	ds_read_b128 v[60:63], v2 offset:1104
	;; [unrolled: 1-line block ×4, first 2 shown]
	scratch_load_dwordx4 v[48:51], off, off offset:480
	ds_read_b128 v[80:83], v2 offset:1152
	ds_read_b128 v[72:75], v2 offset:1168
	;; [unrolled: 1-line block ×3, first 2 shown]
	scratch_load_dwordx4 v[76:79], off, off offset:496
	scratch_load_dwordx4 v[84:87], off, off offset:512
	;; [unrolled: 1-line block ×12, first 2 shown]
	v_accvgpr_read_b32 v0, a96
	v_cmp_lt_u32_e32 vcc, 8, v0
	s_waitcnt vmcnt(31) lgkmcnt(14)
	v_mul_f64 v[128:129], v[232:233], v[170:171]
	s_waitcnt vmcnt(30)
	v_mul_f64 v[130:131], v[176:177], v[174:175]
	v_fmac_f64_e32 v[128:129], v[234:235], v[168:169]
	s_waitcnt vmcnt(29)
	v_mul_f64 v[132:133], v[236:237], v[182:183]
	v_fmac_f64_e32 v[130:131], v[178:179], v[172:173]
	v_add_f64 v[128:129], v[128:129], 0
	s_waitcnt vmcnt(28) lgkmcnt(13)
	v_mul_f64 v[134:135], v[188:189], v[186:187]
	v_fmac_f64_e32 v[132:133], v[238:239], v[180:181]
	v_add_f64 v[128:129], v[128:129], v[130:131]
	s_waitcnt vmcnt(27) lgkmcnt(12)
	;; [unrolled: 4-line block ×13, first 2 shown]
	v_mul_f64 v[158:159], v[72:73], v[30:31]
	v_fmac_f64_e32 v[156:157], v[82:83], v[24:25]
	v_add_f64 v[128:129], v[128:129], v[154:155]
	v_add_f64 v[128:129], v[128:129], v[156:157]
	v_fmac_f64_e32 v[158:159], v[74:75], v[28:29]
	v_add_f64 v[132:133], v[128:129], v[158:159]
	ds_read_b128 v[144:147], v2 offset:1200
	ds_read_b128 v[148:151], v2 offset:1216
	scratch_load_dwordx4 v[128:131], off, off offset:688
	s_waitcnt vmcnt(16) lgkmcnt(2)
	v_mul_f64 v[134:135], v[68:69], v[34:35]
	v_fmac_f64_e32 v[134:135], v[70:71], v[32:33]
	s_waitcnt vmcnt(15) lgkmcnt(1)
	v_mul_f64 v[138:139], v[144:145], v[38:39]
	v_add_f64 v[136:137], v[132:133], v[134:135]
	scratch_load_dwordx4 v[132:135], off, off offset:704
	v_fmac_f64_e32 v[138:139], v[146:147], v[36:37]
	v_add_f64 v[140:141], v[136:137], v[138:139]
	s_waitcnt vmcnt(15) lgkmcnt(0)
	v_mul_f64 v[142:143], v[148:149], v[42:43]
	scratch_load_dwordx4 v[136:139], off, off offset:720
	v_fmac_f64_e32 v[142:143], v[150:151], v[40:41]
	v_add_f64 v[160:161], v[140:141], v[142:143]
	scratch_load_dwordx4 v[140:143], off, off offset:736
	ds_read_b128 v[152:155], v2 offset:1232
	ds_read_b128 v[156:159], v2 offset:1248
	v_mul_f64 v[170:171], v[234:235], v[170:171]
	v_fma_f64 v[244:245], v[232:233], v[168:169], -v[170:171]
	ds_read_b128 v[168:171], v2 offset:1296
	s_waitcnt vmcnt(16) lgkmcnt(2)
	v_mul_f64 v[162:163], v[152:153], v[50:51]
	v_fmac_f64_e32 v[162:163], v[154:155], v[48:49]
	s_waitcnt vmcnt(15) lgkmcnt(1)
	v_mul_f64 v[166:167], v[156:157], v[78:79]
	v_add_f64 v[164:165], v[160:161], v[162:163]
	ds_read_b128 v[160:163], v2 offset:1264
	v_fmac_f64_e32 v[166:167], v[158:159], v[76:77]
	v_add_f64 v[240:241], v[164:165], v[166:167]
	ds_read_b128 v[164:167], v2 offset:1280
	v_mul_f64 v[174:175], v[178:179], v[174:175]
	s_waitcnt vmcnt(14) lgkmcnt(1)
	v_mul_f64 v[242:243], v[160:161], v[86:87]
	v_fmac_f64_e32 v[242:243], v[162:163], v[84:85]
	v_add_f64 v[240:241], v[240:241], v[242:243]
	s_waitcnt vmcnt(13) lgkmcnt(0)
	v_mul_f64 v[232:233], v[164:165], v[90:91]
	v_fmac_f64_e32 v[232:233], v[166:167], v[88:89]
	v_add_f64 v[232:233], v[240:241], v[232:233]
	v_fma_f64 v[240:241], v[176:177], v[172:173], -v[174:175]
	ds_read_b128 v[172:175], v2 offset:1312
	s_waitcnt vmcnt(12)
	v_mul_f64 v[176:177], v[168:169], v[94:95]
	v_fmac_f64_e32 v[176:177], v[170:171], v[92:93]
	v_add_f64 v[232:233], v[232:233], v[176:177]
	ds_read_b128 v[176:179], v2 offset:1328
	v_mul_f64 v[182:183], v[238:239], v[182:183]
	v_fma_f64 v[236:237], v[236:237], v[180:181], -v[182:183]
	ds_read_b128 v[180:183], v2 offset:1344
	s_waitcnt vmcnt(11) lgkmcnt(2)
	v_mul_f64 v[234:235], v[172:173], v[98:99]
	v_fmac_f64_e32 v[234:235], v[174:175], v[96:97]
	v_add_f64 v[232:233], v[232:233], v[234:235]
	s_waitcnt vmcnt(10) lgkmcnt(1)
	v_mul_f64 v[234:235], v[176:177], v[102:103]
	v_fmac_f64_e32 v[234:235], v[178:179], v[100:101]
	v_mul_f64 v[186:187], v[190:191], v[186:187]
	s_waitcnt vmcnt(9) lgkmcnt(0)
	v_mul_f64 v[190:191], v[180:181], v[106:107]
	v_fma_f64 v[238:239], v[188:189], v[184:185], -v[186:187]
	ds_read_b128 v[184:187], v2 offset:1360
	v_add_f64 v[188:189], v[232:233], v[234:235]
	v_fmac_f64_e32 v[190:191], v[182:183], v[104:105]
	v_add_f64 v[232:233], v[188:189], v[190:191]
	ds_read_b128 v[188:191], v2 offset:1376
	v_mul_f64 v[194:195], v[230:231], v[194:195]
	v_fma_f64 v[246:247], v[228:229], v[192:193], -v[194:195]
	ds_read_b128 v[192:195], v2 offset:1392
	s_waitcnt vmcnt(8) lgkmcnt(2)
	v_mul_f64 v[234:235], v[184:185], v[110:111]
	v_fmac_f64_e32 v[234:235], v[186:187], v[108:109]
	s_waitcnt vmcnt(7) lgkmcnt(1)
	v_mul_f64 v[228:229], v[188:189], v[114:115]
	v_mul_f64 v[198:199], v[202:203], v[198:199]
	v_add_f64 v[232:233], v[232:233], v[234:235]
	v_fmac_f64_e32 v[228:229], v[190:191], v[112:113]
	v_fma_f64 v[248:249], v[200:201], v[196:197], -v[198:199]
	ds_read_b128 v[196:199], v2 offset:1408
	s_waitcnt vmcnt(6) lgkmcnt(1)
	v_mul_f64 v[200:201], v[192:193], v[118:119]
	v_add_f64 v[228:229], v[232:233], v[228:229]
	v_fmac_f64_e32 v[200:201], v[194:195], v[116:117]
	v_add_f64 v[228:229], v[228:229], v[200:201]
	ds_read_b128 v[200:203], v2 offset:1424
	v_mul_f64 v[206:207], v[214:215], v[206:207]
	v_fma_f64 v[250:251], v[212:213], v[204:205], -v[206:207]
	ds_read_b128 v[204:207], v2 offset:1440
	s_waitcnt vmcnt(5) lgkmcnt(2)
	v_mul_f64 v[230:231], v[196:197], v[126:127]
	v_fmac_f64_e32 v[230:231], v[198:199], v[124:125]
	s_waitcnt vmcnt(4) lgkmcnt(1)
	v_mul_f64 v[212:213], v[200:201], v[122:123]
	v_add_f64 v[228:229], v[228:229], v[230:231]
	v_fmac_f64_e32 v[212:213], v[202:203], v[120:121]
	v_mul_f64 v[210:211], v[226:227], v[210:211]
	s_waitcnt vmcnt(3) lgkmcnt(0)
	v_mul_f64 v[214:215], v[204:205], v[130:131]
	v_fma_f64 v[242:243], v[224:225], v[208:209], -v[210:211]
	ds_read_b128 v[208:211], v2 offset:1456
	v_add_f64 v[212:213], v[228:229], v[212:213]
	v_fmac_f64_e32 v[214:215], v[206:207], v[128:129]
	v_add_f64 v[224:225], v[212:213], v[214:215]
	ds_read_b128 v[212:215], v2 offset:1472
	v_mul_f64 v[218:219], v[222:223], v[218:219]
	v_fma_f64 v[252:253], v[220:221], v[216:217], -v[218:219]
	ds_read_b128 v[216:219], v2 offset:1488
	s_waitcnt vmcnt(2) lgkmcnt(2)
	v_mul_f64 v[220:221], v[208:209], v[134:135]
	v_fmac_f64_e32 v[220:221], v[210:211], v[132:133]
	s_waitcnt vmcnt(1) lgkmcnt(1)
	v_mul_f64 v[222:223], v[212:213], v[138:139]
	v_add_f64 v[220:221], v[224:225], v[220:221]
	v_fmac_f64_e32 v[222:223], v[214:215], v[136:137]
	v_add_f64 v[220:221], v[220:221], v[222:223]
	ds_read_b128 v[224:227], v2 offset:1504
	s_waitcnt vmcnt(0) lgkmcnt(1)
	v_mul_f64 v[222:223], v[216:217], v[142:143]
	v_fmac_f64_e32 v[222:223], v[218:219], v[140:141]
	v_add_f64 v[228:229], v[220:221], v[222:223]
	scratch_load_dwordx4 v[220:223], off, off offset:752
	scratch_load_dwordx4 v[232:235], off, off offset:768
	v_add_f64 v[244:245], v[244:245], 0
	v_add_f64 v[240:241], v[244:245], v[240:241]
	v_add_f64 v[236:237], v[240:241], v[236:237]
	v_add_f64 v[236:237], v[236:237], v[238:239]
	v_add_f64 v[236:237], v[236:237], v[246:247]
	v_add_f64 v[236:237], v[236:237], v[248:249]
	v_mul_f64 v[6:7], v[46:47], v[6:7]
	v_fma_f64 v[4:5], v[44:45], v[4:5], -v[6:7]
	v_mul_f64 v[6:7], v[66:67], v[10:11]
	v_fma_f64 v[6:7], v[64:65], v[8:9], -v[6:7]
	s_waitcnt vmcnt(1) lgkmcnt(0)
	v_mul_f64 v[230:231], v[224:225], v[222:223]
	v_fmac_f64_e32 v[230:231], v[226:227], v[220:221]
	v_add_f64 v[254:255], v[228:229], v[230:231]
	ds_read_b128 v[228:231], v2 offset:1520
	s_waitcnt vmcnt(0) lgkmcnt(0)
	v_mul_f64 v[2:3], v[228:229], v[234:235]
	v_fmac_f64_e32 v[2:3], v[230:231], v[232:233]
	v_add_f64 v[2:3], v[254:255], v[2:3]
	v_add_f64 v[254:255], v[236:237], v[250:251]
	scratch_load_dwordx4 v[236:239], off, off offset:160
	v_add_f64 v[240:241], v[254:255], v[242:243]
	v_add_f64 v[240:241], v[240:241], v[252:253]
	v_add_f64 v[4:5], v[240:241], v[4:5]
	v_add_f64 v[4:5], v[4:5], v[6:7]
	v_mul_f64 v[6:7], v[62:63], v[14:15]
	v_fma_f64 v[6:7], v[60:61], v[12:13], -v[6:7]
	v_add_f64 v[4:5], v[4:5], v[6:7]
	v_mul_f64 v[6:7], v[58:59], v[18:19]
	v_fma_f64 v[6:7], v[56:57], v[16:17], -v[6:7]
	v_add_f64 v[4:5], v[4:5], v[6:7]
	v_mul_f64 v[6:7], v[54:55], v[22:23]
	v_fma_f64 v[6:7], v[52:53], v[20:21], -v[6:7]
	v_add_f64 v[4:5], v[4:5], v[6:7]
	v_mul_f64 v[6:7], v[82:83], v[26:27]
	v_fma_f64 v[6:7], v[80:81], v[24:25], -v[6:7]
	v_add_f64 v[4:5], v[4:5], v[6:7]
	v_mul_f64 v[6:7], v[74:75], v[30:31]
	v_fma_f64 v[6:7], v[72:73], v[28:29], -v[6:7]
	v_add_f64 v[4:5], v[4:5], v[6:7]
	v_mul_f64 v[6:7], v[70:71], v[34:35]
	v_fma_f64 v[6:7], v[68:69], v[32:33], -v[6:7]
	v_add_f64 v[4:5], v[4:5], v[6:7]
	v_mul_f64 v[6:7], v[146:147], v[38:39]
	v_fma_f64 v[6:7], v[144:145], v[36:37], -v[6:7]
	v_add_f64 v[4:5], v[4:5], v[6:7]
	v_mul_f64 v[6:7], v[150:151], v[42:43]
	v_fma_f64 v[6:7], v[148:149], v[40:41], -v[6:7]
	v_add_f64 v[4:5], v[4:5], v[6:7]
	v_mul_f64 v[6:7], v[154:155], v[50:51]
	v_fma_f64 v[6:7], v[152:153], v[48:49], -v[6:7]
	v_add_f64 v[4:5], v[4:5], v[6:7]
	v_mul_f64 v[6:7], v[158:159], v[78:79]
	v_fma_f64 v[6:7], v[156:157], v[76:77], -v[6:7]
	v_add_f64 v[4:5], v[4:5], v[6:7]
	v_mul_f64 v[6:7], v[162:163], v[86:87]
	v_fma_f64 v[6:7], v[160:161], v[84:85], -v[6:7]
	v_add_f64 v[4:5], v[4:5], v[6:7]
	v_mul_f64 v[6:7], v[166:167], v[90:91]
	v_fma_f64 v[6:7], v[164:165], v[88:89], -v[6:7]
	v_add_f64 v[4:5], v[4:5], v[6:7]
	v_mul_f64 v[6:7], v[170:171], v[94:95]
	v_fma_f64 v[6:7], v[168:169], v[92:93], -v[6:7]
	v_add_f64 v[4:5], v[4:5], v[6:7]
	v_mul_f64 v[6:7], v[174:175], v[98:99]
	v_fma_f64 v[6:7], v[172:173], v[96:97], -v[6:7]
	v_add_f64 v[4:5], v[4:5], v[6:7]
	v_mul_f64 v[6:7], v[178:179], v[102:103]
	v_fma_f64 v[6:7], v[176:177], v[100:101], -v[6:7]
	v_add_f64 v[4:5], v[4:5], v[6:7]
	v_mul_f64 v[6:7], v[182:183], v[106:107]
	v_fma_f64 v[6:7], v[180:181], v[104:105], -v[6:7]
	v_add_f64 v[4:5], v[4:5], v[6:7]
	v_mul_f64 v[6:7], v[186:187], v[110:111]
	v_fma_f64 v[6:7], v[184:185], v[108:109], -v[6:7]
	v_add_f64 v[4:5], v[4:5], v[6:7]
	v_mul_f64 v[6:7], v[190:191], v[114:115]
	v_fma_f64 v[6:7], v[188:189], v[112:113], -v[6:7]
	v_add_f64 v[4:5], v[4:5], v[6:7]
	v_mul_f64 v[6:7], v[194:195], v[118:119]
	v_fma_f64 v[6:7], v[192:193], v[116:117], -v[6:7]
	v_add_f64 v[4:5], v[4:5], v[6:7]
	v_mul_f64 v[6:7], v[198:199], v[126:127]
	v_fma_f64 v[6:7], v[196:197], v[124:125], -v[6:7]
	v_add_f64 v[4:5], v[4:5], v[6:7]
	v_mul_f64 v[6:7], v[202:203], v[122:123]
	v_fma_f64 v[6:7], v[200:201], v[120:121], -v[6:7]
	v_add_f64 v[4:5], v[4:5], v[6:7]
	v_mul_f64 v[6:7], v[206:207], v[130:131]
	v_fma_f64 v[6:7], v[204:205], v[128:129], -v[6:7]
	v_add_f64 v[4:5], v[4:5], v[6:7]
	v_mul_f64 v[6:7], v[210:211], v[134:135]
	v_fma_f64 v[6:7], v[208:209], v[132:133], -v[6:7]
	v_add_f64 v[4:5], v[4:5], v[6:7]
	v_mul_f64 v[6:7], v[214:215], v[138:139]
	v_fma_f64 v[6:7], v[212:213], v[136:137], -v[6:7]
	v_add_f64 v[4:5], v[4:5], v[6:7]
	v_mul_f64 v[6:7], v[218:219], v[142:143]
	v_fma_f64 v[6:7], v[216:217], v[140:141], -v[6:7]
	v_add_f64 v[4:5], v[4:5], v[6:7]
	v_mul_f64 v[6:7], v[226:227], v[222:223]
	v_fma_f64 v[6:7], v[224:225], v[220:221], -v[6:7]
	v_add_f64 v[4:5], v[4:5], v[6:7]
	v_mul_f64 v[6:7], v[230:231], v[234:235]
	v_fma_f64 v[6:7], v[228:229], v[232:233], -v[6:7]
	v_add_f64 v[4:5], v[4:5], v[6:7]
	s_waitcnt vmcnt(0)
	v_add_f64 v[4:5], v[236:237], -v[4:5]
	v_add_f64 v[6:7], v[238:239], -v[2:3]
	scratch_store_dwordx4 off, v[4:7], off offset:160
	s_and_saveexec_b64 s[0:1], vcc
	s_cbranch_execz .LBB111_285
; %bb.284:
	scratch_load_dwordx4 v[2:5], off, s56
	v_mov_b32_e32 v6, 0
	v_mov_b32_e32 v7, v6
	;; [unrolled: 1-line block ×4, first 2 shown]
	v_accvgpr_read_b32 v0, a97
	scratch_store_dwordx4 off, v[6:9], off offset:144
	s_waitcnt vmcnt(1)
	ds_write_b128 v0, v[2:5]
.LBB111_285:
	s_or_b64 exec, exec, s[0:1]
	s_waitcnt lgkmcnt(0)
	; wave barrier
	scratch_load_dwordx4 v[80:83], off, off offset:160
	scratch_load_dwordx4 v[84:87], off, off offset:176
	scratch_load_dwordx4 v[88:91], off, off offset:192
	scratch_load_dwordx4 v[92:95], off, off offset:208
	scratch_load_dwordx4 v[96:99], off, off offset:224
	scratch_load_dwordx4 v[100:103], off, off offset:240
	scratch_load_dwordx4 v[104:107], off, off offset:256
	scratch_load_dwordx4 v[108:111], off, off offset:272
	scratch_load_dwordx4 v[112:115], off, off offset:288
	scratch_load_dwordx4 v[116:119], off, off offset:304
	scratch_load_dwordx4 v[120:123], off, off offset:320
	scratch_load_dwordx4 v[234:237], off, off offset:336
	scratch_load_dwordx4 v[8:11], off, off offset:352
	scratch_load_dwordx4 v[12:15], off, off offset:368
	scratch_load_dwordx4 v[16:19], off, off offset:384
	scratch_load_dwordx4 v[20:23], off, off offset:400
	scratch_load_dwordx4 v[24:27], off, off offset:416
	scratch_load_dwordx4 v[28:31], off, off offset:432
	scratch_load_dwordx4 v[32:35], off, off offset:448
	scratch_load_dwordx4 v[36:39], off, off offset:464
	scratch_load_dwordx4 v[40:43], off, off offset:480
	scratch_load_dwordx4 v[44:47], off, off offset:496
	scratch_load_dwordx4 v[48:51], off, off offset:512
	scratch_load_dwordx4 v[52:55], off, off offset:528
	scratch_load_dwordx4 v[56:59], off, off offset:544
	scratch_load_dwordx4 v[60:63], off, off offset:560
	scratch_load_dwordx4 v[64:67], off, off offset:576
	scratch_load_dwordx4 v[68:71], off, off offset:592
	scratch_load_dwordx4 v[72:75], off, off offset:608
	scratch_load_dwordx4 v[76:79], off, off offset:624
	scratch_load_dwordx4 v[124:127], off, off offset:640
	v_mov_b32_e32 v2, 0
	ds_read_b128 v[196:199], v2 offset:912
	ds_read_b128 v[200:203], v2 offset:928
	;; [unrolled: 1-line block ×20, first 2 shown]
	s_waitcnt vmcnt(30) lgkmcnt(14)
	v_mul_f64 v[140:141], v[196:197], v[82:83]
	s_waitcnt vmcnt(29)
	v_mul_f64 v[142:143], v[200:201], v[86:87]
	v_fmac_f64_e32 v[140:141], v[198:199], v[80:81]
	s_waitcnt vmcnt(28)
	v_mul_f64 v[152:153], v[204:205], v[90:91]
	v_fmac_f64_e32 v[142:143], v[202:203], v[84:85]
	v_add_f64 v[140:141], v[140:141], 0
	s_waitcnt vmcnt(27)
	v_mul_f64 v[154:155], v[208:209], v[94:95]
	v_fmac_f64_e32 v[152:153], v[206:207], v[88:89]
	v_add_f64 v[140:141], v[140:141], v[142:143]
	;; [unrolled: 4-line block ×4, first 2 shown]
	s_waitcnt vmcnt(24) lgkmcnt(13)
	v_mul_f64 v[164:165], v[220:221], v[106:107]
	v_fmac_f64_e32 v[162:163], v[218:219], v[100:101]
	v_add_f64 v[140:141], v[140:141], v[160:161]
	s_waitcnt vmcnt(23) lgkmcnt(12)
	v_mul_f64 v[166:167], v[224:225], v[110:111]
	v_fmac_f64_e32 v[164:165], v[222:223], v[104:105]
	v_add_f64 v[140:141], v[140:141], v[162:163]
	;; [unrolled: 4-line block ×8, first 2 shown]
	v_fmac_f64_e32 v[178:179], v[146:147], v[12:13]
	v_add_f64 v[140:141], v[140:141], v[176:177]
	v_add_f64 v[140:141], v[140:141], v[178:179]
	ds_read_b128 v[176:179], v2 offset:1184
	s_waitcnt vmcnt(16) lgkmcnt(6)
	v_mul_f64 v[180:181], v[136:137], v[18:19]
	s_waitcnt vmcnt(15) lgkmcnt(5)
	v_mul_f64 v[182:183], v[132:133], v[22:23]
	v_fmac_f64_e32 v[180:181], v[138:139], v[16:17]
	v_add_f64 v[152:153], v[140:141], v[180:181]
	v_fmac_f64_e32 v[182:183], v[134:135], v[20:21]
	scratch_load_dwordx4 v[140:143], off, off offset:656
	s_waitcnt vmcnt(15) lgkmcnt(4)
	v_mul_f64 v[154:155], v[128:129], v[26:27]
	v_add_f64 v[152:153], v[152:153], v[182:183]
	v_fmac_f64_e32 v[154:155], v[130:131], v[24:25]
	v_add_f64 v[160:161], v[152:153], v[154:155]
	ds_read_b128 v[180:183], v2 offset:1200
	s_waitcnt vmcnt(14) lgkmcnt(1)
	v_mul_f64 v[162:163], v[176:177], v[30:31]
	scratch_load_dwordx4 v[152:155], off, off offset:672
	v_fmac_f64_e32 v[162:163], v[178:179], v[28:29]
	v_add_f64 v[164:165], v[160:161], v[162:163]
	scratch_load_dwordx4 v[160:163], off, off offset:688
	s_waitcnt vmcnt(15) lgkmcnt(0)
	v_mul_f64 v[166:167], v[180:181], v[34:35]
	v_fmac_f64_e32 v[166:167], v[182:183], v[32:33]
	v_add_f64 v[168:169], v[164:165], v[166:167]
	s_waitcnt vmcnt(14)
	v_mul_f64 v[170:171], v[184:185], v[38:39]
	scratch_load_dwordx4 v[164:167], off, off offset:704
	v_fmac_f64_e32 v[170:171], v[186:187], v[36:37]
	v_add_f64 v[168:169], v[168:169], v[170:171]
	s_waitcnt vmcnt(14)
	v_mul_f64 v[170:171], v[188:189], v[42:43]
	scratch_load_dwordx4 v[172:175], off, off offset:720
	v_fmac_f64_e32 v[170:171], v[190:191], v[40:41]
	v_add_f64 v[232:233], v[168:169], v[170:171]
	scratch_load_dwordx4 v[168:171], off, off offset:736
	v_mul_f64 v[82:83], v[198:199], v[82:83]
	v_fma_f64 v[240:241], v[196:197], v[80:81], -v[82:83]
	ds_read_b128 v[196:199], v2 offset:1264
	s_waitcnt vmcnt(15)
	v_mul_f64 v[80:81], v[192:193], v[46:47]
	v_fmac_f64_e32 v[80:81], v[194:195], v[44:45]
	v_add_f64 v[232:233], v[232:233], v[80:81]
	v_mul_f64 v[80:81], v[202:203], v[86:87]
	v_fma_f64 v[246:247], v[200:201], v[84:85], -v[80:81]
	scratch_load_dwordx4 v[80:83], off, off offset:752
	ds_read_b128 v[84:87], v2 offset:1280
	v_mul_f64 v[90:91], v[206:207], v[90:91]
	v_fma_f64 v[248:249], v[204:205], v[88:89], -v[90:91]
	ds_read_b128 v[88:91], v2 offset:1296
	s_waitcnt vmcnt(15) lgkmcnt(2)
	v_mul_f64 v[200:201], v[196:197], v[50:51]
	v_fmac_f64_e32 v[200:201], v[198:199], v[48:49]
	s_waitcnt vmcnt(14) lgkmcnt(1)
	v_mul_f64 v[202:203], v[84:85], v[54:55]
	v_add_f64 v[200:201], v[232:233], v[200:201]
	v_fmac_f64_e32 v[202:203], v[86:87], v[52:53]
	v_mul_f64 v[94:95], v[210:211], v[94:95]
	v_fma_f64 v[250:251], v[208:209], v[92:93], -v[94:95]
	ds_read_b128 v[92:95], v2 offset:1312
	v_add_f64 v[200:201], v[200:201], v[202:203]
	s_waitcnt vmcnt(13) lgkmcnt(1)
	v_mul_f64 v[202:203], v[88:89], v[58:59]
	v_fmac_f64_e32 v[202:203], v[90:91], v[56:57]
	v_add_f64 v[204:205], v[200:201], v[202:203]
	ds_read_b128 v[200:203], v2 offset:1328
	v_mul_f64 v[98:99], v[214:215], v[98:99]
	v_fma_f64 v[232:233], v[212:213], v[96:97], -v[98:99]
	ds_read_b128 v[96:99], v2 offset:1344
	s_waitcnt vmcnt(12) lgkmcnt(2)
	v_mul_f64 v[206:207], v[92:93], v[62:63]
	v_fmac_f64_e32 v[206:207], v[94:95], v[60:61]
	v_add_f64 v[204:205], v[204:205], v[206:207]
	s_waitcnt vmcnt(11) lgkmcnt(1)
	v_mul_f64 v[206:207], v[200:201], v[66:67]
	v_fmac_f64_e32 v[206:207], v[202:203], v[64:65]
	v_mul_f64 v[102:103], v[218:219], v[102:103]
	v_add_f64 v[204:205], v[204:205], v[206:207]
	v_fma_f64 v[4:5], v[216:217], v[100:101], -v[102:103]
	ds_read_b128 v[100:103], v2 offset:1360
	s_waitcnt vmcnt(10) lgkmcnt(1)
	v_mul_f64 v[206:207], v[96:97], v[70:71]
	v_fmac_f64_e32 v[206:207], v[98:99], v[68:69]
	v_add_f64 v[208:209], v[204:205], v[206:207]
	ds_read_b128 v[204:207], v2 offset:1376
	v_mul_f64 v[106:107], v[222:223], v[106:107]
	v_fma_f64 v[0:1], v[220:221], v[104:105], -v[106:107]
	ds_read_b128 v[104:107], v2 offset:1392
	s_waitcnt vmcnt(9) lgkmcnt(2)
	v_mul_f64 v[210:211], v[100:101], v[74:75]
	v_fmac_f64_e32 v[210:211], v[102:103], v[72:73]
	v_add_f64 v[208:209], v[208:209], v[210:211]
	s_waitcnt vmcnt(8) lgkmcnt(1)
	v_mul_f64 v[210:211], v[204:205], v[78:79]
	v_fmac_f64_e32 v[210:211], v[206:207], v[76:77]
	v_mul_f64 v[6:7], v[226:227], v[110:111]
	v_fma_f64 v[6:7], v[224:225], v[108:109], -v[6:7]
	ds_read_b128 v[108:111], v2 offset:1408
	v_add_f64 v[208:209], v[208:209], v[210:211]
	s_waitcnt vmcnt(7) lgkmcnt(1)
	v_mul_f64 v[210:211], v[104:105], v[126:127]
	v_fmac_f64_e32 v[210:211], v[106:107], v[124:125]
	v_mul_f64 v[114:115], v[230:231], v[114:115]
	v_add_f64 v[212:213], v[208:209], v[210:211]
	ds_read_b128 v[208:211], v2 offset:1424
	v_fma_f64 v[112:113], v[228:229], v[112:113], -v[114:115]
	v_accvgpr_write_b32 a98, v112
	v_accvgpr_write_b32 a99, v113
	ds_read_b128 v[112:115], v2 offset:1440
	s_waitcnt vmcnt(6) lgkmcnt(2)
	v_mul_f64 v[214:215], v[108:109], v[142:143]
	v_fmac_f64_e32 v[214:215], v[110:111], v[140:141]
	v_add_f64 v[212:213], v[212:213], v[214:215]
	s_waitcnt vmcnt(5) lgkmcnt(1)
	v_mul_f64 v[214:215], v[208:209], v[154:155]
	v_fmac_f64_e32 v[214:215], v[210:211], v[152:153]
	v_mul_f64 v[118:119], v[244:245], v[118:119]
	v_add_f64 v[212:213], v[212:213], v[214:215]
	v_fma_f64 v[238:239], v[242:243], v[116:117], -v[118:119]
	ds_read_b128 v[116:119], v2 offset:1456
	s_waitcnt vmcnt(4) lgkmcnt(1)
	v_mul_f64 v[214:215], v[112:113], v[162:163]
	v_fmac_f64_e32 v[214:215], v[114:115], v[160:161]
	v_add_f64 v[216:217], v[212:213], v[214:215]
	ds_read_b128 v[212:215], v2 offset:1472
	v_mul_f64 v[122:123], v[254:255], v[122:123]
	v_fma_f64 v[242:243], v[252:253], v[120:121], -v[122:123]
	ds_read_b128 v[120:123], v2 offset:1488
	s_waitcnt vmcnt(3) lgkmcnt(2)
	v_mul_f64 v[218:219], v[116:117], v[166:167]
	v_fmac_f64_e32 v[218:219], v[118:119], v[164:165]
	v_add_f64 v[216:217], v[216:217], v[218:219]
	s_waitcnt vmcnt(2) lgkmcnt(1)
	v_mul_f64 v[218:219], v[212:213], v[174:175]
	v_fmac_f64_e32 v[218:219], v[214:215], v[172:173]
	v_add_f64 v[216:217], v[216:217], v[218:219]
	;; [unrolled: 4-line block ×3, first 2 shown]
	ds_read_b128 v[216:219], v2 offset:1504
	ds_read_b128 v[224:227], v2 offset:1520
	s_waitcnt vmcnt(0) lgkmcnt(1)
	v_mul_f64 v[222:223], v[216:217], v[82:83]
	v_fmac_f64_e32 v[222:223], v[218:219], v[80:81]
	v_add_f64 v[228:229], v[220:221], v[222:223]
	scratch_load_dwordx4 v[220:223], off, off offset:768
	s_waitcnt vmcnt(0) lgkmcnt(0)
	v_mul_f64 v[230:231], v[224:225], v[222:223]
	v_fmac_f64_e32 v[230:231], v[226:227], v[220:221]
	v_add_f64 v[244:245], v[228:229], v[230:231]
	v_add_f64 v[228:229], v[240:241], 0
	v_add_f64 v[228:229], v[228:229], v[246:247]
	v_add_f64 v[228:229], v[228:229], v[248:249]
	v_add_f64 v[228:229], v[228:229], v[250:251]
	v_add_f64 v[228:229], v[228:229], v[232:233]
	v_add_f64 v[4:5], v[228:229], v[4:5]
	scratch_load_dwordx4 v[228:231], off, off offset:144
	v_add_f64 v[252:253], v[4:5], v[0:1]
	v_accvgpr_read_b32 v4, a98
	v_add_f64 v[0:1], v[252:253], v[6:7]
	v_accvgpr_read_b32 v5, a99
	v_add_f64 v[0:1], v[0:1], v[4:5]
	v_add_f64 v[0:1], v[0:1], v[238:239]
	v_mul_f64 v[4:5], v[158:159], v[236:237]
	v_add_f64 v[0:1], v[0:1], v[242:243]
	v_fma_f64 v[4:5], v[156:157], v[234:235], -v[4:5]
	v_add_f64 v[0:1], v[0:1], v[4:5]
	v_mul_f64 v[4:5], v[150:151], v[10:11]
	v_fma_f64 v[4:5], v[148:149], v[8:9], -v[4:5]
	v_add_f64 v[0:1], v[0:1], v[4:5]
	v_mul_f64 v[4:5], v[146:147], v[14:15]
	;; [unrolled: 3-line block ×27, first 2 shown]
	v_fma_f64 v[4:5], v[224:225], v[220:221], -v[4:5]
	v_add_f64 v[0:1], v[0:1], v[4:5]
	s_waitcnt vmcnt(0)
	v_add_f64 v[4:5], v[228:229], -v[0:1]
	v_accvgpr_read_b32 v0, a96
	v_add_f64 v[6:7], v[230:231], -v[244:245]
	v_cmp_lt_u32_e32 vcc, 7, v0
	scratch_store_dwordx4 off, v[4:7], off offset:144
	s_and_saveexec_b64 s[0:1], vcc
	s_cbranch_execz .LBB111_287
; %bb.286:
	scratch_load_dwordx4 v[6:9], off, s57
	v_mov_b32_e32 v3, v2
	v_mov_b32_e32 v4, v2
	;; [unrolled: 1-line block ×3, first 2 shown]
	v_accvgpr_read_b32 v0, a97
	scratch_store_dwordx4 off, v[2:5], off offset:128
	s_waitcnt vmcnt(1)
	ds_write_b128 v0, v[6:9]
.LBB111_287:
	s_or_b64 exec, exec, s[0:1]
	s_waitcnt lgkmcnt(0)
	; wave barrier
	scratch_load_dwordx4 v[132:135], off, off offset:144
	scratch_load_dwordx4 v[160:163], off, off offset:160
	;; [unrolled: 1-line block ×16, first 2 shown]
	ds_read_b128 v[156:159], v2 offset:896
	ds_read_b128 v[172:175], v2 offset:912
	scratch_load_dwordx4 v[24:27], off, off offset:400
	ds_read_b128 v[232:235], v2 offset:928
	ds_read_b128 v[228:231], v2 offset:944
	scratch_load_dwordx4 v[28:31], off, off offset:416
	ds_read_b128 v[236:239], v2 offset:960
	ds_read_b128 v[184:187], v2 offset:976
	;; [unrolled: 1-line block ×5, first 2 shown]
	scratch_load_dwordx4 v[32:35], off, off offset:432
	ds_read_b128 v[220:223], v2 offset:1040
	ds_read_b128 v[216:219], v2 offset:1056
	;; [unrolled: 1-line block ×3, first 2 shown]
	scratch_load_dwordx4 v[36:39], off, off offset:448
	ds_read_b128 v[64:67], v2 offset:1088
	ds_read_b128 v[60:63], v2 offset:1104
	;; [unrolled: 1-line block ×5, first 2 shown]
	scratch_load_dwordx4 v[52:55], off, off offset:464
	scratch_load_dwordx4 v[68:71], off, off offset:480
	;; [unrolled: 1-line block ×11, first 2 shown]
	ds_read_b128 v[144:147], v2 offset:1200
	ds_read_b128 v[148:151], v2 offset:1216
	;; [unrolled: 1-line block ×3, first 2 shown]
	s_waitcnt vmcnt(30) lgkmcnt(14)
	v_mul_f64 v[0:1], v[156:157], v[134:135]
	s_waitcnt vmcnt(29)
	v_mul_f64 v[108:109], v[172:173], v[162:163]
	v_fmac_f64_e32 v[0:1], v[158:159], v[132:133]
	s_waitcnt vmcnt(28)
	v_mul_f64 v[110:111], v[232:233], v[166:167]
	v_fmac_f64_e32 v[108:109], v[174:175], v[160:161]
	v_add_f64 v[0:1], v[0:1], 0
	s_waitcnt vmcnt(27)
	v_mul_f64 v[112:113], v[228:229], v[170:171]
	v_fmac_f64_e32 v[110:111], v[234:235], v[164:165]
	v_add_f64 v[0:1], v[0:1], v[108:109]
	s_waitcnt vmcnt(26)
	v_mul_f64 v[114:115], v[236:237], v[178:179]
	v_fmac_f64_e32 v[112:113], v[230:231], v[168:169]
	v_add_f64 v[0:1], v[0:1], v[110:111]
	s_waitcnt vmcnt(25)
	v_mul_f64 v[116:117], v[184:185], v[182:183]
	v_fmac_f64_e32 v[114:115], v[238:239], v[176:177]
	v_add_f64 v[0:1], v[0:1], v[112:113]
	s_waitcnt vmcnt(24) lgkmcnt(13)
	v_mul_f64 v[118:119], v[224:225], v[190:191]
	v_fmac_f64_e32 v[116:117], v[186:187], v[180:181]
	v_add_f64 v[0:1], v[0:1], v[114:115]
	s_waitcnt vmcnt(23) lgkmcnt(12)
	v_mul_f64 v[120:121], v[196:197], v[194:195]
	v_fmac_f64_e32 v[118:119], v[226:227], v[188:189]
	v_add_f64 v[0:1], v[0:1], v[116:117]
	;; [unrolled: 4-line block ×9, first 2 shown]
	v_fmac_f64_e32 v[138:139], v[58:59], v[16:17]
	v_add_f64 v[0:1], v[0:1], v[136:137]
	v_add_f64 v[0:1], v[0:1], v[138:139]
	ds_read_b128 v[136:139], v2 offset:1168
	s_waitcnt vmcnt(15) lgkmcnt(5)
	v_mul_f64 v[140:141], v[48:49], v[22:23]
	v_fmac_f64_e32 v[140:141], v[50:51], v[20:21]
	s_waitcnt vmcnt(14) lgkmcnt(4)
	v_mul_f64 v[112:113], v[44:45], v[26:27]
	scratch_load_dwordx4 v[108:111], off, off offset:640
	v_add_f64 v[0:1], v[0:1], v[140:141]
	v_fmac_f64_e32 v[112:113], v[46:47], v[24:25]
	v_add_f64 v[0:1], v[0:1], v[112:113]
	scratch_load_dwordx4 v[112:115], off, off offset:656
	ds_read_b128 v[140:143], v2 offset:1184
	s_waitcnt vmcnt(15) lgkmcnt(1)
	v_mul_f64 v[116:117], v[136:137], v[30:31]
	v_fmac_f64_e32 v[116:117], v[138:139], v[28:29]
	v_add_f64 v[0:1], v[0:1], v[116:117]
	scratch_load_dwordx4 v[116:119], off, off offset:672
	s_waitcnt vmcnt(15) lgkmcnt(0)
	v_mul_f64 v[120:121], v[140:141], v[34:35]
	v_fmac_f64_e32 v[120:121], v[142:143], v[32:33]
	s_waitcnt vmcnt(14)
	v_mul_f64 v[124:125], v[144:145], v[38:39]
	v_add_f64 v[0:1], v[0:1], v[120:121]
	scratch_load_dwordx4 v[120:123], off, off offset:688
	v_fmac_f64_e32 v[124:125], v[146:147], v[36:37]
	v_add_f64 v[0:1], v[0:1], v[124:125]
	s_waitcnt vmcnt(14)
	v_mul_f64 v[124:125], v[148:149], v[54:55]
	scratch_load_dwordx4 v[128:131], off, off offset:704
	v_fmac_f64_e32 v[124:125], v[150:151], v[52:53]
	v_add_f64 v[0:1], v[0:1], v[124:125]
	scratch_load_dwordx4 v[124:127], off, off offset:720
	v_mul_f64 v[134:135], v[158:159], v[134:135]
	v_fma_f64 v[240:241], v[156:157], v[132:133], -v[134:135]
	ds_read_b128 v[156:159], v2 offset:1248
	s_waitcnt vmcnt(15)
	v_mul_f64 v[132:133], v[152:153], v[70:71]
	v_fmac_f64_e32 v[132:133], v[154:155], v[68:69]
	v_add_f64 v[0:1], v[0:1], v[132:133]
	v_mul_f64 v[132:133], v[174:175], v[162:163]
	v_fma_f64 v[244:245], v[172:173], v[160:161], -v[132:133]
	scratch_load_dwordx4 v[132:135], off, off offset:736
	ds_read_b128 v[160:163], v2 offset:1264
	v_mul_f64 v[166:167], v[234:235], v[166:167]
	v_fma_f64 v[246:247], v[232:233], v[164:165], -v[166:167]
	ds_read_b128 v[164:167], v2 offset:1280
	s_waitcnt vmcnt(15) lgkmcnt(2)
	v_mul_f64 v[172:173], v[156:157], v[74:75]
	v_fmac_f64_e32 v[172:173], v[158:159], v[72:73]
	v_add_f64 v[0:1], v[0:1], v[172:173]
	s_waitcnt vmcnt(14) lgkmcnt(1)
	v_mul_f64 v[172:173], v[160:161], v[78:79]
	v_fmac_f64_e32 v[172:173], v[162:163], v[76:77]
	v_mul_f64 v[170:171], v[230:231], v[170:171]
	v_fma_f64 v[248:249], v[228:229], v[168:169], -v[170:171]
	ds_read_b128 v[168:171], v2 offset:1296
	v_add_f64 v[0:1], v[0:1], v[172:173]
	s_waitcnt vmcnt(13) lgkmcnt(1)
	v_mul_f64 v[172:173], v[164:165], v[82:83]
	v_fmac_f64_e32 v[172:173], v[166:167], v[80:81]
	v_add_f64 v[0:1], v[0:1], v[172:173]
	ds_read_b128 v[172:175], v2 offset:1312
	v_mul_f64 v[178:179], v[238:239], v[178:179]
	v_fma_f64 v[236:237], v[236:237], v[176:177], -v[178:179]
	ds_read_b128 v[176:179], v2 offset:1328
	s_waitcnt vmcnt(12) lgkmcnt(2)
	v_mul_f64 v[228:229], v[168:169], v[86:87]
	v_fmac_f64_e32 v[228:229], v[170:171], v[84:85]
	v_add_f64 v[0:1], v[0:1], v[228:229]
	s_waitcnt vmcnt(11) lgkmcnt(1)
	v_mul_f64 v[228:229], v[172:173], v[90:91]
	v_mul_f64 v[182:183], v[186:187], v[182:183]
	v_fmac_f64_e32 v[228:229], v[174:175], v[88:89]
	v_fma_f64 v[238:239], v[184:185], v[180:181], -v[182:183]
	ds_read_b128 v[180:183], v2 offset:1344
	s_waitcnt vmcnt(10) lgkmcnt(1)
	v_mul_f64 v[184:185], v[176:177], v[94:95]
	v_add_f64 v[0:1], v[0:1], v[228:229]
	v_fmac_f64_e32 v[184:185], v[178:179], v[92:93]
	v_add_f64 v[0:1], v[0:1], v[184:185]
	ds_read_b128 v[184:187], v2 offset:1360
	v_mul_f64 v[190:191], v[226:227], v[190:191]
	v_fma_f64 v[250:251], v[224:225], v[188:189], -v[190:191]
	ds_read_b128 v[188:191], v2 offset:1376
	s_waitcnt vmcnt(9) lgkmcnt(2)
	v_mul_f64 v[228:229], v[180:181], v[98:99]
	v_fmac_f64_e32 v[228:229], v[182:183], v[96:97]
	s_waitcnt vmcnt(8) lgkmcnt(1)
	v_mul_f64 v[224:225], v[184:185], v[102:103]
	v_mul_f64 v[194:195], v[198:199], v[194:195]
	v_add_f64 v[0:1], v[0:1], v[228:229]
	v_fmac_f64_e32 v[224:225], v[186:187], v[100:101]
	v_fma_f64 v[254:255], v[196:197], v[192:193], -v[194:195]
	s_waitcnt vmcnt(7) lgkmcnt(0)
	v_mul_f64 v[196:197], v[188:189], v[106:107]
	ds_read_b128 v[192:195], v2 offset:1392
	v_add_f64 v[0:1], v[0:1], v[224:225]
	v_fmac_f64_e32 v[196:197], v[190:191], v[104:105]
	v_add_f64 v[0:1], v[0:1], v[196:197]
	ds_read_b128 v[196:199], v2 offset:1408
	v_mul_f64 v[202:203], v[210:211], v[202:203]
	v_fma_f64 v[242:243], v[208:209], v[200:201], -v[202:203]
	ds_read_b128 v[200:203], v2 offset:1424
	s_waitcnt vmcnt(6) lgkmcnt(2)
	v_mul_f64 v[224:225], v[192:193], v[110:111]
	v_fmac_f64_e32 v[224:225], v[194:195], v[108:109]
	s_waitcnt vmcnt(5) lgkmcnt(1)
	v_mul_f64 v[208:209], v[196:197], v[114:115]
	v_add_f64 v[0:1], v[0:1], v[224:225]
	v_fmac_f64_e32 v[208:209], v[198:199], v[112:113]
	v_add_f64 v[208:209], v[0:1], v[208:209]
	v_mul_f64 v[0:1], v[222:223], v[206:207]
	v_fma_f64 v[0:1], v[220:221], v[204:205], -v[0:1]
	ds_read_b128 v[204:207], v2 offset:1440
	s_waitcnt vmcnt(4) lgkmcnt(1)
	v_mul_f64 v[210:211], v[200:201], v[118:119]
	v_fmac_f64_e32 v[210:211], v[202:203], v[116:117]
	v_add_f64 v[220:221], v[208:209], v[210:211]
	ds_read_b128 v[208:211], v2 offset:1456
	v_mul_f64 v[214:215], v[218:219], v[214:215]
	v_fma_f64 v[252:253], v[216:217], v[212:213], -v[214:215]
	ds_read_b128 v[212:215], v2 offset:1472
	s_waitcnt vmcnt(3) lgkmcnt(2)
	v_mul_f64 v[216:217], v[204:205], v[122:123]
	v_fmac_f64_e32 v[216:217], v[206:207], v[120:121]
	s_waitcnt vmcnt(2) lgkmcnt(1)
	v_mul_f64 v[218:219], v[208:209], v[130:131]
	v_add_f64 v[216:217], v[220:221], v[216:217]
	v_fmac_f64_e32 v[218:219], v[210:211], v[128:129]
	v_add_f64 v[216:217], v[216:217], v[218:219]
	s_waitcnt vmcnt(1) lgkmcnt(0)
	v_mul_f64 v[218:219], v[212:213], v[126:127]
	v_fmac_f64_e32 v[218:219], v[214:215], v[124:125]
	v_add_f64 v[220:221], v[216:217], v[218:219]
	ds_read_b128 v[216:219], v2 offset:1488
	ds_read_b128 v[224:227], v2 offset:1504
	scratch_load_dwordx4 v[232:235], off, off offset:768
	v_accvgpr_write_b32 a99, v1
	v_accvgpr_write_b32 a98, v0
	s_waitcnt vmcnt(1) lgkmcnt(1)
	v_mul_f64 v[222:223], v[216:217], v[134:135]
	v_fmac_f64_e32 v[222:223], v[218:219], v[132:133]
	v_add_f64 v[228:229], v[220:221], v[222:223]
	scratch_load_dwordx4 v[220:223], off, off offset:752
	v_mul_f64 v[6:7], v[42:43], v[6:7]
	v_fma_f64 v[4:5], v[40:41], v[4:5], -v[6:7]
	s_waitcnt vmcnt(0) lgkmcnt(0)
	v_mul_f64 v[230:231], v[224:225], v[222:223]
	v_fmac_f64_e32 v[230:231], v[226:227], v[220:221]
	v_add_f64 v[0:1], v[228:229], v[230:231]
	ds_read_b128 v[228:231], v2 offset:1520
	s_waitcnt lgkmcnt(0)
	v_mul_f64 v[2:3], v[228:229], v[234:235]
	v_fmac_f64_e32 v[2:3], v[230:231], v[232:233]
	v_add_f64 v[2:3], v[0:1], v[2:3]
	v_add_f64 v[0:1], v[240:241], 0
	;; [unrolled: 1-line block ×7, first 2 shown]
	scratch_load_dwordx4 v[236:239], off, off offset:128
	v_add_f64 v[0:1], v[0:1], v[250:251]
	v_add_f64 v[0:1], v[0:1], v[254:255]
	;; [unrolled: 1-line block ×3, first 2 shown]
	v_accvgpr_read_b32 v0, a98
	v_accvgpr_read_b32 v1, a99
	v_add_f64 v[0:1], v[254:255], v[0:1]
	v_add_f64 v[0:1], v[0:1], v[252:253]
	;; [unrolled: 1-line block ×3, first 2 shown]
	v_mul_f64 v[4:5], v[66:67], v[10:11]
	v_fma_f64 v[4:5], v[64:65], v[8:9], -v[4:5]
	v_add_f64 v[0:1], v[0:1], v[4:5]
	v_mul_f64 v[4:5], v[62:63], v[14:15]
	v_fma_f64 v[4:5], v[60:61], v[12:13], -v[4:5]
	v_add_f64 v[0:1], v[0:1], v[4:5]
	;; [unrolled: 3-line block ×28, first 2 shown]
	s_waitcnt vmcnt(0)
	v_add_f64 v[4:5], v[236:237], -v[0:1]
	v_accvgpr_read_b32 v0, a96
	v_add_f64 v[6:7], v[238:239], -v[2:3]
	v_cmp_lt_u32_e32 vcc, 6, v0
	scratch_store_dwordx4 off, v[4:7], off offset:128
	s_and_saveexec_b64 s[0:1], vcc
	s_cbranch_execz .LBB111_289
; %bb.288:
	scratch_load_dwordx4 v[2:5], off, s58
	v_mov_b32_e32 v6, 0
	v_mov_b32_e32 v7, v6
	;; [unrolled: 1-line block ×4, first 2 shown]
	v_accvgpr_read_b32 v0, a97
	scratch_store_dwordx4 off, v[6:9], off offset:112
	s_waitcnt vmcnt(1)
	ds_write_b128 v0, v[2:5]
.LBB111_289:
	s_or_b64 exec, exec, s[0:1]
	s_waitcnt lgkmcnt(0)
	; wave barrier
	scratch_load_dwordx4 v[112:115], off, off offset:128
	scratch_load_dwordx4 v[116:119], off, off offset:144
	;; [unrolled: 1-line block ×30, first 2 shown]
	v_mov_b32_e32 v2, 0
	ds_read_b128 v[144:147], v2 offset:880
	ds_read_b128 v[156:159], v2 offset:896
	;; [unrolled: 1-line block ×20, first 2 shown]
	s_waitcnt vmcnt(29) lgkmcnt(14)
	v_mul_f64 v[0:1], v[144:145], v[114:115]
	s_waitcnt vmcnt(28)
	v_mul_f64 v[88:89], v[156:157], v[118:119]
	v_fmac_f64_e32 v[0:1], v[146:147], v[112:113]
	s_waitcnt vmcnt(27)
	v_mul_f64 v[90:91], v[168:169], v[122:123]
	v_fmac_f64_e32 v[88:89], v[158:159], v[116:117]
	v_add_f64 v[0:1], v[0:1], 0
	s_waitcnt vmcnt(26)
	v_mul_f64 v[92:93], v[180:181], v[154:155]
	v_fmac_f64_e32 v[90:91], v[170:171], v[120:121]
	v_add_f64 v[0:1], v[0:1], v[88:89]
	;; [unrolled: 4-line block ×4, first 2 shown]
	s_waitcnt vmcnt(23) lgkmcnt(13)
	v_mul_f64 v[98:99], v[212:213], v[174:175]
	v_fmac_f64_e32 v[96:97], v[206:207], v[164:165]
	v_add_f64 v[0:1], v[0:1], v[94:95]
	s_waitcnt vmcnt(22) lgkmcnt(12)
	v_mul_f64 v[100:101], v[216:217], v[178:179]
	v_fmac_f64_e32 v[98:99], v[214:215], v[172:173]
	v_add_f64 v[0:1], v[0:1], v[96:97]
	;; [unrolled: 4-line block ×9, first 2 shown]
	v_fmac_f64_e32 v[126:127], v[82:83], v[234:235]
	v_add_f64 v[0:1], v[0:1], v[124:125]
	scratch_load_dwordx4 v[88:91], off, off offset:608
	s_waitcnt vmcnt(15) lgkmcnt(4)
	v_mul_f64 v[128:129], v[76:77], v[14:15]
	v_add_f64 v[0:1], v[0:1], v[126:127]
	ds_read_b128 v[124:127], v2 offset:1152
	v_fmac_f64_e32 v[128:129], v[78:79], v[12:13]
	v_add_f64 v[0:1], v[0:1], v[128:129]
	ds_read_b128 v[128:131], v2 offset:1168
	s_waitcnt vmcnt(14) lgkmcnt(5)
	v_mul_f64 v[92:93], v[72:73], v[18:19]
	v_fmac_f64_e32 v[92:93], v[74:75], v[16:17]
	v_add_f64 v[0:1], v[0:1], v[92:93]
	s_waitcnt vmcnt(13) lgkmcnt(1)
	v_mul_f64 v[96:97], v[124:125], v[22:23]
	scratch_load_dwordx4 v[92:95], off, off offset:624
	v_fmac_f64_e32 v[96:97], v[126:127], v[20:21]
	v_add_f64 v[0:1], v[0:1], v[96:97]
	s_waitcnt vmcnt(13) lgkmcnt(0)
	v_mul_f64 v[100:101], v[128:129], v[26:27]
	scratch_load_dwordx4 v[96:99], off, off offset:640
	v_fmac_f64_e32 v[100:101], v[130:131], v[24:25]
	v_add_f64 v[0:1], v[0:1], v[100:101]
	scratch_load_dwordx4 v[100:103], off, off offset:656
	s_waitcnt vmcnt(14)
	v_mul_f64 v[104:105], v[132:133], v[30:31]
	v_fmac_f64_e32 v[104:105], v[134:135], v[28:29]
	v_add_f64 v[0:1], v[0:1], v[104:105]
	s_waitcnt vmcnt(13)
	v_mul_f64 v[104:105], v[136:137], v[34:35]
	v_fmac_f64_e32 v[104:105], v[138:139], v[32:33]
	v_add_f64 v[0:1], v[0:1], v[104:105]
	scratch_load_dwordx4 v[104:107], off, off offset:672
	s_waitcnt vmcnt(13)
	v_mul_f64 v[108:109], v[140:141], v[38:39]
	v_fmac_f64_e32 v[108:109], v[142:143], v[36:37]
	v_add_f64 v[0:1], v[0:1], v[108:109]
	scratch_load_dwordx4 v[108:111], off, off offset:688
	v_mul_f64 v[114:115], v[146:147], v[114:115]
	v_fma_f64 v[240:241], v[144:145], v[112:113], -v[114:115]
	v_mul_f64 v[112:113], v[158:159], v[118:119]
	ds_read_b128 v[148:151], v2 offset:1232
	ds_read_b128 v[144:147], v2 offset:1248
	v_fma_f64 v[246:247], v[156:157], v[116:117], -v[112:113]
	scratch_load_dwordx4 v[116:119], off, off offset:704
	scratch_load_dwordx4 v[112:115], off, off offset:720
	v_mul_f64 v[122:123], v[170:171], v[122:123]
	v_fma_f64 v[248:249], v[168:169], v[120:121], -v[122:123]
	scratch_load_dwordx4 v[120:123], off, off offset:736
	s_waitcnt vmcnt(16) lgkmcnt(1)
	v_mul_f64 v[156:157], v[148:149], v[42:43]
	v_fmac_f64_e32 v[156:157], v[150:151], v[40:41]
	v_mul_f64 v[154:155], v[182:183], v[154:155]
	v_add_f64 v[0:1], v[0:1], v[156:157]
	v_fma_f64 v[250:251], v[180:181], v[152:153], -v[154:155]
	ds_read_b128 v[152:155], v2 offset:1264
	s_waitcnt vmcnt(15) lgkmcnt(1)
	v_mul_f64 v[156:157], v[144:145], v[46:47]
	v_fmac_f64_e32 v[156:157], v[146:147], v[44:45]
	v_add_f64 v[0:1], v[0:1], v[156:157]
	ds_read_b128 v[156:159], v2 offset:1280
	v_mul_f64 v[162:163], v[194:195], v[162:163]
	v_fma_f64 v[232:233], v[192:193], v[160:161], -v[162:163]
	ds_read_b128 v[160:163], v2 offset:1296
	s_waitcnt vmcnt(14) lgkmcnt(2)
	v_mul_f64 v[168:169], v[152:153], v[50:51]
	v_fmac_f64_e32 v[168:169], v[154:155], v[48:49]
	v_add_f64 v[0:1], v[0:1], v[168:169]
	s_waitcnt vmcnt(13) lgkmcnt(1)
	v_mul_f64 v[168:169], v[156:157], v[54:55]
	v_fmac_f64_e32 v[168:169], v[158:159], v[52:53]
	v_mul_f64 v[166:167], v[206:207], v[166:167]
	v_add_f64 v[0:1], v[0:1], v[168:169]
	v_fma_f64 v[238:239], v[204:205], v[164:165], -v[166:167]
	ds_read_b128 v[164:167], v2 offset:1312
	s_waitcnt vmcnt(12) lgkmcnt(1)
	v_mul_f64 v[168:169], v[160:161], v[58:59]
	v_fmac_f64_e32 v[168:169], v[162:163], v[56:57]
	v_add_f64 v[0:1], v[0:1], v[168:169]
	ds_read_b128 v[168:171], v2 offset:1328
	v_accvgpr_write_b32 a101, v7
	v_accvgpr_write_b32 a100, v6
	;; [unrolled: 1-line block ×4, first 2 shown]
	s_waitcnt vmcnt(11) lgkmcnt(1)
	v_mul_f64 v[6:7], v[164:165], v[62:63]
	v_mul_f64 v[174:175], v[214:215], v[174:175]
	v_fmac_f64_e32 v[6:7], v[166:167], v[60:61]
	v_fma_f64 v[8:9], v[212:213], v[172:173], -v[174:175]
	ds_read_b128 v[172:175], v2 offset:1344
	v_add_f64 v[0:1], v[0:1], v[6:7]
	s_waitcnt vmcnt(10) lgkmcnt(1)
	v_mul_f64 v[6:7], v[168:169], v[66:67]
	v_fmac_f64_e32 v[6:7], v[170:171], v[64:65]
	v_add_f64 v[0:1], v[0:1], v[6:7]
	v_mul_f64 v[6:7], v[218:219], v[178:179]
	v_fma_f64 v[4:5], v[216:217], v[176:177], -v[6:7]
	ds_read_b128 v[176:179], v2 offset:1360
	ds_read_b128 v[180:183], v2 offset:1376
	s_waitcnt vmcnt(9) lgkmcnt(2)
	v_mul_f64 v[6:7], v[172:173], v[70:71]
	v_fmac_f64_e32 v[6:7], v[174:175], v[68:69]
	v_add_f64 v[0:1], v[0:1], v[6:7]
	s_waitcnt vmcnt(8) lgkmcnt(1)
	v_mul_f64 v[6:7], v[176:177], v[90:91]
	v_fmac_f64_e32 v[6:7], v[178:179], v[88:89]
	v_add_f64 v[0:1], v[0:1], v[6:7]
	v_mul_f64 v[6:7], v[222:223], v[186:187]
	v_fma_f64 v[10:11], v[220:221], v[184:185], -v[6:7]
	ds_read_b128 v[184:187], v2 offset:1392
	v_mul_f64 v[6:7], v[226:227], v[190:191]
	v_fma_f64 v[6:7], v[224:225], v[188:189], -v[6:7]
	ds_read_b128 v[188:191], v2 offset:1408
	s_waitcnt vmcnt(7) lgkmcnt(2)
	v_mul_f64 v[192:193], v[180:181], v[94:95]
	v_fmac_f64_e32 v[192:193], v[182:183], v[92:93]
	v_add_f64 v[0:1], v[0:1], v[192:193]
	s_waitcnt vmcnt(6) lgkmcnt(1)
	v_mul_f64 v[192:193], v[184:185], v[98:99]
	v_fmac_f64_e32 v[192:193], v[186:187], v[96:97]
	v_add_f64 v[0:1], v[0:1], v[192:193]
	s_waitcnt vmcnt(5) lgkmcnt(0)
	v_mul_f64 v[204:205], v[188:189], v[102:103]
	ds_read_b128 v[192:195], v2 offset:1424
	v_fmac_f64_e32 v[204:205], v[190:191], v[100:101]
	v_add_f64 v[204:205], v[0:1], v[204:205]
	v_mul_f64 v[0:1], v[230:231], v[198:199]
	v_fma_f64 v[0:1], v[228:229], v[196:197], -v[0:1]
	ds_read_b128 v[196:199], v2 offset:1440
	v_mul_f64 v[202:203], v[244:245], v[202:203]
	s_waitcnt vmcnt(4) lgkmcnt(1)
	v_mul_f64 v[206:207], v[192:193], v[106:107]
	v_fma_f64 v[244:245], v[242:243], v[200:201], -v[202:203]
	ds_read_b128 v[200:203], v2 offset:1456
	v_fmac_f64_e32 v[206:207], v[194:195], v[104:105]
	v_add_f64 v[212:213], v[204:205], v[206:207]
	ds_read_b128 v[204:207], v2 offset:1472
	s_waitcnt vmcnt(3) lgkmcnt(2)
	v_mul_f64 v[214:215], v[196:197], v[110:111]
	v_mul_f64 v[210:211], v[254:255], v[210:211]
	v_fmac_f64_e32 v[214:215], v[198:199], v[108:109]
	v_fma_f64 v[242:243], v[252:253], v[208:209], -v[210:211]
	ds_read_b128 v[208:211], v2 offset:1488
	ds_read_b128 v[216:219], v2 offset:1504
	v_add_f64 v[212:213], v[212:213], v[214:215]
	s_waitcnt vmcnt(2) lgkmcnt(3)
	v_mul_f64 v[214:215], v[200:201], v[118:119]
	v_fmac_f64_e32 v[214:215], v[202:203], v[116:117]
	v_add_f64 v[212:213], v[212:213], v[214:215]
	s_waitcnt vmcnt(1) lgkmcnt(2)
	v_mul_f64 v[214:215], v[204:205], v[114:115]
	v_fmac_f64_e32 v[214:215], v[206:207], v[112:113]
	v_add_f64 v[212:213], v[212:213], v[214:215]
	s_waitcnt vmcnt(0) lgkmcnt(1)
	v_mul_f64 v[214:215], v[208:209], v[122:123]
	v_fmac_f64_e32 v[214:215], v[210:211], v[120:121]
	v_add_f64 v[220:221], v[212:213], v[214:215]
	scratch_load_dwordx4 v[212:215], off, off offset:752
	ds_read_b128 v[224:227], v2 offset:1520
	s_waitcnt vmcnt(0) lgkmcnt(1)
	v_mul_f64 v[222:223], v[216:217], v[214:215]
	v_fmac_f64_e32 v[222:223], v[218:219], v[212:213]
	v_add_f64 v[228:229], v[220:221], v[222:223]
	scratch_load_dwordx4 v[220:223], off, off offset:768
	s_waitcnt vmcnt(0) lgkmcnt(0)
	v_mul_f64 v[230:231], v[224:225], v[222:223]
	v_fmac_f64_e32 v[230:231], v[226:227], v[220:221]
	v_add_f64 v[254:255], v[228:229], v[230:231]
	v_add_f64 v[228:229], v[240:241], 0
	;; [unrolled: 1-line block ×8, first 2 shown]
	scratch_load_dwordx4 v[228:231], off, off offset:112
	v_add_f64 v[4:5], v[8:9], v[4:5]
	v_add_f64 v[252:253], v[4:5], v[10:11]
	;; [unrolled: 1-line block ×3, first 2 shown]
	v_accvgpr_read_b32 v6, a98
	v_add_f64 v[0:1], v[4:5], v[0:1]
	v_accvgpr_read_b32 v8, a100
	v_accvgpr_read_b32 v9, a101
	v_add_f64 v[0:1], v[0:1], v[244:245]
	v_accvgpr_read_b32 v7, a99
	v_mul_f64 v[4:5], v[86:87], v[8:9]
	v_add_f64 v[0:1], v[0:1], v[242:243]
	v_fma_f64 v[4:5], v[84:85], v[6:7], -v[4:5]
	v_add_f64 v[0:1], v[0:1], v[4:5]
	v_mul_f64 v[4:5], v[82:83], v[236:237]
	v_fma_f64 v[4:5], v[80:81], v[234:235], -v[4:5]
	v_add_f64 v[0:1], v[0:1], v[4:5]
	v_mul_f64 v[4:5], v[78:79], v[14:15]
	;; [unrolled: 3-line block ×27, first 2 shown]
	v_fma_f64 v[4:5], v[224:225], v[220:221], -v[4:5]
	v_add_f64 v[0:1], v[0:1], v[4:5]
	s_waitcnt vmcnt(0)
	v_add_f64 v[4:5], v[228:229], -v[0:1]
	v_accvgpr_read_b32 v0, a96
	v_add_f64 v[6:7], v[230:231], -v[254:255]
	v_cmp_lt_u32_e32 vcc, 5, v0
	scratch_store_dwordx4 off, v[4:7], off offset:112
	s_and_saveexec_b64 s[0:1], vcc
	s_cbranch_execz .LBB111_291
; %bb.290:
	scratch_load_dwordx4 v[6:9], off, s59
	v_mov_b32_e32 v3, v2
	v_mov_b32_e32 v4, v2
	;; [unrolled: 1-line block ×3, first 2 shown]
	v_accvgpr_read_b32 v0, a97
	scratch_store_dwordx4 off, v[2:5], off offset:96
	s_waitcnt vmcnt(1)
	ds_write_b128 v0, v[6:9]
.LBB111_291:
	s_or_b64 exec, exec, s[0:1]
	s_waitcnt lgkmcnt(0)
	; wave barrier
	scratch_load_dwordx4 v[88:91], off, off offset:112
	scratch_load_dwordx4 v[92:95], off, off offset:128
	;; [unrolled: 1-line block ×17, first 2 shown]
	ds_read_b128 v[212:215], v2 offset:864
	ds_read_b128 v[204:207], v2 offset:880
	;; [unrolled: 1-line block ×3, first 2 shown]
	scratch_load_dwordx4 v[20:23], off, off offset:384
	ds_read_b128 v[216:219], v2 offset:912
	ds_read_b128 v[208:211], v2 offset:928
	;; [unrolled: 1-line block ×5, first 2 shown]
	scratch_load_dwordx4 v[24:27], off, off offset:400
	ds_read_b128 v[180:183], v2 offset:992
	ds_read_b128 v[160:163], v2 offset:1008
	;; [unrolled: 1-line block ×3, first 2 shown]
	scratch_load_dwordx4 v[28:31], off, off offset:416
	ds_read_b128 v[172:175], v2 offset:1040
	ds_read_b128 v[148:151], v2 offset:1056
	;; [unrolled: 1-line block ×5, first 2 shown]
	scratch_load_dwordx4 v[36:39], off, off offset:432
	ds_read_b128 v[48:51], v2 offset:1120
	scratch_load_dwordx4 v[52:55], off, off offset:448
	scratch_load_dwordx4 v[56:59], off, off offset:464
	;; [unrolled: 1-line block ×9, first 2 shown]
	ds_read_b128 v[140:143], v2 offset:1136
	ds_read_b128 v[232:235], v2 offset:1200
	;; [unrolled: 1-line block ×3, first 2 shown]
	s_waitcnt vmcnt(29) lgkmcnt(14)
	v_mul_f64 v[0:1], v[212:213], v[90:91]
	s_waitcnt vmcnt(28)
	v_mul_f64 v[152:153], v[204:205], v[94:95]
	v_fmac_f64_e32 v[0:1], v[214:215], v[88:89]
	s_waitcnt vmcnt(27)
	v_mul_f64 v[154:155], v[196:197], v[98:99]
	v_fmac_f64_e32 v[152:153], v[206:207], v[92:93]
	v_add_f64 v[0:1], v[0:1], 0
	s_waitcnt vmcnt(26)
	v_mul_f64 v[164:165], v[216:217], v[102:103]
	v_fmac_f64_e32 v[154:155], v[198:199], v[96:97]
	v_add_f64 v[0:1], v[0:1], v[152:153]
	;; [unrolled: 4-line block ×4, first 2 shown]
	s_waitcnt vmcnt(23) lgkmcnt(13)
	v_mul_f64 v[170:171], v[184:185], v[114:115]
	v_fmac_f64_e32 v[168:169], v[202:203], v[108:109]
	v_add_f64 v[0:1], v[0:1], v[166:167]
	s_waitcnt vmcnt(22) lgkmcnt(12)
	v_mul_f64 v[176:177], v[156:157], v[118:119]
	v_fmac_f64_e32 v[170:171], v[186:187], v[112:113]
	v_add_f64 v[0:1], v[0:1], v[168:169]
	s_waitcnt vmcnt(21) lgkmcnt(11)
	v_mul_f64 v[178:179], v[180:181], v[122:123]
	v_fmac_f64_e32 v[176:177], v[158:159], v[116:117]
	v_add_f64 v[0:1], v[0:1], v[170:171]
	s_waitcnt vmcnt(20) lgkmcnt(10)
	v_mul_f64 v[188:189], v[160:161], v[126:127]
	v_fmac_f64_e32 v[178:179], v[182:183], v[120:121]
	v_add_f64 v[0:1], v[0:1], v[176:177]
	s_waitcnt vmcnt(19) lgkmcnt(9)
	v_mul_f64 v[190:191], v[144:145], v[130:131]
	v_fmac_f64_e32 v[188:189], v[162:163], v[124:125]
	v_add_f64 v[0:1], v[0:1], v[178:179]
	s_waitcnt vmcnt(18) lgkmcnt(8)
	v_mul_f64 v[192:193], v[172:173], v[134:135]
	v_fmac_f64_e32 v[190:191], v[146:147], v[128:129]
	v_add_f64 v[0:1], v[0:1], v[188:189]
	s_waitcnt vmcnt(17) lgkmcnt(7)
	v_mul_f64 v[194:195], v[148:149], v[138:139]
	v_fmac_f64_e32 v[192:193], v[174:175], v[132:133]
	v_add_f64 v[0:1], v[0:1], v[190:191]
	s_waitcnt vmcnt(16) lgkmcnt(6)
	v_mul_f64 v[220:221], v[44:45], v[6:7]
	v_fmac_f64_e32 v[194:195], v[150:151], v[136:137]
	v_add_f64 v[0:1], v[0:1], v[192:193]
	s_waitcnt vmcnt(15) lgkmcnt(5)
	v_mul_f64 v[222:223], v[40:41], v[10:11]
	v_fmac_f64_e32 v[220:221], v[46:47], v[4:5]
	v_add_f64 v[0:1], v[0:1], v[194:195]
	s_waitcnt vmcnt(14) lgkmcnt(4)
	v_mul_f64 v[224:225], v[32:33], v[14:15]
	v_fmac_f64_e32 v[222:223], v[42:43], v[8:9]
	v_add_f64 v[0:1], v[0:1], v[220:221]
	v_fmac_f64_e32 v[224:225], v[34:35], v[12:13]
	v_add_f64 v[0:1], v[0:1], v[222:223]
	ds_read_b128 v[220:223], v2 offset:1152
	v_add_f64 v[0:1], v[0:1], v[224:225]
	ds_read_b128 v[224:227], v2 offset:1168
	s_waitcnt vmcnt(13) lgkmcnt(5)
	v_mul_f64 v[164:165], v[48:49], v[18:19]
	scratch_load_dwordx4 v[152:155], off, off offset:592
	v_fmac_f64_e32 v[164:165], v[50:51], v[16:17]
	s_waitcnt vmcnt(13) lgkmcnt(4)
	v_mul_f64 v[168:169], v[140:141], v[22:23]
	v_add_f64 v[0:1], v[0:1], v[164:165]
	v_fmac_f64_e32 v[168:169], v[142:143], v[20:21]
	scratch_load_dwordx4 v[164:167], off, off offset:608
	v_add_f64 v[0:1], v[0:1], v[168:169]
	s_waitcnt vmcnt(13) lgkmcnt(1)
	v_mul_f64 v[176:177], v[220:221], v[26:27]
	scratch_load_dwordx4 v[168:171], off, off offset:624
	v_fmac_f64_e32 v[176:177], v[222:223], v[24:25]
	s_waitcnt vmcnt(13) lgkmcnt(0)
	v_mul_f64 v[188:189], v[224:225], v[30:31]
	v_add_f64 v[0:1], v[0:1], v[176:177]
	scratch_load_dwordx4 v[176:179], off, off offset:640
	v_fmac_f64_e32 v[188:189], v[226:227], v[28:29]
	v_add_f64 v[0:1], v[0:1], v[188:189]
	s_waitcnt vmcnt(13)
	v_mul_f64 v[188:189], v[228:229], v[38:39]
	v_fmac_f64_e32 v[188:189], v[230:231], v[36:37]
	v_add_f64 v[0:1], v[0:1], v[188:189]
	scratch_load_dwordx4 v[188:191], off, off offset:656
	s_waitcnt vmcnt(13)
	v_mul_f64 v[192:193], v[232:233], v[54:55]
	v_fmac_f64_e32 v[192:193], v[234:235], v[52:53]
	v_mul_f64 v[90:91], v[214:215], v[90:91]
	v_add_f64 v[0:1], v[0:1], v[192:193]
	scratch_load_dwordx4 v[192:195], off, off offset:672
	v_fma_f64 v[240:241], v[212:213], v[88:89], -v[90:91]
	v_mul_f64 v[88:89], v[206:207], v[94:95]
	ds_read_b128 v[236:239], v2 offset:1216
	ds_read_b128 v[212:215], v2 offset:1232
	v_fma_f64 v[244:245], v[204:205], v[92:93], -v[88:89]
	scratch_load_dwordx4 v[92:95], off, off offset:688
	scratch_load_dwordx4 v[88:91], off, off offset:704
	v_mul_f64 v[98:99], v[198:199], v[98:99]
	v_fma_f64 v[246:247], v[196:197], v[96:97], -v[98:99]
	scratch_load_dwordx4 v[96:99], off, off offset:720
	s_waitcnt vmcnt(16) lgkmcnt(1)
	v_mul_f64 v[204:205], v[236:237], v[58:59]
	v_mul_f64 v[102:103], v[218:219], v[102:103]
	v_fmac_f64_e32 v[204:205], v[238:239], v[56:57]
	v_fma_f64 v[216:217], v[216:217], v[100:101], -v[102:103]
	ds_read_b128 v[100:103], v2 offset:1248
	s_waitcnt vmcnt(15) lgkmcnt(1)
	v_mul_f64 v[196:197], v[212:213], v[62:63]
	v_add_f64 v[0:1], v[0:1], v[204:205]
	v_fmac_f64_e32 v[196:197], v[214:215], v[60:61]
	v_add_f64 v[0:1], v[0:1], v[196:197]
	ds_read_b128 v[196:199], v2 offset:1264
	v_mul_f64 v[106:107], v[210:211], v[106:107]
	v_fma_f64 v[218:219], v[208:209], v[104:105], -v[106:107]
	ds_read_b128 v[104:107], v2 offset:1280
	s_waitcnt vmcnt(14) lgkmcnt(2)
	v_mul_f64 v[204:205], v[100:101], v[66:67]
	v_fmac_f64_e32 v[204:205], v[102:103], v[64:65]
	v_add_f64 v[0:1], v[0:1], v[204:205]
	s_waitcnt vmcnt(13) lgkmcnt(1)
	v_mul_f64 v[204:205], v[196:197], v[70:71]
	v_mul_f64 v[110:111], v[202:203], v[110:111]
	v_fmac_f64_e32 v[204:205], v[198:199], v[68:69]
	v_fma_f64 v[248:249], v[200:201], v[108:109], -v[110:111]
	ds_read_b128 v[108:111], v2 offset:1296
	s_waitcnt vmcnt(12) lgkmcnt(1)
	v_mul_f64 v[200:201], v[104:105], v[74:75]
	v_add_f64 v[0:1], v[0:1], v[204:205]
	v_fmac_f64_e32 v[200:201], v[106:107], v[72:73]
	v_add_f64 v[0:1], v[0:1], v[200:201]
	ds_read_b128 v[200:203], v2 offset:1312
	v_mul_f64 v[114:115], v[186:187], v[114:115]
	v_fma_f64 v[250:251], v[184:185], v[112:113], -v[114:115]
	ds_read_b128 v[112:115], v2 offset:1328
	s_waitcnt vmcnt(11) lgkmcnt(2)
	v_mul_f64 v[184:185], v[108:109], v[78:79]
	v_fmac_f64_e32 v[184:185], v[110:111], v[76:77]
	v_add_f64 v[0:1], v[0:1], v[184:185]
	s_waitcnt vmcnt(10) lgkmcnt(1)
	v_mul_f64 v[184:185], v[200:201], v[82:83]
	v_mul_f64 v[118:119], v[158:159], v[118:119]
	v_fmac_f64_e32 v[184:185], v[202:203], v[80:81]
	v_fma_f64 v[254:255], v[156:157], v[116:117], -v[118:119]
	s_waitcnt vmcnt(9) lgkmcnt(0)
	v_mul_f64 v[156:157], v[112:113], v[86:87]
	v_add_f64 v[0:1], v[0:1], v[184:185]
	ds_read_b128 v[116:119], v2 offset:1344
	v_fmac_f64_e32 v[156:157], v[114:115], v[84:85]
	v_add_f64 v[0:1], v[0:1], v[156:157]
	ds_read_b128 v[156:159], v2 offset:1360
	v_mul_f64 v[122:123], v[182:183], v[122:123]
	v_fma_f64 v[242:243], v[180:181], v[120:121], -v[122:123]
	ds_read_b128 v[120:123], v2 offset:1376
	v_accvgpr_write_b32 a101, v7
	v_mul_f64 v[126:127], v[162:163], v[126:127]
	v_accvgpr_write_b32 a100, v6
	v_accvgpr_write_b32 a99, v5
	;; [unrolled: 1-line block ×3, first 2 shown]
	v_fma_f64 v[4:5], v[160:161], v[124:125], -v[126:127]
	ds_read_b128 v[124:127], v2 offset:1392
	s_waitcnt vmcnt(8) lgkmcnt(3)
	v_mul_f64 v[184:185], v[116:117], v[154:155]
	v_fmac_f64_e32 v[184:185], v[118:119], v[152:153]
	s_waitcnt vmcnt(7) lgkmcnt(2)
	v_mul_f64 v[180:181], v[156:157], v[166:167]
	v_add_f64 v[0:1], v[0:1], v[184:185]
	v_fmac_f64_e32 v[180:181], v[158:159], v[164:165]
	s_waitcnt vmcnt(6) lgkmcnt(1)
	v_mul_f64 v[6:7], v[120:121], v[170:171]
	ds_read_b128 v[160:163], v2 offset:1408
	v_add_f64 v[0:1], v[0:1], v[180:181]
	v_fmac_f64_e32 v[6:7], v[122:123], v[168:169]
	v_add_f64 v[0:1], v[0:1], v[6:7]
	s_waitcnt vmcnt(5) lgkmcnt(1)
	v_mul_f64 v[6:7], v[124:125], v[178:179]
	v_fmac_f64_e32 v[6:7], v[126:127], v[176:177]
	v_add_f64 v[0:1], v[0:1], v[6:7]
	v_mul_f64 v[6:7], v[146:147], v[130:131]
	v_fma_f64 v[6:7], v[144:145], v[128:129], -v[6:7]
	ds_read_b128 v[128:131], v2 offset:1424
	s_waitcnt vmcnt(4) lgkmcnt(1)
	v_mul_f64 v[144:145], v[160:161], v[190:191]
	v_fmac_f64_e32 v[144:145], v[162:163], v[188:189]
	v_add_f64 v[180:181], v[0:1], v[144:145]
	v_mul_f64 v[0:1], v[174:175], v[134:135]
	v_fma_f64 v[0:1], v[172:173], v[132:133], -v[0:1]
	ds_read_b128 v[132:135], v2 offset:1440
	ds_read_b128 v[144:147], v2 offset:1456
	v_mul_f64 v[138:139], v[150:151], v[138:139]
	v_fma_f64 v[252:253], v[148:149], v[136:137], -v[138:139]
	ds_read_b128 v[136:139], v2 offset:1472
	s_waitcnt vmcnt(3) lgkmcnt(3)
	v_mul_f64 v[172:173], v[128:129], v[194:195]
	v_fmac_f64_e32 v[172:173], v[130:131], v[192:193]
	s_waitcnt vmcnt(2) lgkmcnt(2)
	v_mul_f64 v[148:149], v[132:133], v[94:95]
	v_add_f64 v[172:173], v[180:181], v[172:173]
	v_fmac_f64_e32 v[148:149], v[134:135], v[92:93]
	s_waitcnt vmcnt(1) lgkmcnt(1)
	v_mul_f64 v[150:151], v[144:145], v[90:91]
	v_add_f64 v[148:149], v[172:173], v[148:149]
	v_fmac_f64_e32 v[150:151], v[146:147], v[88:89]
	v_add_f64 v[148:149], v[148:149], v[150:151]
	ds_read_b128 v[172:175], v2 offset:1488
	scratch_load_dwordx4 v[208:211], off, off offset:768
	s_waitcnt vmcnt(1) lgkmcnt(1)
	v_mul_f64 v[150:151], v[136:137], v[98:99]
	v_fmac_f64_e32 v[150:151], v[138:139], v[96:97]
	v_add_f64 v[180:181], v[148:149], v[150:151]
	scratch_load_dwordx4 v[148:151], off, off offset:736
	ds_read_b128 v[184:187], v2 offset:1504
	v_accvgpr_write_b32 a103, v1
	v_accvgpr_write_b32 a102, v0
	s_waitcnt vmcnt(0) lgkmcnt(1)
	v_mul_f64 v[182:183], v[172:173], v[150:151]
	v_fmac_f64_e32 v[182:183], v[174:175], v[148:149]
	v_add_f64 v[204:205], v[180:181], v[182:183]
	scratch_load_dwordx4 v[180:183], off, off offset:752
	s_waitcnt vmcnt(0) lgkmcnt(0)
	v_mul_f64 v[206:207], v[184:185], v[182:183]
	v_fmac_f64_e32 v[206:207], v[186:187], v[180:181]
	v_add_f64 v[0:1], v[204:205], v[206:207]
	ds_read_b128 v[204:207], v2 offset:1520
	s_waitcnt lgkmcnt(0)
	v_mul_f64 v[2:3], v[204:205], v[210:211]
	v_fmac_f64_e32 v[2:3], v[206:207], v[208:209]
	v_add_f64 v[2:3], v[0:1], v[2:3]
	v_add_f64 v[0:1], v[240:241], 0
	;; [unrolled: 1-line block ×6, first 2 shown]
	scratch_load_dwordx4 v[216:219], off, off offset:96
	v_add_f64 v[0:1], v[0:1], v[248:249]
	v_add_f64 v[0:1], v[0:1], v[250:251]
	;; [unrolled: 1-line block ×6, first 2 shown]
	v_accvgpr_read_b32 v0, a102
	v_accvgpr_read_b32 v243, a101
	;; [unrolled: 1-line block ×4, first 2 shown]
	v_add_f64 v[0:1], v[254:255], v[0:1]
	v_accvgpr_read_b32 v241, a99
	v_accvgpr_read_b32 v240, a98
	v_mul_f64 v[4:5], v[46:47], v[242:243]
	v_add_f64 v[0:1], v[0:1], v[252:253]
	v_fma_f64 v[4:5], v[44:45], v[240:241], -v[4:5]
	v_add_f64 v[0:1], v[0:1], v[4:5]
	v_mul_f64 v[4:5], v[42:43], v[10:11]
	v_fma_f64 v[4:5], v[40:41], v[8:9], -v[4:5]
	v_add_f64 v[0:1], v[0:1], v[4:5]
	v_mul_f64 v[4:5], v[34:35], v[14:15]
	;; [unrolled: 3-line block ×28, first 2 shown]
	v_fma_f64 v[4:5], v[204:205], v[208:209], -v[4:5]
	v_add_f64 v[0:1], v[0:1], v[4:5]
	s_waitcnt vmcnt(0)
	v_add_f64 v[4:5], v[216:217], -v[0:1]
	v_accvgpr_read_b32 v0, a96
	v_add_f64 v[6:7], v[218:219], -v[2:3]
	v_cmp_lt_u32_e32 vcc, 4, v0
	scratch_store_dwordx4 off, v[4:7], off offset:96
	s_and_saveexec_b64 s[0:1], vcc
	s_cbranch_execz .LBB111_293
; %bb.292:
	scratch_load_dwordx4 v[2:5], off, s60
	v_mov_b32_e32 v6, 0
	v_mov_b32_e32 v7, v6
	;; [unrolled: 1-line block ×4, first 2 shown]
	v_accvgpr_read_b32 v0, a97
	scratch_store_dwordx4 off, v[6:9], off offset:80
	s_waitcnt vmcnt(1)
	ds_write_b128 v0, v[2:5]
.LBB111_293:
	s_or_b64 exec, exec, s[0:1]
	s_waitcnt lgkmcnt(0)
	; wave barrier
	scratch_load_dwordx4 v[96:99], off, off offset:96
	scratch_load_dwordx4 v[100:103], off, off offset:112
	;; [unrolled: 1-line block ×30, first 2 shown]
	v_mov_b32_e32 v2, 0
	ds_read_b128 v[136:139], v2 offset:848
	ds_read_b128 v[144:147], v2 offset:864
	;; [unrolled: 1-line block ×20, first 2 shown]
	s_waitcnt vmcnt(29) lgkmcnt(14)
	v_mul_f64 v[0:1], v[136:137], v[98:99]
	s_waitcnt vmcnt(28)
	v_mul_f64 v[72:73], v[144:145], v[102:103]
	v_fmac_f64_e32 v[0:1], v[138:139], v[96:97]
	s_waitcnt vmcnt(27)
	v_mul_f64 v[74:75], v[148:149], v[106:107]
	v_fmac_f64_e32 v[72:73], v[146:147], v[100:101]
	v_add_f64 v[0:1], v[0:1], 0
	s_waitcnt vmcnt(26)
	v_mul_f64 v[76:77], v[164:165], v[110:111]
	v_fmac_f64_e32 v[74:75], v[150:151], v[104:105]
	v_add_f64 v[0:1], v[0:1], v[72:73]
	;; [unrolled: 4-line block ×4, first 2 shown]
	s_waitcnt vmcnt(23) lgkmcnt(13)
	v_mul_f64 v[82:83], v[200:201], v[158:159]
	v_fmac_f64_e32 v[80:81], v[190:191], v[152:153]
	v_add_f64 v[0:1], v[0:1], v[78:79]
	s_waitcnt vmcnt(22) lgkmcnt(12)
	v_mul_f64 v[84:85], v[208:209], v[162:163]
	v_fmac_f64_e32 v[82:83], v[202:203], v[156:157]
	v_add_f64 v[0:1], v[0:1], v[80:81]
	;; [unrolled: 4-line block ×9, first 2 shown]
	s_waitcnt vmcnt(14) lgkmcnt(4)
	v_mul_f64 v[120:121], v[68:69], v[6:7]
	v_fmac_f64_e32 v[118:119], v[254:255], v[204:205]
	v_accvgpr_write_b32 a101, v7
	v_add_f64 v[0:1], v[0:1], v[116:117]
	v_fmac_f64_e32 v[120:121], v[70:71], v[4:5]
	v_accvgpr_write_b32 a100, v6
	v_accvgpr_write_b32 a99, v5
	;; [unrolled: 1-line block ×3, first 2 shown]
	v_add_f64 v[0:1], v[0:1], v[118:119]
	ds_read_b128 v[116:119], v2 offset:1120
	s_waitcnt vmcnt(13)
	v_mov_b64_e32 v[4:5], v[8:9]
	v_mov_b64_e32 v[6:7], v[10:11]
	s_waitcnt lgkmcnt(4)
	v_mul_f64 v[76:77], v[64:65], v[6:7]
	scratch_load_dwordx4 v[72:75], off, off offset:576
	v_add_f64 v[0:1], v[0:1], v[120:121]
	v_fmac_f64_e32 v[76:77], v[66:67], v[4:5]
	v_add_f64 v[0:1], v[0:1], v[76:77]
	scratch_load_dwordx4 v[76:79], off, off offset:592
	ds_read_b128 v[120:123], v2 offset:1136
	s_waitcnt vmcnt(14) lgkmcnt(1)
	v_mul_f64 v[80:81], v[116:117], v[236:237]
	v_fmac_f64_e32 v[80:81], v[118:119], v[234:235]
	v_add_f64 v[0:1], v[0:1], v[80:81]
	scratch_load_dwordx4 v[80:83], off, off offset:608
	s_waitcnt vmcnt(14) lgkmcnt(0)
	v_mul_f64 v[84:85], v[120:121], v[18:19]
	v_fmac_f64_e32 v[84:85], v[122:123], v[16:17]
	s_waitcnt vmcnt(13)
	v_mul_f64 v[88:89], v[124:125], v[22:23]
	v_add_f64 v[0:1], v[0:1], v[84:85]
	v_fmac_f64_e32 v[88:89], v[126:127], v[20:21]
	scratch_load_dwordx4 v[84:87], off, off offset:624
	v_add_f64 v[0:1], v[0:1], v[88:89]
	s_waitcnt vmcnt(13)
	v_mul_f64 v[88:89], v[128:129], v[26:27]
	v_fmac_f64_e32 v[88:89], v[130:131], v[24:25]
	v_add_f64 v[0:1], v[0:1], v[88:89]
	scratch_load_dwordx4 v[88:91], off, off offset:640
	s_waitcnt vmcnt(13)
	v_mul_f64 v[92:93], v[132:133], v[30:31]
	v_fmac_f64_e32 v[92:93], v[134:135], v[28:29]
	v_add_f64 v[0:1], v[0:1], v[92:93]
	scratch_load_dwordx4 v[92:95], off, off offset:656
	v_mul_f64 v[98:99], v[138:139], v[98:99]
	v_fma_f64 v[240:241], v[136:137], v[96:97], -v[98:99]
	v_mul_f64 v[96:97], v[146:147], v[102:103]
	ds_read_b128 v[140:143], v2 offset:1200
	ds_read_b128 v[136:139], v2 offset:1216
	v_fma_f64 v[246:247], v[144:145], v[100:101], -v[96:97]
	scratch_load_dwordx4 v[100:103], off, off offset:672
	scratch_load_dwordx4 v[96:99], off, off offset:688
	s_waitcnt vmcnt(15) lgkmcnt(1)
	v_mul_f64 v[144:145], v[140:141], v[34:35]
	v_fmac_f64_e32 v[144:145], v[142:143], v[32:33]
	v_mul_f64 v[106:107], v[150:151], v[106:107]
	v_add_f64 v[0:1], v[0:1], v[144:145]
	s_waitcnt vmcnt(14) lgkmcnt(0)
	v_mul_f64 v[144:145], v[136:137], v[38:39]
	v_fma_f64 v[248:249], v[148:149], v[104:105], -v[106:107]
	v_mul_f64 v[104:105], v[166:167], v[110:111]
	v_fmac_f64_e32 v[144:145], v[138:139], v[36:37]
	v_fma_f64 v[250:251], v[164:165], v[108:109], -v[104:105]
	scratch_load_dwordx4 v[104:107], off, off offset:704
	v_add_f64 v[0:1], v[0:1], v[144:145]
	ds_read_b128 v[144:147], v2 offset:1232
	ds_read_b128 v[148:151], v2 offset:1248
	v_mul_f64 v[108:109], v[178:179], v[114:115]
	v_fma_f64 v[232:233], v[176:177], v[112:113], -v[108:109]
	scratch_load_dwordx4 v[108:111], off, off offset:720
	s_waitcnt vmcnt(15) lgkmcnt(1)
	v_mul_f64 v[112:113], v[144:145], v[42:43]
	v_fmac_f64_e32 v[112:113], v[146:147], v[40:41]
	v_add_f64 v[0:1], v[0:1], v[112:113]
	v_mul_f64 v[112:113], v[190:191], v[154:155]
	v_fma_f64 v[238:239], v[188:189], v[152:153], -v[112:113]
	scratch_load_dwordx4 v[112:115], off, off offset:736
	ds_read_b128 v[152:155], v2 offset:1264
	s_waitcnt vmcnt(15) lgkmcnt(1)
	v_mul_f64 v[164:165], v[148:149], v[46:47]
	v_mul_f64 v[158:159], v[202:203], v[158:159]
	v_fmac_f64_e32 v[164:165], v[150:151], v[44:45]
	v_fma_f64 v[12:13], v[200:201], v[156:157], -v[158:159]
	ds_read_b128 v[156:159], v2 offset:1280
	s_waitcnt vmcnt(14) lgkmcnt(1)
	v_mul_f64 v[6:7], v[152:153], v[50:51]
	v_add_f64 v[0:1], v[0:1], v[164:165]
	v_fmac_f64_e32 v[6:7], v[154:155], v[48:49]
	v_accvgpr_write_b32 a105, v11
	v_add_f64 v[0:1], v[0:1], v[6:7]
	v_mul_f64 v[6:7], v[210:211], v[162:163]
	v_accvgpr_write_b32 a104, v10
	v_accvgpr_write_b32 a103, v9
	;; [unrolled: 1-line block ×3, first 2 shown]
	v_fma_f64 v[8:9], v[208:209], v[160:161], -v[6:7]
	ds_read_b128 v[160:163], v2 offset:1296
	ds_read_b128 v[164:167], v2 offset:1312
	s_waitcnt vmcnt(13) lgkmcnt(2)
	v_mul_f64 v[6:7], v[156:157], v[54:55]
	v_fmac_f64_e32 v[6:7], v[158:159], v[52:53]
	v_add_f64 v[0:1], v[0:1], v[6:7]
	s_waitcnt vmcnt(12) lgkmcnt(1)
	v_mul_f64 v[6:7], v[160:161], v[62:63]
	v_fmac_f64_e32 v[6:7], v[162:163], v[60:61]
	v_add_f64 v[0:1], v[0:1], v[6:7]
	v_mul_f64 v[6:7], v[214:215], v[170:171]
	v_fma_f64 v[10:11], v[212:213], v[168:169], -v[6:7]
	s_waitcnt vmcnt(11) lgkmcnt(0)
	v_mul_f64 v[6:7], v[164:165], v[58:59]
	v_fmac_f64_e32 v[6:7], v[166:167], v[56:57]
	ds_read_b128 v[168:171], v2 offset:1328
	v_add_f64 v[0:1], v[0:1], v[6:7]
	v_mul_f64 v[6:7], v[218:219], v[174:175]
	v_fma_f64 v[4:5], v[216:217], v[172:173], -v[6:7]
	ds_read_b128 v[172:175], v2 offset:1344
	s_waitcnt vmcnt(10) lgkmcnt(1)
	v_mul_f64 v[6:7], v[168:169], v[74:75]
	ds_read_b128 v[176:179], v2 offset:1360
	v_fmac_f64_e32 v[6:7], v[170:171], v[72:73]
	v_add_f64 v[0:1], v[0:1], v[6:7]
	s_waitcnt vmcnt(9) lgkmcnt(1)
	v_mul_f64 v[6:7], v[172:173], v[78:79]
	v_fmac_f64_e32 v[6:7], v[174:175], v[76:77]
	v_add_f64 v[0:1], v[0:1], v[6:7]
	v_mul_f64 v[6:7], v[222:223], v[182:183]
	v_fma_f64 v[14:15], v[220:221], v[180:181], -v[6:7]
	ds_read_b128 v[180:183], v2 offset:1376
	s_waitcnt vmcnt(8) lgkmcnt(1)
	v_mul_f64 v[6:7], v[176:177], v[82:83]
	v_fmac_f64_e32 v[6:7], v[178:179], v[80:81]
	v_add_f64 v[0:1], v[0:1], v[6:7]
	v_mul_f64 v[6:7], v[226:227], v[186:187]
	v_fma_f64 v[6:7], v[224:225], v[184:185], -v[6:7]
	ds_read_b128 v[184:187], v2 offset:1392
	s_waitcnt vmcnt(7) lgkmcnt(1)
	v_mul_f64 v[188:189], v[180:181], v[86:87]
	v_fmac_f64_e32 v[188:189], v[182:183], v[84:85]
	v_add_f64 v[0:1], v[0:1], v[188:189]
	ds_read_b128 v[188:191], v2 offset:1408
	s_waitcnt vmcnt(6) lgkmcnt(1)
	v_mul_f64 v[200:201], v[184:185], v[90:91]
	v_fmac_f64_e32 v[200:201], v[186:187], v[88:89]
	v_add_f64 v[200:201], v[0:1], v[200:201]
	v_mul_f64 v[0:1], v[230:231], v[194:195]
	v_fma_f64 v[0:1], v[228:229], v[192:193], -v[0:1]
	ds_read_b128 v[192:195], v2 offset:1424
	s_waitcnt vmcnt(5) lgkmcnt(1)
	v_mul_f64 v[202:203], v[188:189], v[94:95]
	v_fmac_f64_e32 v[202:203], v[190:191], v[92:93]
	v_mul_f64 v[198:199], v[244:245], v[198:199]
	v_fma_f64 v[244:245], v[242:243], v[196:197], -v[198:199]
	ds_read_b128 v[196:199], v2 offset:1440
	v_add_f64 v[200:201], v[200:201], v[202:203]
	s_waitcnt vmcnt(4) lgkmcnt(1)
	v_mul_f64 v[202:203], v[192:193], v[102:103]
	v_fmac_f64_e32 v[202:203], v[194:195], v[100:101]
	v_add_f64 v[208:209], v[200:201], v[202:203]
	ds_read_b128 v[200:203], v2 offset:1456
	v_mul_f64 v[206:207], v[254:255], v[206:207]
	v_fma_f64 v[242:243], v[252:253], v[204:205], -v[206:207]
	ds_read_b128 v[204:207], v2 offset:1472
	s_waitcnt vmcnt(3) lgkmcnt(2)
	v_mul_f64 v[210:211], v[196:197], v[98:99]
	v_fmac_f64_e32 v[210:211], v[198:199], v[96:97]
	v_add_f64 v[208:209], v[208:209], v[210:211]
	s_waitcnt vmcnt(2) lgkmcnt(1)
	v_mul_f64 v[210:211], v[200:201], v[106:107]
	v_fmac_f64_e32 v[210:211], v[202:203], v[104:105]
	v_add_f64 v[208:209], v[208:209], v[210:211]
	;; [unrolled: 4-line block ×3, first 2 shown]
	ds_read_b128 v[208:211], v2 offset:1488
	ds_read_b128 v[216:219], v2 offset:1504
	;; [unrolled: 1-line block ×3, first 2 shown]
	s_waitcnt vmcnt(0) lgkmcnt(2)
	v_mul_f64 v[214:215], v[208:209], v[114:115]
	v_fmac_f64_e32 v[214:215], v[210:211], v[112:113]
	v_add_f64 v[220:221], v[212:213], v[214:215]
	scratch_load_dwordx4 v[212:215], off, off offset:752
	s_waitcnt vmcnt(0) lgkmcnt(1)
	v_mul_f64 v[222:223], v[216:217], v[214:215]
	v_fmac_f64_e32 v[222:223], v[218:219], v[212:213]
	v_add_f64 v[228:229], v[220:221], v[222:223]
	scratch_load_dwordx4 v[220:223], off, off offset:768
	s_waitcnt vmcnt(0) lgkmcnt(0)
	v_mul_f64 v[230:231], v[224:225], v[222:223]
	v_fmac_f64_e32 v[230:231], v[226:227], v[220:221]
	v_add_f64 v[254:255], v[228:229], v[230:231]
	v_add_f64 v[228:229], v[240:241], 0
	;; [unrolled: 1-line block ×8, first 2 shown]
	scratch_load_dwordx4 v[228:231], off, off offset:80
	v_add_f64 v[8:9], v[12:13], v[8:9]
	v_add_f64 v[8:9], v[8:9], v[10:11]
	;; [unrolled: 1-line block ×5, first 2 shown]
	v_accvgpr_read_b32 v6, a98
	v_accvgpr_read_b32 v8, a100
	;; [unrolled: 1-line block ×3, first 2 shown]
	v_add_f64 v[0:1], v[4:5], v[0:1]
	v_accvgpr_read_b32 v7, a99
	v_mul_f64 v[4:5], v[70:71], v[8:9]
	v_add_f64 v[0:1], v[0:1], v[244:245]
	v_fma_f64 v[4:5], v[68:69], v[6:7], -v[4:5]
	v_accvgpr_read_b32 v6, a102
	v_add_f64 v[0:1], v[0:1], v[242:243]
	v_accvgpr_read_b32 v8, a104
	v_accvgpr_read_b32 v9, a105
	v_add_f64 v[0:1], v[0:1], v[4:5]
	v_accvgpr_read_b32 v7, a103
	v_mul_f64 v[4:5], v[66:67], v[8:9]
	v_fma_f64 v[4:5], v[64:65], v[6:7], -v[4:5]
	v_add_f64 v[0:1], v[0:1], v[4:5]
	v_mul_f64 v[4:5], v[118:119], v[236:237]
	v_fma_f64 v[4:5], v[116:117], v[234:235], -v[4:5]
	v_add_f64 v[0:1], v[0:1], v[4:5]
	;; [unrolled: 3-line block ×27, first 2 shown]
	s_waitcnt vmcnt(0)
	v_add_f64 v[4:5], v[228:229], -v[0:1]
	v_accvgpr_read_b32 v0, a96
	v_add_f64 v[6:7], v[230:231], -v[254:255]
	v_cmp_lt_u32_e32 vcc, 3, v0
	scratch_store_dwordx4 off, v[4:7], off offset:80
	s_and_saveexec_b64 s[0:1], vcc
	s_cbranch_execz .LBB111_295
; %bb.294:
	scratch_load_dwordx4 v[6:9], off, s61
	v_mov_b32_e32 v3, v2
	v_mov_b32_e32 v4, v2
	;; [unrolled: 1-line block ×3, first 2 shown]
	v_accvgpr_read_b32 v0, a97
	scratch_store_dwordx4 off, v[2:5], off offset:64
	s_waitcnt vmcnt(1)
	ds_write_b128 v0, v[6:9]
.LBB111_295:
	s_or_b64 exec, exec, s[0:1]
	s_waitcnt lgkmcnt(0)
	; wave barrier
	scratch_load_dwordx4 v[72:75], off, off offset:80
	scratch_load_dwordx4 v[76:79], off, off offset:96
	scratch_load_dwordx4 v[80:83], off, off offset:112
	scratch_load_dwordx4 v[84:87], off, off offset:128
	scratch_load_dwordx4 v[88:91], off, off offset:144
	scratch_load_dwordx4 v[92:95], off, off offset:160
	scratch_load_dwordx4 v[96:99], off, off offset:176
	scratch_load_dwordx4 v[100:103], off, off offset:192
	scratch_load_dwordx4 v[104:107], off, off offset:208
	scratch_load_dwordx4 v[108:111], off, off offset:224
	scratch_load_dwordx4 v[112:115], off, off offset:240
	scratch_load_dwordx4 v[116:119], off, off offset:256
	scratch_load_dwordx4 v[120:123], off, off offset:272
	scratch_load_dwordx4 v[124:127], off, off offset:288
	scratch_load_dwordx4 v[128:131], off, off offset:304
	scratch_load_dwordx4 v[4:7], off, off offset:320
	scratch_load_dwordx4 v[24:27], off, off offset:336
	ds_read_b128 v[176:179], v2 offset:832
	ds_read_b128 v[192:195], v2 offset:848
	;; [unrolled: 1-line block ×3, first 2 shown]
	scratch_load_dwordx4 v[20:23], off, off offset:352
	ds_read_b128 v[236:239], v2 offset:880
	ds_read_b128 v[232:235], v2 offset:896
	;; [unrolled: 1-line block ×5, first 2 shown]
	scratch_load_dwordx4 v[168:171], off, off offset:368
	ds_read_b128 v[224:227], v2 offset:960
	ds_read_b128 v[212:215], v2 offset:976
	;; [unrolled: 1-line block ×3, first 2 shown]
	scratch_load_dwordx4 v[12:15], off, off offset:384
	ds_read_b128 v[216:219], v2 offset:1008
	ds_read_b128 v[204:207], v2 offset:1024
	;; [unrolled: 1-line block ×5, first 2 shown]
	scratch_load_dwordx4 v[28:31], off, off offset:400
	ds_read_b128 v[32:35], v2 offset:1088
	scratch_load_dwordx4 v[36:39], off, off offset:416
	scratch_load_dwordx4 v[40:43], off, off offset:432
	scratch_load_dwordx4 v[44:47], off, off offset:448
	scratch_load_dwordx4 v[48:51], off, off offset:464
	scratch_load_dwordx4 v[52:55], off, off offset:480
	scratch_load_dwordx4 v[56:59], off, off offset:496
	scratch_load_dwordx4 v[60:63], off, off offset:512
	scratch_load_dwordx4 v[68:71], off, off offset:528
	scratch_load_dwordx4 v[64:67], off, off offset:544
	ds_read_b128 v[132:135], v2 offset:1104
	s_waitcnt lgkmcnt(2)
	v_accvgpr_write_b32 a105, v19
	v_accvgpr_write_b32 a104, v18
	;; [unrolled: 1-line block ×4, first 2 shown]
	ds_read_b128 v[172:175], v2 offset:1168
	s_waitcnt vmcnt(29)
	v_mul_f64 v[0:1], v[176:177], v[74:75]
	s_waitcnt vmcnt(28)
	v_mul_f64 v[136:137], v[192:193], v[78:79]
	v_fmac_f64_e32 v[0:1], v[178:179], v[72:73]
	s_waitcnt vmcnt(27)
	v_mul_f64 v[138:139], v[188:189], v[82:83]
	v_fmac_f64_e32 v[136:137], v[194:195], v[76:77]
	v_add_f64 v[0:1], v[0:1], 0
	s_waitcnt vmcnt(26)
	v_mul_f64 v[140:141], v[236:237], v[86:87]
	v_fmac_f64_e32 v[138:139], v[190:191], v[80:81]
	v_add_f64 v[0:1], v[0:1], v[136:137]
	;; [unrolled: 4-line block ×14, first 2 shown]
	v_fmac_f64_e32 v[164:165], v[18:19], v[4:5]
	v_add_f64 v[0:1], v[0:1], v[162:163]
	s_waitcnt vmcnt(13) lgkmcnt(2)
	v_mul_f64 v[140:141], v[32:33], v[26:27]
	scratch_load_dwordx4 v[136:139], off, off offset:560
	v_add_f64 v[0:1], v[0:1], v[164:165]
	v_fmac_f64_e32 v[140:141], v[34:35], v[24:25]
	v_add_f64 v[0:1], v[0:1], v[140:141]
	ds_read_b128 v[160:163], v2 offset:1120
	scratch_load_dwordx4 v[140:143], off, off offset:576
	ds_read_b128 v[164:167], v2 offset:1136
	s_waitcnt vmcnt(13)
	v_mov_b64_e32 v[16:17], v[168:169]
	v_mov_b64_e32 v[18:19], v[170:171]
	ds_read_b128 v[168:171], v2 offset:1152
	s_waitcnt lgkmcnt(4)
	v_mul_f64 v[144:145], v[132:133], v[22:23]
	v_fmac_f64_e32 v[144:145], v[134:135], v[20:21]
	s_waitcnt lgkmcnt(2)
	v_mul_f64 v[148:149], v[160:161], v[18:19]
	v_add_f64 v[0:1], v[0:1], v[144:145]
	v_fmac_f64_e32 v[148:149], v[162:163], v[16:17]
	s_waitcnt vmcnt(12) lgkmcnt(1)
	v_mul_f64 v[152:153], v[164:165], v[14:15]
	scratch_load_dwordx4 v[144:147], off, off offset:592
	v_add_f64 v[0:1], v[0:1], v[148:149]
	v_fmac_f64_e32 v[152:153], v[166:167], v[12:13]
	scratch_load_dwordx4 v[148:151], off, off offset:608
	v_add_f64 v[0:1], v[0:1], v[152:153]
	s_waitcnt vmcnt(13) lgkmcnt(0)
	v_mul_f64 v[152:153], v[168:169], v[30:31]
	v_fmac_f64_e32 v[152:153], v[170:171], v[28:29]
	v_add_f64 v[0:1], v[0:1], v[152:153]
	scratch_load_dwordx4 v[152:155], off, off offset:624
	s_waitcnt vmcnt(13)
	v_mul_f64 v[156:157], v[172:173], v[38:39]
	v_fmac_f64_e32 v[156:157], v[174:175], v[36:37]
	v_mul_f64 v[74:75], v[178:179], v[74:75]
	v_add_f64 v[0:1], v[0:1], v[156:157]
	scratch_load_dwordx4 v[156:159], off, off offset:640
	v_fma_f64 v[240:241], v[176:177], v[72:73], -v[74:75]
	v_mul_f64 v[72:73], v[194:195], v[78:79]
	ds_read_b128 v[180:183], v2 offset:1184
	ds_read_b128 v[176:179], v2 offset:1200
	v_fma_f64 v[244:245], v[192:193], v[76:77], -v[72:73]
	scratch_load_dwordx4 v[76:79], off, off offset:656
	scratch_load_dwordx4 v[72:75], off, off offset:672
	v_mul_f64 v[82:83], v[190:191], v[82:83]
	v_fma_f64 v[246:247], v[188:189], v[80:81], -v[82:83]
	v_mul_f64 v[80:81], v[238:239], v[86:87]
	v_fma_f64 v[236:237], v[236:237], v[84:85], -v[80:81]
	scratch_load_dwordx4 v[80:83], off, off offset:688
	ds_read_b128 v[188:191], v2 offset:1216
	v_mul_f64 v[84:85], v[234:235], v[90:91]
	s_waitcnt vmcnt(16) lgkmcnt(2)
	v_mul_f64 v[192:193], v[180:181], v[42:43]
	v_fma_f64 v[238:239], v[232:233], v[88:89], -v[84:85]
	scratch_load_dwordx4 v[84:87], off, off offset:704
	v_fmac_f64_e32 v[192:193], v[182:183], v[40:41]
	v_add_f64 v[0:1], v[0:1], v[192:193]
	s_waitcnt vmcnt(16) lgkmcnt(1)
	v_mul_f64 v[192:193], v[176:177], v[46:47]
	v_fmac_f64_e32 v[192:193], v[178:179], v[44:45]
	v_add_f64 v[0:1], v[0:1], v[192:193]
	ds_read_b128 v[192:195], v2 offset:1232
	s_waitcnt vmcnt(15) lgkmcnt(1)
	v_mul_f64 v[88:89], v[188:189], v[50:51]
	v_fmac_f64_e32 v[88:89], v[190:191], v[48:49]
	v_add_f64 v[0:1], v[0:1], v[88:89]
	v_mul_f64 v[88:89], v[230:231], v[94:95]
	v_fma_f64 v[248:249], v[228:229], v[92:93], -v[88:89]
	scratch_load_dwordx4 v[88:91], off, off offset:720
	scratch_load_dwordx4 v[232:235], off, off offset:768
	ds_read_b128 v[92:95], v2 offset:1248
	v_mul_f64 v[98:99], v[222:223], v[98:99]
	v_fma_f64 v[250:251], v[220:221], v[96:97], -v[98:99]
	ds_read_b128 v[96:99], v2 offset:1264
	v_mul_f64 v[102:103], v[210:211], v[102:103]
	s_waitcnt vmcnt(16) lgkmcnt(2)
	v_mul_f64 v[228:229], v[192:193], v[54:55]
	v_fma_f64 v[254:255], v[208:209], v[100:101], -v[102:103]
	ds_read_b128 v[100:103], v2 offset:1280
	ds_read_b128 v[208:211], v2 offset:1296
	v_fmac_f64_e32 v[228:229], v[194:195], v[52:53]
	s_waitcnt vmcnt(15) lgkmcnt(3)
	v_mul_f64 v[220:221], v[92:93], v[58:59]
	v_add_f64 v[0:1], v[0:1], v[228:229]
	v_fmac_f64_e32 v[220:221], v[94:95], v[56:57]
	v_mul_f64 v[106:107], v[226:227], v[106:107]
	v_add_f64 v[0:1], v[0:1], v[220:221]
	s_waitcnt vmcnt(14) lgkmcnt(2)
	v_mul_f64 v[220:221], v[96:97], v[62:63]
	v_fma_f64 v[242:243], v[224:225], v[104:105], -v[106:107]
	ds_read_b128 v[104:107], v2 offset:1312
	v_fmac_f64_e32 v[220:221], v[98:99], v[60:61]
	v_mul_f64 v[110:111], v[214:215], v[110:111]
	v_add_f64 v[0:1], v[0:1], v[220:221]
	s_waitcnt vmcnt(13) lgkmcnt(2)
	v_mul_f64 v[220:221], v[100:101], v[70:71]
	v_fma_f64 v[8:9], v[212:213], v[108:109], -v[110:111]
	ds_read_b128 v[108:111], v2 offset:1328
	v_fmac_f64_e32 v[220:221], v[102:103], v[68:69]
	v_accvgpr_write_b32 a101, v7
	v_add_f64 v[0:1], v[0:1], v[220:221]
	s_waitcnt vmcnt(12) lgkmcnt(2)
	v_mul_f64 v[220:221], v[208:209], v[66:67]
	v_accvgpr_write_b32 a100, v6
	v_accvgpr_write_b32 a99, v5
	;; [unrolled: 1-line block ×3, first 2 shown]
	v_fmac_f64_e32 v[220:221], v[210:211], v[64:65]
	s_waitcnt vmcnt(11) lgkmcnt(1)
	v_mul_f64 v[6:7], v[104:105], v[138:139]
	v_add_f64 v[0:1], v[0:1], v[220:221]
	v_fmac_f64_e32 v[6:7], v[106:107], v[136:137]
	v_add_f64 v[0:1], v[0:1], v[6:7]
	s_waitcnt vmcnt(10) lgkmcnt(0)
	v_mul_f64 v[6:7], v[108:109], v[142:143]
	v_fmac_f64_e32 v[6:7], v[110:111], v[140:141]
	ds_read_b128 v[212:215], v2 offset:1344
	v_add_f64 v[0:1], v[0:1], v[6:7]
	v_mul_f64 v[6:7], v[202:203], v[114:115]
	v_fma_f64 v[6:7], v[200:201], v[112:113], -v[6:7]
	ds_read_b128 v[112:115], v2 offset:1360
	v_mul_f64 v[118:119], v[218:219], v[118:119]
	v_fma_f64 v[4:5], v[216:217], v[116:117], -v[118:119]
	ds_read_b128 v[116:119], v2 offset:1376
	s_waitcnt vmcnt(9) lgkmcnt(2)
	v_mul_f64 v[200:201], v[212:213], v[146:147]
	v_fmac_f64_e32 v[200:201], v[214:215], v[144:145]
	s_waitcnt vmcnt(8) lgkmcnt(1)
	v_mul_f64 v[10:11], v[112:113], v[150:151]
	v_add_f64 v[0:1], v[0:1], v[200:201]
	v_fmac_f64_e32 v[10:11], v[114:115], v[148:149]
	v_add_f64 v[0:1], v[0:1], v[10:11]
	ds_read_b128 v[200:203], v2 offset:1392
	s_waitcnt vmcnt(7) lgkmcnt(1)
	v_mul_f64 v[10:11], v[116:117], v[154:155]
	v_fmac_f64_e32 v[10:11], v[118:119], v[152:153]
	v_add_f64 v[10:11], v[0:1], v[10:11]
	v_mul_f64 v[0:1], v[206:207], v[122:123]
	v_fma_f64 v[0:1], v[204:205], v[120:121], -v[0:1]
	ds_read_b128 v[120:123], v2 offset:1408
	v_mul_f64 v[126:127], v[198:199], v[126:127]
	v_fma_f64 v[124:125], v[196:197], v[124:125], -v[126:127]
	s_waitcnt vmcnt(6) lgkmcnt(1)
	v_mul_f64 v[204:205], v[200:201], v[158:159]
	v_accvgpr_write_b32 a106, v124
	v_fmac_f64_e32 v[204:205], v[202:203], v[156:157]
	v_accvgpr_write_b32 a107, v125
	ds_read_b128 v[124:127], v2 offset:1424
	s_waitcnt vmcnt(5) lgkmcnt(1)
	v_mul_f64 v[196:197], v[120:121], v[78:79]
	v_add_f64 v[10:11], v[10:11], v[204:205]
	v_fmac_f64_e32 v[196:197], v[122:123], v[76:77]
	v_add_f64 v[10:11], v[10:11], v[196:197]
	ds_read_b128 v[196:199], v2 offset:1440
	v_mul_f64 v[130:131], v[186:187], v[130:131]
	v_fma_f64 v[252:253], v[184:185], v[128:129], -v[130:131]
	ds_read_b128 v[128:131], v2 offset:1456
	s_waitcnt vmcnt(4) lgkmcnt(2)
	v_mul_f64 v[184:185], v[124:125], v[74:75]
	v_fmac_f64_e32 v[184:185], v[126:127], v[72:73]
	v_add_f64 v[10:11], v[10:11], v[184:185]
	s_waitcnt vmcnt(3) lgkmcnt(1)
	v_mul_f64 v[184:185], v[196:197], v[82:83]
	v_fmac_f64_e32 v[184:185], v[198:199], v[80:81]
	v_add_f64 v[10:11], v[10:11], v[184:185]
	;; [unrolled: 4-line block ×3, first 2 shown]
	ds_read_b128 v[184:187], v2 offset:1472
	ds_read_b128 v[216:219], v2 offset:1488
	ds_read_b128 v[224:227], v2 offset:1504
	s_waitcnt vmcnt(1) lgkmcnt(2)
	v_mul_f64 v[204:205], v[184:185], v[90:91]
	v_fmac_f64_e32 v[204:205], v[186:187], v[88:89]
	v_add_f64 v[10:11], v[10:11], v[204:205]
	scratch_load_dwordx4 v[204:207], off, off offset:736
	s_waitcnt vmcnt(0) lgkmcnt(1)
	v_mul_f64 v[220:221], v[216:217], v[206:207]
	v_fmac_f64_e32 v[220:221], v[218:219], v[204:205]
	v_add_f64 v[10:11], v[10:11], v[220:221]
	scratch_load_dwordx4 v[220:223], off, off offset:752
	s_waitcnt vmcnt(0) lgkmcnt(0)
	v_mul_f64 v[228:229], v[224:225], v[222:223]
	v_fmac_f64_e32 v[228:229], v[226:227], v[220:221]
	v_add_f64 v[10:11], v[10:11], v[228:229]
	ds_read_b128 v[228:231], v2 offset:1520
	s_waitcnt lgkmcnt(0)
	v_mul_f64 v[2:3], v[228:229], v[234:235]
	v_fmac_f64_e32 v[2:3], v[230:231], v[232:233]
	v_add_f64 v[2:3], v[10:11], v[2:3]
	v_add_f64 v[10:11], v[240:241], 0
	;; [unrolled: 1-line block ×6, first 2 shown]
	scratch_load_dwordx4 v[236:239], off, off offset:64
	v_add_f64 v[10:11], v[10:11], v[248:249]
	v_add_f64 v[10:11], v[10:11], v[250:251]
	;; [unrolled: 1-line block ×8, first 2 shown]
	v_accvgpr_read_b32 v0, a106
	v_accvgpr_read_b32 v6, a98
	;; [unrolled: 1-line block ×7, first 2 shown]
	v_add_f64 v[0:1], v[254:255], v[0:1]
	v_accvgpr_read_b32 v7, a99
	v_accvgpr_read_b32 v241, a103
	;; [unrolled: 1-line block ×3, first 2 shown]
	v_mul_f64 v[4:5], v[242:243], v[8:9]
	v_add_f64 v[0:1], v[0:1], v[252:253]
	v_fma_f64 v[4:5], v[240:241], v[6:7], -v[4:5]
	v_add_f64 v[0:1], v[0:1], v[4:5]
	v_mul_f64 v[4:5], v[34:35], v[26:27]
	v_fma_f64 v[4:5], v[32:33], v[24:25], -v[4:5]
	v_add_f64 v[0:1], v[0:1], v[4:5]
	v_mul_f64 v[4:5], v[134:135], v[22:23]
	;; [unrolled: 3-line block ×28, first 2 shown]
	v_fma_f64 v[4:5], v[228:229], v[232:233], -v[4:5]
	v_add_f64 v[0:1], v[0:1], v[4:5]
	s_waitcnt vmcnt(0)
	v_add_f64 v[4:5], v[236:237], -v[0:1]
	v_accvgpr_read_b32 v0, a96
	v_add_f64 v[6:7], v[238:239], -v[2:3]
	v_cmp_lt_u32_e32 vcc, 2, v0
	scratch_store_dwordx4 off, v[4:7], off offset:64
	s_and_saveexec_b64 s[0:1], vcc
	s_cbranch_execz .LBB111_297
; %bb.296:
	scratch_load_dwordx4 v[2:5], off, s62
	v_mov_b32_e32 v6, 0
	v_mov_b32_e32 v7, v6
	;; [unrolled: 1-line block ×4, first 2 shown]
	v_accvgpr_read_b32 v0, a97
	scratch_store_dwordx4 off, v[6:9], off offset:48
	s_waitcnt vmcnt(1)
	ds_write_b128 v0, v[2:5]
.LBB111_297:
	s_or_b64 exec, exec, s[0:1]
	s_waitcnt lgkmcnt(0)
	; wave barrier
	scratch_load_dwordx4 v[80:83], off, off offset:64
	scratch_load_dwordx4 v[84:87], off, off offset:80
	;; [unrolled: 1-line block ×29, first 2 shown]
	v_mov_b32_e32 v2, 0
	ds_read_b128 v[132:135], v2 offset:816
	ds_read_b128 v[136:139], v2 offset:832
	;; [unrolled: 1-line block ×22, first 2 shown]
	s_waitcnt vmcnt(28) lgkmcnt(14)
	v_mul_f64 v[0:1], v[132:133], v[82:83]
	s_waitcnt vmcnt(27)
	v_mul_f64 v[56:57], v[136:137], v[86:87]
	v_fmac_f64_e32 v[0:1], v[134:135], v[80:81]
	s_waitcnt vmcnt(26)
	v_mul_f64 v[58:59], v[140:141], v[90:91]
	v_fmac_f64_e32 v[56:57], v[138:139], v[84:85]
	v_add_f64 v[0:1], v[0:1], 0
	s_waitcnt vmcnt(25)
	v_mul_f64 v[60:61], v[148:149], v[94:95]
	v_fmac_f64_e32 v[58:59], v[142:143], v[88:89]
	v_add_f64 v[0:1], v[0:1], v[56:57]
	;; [unrolled: 4-line block ×6, first 2 shown]
	s_waitcnt vmcnt(20) lgkmcnt(13)
	v_mul_f64 v[70:71], v[204:205], v[154:155]
	v_fmac_f64_e32 v[68:69], v[198:199], v[144:145]
	v_add_f64 v[0:1], v[0:1], v[66:67]
	s_waitcnt vmcnt(19) lgkmcnt(12)
	v_mul_f64 v[72:73], v[208:209], v[158:159]
	v_fmac_f64_e32 v[70:71], v[206:207], v[152:153]
	v_add_f64 v[0:1], v[0:1], v[68:69]
	;; [unrolled: 4-line block ×8, first 2 shown]
	v_fmac_f64_e32 v[112:113], v[244:245], v[192:193]
	v_add_f64 v[0:1], v[0:1], v[110:111]
	s_waitcnt vmcnt(12) lgkmcnt(5)
	v_mul_f64 v[60:61], v[252:253], v[202:203]
	scratch_load_dwordx4 v[56:59], off, off offset:528
	ds_read_b128 v[108:111], v2 offset:1104
	v_add_f64 v[0:1], v[0:1], v[112:113]
	v_fmac_f64_e32 v[60:61], v[254:255], v[200:201]
	v_add_f64 v[0:1], v[0:1], v[60:61]
	s_waitcnt vmcnt(12) lgkmcnt(5)
	v_mul_f64 v[64:65], v[52:53], v[6:7]
	scratch_load_dwordx4 v[60:63], off, off offset:544
	v_accvgpr_write_b32 a101, v7
	v_fmac_f64_e32 v[64:65], v[54:55], v[4:5]
	v_accvgpr_write_b32 a100, v6
	v_accvgpr_write_b32 a99, v5
	;; [unrolled: 1-line block ×3, first 2 shown]
	ds_read_b128 v[112:115], v2 offset:1120
	s_waitcnt vmcnt(12)
	v_mov_b64_e32 v[4:5], v[8:9]
	v_mov_b64_e32 v[6:7], v[10:11]
	s_waitcnt lgkmcnt(1)
	v_mul_f64 v[68:69], v[108:109], v[6:7]
	v_fmac_f64_e32 v[68:69], v[110:111], v[4:5]
	s_waitcnt vmcnt(11)
	v_mov_b64_e32 v[4:5], v[12:13]
	v_add_f64 v[0:1], v[0:1], v[64:65]
	v_mov_b64_e32 v[6:7], v[14:15]
	scratch_load_dwordx4 v[64:67], off, off offset:560
	v_add_f64 v[0:1], v[0:1], v[68:69]
	s_waitcnt lgkmcnt(0)
	v_mul_f64 v[68:69], v[112:113], v[6:7]
	v_fmac_f64_e32 v[68:69], v[114:115], v[4:5]
	v_add_f64 v[0:1], v[0:1], v[68:69]
	scratch_load_dwordx4 v[68:71], off, off offset:576
	s_waitcnt vmcnt(12)
	v_mul_f64 v[76:77], v[116:117], v[236:237]
	scratch_load_dwordx4 v[72:75], off, off offset:592
	v_fmac_f64_e32 v[76:77], v[118:119], v[234:235]
	v_add_f64 v[0:1], v[0:1], v[76:77]
	s_waitcnt vmcnt(12)
	v_mul_f64 v[76:77], v[120:121], v[22:23]
	v_fmac_f64_e32 v[76:77], v[122:123], v[20:21]
	v_add_f64 v[0:1], v[0:1], v[76:77]
	scratch_load_dwordx4 v[76:79], off, off offset:608
	v_mul_f64 v[82:83], v[134:135], v[82:83]
	v_fma_f64 v[240:241], v[132:133], v[80:81], -v[82:83]
	scratch_load_dwordx4 v[80:83], off, off offset:624
	v_mul_f64 v[86:87], v[138:139], v[86:87]
	v_fma_f64 v[246:247], v[136:137], v[84:85], -v[86:87]
	scratch_load_dwordx4 v[84:87], off, off offset:640
	v_mul_f64 v[90:91], v[142:143], v[90:91]
	s_waitcnt vmcnt(14)
	v_mul_f64 v[132:133], v[124:125], v[26:27]
	v_fma_f64 v[248:249], v[140:141], v[88:89], -v[90:91]
	scratch_load_dwordx4 v[88:91], off, off offset:656
	v_fmac_f64_e32 v[132:133], v[126:127], v[24:25]
	s_waitcnt vmcnt(14)
	v_mul_f64 v[136:137], v[128:129], v[30:31]
	v_mul_f64 v[94:95], v[150:151], v[94:95]
	v_add_f64 v[0:1], v[0:1], v[132:133]
	v_fmac_f64_e32 v[136:137], v[130:131], v[28:29]
	v_fma_f64 v[250:251], v[148:149], v[92:93], -v[94:95]
	v_mul_f64 v[92:93], v[162:163], v[98:99]
	ds_read_b128 v[132:135], v2 offset:1200
	v_add_f64 v[0:1], v[0:1], v[136:137]
	ds_read_b128 v[136:139], v2 offset:1216
	v_fma_f64 v[232:233], v[160:161], v[96:97], -v[92:93]
	scratch_load_dwordx4 v[96:99], off, off offset:672
	scratch_load_dwordx4 v[92:95], off, off offset:688
	v_mul_f64 v[102:103], v[174:175], v[102:103]
	v_fma_f64 v[238:239], v[172:173], v[100:101], -v[102:103]
	scratch_load_dwordx4 v[100:103], off, off offset:704
	v_mul_f64 v[106:107], v[186:187], v[106:107]
	v_fma_f64 v[16:17], v[184:185], v[104:105], -v[106:107]
	scratch_load_dwordx4 v[104:107], off, off offset:720
	s_waitcnt vmcnt(17) lgkmcnt(1)
	v_mul_f64 v[140:141], v[132:133], v[34:35]
	v_fmac_f64_e32 v[140:141], v[134:135], v[32:33]
	v_add_f64 v[0:1], v[0:1], v[140:141]
	ds_read_b128 v[140:143], v2 offset:1232
	v_accvgpr_write_b32 a109, v15
	v_mul_f64 v[6:7], v[198:199], v[146:147]
	v_accvgpr_write_b32 a108, v14
	v_accvgpr_write_b32 a107, v13
	;; [unrolled: 1-line block ×3, first 2 shown]
	v_fma_f64 v[12:13], v[196:197], v[144:145], -v[6:7]
	ds_read_b128 v[144:147], v2 offset:1248
	s_waitcnt vmcnt(16) lgkmcnt(2)
	v_mul_f64 v[148:149], v[136:137], v[38:39]
	v_fmac_f64_e32 v[148:149], v[138:139], v[36:37]
	v_add_f64 v[0:1], v[0:1], v[148:149]
	s_waitcnt vmcnt(15) lgkmcnt(1)
	v_mul_f64 v[6:7], v[140:141], v[42:43]
	ds_read_b128 v[148:151], v2 offset:1264
	v_fmac_f64_e32 v[6:7], v[142:143], v[40:41]
	v_add_f64 v[0:1], v[0:1], v[6:7]
	s_waitcnt vmcnt(14) lgkmcnt(1)
	v_mul_f64 v[6:7], v[144:145], v[46:47]
	v_fmac_f64_e32 v[6:7], v[146:147], v[44:45]
	v_accvgpr_write_b32 a105, v11
	v_add_f64 v[0:1], v[0:1], v[6:7]
	v_mul_f64 v[6:7], v[206:207], v[154:155]
	v_accvgpr_write_b32 a104, v10
	v_accvgpr_write_b32 a103, v9
	;; [unrolled: 1-line block ×3, first 2 shown]
	v_fma_f64 v[10:11], v[204:205], v[152:153], -v[6:7]
	ds_read_b128 v[152:155], v2 offset:1280
	s_waitcnt vmcnt(13) lgkmcnt(1)
	v_mul_f64 v[6:7], v[148:149], v[50:51]
	v_fmac_f64_e32 v[6:7], v[150:151], v[48:49]
	v_add_f64 v[0:1], v[0:1], v[6:7]
	v_mul_f64 v[6:7], v[210:211], v[158:159]
	v_fma_f64 v[8:9], v[208:209], v[156:157], -v[6:7]
	ds_read_b128 v[156:159], v2 offset:1296
	ds_read_b128 v[160:163], v2 offset:1312
	s_waitcnt vmcnt(12) lgkmcnt(2)
	v_mul_f64 v[6:7], v[152:153], v[58:59]
	v_fmac_f64_e32 v[6:7], v[154:155], v[56:57]
	v_add_f64 v[0:1], v[0:1], v[6:7]
	s_waitcnt vmcnt(11) lgkmcnt(1)
	v_mul_f64 v[6:7], v[156:157], v[62:63]
	v_fmac_f64_e32 v[6:7], v[158:159], v[60:61]
	v_add_f64 v[0:1], v[0:1], v[6:7]
	v_mul_f64 v[6:7], v[214:215], v[166:167]
	v_fma_f64 v[14:15], v[212:213], v[164:165], -v[6:7]
	ds_read_b128 v[164:167], v2 offset:1328
	v_mul_f64 v[170:171], v[218:219], v[170:171]
	v_fma_f64 v[4:5], v[216:217], v[168:169], -v[170:171]
	ds_read_b128 v[168:171], v2 offset:1344
	s_waitcnt vmcnt(10) lgkmcnt(2)
	v_mul_f64 v[6:7], v[160:161], v[66:67]
	v_fmac_f64_e32 v[6:7], v[162:163], v[64:65]
	v_add_f64 v[0:1], v[0:1], v[6:7]
	s_waitcnt vmcnt(9) lgkmcnt(1)
	v_mul_f64 v[6:7], v[164:165], v[70:71]
	ds_read_b128 v[172:175], v2 offset:1360
	v_fmac_f64_e32 v[6:7], v[166:167], v[68:69]
	v_add_f64 v[0:1], v[0:1], v[6:7]
	s_waitcnt vmcnt(8) lgkmcnt(1)
	v_mul_f64 v[6:7], v[168:169], v[74:75]
	v_fmac_f64_e32 v[6:7], v[170:171], v[72:73]
	v_add_f64 v[0:1], v[0:1], v[6:7]
	v_mul_f64 v[6:7], v[222:223], v[178:179]
	v_fma_f64 v[18:19], v[220:221], v[176:177], -v[6:7]
	ds_read_b128 v[176:179], v2 offset:1376
	s_waitcnt vmcnt(7) lgkmcnt(1)
	v_mul_f64 v[6:7], v[172:173], v[78:79]
	v_fmac_f64_e32 v[6:7], v[174:175], v[76:77]
	v_add_f64 v[0:1], v[0:1], v[6:7]
	v_mul_f64 v[6:7], v[226:227], v[182:183]
	v_fma_f64 v[6:7], v[224:225], v[180:181], -v[6:7]
	ds_read_b128 v[180:183], v2 offset:1392
	s_waitcnt vmcnt(6) lgkmcnt(1)
	v_mul_f64 v[184:185], v[176:177], v[82:83]
	v_fmac_f64_e32 v[184:185], v[178:179], v[80:81]
	v_add_f64 v[0:1], v[0:1], v[184:185]
	ds_read_b128 v[184:187], v2 offset:1408
	s_waitcnt vmcnt(5) lgkmcnt(1)
	v_mul_f64 v[196:197], v[180:181], v[86:87]
	v_fmac_f64_e32 v[196:197], v[182:183], v[84:85]
	v_add_f64 v[196:197], v[0:1], v[196:197]
	v_mul_f64 v[0:1], v[230:231], v[190:191]
	v_fma_f64 v[0:1], v[228:229], v[188:189], -v[0:1]
	ds_read_b128 v[188:191], v2 offset:1424
	s_waitcnt vmcnt(4) lgkmcnt(1)
	v_mul_f64 v[198:199], v[184:185], v[90:91]
	v_fmac_f64_e32 v[198:199], v[186:187], v[88:89]
	v_mul_f64 v[194:195], v[244:245], v[194:195]
	v_fma_f64 v[242:243], v[242:243], v[192:193], -v[194:195]
	ds_read_b128 v[192:195], v2 offset:1440
	v_add_f64 v[196:197], v[196:197], v[198:199]
	s_waitcnt vmcnt(3) lgkmcnt(1)
	v_mul_f64 v[198:199], v[188:189], v[98:99]
	v_fmac_f64_e32 v[198:199], v[190:191], v[96:97]
	v_add_f64 v[204:205], v[196:197], v[198:199]
	ds_read_b128 v[196:199], v2 offset:1456
	v_mul_f64 v[202:203], v[254:255], v[202:203]
	v_fma_f64 v[252:253], v[252:253], v[200:201], -v[202:203]
	ds_read_b128 v[200:203], v2 offset:1472
	s_waitcnt vmcnt(2) lgkmcnt(2)
	v_mul_f64 v[206:207], v[192:193], v[94:95]
	v_fmac_f64_e32 v[206:207], v[194:195], v[92:93]
	v_add_f64 v[204:205], v[204:205], v[206:207]
	s_waitcnt vmcnt(1) lgkmcnt(1)
	v_mul_f64 v[206:207], v[196:197], v[102:103]
	v_fmac_f64_e32 v[206:207], v[198:199], v[100:101]
	v_add_f64 v[204:205], v[204:205], v[206:207]
	;; [unrolled: 4-line block ×3, first 2 shown]
	scratch_load_dwordx4 v[204:207], off, off offset:736
	ds_read_b128 v[208:211], v2 offset:1488
	ds_read_b128 v[216:219], v2 offset:1504
	;; [unrolled: 1-line block ×3, first 2 shown]
	s_waitcnt vmcnt(0) lgkmcnt(2)
	v_mul_f64 v[214:215], v[208:209], v[206:207]
	v_fmac_f64_e32 v[214:215], v[210:211], v[204:205]
	v_add_f64 v[220:221], v[212:213], v[214:215]
	scratch_load_dwordx4 v[212:215], off, off offset:752
	s_waitcnt vmcnt(0) lgkmcnt(1)
	v_mul_f64 v[222:223], v[216:217], v[214:215]
	v_fmac_f64_e32 v[222:223], v[218:219], v[212:213]
	v_add_f64 v[228:229], v[220:221], v[222:223]
	scratch_load_dwordx4 v[220:223], off, off offset:768
	s_waitcnt vmcnt(0) lgkmcnt(0)
	v_mul_f64 v[230:231], v[224:225], v[222:223]
	v_fmac_f64_e32 v[230:231], v[226:227], v[220:221]
	v_add_f64 v[244:245], v[228:229], v[230:231]
	v_add_f64 v[228:229], v[240:241], 0
	;; [unrolled: 1-line block ×8, first 2 shown]
	scratch_load_dwordx4 v[228:231], off, off offset:48
	v_add_f64 v[12:13], v[16:17], v[12:13]
	v_add_f64 v[10:11], v[12:13], v[10:11]
	;; [unrolled: 1-line block ×7, first 2 shown]
	v_accvgpr_read_b32 v6, a98
	v_accvgpr_read_b32 v8, a100
	;; [unrolled: 1-line block ×3, first 2 shown]
	v_add_f64 v[0:1], v[4:5], v[0:1]
	v_accvgpr_read_b32 v7, a99
	v_mul_f64 v[4:5], v[54:55], v[8:9]
	v_add_f64 v[0:1], v[0:1], v[242:243]
	v_fma_f64 v[4:5], v[52:53], v[6:7], -v[4:5]
	v_accvgpr_read_b32 v6, a102
	v_add_f64 v[0:1], v[0:1], v[252:253]
	v_accvgpr_read_b32 v8, a104
	v_accvgpr_read_b32 v9, a105
	v_add_f64 v[0:1], v[0:1], v[4:5]
	v_accvgpr_read_b32 v7, a103
	v_mul_f64 v[4:5], v[110:111], v[8:9]
	v_fma_f64 v[4:5], v[108:109], v[6:7], -v[4:5]
	v_accvgpr_read_b32 v6, a106
	v_accvgpr_read_b32 v8, a108
	;; [unrolled: 1-line block ×3, first 2 shown]
	v_add_f64 v[0:1], v[0:1], v[4:5]
	v_accvgpr_read_b32 v7, a107
	v_mul_f64 v[4:5], v[114:115], v[8:9]
	v_fma_f64 v[4:5], v[112:113], v[6:7], -v[4:5]
	v_add_f64 v[0:1], v[0:1], v[4:5]
	v_mul_f64 v[4:5], v[118:119], v[236:237]
	v_fma_f64 v[4:5], v[116:117], v[234:235], -v[4:5]
	v_add_f64 v[0:1], v[0:1], v[4:5]
	;; [unrolled: 3-line block ×26, first 2 shown]
	s_waitcnt vmcnt(0)
	v_add_f64 v[4:5], v[228:229], -v[0:1]
	v_accvgpr_read_b32 v0, a96
	v_add_f64 v[6:7], v[230:231], -v[244:245]
	v_cmp_lt_u32_e32 vcc, 1, v0
	scratch_store_dwordx4 off, v[4:7], off offset:48
	s_and_saveexec_b64 s[0:1], vcc
	s_cbranch_execz .LBB111_299
; %bb.298:
	scratch_load_dwordx4 v[6:9], off, s63
	v_mov_b32_e32 v3, v2
	v_mov_b32_e32 v4, v2
	;; [unrolled: 1-line block ×3, first 2 shown]
	v_accvgpr_read_b32 v0, a97
	scratch_store_dwordx4 off, v[2:5], off offset:32
	s_waitcnt vmcnt(1)
	ds_write_b128 v0, v[6:9]
.LBB111_299:
	s_or_b64 exec, exec, s[0:1]
	s_waitcnt lgkmcnt(0)
	; wave barrier
	scratch_load_dwordx4 v[80:83], off, off offset:48
	scratch_load_dwordx4 v[84:87], off, off offset:64
	;; [unrolled: 1-line block ×17, first 2 shown]
	ds_read_b128 v[136:139], v2 offset:800
	ds_read_b128 v[132:135], v2 offset:816
	scratch_load_dwordx4 v[4:7], off, off offset:320
	ds_read_b128 v[236:239], v2 offset:832
	ds_read_b128 v[228:231], v2 offset:848
	;; [unrolled: 1-line block ×5, first 2 shown]
	scratch_load_dwordx4 v[8:11], off, off offset:336
	ds_read_b128 v[232:235], v2 offset:912
	ds_read_b128 v[216:219], v2 offset:928
	;; [unrolled: 1-line block ×3, first 2 shown]
	scratch_load_dwordx4 v[12:15], off, off offset:352
	ds_read_b128 v[220:223], v2 offset:960
	ds_read_b128 v[172:175], v2 offset:976
	ds_read_b128 v[212:215], v2 offset:992
	ds_read_b128 v[184:187], v2 offset:1008
	ds_read_b128 v[196:199], v2 offset:1024
	scratch_load_dwordx4 v[16:19], off, off offset:368
	ds_read_b128 v[208:211], v2 offset:1040
	ds_read_b128 v[204:207], v2 offset:1056
	;; [unrolled: 1-line block ×3, first 2 shown]
	scratch_load_dwordx4 v[24:27], off, off offset:384
	scratch_load_dwordx4 v[28:31], off, off offset:400
	;; [unrolled: 1-line block ×8, first 2 shown]
	ds_read_b128 v[116:119], v2 offset:1120
	ds_read_b128 v[120:123], v2 offset:1136
	;; [unrolled: 1-line block ×4, first 2 shown]
	s_waitcnt vmcnt(28) lgkmcnt(14)
	v_mul_f64 v[0:1], v[136:137], v[82:83]
	s_waitcnt vmcnt(27)
	v_mul_f64 v[56:57], v[132:133], v[86:87]
	v_fmac_f64_e32 v[0:1], v[138:139], v[80:81]
	s_waitcnt vmcnt(26)
	v_mul_f64 v[58:59], v[236:237], v[90:91]
	v_fmac_f64_e32 v[56:57], v[134:135], v[84:85]
	v_add_f64 v[0:1], v[0:1], 0
	s_waitcnt vmcnt(25)
	v_mul_f64 v[60:61], v[228:229], v[94:95]
	v_fmac_f64_e32 v[58:59], v[238:239], v[88:89]
	v_add_f64 v[0:1], v[0:1], v[56:57]
	;; [unrolled: 4-line block ×6, first 2 shown]
	s_waitcnt vmcnt(20) lgkmcnt(13)
	v_mul_f64 v[70:71], v[216:217], v[154:155]
	v_fmac_f64_e32 v[68:69], v[234:235], v[144:145]
	v_add_f64 v[0:1], v[0:1], v[66:67]
	s_waitcnt vmcnt(19) lgkmcnt(12)
	v_mul_f64 v[72:73], v[160:161], v[158:159]
	v_fmac_f64_e32 v[70:71], v[218:219], v[152:153]
	v_add_f64 v[0:1], v[0:1], v[68:69]
	;; [unrolled: 4-line block ×7, first 2 shown]
	v_fmac_f64_e32 v[110:111], v[198:199], v[188:189]
	v_add_f64 v[0:1], v[0:1], v[108:109]
	s_waitcnt vmcnt(13) lgkmcnt(6)
	v_mul_f64 v[112:113], v[208:209], v[194:195]
	v_add_f64 v[0:1], v[0:1], v[110:111]
	scratch_load_dwordx4 v[56:59], off, off offset:512
	scratch_load_dwordx4 v[60:63], off, off offset:528
	ds_read_b128 v[108:111], v2 offset:1088
	s_waitcnt vmcnt(14) lgkmcnt(6)
	v_mul_f64 v[114:115], v[204:205], v[202:203]
	v_fmac_f64_e32 v[112:113], v[210:211], v[192:193]
	v_add_f64 v[0:1], v[0:1], v[112:113]
	v_fmac_f64_e32 v[114:115], v[206:207], v[200:201]
	s_waitcnt vmcnt(13) lgkmcnt(5)
	v_mul_f64 v[64:65], v[20:21], v[6:7]
	v_accvgpr_write_b32 a101, v7
	v_add_f64 v[0:1], v[0:1], v[114:115]
	v_fmac_f64_e32 v[64:65], v[22:23], v[4:5]
	v_accvgpr_write_b32 a100, v6
	v_accvgpr_write_b32 a99, v5
	;; [unrolled: 1-line block ×3, first 2 shown]
	ds_read_b128 v[112:115], v2 offset:1104
	s_waitcnt vmcnt(12)
	v_mov_b64_e32 v[4:5], v[8:9]
	v_mov_b64_e32 v[6:7], v[10:11]
	s_waitcnt lgkmcnt(1)
	v_mul_f64 v[68:69], v[108:109], v[6:7]
	v_fmac_f64_e32 v[68:69], v[110:111], v[4:5]
	s_waitcnt vmcnt(11)
	v_mov_b64_e32 v[4:5], v[12:13]
	v_add_f64 v[0:1], v[0:1], v[64:65]
	v_mov_b64_e32 v[6:7], v[14:15]
	v_add_f64 v[0:1], v[0:1], v[68:69]
	s_waitcnt lgkmcnt(0)
	v_mul_f64 v[68:69], v[112:113], v[6:7]
	scratch_load_dwordx4 v[64:67], off, off offset:544
	v_fmac_f64_e32 v[68:69], v[114:115], v[4:5]
	v_add_f64 v[0:1], v[0:1], v[68:69]
	scratch_load_dwordx4 v[68:71], off, off offset:560
	scratch_load_dwordx4 v[72:75], off, off offset:576
	s_waitcnt vmcnt(13)
	v_mul_f64 v[76:77], v[116:117], v[18:19]
	v_fmac_f64_e32 v[76:77], v[118:119], v[16:17]
	v_add_f64 v[0:1], v[0:1], v[76:77]
	s_waitcnt vmcnt(12)
	v_mul_f64 v[76:77], v[120:121], v[26:27]
	v_fmac_f64_e32 v[76:77], v[122:123], v[24:25]
	v_add_f64 v[0:1], v[0:1], v[76:77]
	scratch_load_dwordx4 v[76:79], off, off offset:592
	v_mul_f64 v[82:83], v[138:139], v[82:83]
	v_fma_f64 v[240:241], v[136:137], v[80:81], -v[82:83]
	scratch_load_dwordx4 v[80:83], off, off offset:608
	v_mul_f64 v[86:87], v[134:135], v[86:87]
	v_fma_f64 v[242:243], v[132:133], v[84:85], -v[86:87]
	scratch_load_dwordx4 v[84:87], off, off offset:624
	s_waitcnt vmcnt(14)
	v_mul_f64 v[136:137], v[124:125], v[30:31]
	v_mul_f64 v[90:91], v[238:239], v[90:91]
	v_fmac_f64_e32 v[136:137], v[126:127], v[28:29]
	v_fma_f64 v[236:237], v[236:237], v[88:89], -v[90:91]
	scratch_load_dwordx4 v[88:91], off, off offset:640
	v_add_f64 v[0:1], v[0:1], v[136:137]
	s_waitcnt vmcnt(14)
	v_mul_f64 v[136:137], v[128:129], v[34:35]
	v_mul_f64 v[94:95], v[230:231], v[94:95]
	v_fmac_f64_e32 v[136:137], v[130:131], v[32:33]
	v_fma_f64 v[238:239], v[228:229], v[92:93], -v[94:95]
	v_mul_f64 v[92:93], v[226:227], v[98:99]
	ds_read_b128 v[132:135], v2 offset:1184
	v_add_f64 v[0:1], v[0:1], v[136:137]
	ds_read_b128 v[136:139], v2 offset:1200
	v_fma_f64 v[244:245], v[224:225], v[96:97], -v[92:93]
	scratch_load_dwordx4 v[96:99], off, off offset:656
	scratch_load_dwordx4 v[92:95], off, off offset:672
	v_mul_f64 v[102:103], v[150:151], v[102:103]
	v_fma_f64 v[246:247], v[148:149], v[100:101], -v[102:103]
	scratch_load_dwordx4 v[100:103], off, off offset:688
	v_mul_f64 v[106:107], v[142:143], v[106:107]
	v_fma_f64 v[248:249], v[140:141], v[104:105], -v[106:107]
	v_mul_f64 v[104:105], v[234:235], v[146:147]
	v_fma_f64 v[250:251], v[232:233], v[144:145], -v[104:105]
	scratch_load_dwordx4 v[104:107], off, off offset:704
	ds_read_b128 v[140:143], v2 offset:1216
	ds_read_b128 v[144:147], v2 offset:1232
	s_waitcnt vmcnt(17) lgkmcnt(3)
	v_mul_f64 v[228:229], v[132:133], v[38:39]
	v_fmac_f64_e32 v[228:229], v[134:135], v[36:37]
	s_waitcnt vmcnt(16) lgkmcnt(2)
	v_mul_f64 v[224:225], v[136:137], v[42:43]
	v_add_f64 v[0:1], v[0:1], v[228:229]
	v_fmac_f64_e32 v[224:225], v[138:139], v[40:41]
	s_waitcnt vmcnt(15) lgkmcnt(1)
	v_mul_f64 v[148:149], v[140:141], v[46:47]
	v_add_f64 v[0:1], v[0:1], v[224:225]
	v_fmac_f64_e32 v[148:149], v[142:143], v[44:45]
	v_add_f64 v[0:1], v[0:1], v[148:149]
	ds_read_b128 v[148:151], v2 offset:1248
	v_mul_f64 v[154:155], v[218:219], v[154:155]
	v_fma_f64 v[252:253], v[216:217], v[152:153], -v[154:155]
	ds_read_b128 v[152:155], v2 offset:1264
	v_accvgpr_write_b32 a109, v15
	v_mul_f64 v[158:159], v[162:163], v[158:159]
	v_accvgpr_write_b32 a108, v14
	v_accvgpr_write_b32 a107, v13
	;; [unrolled: 1-line block ×3, first 2 shown]
	v_fma_f64 v[12:13], v[160:161], v[156:157], -v[158:159]
	ds_read_b128 v[156:159], v2 offset:1280
	ds_read_b128 v[160:163], v2 offset:1296
	s_waitcnt vmcnt(14) lgkmcnt(4)
	v_mul_f64 v[224:225], v[144:145], v[50:51]
	v_fmac_f64_e32 v[224:225], v[146:147], v[48:49]
	s_waitcnt vmcnt(13) lgkmcnt(3)
	v_mul_f64 v[216:217], v[148:149], v[54:55]
	v_add_f64 v[0:1], v[0:1], v[224:225]
	v_fmac_f64_e32 v[216:217], v[150:151], v[52:53]
	s_waitcnt vmcnt(12) lgkmcnt(2)
	v_mul_f64 v[6:7], v[152:153], v[58:59]
	v_add_f64 v[0:1], v[0:1], v[216:217]
	v_fmac_f64_e32 v[6:7], v[154:155], v[56:57]
	v_add_f64 v[0:1], v[0:1], v[6:7]
	s_waitcnt vmcnt(11) lgkmcnt(1)
	v_mul_f64 v[6:7], v[156:157], v[62:63]
	v_fmac_f64_e32 v[6:7], v[158:159], v[60:61]
	v_accvgpr_write_b32 a105, v11
	v_add_f64 v[0:1], v[0:1], v[6:7]
	v_mul_f64 v[6:7], v[222:223], v[166:167]
	v_accvgpr_write_b32 a104, v10
	v_accvgpr_write_b32 a103, v9
	;; [unrolled: 1-line block ×3, first 2 shown]
	v_fma_f64 v[8:9], v[220:221], v[164:165], -v[6:7]
	ds_read_b128 v[164:167], v2 offset:1312
	v_mul_f64 v[170:171], v[174:175], v[170:171]
	v_fma_f64 v[6:7], v[172:173], v[168:169], -v[170:171]
	ds_read_b128 v[168:171], v2 offset:1328
	s_waitcnt vmcnt(10) lgkmcnt(2)
	v_mul_f64 v[216:217], v[160:161], v[66:67]
	v_fmac_f64_e32 v[216:217], v[162:163], v[64:65]
	s_waitcnt vmcnt(9) lgkmcnt(1)
	v_mul_f64 v[10:11], v[164:165], v[70:71]
	v_add_f64 v[0:1], v[0:1], v[216:217]
	v_fmac_f64_e32 v[10:11], v[166:167], v[68:69]
	v_add_f64 v[0:1], v[0:1], v[10:11]
	s_waitcnt vmcnt(8) lgkmcnt(0)
	v_mul_f64 v[10:11], v[168:169], v[74:75]
	v_fmac_f64_e32 v[10:11], v[170:171], v[72:73]
	ds_read_b128 v[172:175], v2 offset:1344
	v_add_f64 v[0:1], v[0:1], v[10:11]
	v_mul_f64 v[10:11], v[214:215], v[178:179]
	v_fma_f64 v[10:11], v[212:213], v[176:177], -v[10:11]
	ds_read_b128 v[176:179], v2 offset:1360
	v_mul_f64 v[182:183], v[186:187], v[182:183]
	v_fma_f64 v[4:5], v[184:185], v[180:181], -v[182:183]
	ds_read_b128 v[180:183], v2 offset:1376
	ds_read_b128 v[184:187], v2 offset:1392
	s_waitcnt vmcnt(7) lgkmcnt(3)
	v_mul_f64 v[212:213], v[172:173], v[78:79]
	v_fmac_f64_e32 v[212:213], v[174:175], v[76:77]
	s_waitcnt vmcnt(6) lgkmcnt(2)
	v_mul_f64 v[14:15], v[176:177], v[82:83]
	v_add_f64 v[0:1], v[0:1], v[212:213]
	v_fmac_f64_e32 v[14:15], v[178:179], v[80:81]
	v_add_f64 v[0:1], v[0:1], v[14:15]
	s_waitcnt vmcnt(5) lgkmcnt(1)
	v_mul_f64 v[14:15], v[180:181], v[86:87]
	v_fmac_f64_e32 v[14:15], v[182:183], v[84:85]
	v_add_f64 v[14:15], v[0:1], v[14:15]
	v_mul_f64 v[0:1], v[198:199], v[190:191]
	v_fma_f64 v[0:1], v[196:197], v[188:189], -v[0:1]
	ds_read_b128 v[188:191], v2 offset:1408
	v_mul_f64 v[194:195], v[210:211], v[194:195]
	s_waitcnt vmcnt(4) lgkmcnt(1)
	v_mul_f64 v[196:197], v[184:185], v[90:91]
	v_fma_f64 v[192:193], v[208:209], v[192:193], -v[194:195]
	v_fmac_f64_e32 v[196:197], v[186:187], v[88:89]
	v_accvgpr_write_b32 a110, v192
	v_accvgpr_write_b32 a111, v193
	ds_read_b128 v[192:195], v2 offset:1424
	v_add_f64 v[14:15], v[14:15], v[196:197]
	s_waitcnt vmcnt(3) lgkmcnt(1)
	v_mul_f64 v[196:197], v[188:189], v[98:99]
	v_fmac_f64_e32 v[196:197], v[190:191], v[96:97]
	v_add_f64 v[14:15], v[14:15], v[196:197]
	ds_read_b128 v[196:199], v2 offset:1440
	v_mul_f64 v[202:203], v[206:207], v[202:203]
	v_fma_f64 v[254:255], v[204:205], v[200:201], -v[202:203]
	ds_read_b128 v[200:203], v2 offset:1456
	s_waitcnt vmcnt(2) lgkmcnt(2)
	v_mul_f64 v[204:205], v[192:193], v[94:95]
	v_fmac_f64_e32 v[204:205], v[194:195], v[92:93]
	v_add_f64 v[14:15], v[14:15], v[204:205]
	s_waitcnt vmcnt(1) lgkmcnt(1)
	v_mul_f64 v[204:205], v[196:197], v[102:103]
	v_fmac_f64_e32 v[204:205], v[198:199], v[100:101]
	v_add_f64 v[14:15], v[14:15], v[204:205]
	;; [unrolled: 4-line block ×3, first 2 shown]
	scratch_load_dwordx4 v[204:207], off, off offset:720
	scratch_load_dwordx4 v[232:235], off, off offset:768
	ds_read_b128 v[208:211], v2 offset:1472
	ds_read_b128 v[216:219], v2 offset:1488
	;; [unrolled: 1-line block ×3, first 2 shown]
	s_waitcnt vmcnt(1) lgkmcnt(2)
	v_mul_f64 v[212:213], v[208:209], v[206:207]
	v_fmac_f64_e32 v[212:213], v[210:211], v[204:205]
	v_add_f64 v[14:15], v[14:15], v[212:213]
	scratch_load_dwordx4 v[212:215], off, off offset:736
	s_waitcnt vmcnt(0) lgkmcnt(1)
	v_mul_f64 v[220:221], v[216:217], v[214:215]
	v_fmac_f64_e32 v[220:221], v[218:219], v[212:213]
	v_add_f64 v[14:15], v[14:15], v[220:221]
	scratch_load_dwordx4 v[220:223], off, off offset:752
	s_waitcnt vmcnt(0) lgkmcnt(0)
	v_mul_f64 v[228:229], v[224:225], v[222:223]
	v_fmac_f64_e32 v[228:229], v[226:227], v[220:221]
	v_add_f64 v[14:15], v[14:15], v[228:229]
	ds_read_b128 v[228:231], v2 offset:1520
	s_waitcnt lgkmcnt(0)
	v_mul_f64 v[2:3], v[228:229], v[234:235]
	v_fmac_f64_e32 v[2:3], v[230:231], v[232:233]
	v_add_f64 v[2:3], v[14:15], v[2:3]
	v_add_f64 v[14:15], v[240:241], 0
	;; [unrolled: 1-line block ×5, first 2 shown]
	scratch_load_dwordx4 v[236:239], off, off offset:32
	v_add_f64 v[14:15], v[14:15], v[244:245]
	v_add_f64 v[14:15], v[14:15], v[246:247]
	;; [unrolled: 1-line block ×10, first 2 shown]
	v_accvgpr_read_b32 v6, a98
	v_add_f64 v[242:243], v[4:5], v[0:1]
	v_accvgpr_read_b32 v0, a110
	v_accvgpr_read_b32 v8, a100
	;; [unrolled: 1-line block ×5, first 2 shown]
	v_mul_f64 v[4:5], v[22:23], v[8:9]
	v_add_f64 v[0:1], v[242:243], v[0:1]
	v_fma_f64 v[4:5], v[20:21], v[6:7], -v[4:5]
	v_accvgpr_read_b32 v6, a102
	v_add_f64 v[0:1], v[0:1], v[254:255]
	v_accvgpr_read_b32 v8, a104
	v_accvgpr_read_b32 v9, a105
	v_add_f64 v[0:1], v[0:1], v[4:5]
	v_accvgpr_read_b32 v7, a103
	v_mul_f64 v[4:5], v[110:111], v[8:9]
	v_fma_f64 v[4:5], v[108:109], v[6:7], -v[4:5]
	v_accvgpr_read_b32 v6, a106
	v_accvgpr_read_b32 v8, a108
	;; [unrolled: 1-line block ×3, first 2 shown]
	v_add_f64 v[0:1], v[0:1], v[4:5]
	v_accvgpr_read_b32 v7, a107
	v_mul_f64 v[4:5], v[114:115], v[8:9]
	v_fma_f64 v[4:5], v[112:113], v[6:7], -v[4:5]
	v_add_f64 v[0:1], v[0:1], v[4:5]
	v_mul_f64 v[4:5], v[118:119], v[18:19]
	v_fma_f64 v[4:5], v[116:117], v[16:17], -v[4:5]
	v_add_f64 v[0:1], v[0:1], v[4:5]
	;; [unrolled: 3-line block ×27, first 2 shown]
	s_waitcnt vmcnt(0)
	v_add_f64 v[4:5], v[236:237], -v[0:1]
	v_accvgpr_read_b32 v0, a96
	v_add_f64 v[6:7], v[238:239], -v[2:3]
	v_cmp_ne_u32_e32 vcc, 0, v0
	scratch_store_dwordx4 off, v[4:7], off offset:32
	s_and_saveexec_b64 s[0:1], vcc
	s_cbranch_execz .LBB111_301
; %bb.300:
	scratch_load_dwordx4 v[2:5], off, off offset:16
	v_mov_b32_e32 v6, 0
	v_mov_b32_e32 v7, v6
	;; [unrolled: 1-line block ×4, first 2 shown]
	v_accvgpr_read_b32 v0, a97
	scratch_store_dwordx4 off, v[6:9], off offset:16
	s_waitcnt vmcnt(1)
	ds_write_b128 v0, v[2:5]
.LBB111_301:
	s_or_b64 exec, exec, s[0:1]
	s_waitcnt lgkmcnt(0)
	; wave barrier
	scratch_load_dwordx4 v[72:75], off, off offset:32
	scratch_load_dwordx4 v[76:79], off, off offset:48
	;; [unrolled: 1-line block ×28, first 2 shown]
	v_mov_b32_e32 v20, 0
	ds_read_b128 v[128:131], v20 offset:784
	ds_read_b128 v[132:135], v20 offset:800
	;; [unrolled: 1-line block ×22, first 2 shown]
	s_and_b64 vcc, exec, s[10:11]
	ds_read_b128 v[104:107], v20 offset:1088
	s_waitcnt vmcnt(27) lgkmcnt(14)
	v_mul_f64 v[40:41], v[128:129], v[74:75]
	s_waitcnt vmcnt(26)
	v_mul_f64 v[42:43], v[132:133], v[78:79]
	v_fmac_f64_e32 v[40:41], v[130:131], v[72:73]
	s_waitcnt vmcnt(25)
	v_mul_f64 v[44:45], v[136:137], v[82:83]
	v_fmac_f64_e32 v[42:43], v[134:135], v[76:77]
	v_add_f64 v[40:41], v[40:41], 0
	s_waitcnt vmcnt(24)
	v_mul_f64 v[46:47], v[140:141], v[86:87]
	v_fmac_f64_e32 v[44:45], v[138:139], v[80:81]
	v_add_f64 v[40:41], v[40:41], v[42:43]
	;; [unrolled: 4-line block ×7, first 2 shown]
	s_waitcnt vmcnt(18) lgkmcnt(13)
	v_mul_f64 v[58:59], v[204:205], v[154:155]
	v_fmac_f64_e32 v[56:57], v[202:203], v[144:145]
	v_add_f64 v[40:41], v[40:41], v[54:55]
	s_waitcnt vmcnt(17) lgkmcnt(12)
	v_mul_f64 v[60:61], v[208:209], v[158:159]
	v_fmac_f64_e32 v[58:59], v[206:207], v[152:153]
	v_add_f64 v[40:41], v[40:41], v[56:57]
	;; [unrolled: 4-line block ×7, first 2 shown]
	v_fmac_f64_e32 v[70:71], v[230:231], v[184:185]
	v_add_f64 v[40:41], v[40:41], v[68:69]
	s_waitcnt vmcnt(11) lgkmcnt(6)
	v_mul_f64 v[100:101], v[232:233], v[194:195]
	v_add_f64 v[44:45], v[40:41], v[70:71]
	scratch_load_dwordx4 v[40:43], off, off offset:480
	v_fmac_f64_e32 v[100:101], v[234:235], v[192:193]
	v_add_f64 v[48:49], v[44:45], v[100:101]
	scratch_load_dwordx4 v[44:47], off, off offset:496
	ds_read_b128 v[100:103], v20 offset:1072
	s_waitcnt vmcnt(12) lgkmcnt(6)
	v_mul_f64 v[50:51], v[252:253], v[198:199]
	v_fmac_f64_e32 v[50:51], v[254:255], v[196:197]
	v_add_f64 v[52:53], v[48:49], v[50:51]
	scratch_load_dwordx4 v[48:51], off, off offset:512
	s_waitcnt vmcnt(12) lgkmcnt(0)
	v_mul_f64 v[54:55], v[100:101], v[2:3]
	v_accvgpr_write_b32 a99, v3
	v_fmac_f64_e32 v[54:55], v[102:103], v[0:1]
	v_accvgpr_write_b32 a98, v2
	v_accvgpr_write_b32 a97, v1
	v_accvgpr_write_b32 a96, v0
	s_waitcnt vmcnt(11)
	v_mov_b64_e32 v[0:1], v[4:5]
	v_mov_b64_e32 v[2:3], v[6:7]
	v_mul_f64 v[58:59], v[104:105], v[2:3]
	v_add_f64 v[56:57], v[52:53], v[54:55]
	v_fmac_f64_e32 v[58:59], v[106:107], v[0:1]
	scratch_load_dwordx4 v[52:55], off, off offset:528
	s_waitcnt vmcnt(11)
	v_mov_b64_e32 v[0:1], v[8:9]
	v_mov_b64_e32 v[2:3], v[10:11]
	v_add_f64 v[60:61], v[56:57], v[58:59]
	v_mul_f64 v[62:63], v[112:113], v[2:3]
	scratch_load_dwordx4 v[56:59], off, off offset:544
	v_fmac_f64_e32 v[62:63], v[114:115], v[0:1]
	s_waitcnt vmcnt(11)
	v_mov_b64_e32 v[0:1], v[12:13]
	v_mov_b64_e32 v[2:3], v[14:15]
	v_mul_f64 v[66:67], v[116:117], v[2:3]
	v_fmac_f64_e32 v[66:67], v[118:119], v[0:1]
	s_waitcnt vmcnt(10)
	v_mov_b64_e32 v[0:1], v[16:17]
	v_add_f64 v[64:65], v[60:61], v[62:63]
	v_mov_b64_e32 v[2:3], v[18:19]
	scratch_load_dwordx4 v[60:63], off, off offset:560
	v_add_f64 v[64:65], v[64:65], v[66:67]
	v_mul_f64 v[66:67], v[120:121], v[2:3]
	v_fmac_f64_e32 v[66:67], v[122:123], v[0:1]
	v_add_f64 v[236:237], v[64:65], v[66:67]
	scratch_load_dwordx4 v[64:67], off, off offset:576
	scratch_load_dwordx4 v[68:71], off, off offset:592
	s_waitcnt vmcnt(12)
	v_mov_b64_e32 v[0:1], v[238:239]
	v_mul_f64 v[74:75], v[130:131], v[74:75]
	v_mov_b64_e32 v[2:3], v[240:241]
	v_fma_f64 v[240:241], v[128:129], v[72:73], -v[74:75]
	ds_read_b128 v[128:131], v20 offset:1168
	v_mul_f64 v[72:73], v[134:135], v[78:79]
	v_fma_f64 v[244:245], v[132:133], v[76:77], -v[72:73]
	ds_read_b128 v[132:135], v20 offset:1184
	v_mul_f64 v[238:239], v[124:125], v[2:3]
	v_mul_f64 v[76:77], v[138:139], v[82:83]
	v_fmac_f64_e32 v[238:239], v[126:127], v[0:1]
	v_fma_f64 v[246:247], v[136:137], v[80:81], -v[76:77]
	s_waitcnt vmcnt(11) lgkmcnt(1)
	v_mul_f64 v[80:81], v[128:129], v[26:27]
	v_add_f64 v[236:237], v[236:237], v[238:239]
	v_fmac_f64_e32 v[80:81], v[130:131], v[24:25]
	v_add_f64 v[236:237], v[236:237], v[80:81]
	v_mul_f64 v[80:81], v[142:143], v[86:87]
	ds_read_b128 v[136:139], v20 offset:1200
	v_fma_f64 v[248:249], v[140:141], v[84:85], -v[80:81]
	s_waitcnt vmcnt(10) lgkmcnt(1)
	v_mul_f64 v[140:141], v[132:133], v[30:31]
	v_fmac_f64_e32 v[140:141], v[134:135], v[28:29]
	v_mul_f64 v[84:85], v[150:151], v[90:91]
	v_accvgpr_write_b32 a107, v11
	v_fma_f64 v[250:251], v[148:149], v[88:89], -v[84:85]
	v_add_f64 v[148:149], v[236:237], v[140:141]
	v_mul_f64 v[88:89], v[166:167], v[94:95]
	ds_read_b128 v[140:143], v20 offset:1216
	v_accvgpr_write_b32 a106, v10
	v_accvgpr_write_b32 a105, v9
	;; [unrolled: 1-line block ×4, first 2 shown]
	v_fma_f64 v[8:9], v[164:165], v[92:93], -v[88:89]
	v_mul_f64 v[88:89], v[178:179], v[98:99]
	v_accvgpr_write_b32 a103, v7
	v_accvgpr_write_b32 a118, v2
	;; [unrolled: 1-line block ×4, first 2 shown]
	s_waitcnt vmcnt(9) lgkmcnt(1)
	v_mul_f64 v[2:3], v[136:137], v[34:35]
	v_fma_f64 v[236:237], v[176:177], v[96:97], -v[88:89]
	v_mul_f64 v[96:97], v[190:191], v[110:111]
	v_accvgpr_write_b32 a102, v6
	v_accvgpr_write_b32 a101, v5
	;; [unrolled: 1-line block ×3, first 2 shown]
	v_fmac_f64_e32 v[2:3], v[138:139], v[32:33]
	v_fma_f64 v[4:5], v[188:189], v[108:109], -v[96:97]
	v_mul_f64 v[108:109], v[202:203], v[146:147]
	scratch_load_dwordx4 v[72:75], off, off offset:608
	scratch_load_dwordx4 v[76:79], off, off offset:624
	;; [unrolled: 1-line block ×6, first 2 shown]
	v_add_f64 v[2:3], v[148:149], v[2:3]
	scratch_load_dwordx4 v[96:99], off, off offset:704
	v_fma_f64 v[238:239], v[200:201], v[144:145], -v[108:109]
	ds_read_b128 v[148:151], v20 offset:1232
	ds_read_b128 v[144:147], v20 offset:1248
	s_waitcnt vmcnt(15) lgkmcnt(2)
	v_mul_f64 v[6:7], v[140:141], v[38:39]
	v_fmac_f64_e32 v[6:7], v[142:143], v[36:37]
	v_add_f64 v[2:3], v[2:3], v[6:7]
	v_mul_f64 v[6:7], v[206:207], v[154:155]
	v_fma_f64 v[0:1], v[204:205], v[152:153], -v[6:7]
	s_waitcnt vmcnt(14) lgkmcnt(1)
	v_mul_f64 v[6:7], v[148:149], v[42:43]
	ds_read_b128 v[152:155], v20 offset:1264
	v_fmac_f64_e32 v[6:7], v[150:151], v[40:41]
	v_add_f64 v[2:3], v[2:3], v[6:7]
	s_waitcnt vmcnt(13) lgkmcnt(1)
	v_mul_f64 v[6:7], v[144:145], v[46:47]
	v_fmac_f64_e32 v[6:7], v[146:147], v[44:45]
	v_add_f64 v[2:3], v[2:3], v[6:7]
	v_mul_f64 v[6:7], v[210:211], v[158:159]
	v_fma_f64 v[10:11], v[208:209], v[156:157], -v[6:7]
	ds_read_b128 v[156:159], v20 offset:1280
	s_waitcnt vmcnt(12) lgkmcnt(1)
	v_mul_f64 v[6:7], v[152:153], v[50:51]
	v_fmac_f64_e32 v[6:7], v[154:155], v[48:49]
	v_add_f64 v[2:3], v[2:3], v[6:7]
	v_mul_f64 v[6:7], v[214:215], v[162:163]
	v_fma_f64 v[242:243], v[212:213], v[160:161], -v[6:7]
	ds_read_b128 v[160:163], v20 offset:1296
	ds_read_b128 v[164:167], v20 offset:1312
	s_waitcnt vmcnt(11) lgkmcnt(2)
	v_mul_f64 v[6:7], v[156:157], v[54:55]
	v_fmac_f64_e32 v[6:7], v[158:159], v[52:53]
	v_add_f64 v[2:3], v[2:3], v[6:7]
	s_waitcnt vmcnt(10) lgkmcnt(1)
	v_mul_f64 v[6:7], v[160:161], v[58:59]
	v_fmac_f64_e32 v[6:7], v[162:163], v[56:57]
	v_accvgpr_write_b32 a111, v15
	v_add_f64 v[2:3], v[2:3], v[6:7]
	v_mul_f64 v[6:7], v[218:219], v[170:171]
	v_accvgpr_write_b32 a110, v14
	v_accvgpr_write_b32 a109, v13
	;; [unrolled: 1-line block ×3, first 2 shown]
	v_fma_f64 v[14:15], v[216:217], v[168:169], -v[6:7]
	ds_read_b128 v[168:171], v20 offset:1328
	v_mul_f64 v[174:175], v[222:223], v[174:175]
	v_fma_f64 v[12:13], v[220:221], v[172:173], -v[174:175]
	ds_read_b128 v[172:175], v20 offset:1344
	s_waitcnt vmcnt(9) lgkmcnt(2)
	v_mul_f64 v[6:7], v[164:165], v[62:63]
	scratch_load_dwordx4 v[108:111], off, off offset:720
	v_fmac_f64_e32 v[6:7], v[166:167], v[60:61]
	v_add_f64 v[2:3], v[2:3], v[6:7]
	s_waitcnt vmcnt(9) lgkmcnt(1)
	v_mul_f64 v[6:7], v[168:169], v[66:67]
	v_fmac_f64_e32 v[6:7], v[170:171], v[64:65]
	scratch_load_dwordx4 v[208:211], off, off offset:736
	scratch_load_dwordx4 v[216:219], off, off offset:752
	v_add_f64 v[2:3], v[2:3], v[6:7]
	s_waitcnt vmcnt(10) lgkmcnt(0)
	v_mul_f64 v[6:7], v[172:173], v[70:71]
	v_fmac_f64_e32 v[6:7], v[174:175], v[68:69]
	v_accvgpr_write_b32 a115, v19
	v_add_f64 v[2:3], v[2:3], v[6:7]
	v_mul_f64 v[6:7], v[226:227], v[182:183]
	v_accvgpr_write_b32 a114, v18
	v_accvgpr_write_b32 a113, v17
	;; [unrolled: 1-line block ×3, first 2 shown]
	v_fma_f64 v[18:19], v[224:225], v[180:181], -v[6:7]
	scratch_load_dwordx4 v[224:227], off, off offset:768
	ds_read_b128 v[176:179], v20 offset:1360
	ds_read_b128 v[180:183], v20 offset:1376
	;; [unrolled: 1-line block ×7, first 2 shown]
	s_waitcnt vmcnt(10) lgkmcnt(6)
	v_mul_f64 v[6:7], v[176:177], v[74:75]
	v_fmac_f64_e32 v[6:7], v[178:179], v[72:73]
	v_add_f64 v[2:3], v[2:3], v[6:7]
	v_mul_f64 v[6:7], v[230:231], v[186:187]
	v_fma_f64 v[16:17], v[228:229], v[184:185], -v[6:7]
	ds_read_b128 v[184:187], v20 offset:1392
	s_waitcnt vmcnt(9) lgkmcnt(6)
	v_mul_f64 v[6:7], v[180:181], v[78:79]
	v_fmac_f64_e32 v[6:7], v[182:183], v[76:77]
	v_add_f64 v[2:3], v[2:3], v[6:7]
	s_waitcnt vmcnt(7) lgkmcnt(5)
	v_mul_f64 v[22:23], v[188:189], v[86:87]
	s_waitcnt lgkmcnt(0)
	v_mul_f64 v[6:7], v[184:185], v[82:83]
	v_fmac_f64_e32 v[6:7], v[186:187], v[80:81]
	v_add_f64 v[2:3], v[2:3], v[6:7]
	v_mul_f64 v[6:7], v[234:235], v[194:195]
	v_fma_f64 v[6:7], v[232:233], v[192:193], -v[6:7]
	v_fmac_f64_e32 v[22:23], v[190:191], v[84:85]
	ds_read_b128 v[192:195], v20 offset:1424
	v_add_f64 v[2:3], v[2:3], v[22:23]
	v_mul_f64 v[22:23], v[254:255], v[198:199]
	v_fma_f64 v[252:253], v[252:253], v[196:197], -v[22:23]
	ds_read_b128 v[196:199], v20 offset:1440
	s_waitcnt vmcnt(6) lgkmcnt(1)
	v_mul_f64 v[22:23], v[192:193], v[94:95]
	v_fmac_f64_e32 v[22:23], v[194:195], v[92:93]
	v_add_f64 v[2:3], v[2:3], v[22:23]
	scratch_load_dwordx4 v[232:235], off, off offset:16
	s_waitcnt vmcnt(6) lgkmcnt(0)
	v_mul_f64 v[22:23], v[196:197], v[90:91]
	v_fmac_f64_e32 v[22:23], v[198:199], v[88:89]
	v_add_f64 v[2:3], v[2:3], v[22:23]
	s_waitcnt vmcnt(5)
	v_mul_f64 v[22:23], v[200:201], v[98:99]
	v_fmac_f64_e32 v[22:23], v[202:203], v[96:97]
	v_add_f64 v[2:3], v[2:3], v[22:23]
	ds_read_b128 v[228:231], v20 offset:1520
	s_waitcnt vmcnt(4)
	v_mul_f64 v[22:23], v[204:205], v[110:111]
	v_fmac_f64_e32 v[22:23], v[206:207], v[108:109]
	v_add_f64 v[2:3], v[2:3], v[22:23]
	s_waitcnt vmcnt(3)
	v_mul_f64 v[22:23], v[212:213], v[210:211]
	v_fmac_f64_e32 v[22:23], v[214:215], v[208:209]
	v_add_f64 v[2:3], v[2:3], v[22:23]
	;; [unrolled: 4-line block ×3, first 2 shown]
	s_waitcnt vmcnt(1) lgkmcnt(0)
	v_mul_f64 v[22:23], v[228:229], v[226:227]
	v_fmac_f64_e32 v[22:23], v[230:231], v[224:225]
	v_add_f64 v[2:3], v[2:3], v[22:23]
	v_add_f64 v[22:23], v[240:241], 0
	;; [unrolled: 1-line block ×18, first 2 shown]
	v_accvgpr_read_b32 v6, a96
	v_accvgpr_read_b32 v8, a98
	;; [unrolled: 1-line block ×4, first 2 shown]
	v_mul_f64 v[4:5], v[102:103], v[8:9]
	v_fma_f64 v[4:5], v[100:101], v[6:7], -v[4:5]
	v_accvgpr_read_b32 v6, a100
	v_add_f64 v[0:1], v[0:1], v[252:253]
	v_accvgpr_read_b32 v8, a102
	v_accvgpr_read_b32 v9, a103
	v_add_f64 v[0:1], v[0:1], v[4:5]
	v_accvgpr_read_b32 v7, a101
	v_mul_f64 v[4:5], v[106:107], v[8:9]
	v_fma_f64 v[4:5], v[104:105], v[6:7], -v[4:5]
	v_accvgpr_read_b32 v6, a104
	v_accvgpr_read_b32 v8, a106
	v_accvgpr_read_b32 v9, a107
	v_add_f64 v[0:1], v[0:1], v[4:5]
	v_accvgpr_read_b32 v7, a105
	v_mul_f64 v[4:5], v[114:115], v[8:9]
	v_fma_f64 v[4:5], v[112:113], v[6:7], -v[4:5]
	v_accvgpr_read_b32 v6, a108
	;; [unrolled: 7-line block ×4, first 2 shown]
	v_accvgpr_read_b32 v8, a118
	v_accvgpr_read_b32 v9, a119
	v_add_f64 v[0:1], v[0:1], v[4:5]
	v_accvgpr_read_b32 v7, a117
	v_mul_f64 v[4:5], v[126:127], v[8:9]
	v_fma_f64 v[4:5], v[124:125], v[6:7], -v[4:5]
	v_add_f64 v[0:1], v[0:1], v[4:5]
	v_mul_f64 v[4:5], v[130:131], v[26:27]
	v_fma_f64 v[4:5], v[128:129], v[24:25], -v[4:5]
	v_add_f64 v[0:1], v[0:1], v[4:5]
	;; [unrolled: 3-line block ×24, first 2 shown]
	s_waitcnt vmcnt(0)
	v_add_f64 v[0:1], v[232:233], -v[0:1]
	v_add_f64 v[2:3], v[234:235], -v[2:3]
	scratch_store_dwordx4 off, v[0:3], off offset:16
	s_cbranch_vccz .LBB111_396
; %bb.302:
	global_load_dword v0, v20, s[8:9] offset:184
	s_waitcnt vmcnt(0)
	v_readfirstlane_b32 s0, v0
	s_add_i32 s0, s0, -1
	s_cmp_lg_u32 s0, 46
	s_cbranch_scc0 .LBB111_304
; %bb.303:
	s_lshl_b32 s0, s0, 4
	s_add_i32 s0, s0, 16
	scratch_load_dwordx4 v[0:3], off, s0
	scratch_load_dwordx4 v[4:7], off, s17
	s_waitcnt vmcnt(1)
	scratch_store_dwordx4 off, v[0:3], s17
	s_waitcnt vmcnt(1)
	scratch_store_dwordx4 off, v[4:7], s0
.LBB111_304:
	v_mov_b32_e32 v0, 0
	global_load_dword v1, v0, s[8:9] offset:180
	s_waitcnt vmcnt(0)
	v_readfirstlane_b32 s0, v1
	s_add_i32 s0, s0, -1
	s_cmp_eq_u32 s0, 45
	s_cbranch_scc1 .LBB111_306
; %bb.305:
	s_lshl_b32 s0, s0, 4
	s_add_i32 s0, s0, 16
	scratch_load_dwordx4 v[2:5], off, s0
	scratch_load_dwordx4 v[6:9], off, s18
	s_waitcnt vmcnt(1)
	scratch_store_dwordx4 off, v[2:5], s18
	s_waitcnt vmcnt(1)
	scratch_store_dwordx4 off, v[6:9], s0
.LBB111_306:
	global_load_dword v0, v0, s[8:9] offset:176
	s_waitcnt vmcnt(0)
	v_readfirstlane_b32 s0, v0
	s_add_i32 s0, s0, -1
	s_cmp_eq_u32 s0, 44
	s_cbranch_scc1 .LBB111_308
; %bb.307:
	s_lshl_b32 s0, s0, 4
	s_add_i32 s0, s0, 16
	scratch_load_dwordx4 v[0:3], off, s0
	scratch_load_dwordx4 v[4:7], off, s19
	s_waitcnt vmcnt(1)
	scratch_store_dwordx4 off, v[0:3], s19
	s_waitcnt vmcnt(1)
	scratch_store_dwordx4 off, v[4:7], s0
.LBB111_308:
	v_mov_b32_e32 v0, 0
	global_load_dword v1, v0, s[8:9] offset:172
	s_waitcnt vmcnt(0)
	v_readfirstlane_b32 s0, v1
	s_add_i32 s0, s0, -1
	s_cmp_eq_u32 s0, 43
	s_cbranch_scc1 .LBB111_310
; %bb.309:
	s_lshl_b32 s0, s0, 4
	s_add_i32 s0, s0, 16
	scratch_load_dwordx4 v[2:5], off, s0
	scratch_load_dwordx4 v[6:9], off, s20
	s_waitcnt vmcnt(1)
	scratch_store_dwordx4 off, v[2:5], s20
	s_waitcnt vmcnt(1)
	scratch_store_dwordx4 off, v[6:9], s0
.LBB111_310:
	global_load_dword v0, v0, s[8:9] offset:168
	s_waitcnt vmcnt(0)
	v_readfirstlane_b32 s0, v0
	s_add_i32 s0, s0, -1
	s_cmp_eq_u32 s0, 42
	s_cbranch_scc1 .LBB111_312
; %bb.311:
	s_lshl_b32 s0, s0, 4
	s_add_i32 s0, s0, 16
	scratch_load_dwordx4 v[0:3], off, s0
	scratch_load_dwordx4 v[4:7], off, s21
	s_waitcnt vmcnt(1)
	scratch_store_dwordx4 off, v[0:3], s21
	s_waitcnt vmcnt(1)
	scratch_store_dwordx4 off, v[4:7], s0
.LBB111_312:
	;; [unrolled: 33-line block ×22, first 2 shown]
	v_mov_b32_e32 v0, 0
	global_load_dword v1, v0, s[8:9] offset:4
	s_waitcnt vmcnt(0)
	v_readfirstlane_b32 s0, v1
	s_add_i32 s0, s0, -1
	s_cmp_eq_u32 s0, 1
	s_cbranch_scc1 .LBB111_394
; %bb.393:
	s_lshl_b32 s0, s0, 4
	s_add_i32 s0, s0, 16
	scratch_load_dwordx4 v[2:5], off, s0
	scratch_load_dwordx4 v[6:9], off, s63
	s_waitcnt vmcnt(1)
	scratch_store_dwordx4 off, v[2:5], s63
	s_waitcnt vmcnt(1)
	scratch_store_dwordx4 off, v[6:9], s0
.LBB111_394:
	global_load_dword v0, v0, s[8:9]
	s_waitcnt vmcnt(0)
	v_readfirstlane_b32 s0, v0
	s_add_i32 s0, s0, -1
	s_cmp_eq_u32 s0, 0
	s_cbranch_scc1 .LBB111_396
; %bb.395:
	s_lshl_b32 s0, s0, 4
	s_add_i32 s0, s0, 16
	scratch_load_dwordx4 v[0:3], off, s0
	scratch_load_dwordx4 v[4:7], off, off offset:16
	s_waitcnt vmcnt(1)
	scratch_store_dwordx4 off, v[0:3], off offset:16
	s_waitcnt vmcnt(1)
	scratch_store_dwordx4 off, v[4:7], s0
.LBB111_396:
	scratch_load_dwordx4 v[0:3], off, off offset:16
	s_nop 0
	v_accvgpr_read_b32 v5, a1
	v_accvgpr_read_b32 v4, a0
	s_waitcnt vmcnt(0)
	flat_store_dwordx4 v[4:5], v[0:3]
	scratch_load_dwordx4 v[0:3], off, s63
	v_accvgpr_read_b32 v5, a3
	v_accvgpr_read_b32 v4, a2
	s_waitcnt vmcnt(0)
	flat_store_dwordx4 v[4:5], v[0:3]
	scratch_load_dwordx4 v[0:3], off, s62
	;; [unrolled: 5-line block ×47, first 2 shown]
	v_accvgpr_read_b32 v4, a94
	v_accvgpr_read_b32 v5, a95
	s_waitcnt vmcnt(0)
	flat_store_dwordx4 v[4:5], v[0:3]
	s_endpgm
	.section	.rodata,"a",@progbits
	.p2align	6, 0x0
	.amdhsa_kernel _ZN9rocsolver6v33100L18getri_kernel_smallILi48E19rocblas_complex_numIdEPKPS3_EEvT1_iilPiilS8_bb
		.amdhsa_group_segment_fixed_size 1544
		.amdhsa_private_segment_fixed_size 800
		.amdhsa_kernarg_size 60
		.amdhsa_user_sgpr_count 2
		.amdhsa_user_sgpr_dispatch_ptr 0
		.amdhsa_user_sgpr_queue_ptr 0
		.amdhsa_user_sgpr_kernarg_segment_ptr 1
		.amdhsa_user_sgpr_dispatch_id 0
		.amdhsa_user_sgpr_kernarg_preload_length 0
		.amdhsa_user_sgpr_kernarg_preload_offset 0
		.amdhsa_user_sgpr_private_segment_size 0
		.amdhsa_uses_dynamic_stack 0
		.amdhsa_enable_private_segment 1
		.amdhsa_system_sgpr_workgroup_id_x 1
		.amdhsa_system_sgpr_workgroup_id_y 0
		.amdhsa_system_sgpr_workgroup_id_z 0
		.amdhsa_system_sgpr_workgroup_info 0
		.amdhsa_system_vgpr_workitem_id 0
		.amdhsa_next_free_vgpr 376
		.amdhsa_next_free_sgpr 82
		.amdhsa_accum_offset 256
		.amdhsa_reserve_vcc 1
		.amdhsa_float_round_mode_32 0
		.amdhsa_float_round_mode_16_64 0
		.amdhsa_float_denorm_mode_32 3
		.amdhsa_float_denorm_mode_16_64 3
		.amdhsa_dx10_clamp 1
		.amdhsa_ieee_mode 1
		.amdhsa_fp16_overflow 0
		.amdhsa_tg_split 0
		.amdhsa_exception_fp_ieee_invalid_op 0
		.amdhsa_exception_fp_denorm_src 0
		.amdhsa_exception_fp_ieee_div_zero 0
		.amdhsa_exception_fp_ieee_overflow 0
		.amdhsa_exception_fp_ieee_underflow 0
		.amdhsa_exception_fp_ieee_inexact 0
		.amdhsa_exception_int_div_zero 0
	.end_amdhsa_kernel
	.section	.text._ZN9rocsolver6v33100L18getri_kernel_smallILi48E19rocblas_complex_numIdEPKPS3_EEvT1_iilPiilS8_bb,"axG",@progbits,_ZN9rocsolver6v33100L18getri_kernel_smallILi48E19rocblas_complex_numIdEPKPS3_EEvT1_iilPiilS8_bb,comdat
.Lfunc_end111:
	.size	_ZN9rocsolver6v33100L18getri_kernel_smallILi48E19rocblas_complex_numIdEPKPS3_EEvT1_iilPiilS8_bb, .Lfunc_end111-_ZN9rocsolver6v33100L18getri_kernel_smallILi48E19rocblas_complex_numIdEPKPS3_EEvT1_iilPiilS8_bb
                                        ; -- End function
	.set _ZN9rocsolver6v33100L18getri_kernel_smallILi48E19rocblas_complex_numIdEPKPS3_EEvT1_iilPiilS8_bb.num_vgpr, 256
	.set _ZN9rocsolver6v33100L18getri_kernel_smallILi48E19rocblas_complex_numIdEPKPS3_EEvT1_iilPiilS8_bb.num_agpr, 120
	.set _ZN9rocsolver6v33100L18getri_kernel_smallILi48E19rocblas_complex_numIdEPKPS3_EEvT1_iilPiilS8_bb.numbered_sgpr, 82
	.set _ZN9rocsolver6v33100L18getri_kernel_smallILi48E19rocblas_complex_numIdEPKPS3_EEvT1_iilPiilS8_bb.num_named_barrier, 0
	.set _ZN9rocsolver6v33100L18getri_kernel_smallILi48E19rocblas_complex_numIdEPKPS3_EEvT1_iilPiilS8_bb.private_seg_size, 800
	.set _ZN9rocsolver6v33100L18getri_kernel_smallILi48E19rocblas_complex_numIdEPKPS3_EEvT1_iilPiilS8_bb.uses_vcc, 1
	.set _ZN9rocsolver6v33100L18getri_kernel_smallILi48E19rocblas_complex_numIdEPKPS3_EEvT1_iilPiilS8_bb.uses_flat_scratch, 0
	.set _ZN9rocsolver6v33100L18getri_kernel_smallILi48E19rocblas_complex_numIdEPKPS3_EEvT1_iilPiilS8_bb.has_dyn_sized_stack, 0
	.set _ZN9rocsolver6v33100L18getri_kernel_smallILi48E19rocblas_complex_numIdEPKPS3_EEvT1_iilPiilS8_bb.has_recursion, 0
	.set _ZN9rocsolver6v33100L18getri_kernel_smallILi48E19rocblas_complex_numIdEPKPS3_EEvT1_iilPiilS8_bb.has_indirect_call, 0
	.section	.AMDGPU.csdata,"",@progbits
; Kernel info:
; codeLenInByte = 98136
; TotalNumSgprs: 88
; NumVgprs: 256
; NumAgprs: 120
; TotalNumVgprs: 376
; ScratchSize: 800
; MemoryBound: 0
; FloatMode: 240
; IeeeMode: 1
; LDSByteSize: 1544 bytes/workgroup (compile time only)
; SGPRBlocks: 10
; VGPRBlocks: 46
; NumSGPRsForWavesPerEU: 88
; NumVGPRsForWavesPerEU: 376
; AccumOffset: 256
; Occupancy: 1
; WaveLimiterHint : 1
; COMPUTE_PGM_RSRC2:SCRATCH_EN: 1
; COMPUTE_PGM_RSRC2:USER_SGPR: 2
; COMPUTE_PGM_RSRC2:TRAP_HANDLER: 0
; COMPUTE_PGM_RSRC2:TGID_X_EN: 1
; COMPUTE_PGM_RSRC2:TGID_Y_EN: 0
; COMPUTE_PGM_RSRC2:TGID_Z_EN: 0
; COMPUTE_PGM_RSRC2:TIDIG_COMP_CNT: 0
; COMPUTE_PGM_RSRC3_GFX90A:ACCUM_OFFSET: 63
; COMPUTE_PGM_RSRC3_GFX90A:TG_SPLIT: 0
	.section	.text._ZN9rocsolver6v33100L18getri_kernel_smallILi49E19rocblas_complex_numIdEPKPS3_EEvT1_iilPiilS8_bb,"axG",@progbits,_ZN9rocsolver6v33100L18getri_kernel_smallILi49E19rocblas_complex_numIdEPKPS3_EEvT1_iilPiilS8_bb,comdat
	.globl	_ZN9rocsolver6v33100L18getri_kernel_smallILi49E19rocblas_complex_numIdEPKPS3_EEvT1_iilPiilS8_bb ; -- Begin function _ZN9rocsolver6v33100L18getri_kernel_smallILi49E19rocblas_complex_numIdEPKPS3_EEvT1_iilPiilS8_bb
	.p2align	8
	.type	_ZN9rocsolver6v33100L18getri_kernel_smallILi49E19rocblas_complex_numIdEPKPS3_EEvT1_iilPiilS8_bb,@function
_ZN9rocsolver6v33100L18getri_kernel_smallILi49E19rocblas_complex_numIdEPKPS3_EEvT1_iilPiilS8_bb: ; @_ZN9rocsolver6v33100L18getri_kernel_smallILi49E19rocblas_complex_numIdEPKPS3_EEvT1_iilPiilS8_bb
; %bb.0:
	v_mov_b32_e32 v240, v0
	v_cmp_gt_u32_e32 vcc, 49, v240
	s_and_saveexec_b64 s[4:5], vcc
	s_cbranch_execz .LBB112_210
; %bb.1:
	s_load_dword s14, s[0:1], 0x38
	s_load_dwordx2 s[8:9], s[0:1], 0x0
	s_load_dwordx4 s[4:7], s[0:1], 0x28
	s_waitcnt lgkmcnt(0)
	s_bitcmp1_b32 s14, 8
	s_cselect_b64 s[10:11], -1, 0
	s_ashr_i32 s3, s2, 31
	s_lshl_b64 s[12:13], s[2:3], 3
	s_add_u32 s8, s8, s12
	s_addc_u32 s9, s9, s13
	s_load_dwordx2 s[12:13], s[8:9], 0x0
	s_bfe_u32 s8, s14, 0x10008
	s_cmp_eq_u32 s8, 0
                                        ; implicit-def: $sgpr8_sgpr9
	s_cbranch_scc1 .LBB112_3
; %bb.2:
	s_load_dword s8, s[0:1], 0x20
	s_load_dwordx2 s[14:15], s[0:1], 0x18
	s_mul_i32 s9, s4, s3
	s_mul_hi_u32 s16, s4, s2
	s_add_i32 s16, s16, s9
	s_mul_i32 s5, s5, s2
	s_add_i32 s5, s16, s5
	s_mul_i32 s4, s4, s2
	s_waitcnt lgkmcnt(0)
	s_ashr_i32 s9, s8, 31
	s_lshl_b64 s[4:5], s[4:5], 2
	s_add_u32 s14, s14, s4
	s_addc_u32 s15, s15, s5
	s_lshl_b64 s[4:5], s[8:9], 2
	s_add_u32 s8, s14, s4
	s_addc_u32 s9, s15, s5
.LBB112_3:
	s_load_dwordx2 s[4:5], s[0:1], 0x8
	s_load_dword s14, s[0:1], 0x38
	v_lshlrev_b32_e32 v14, 4, v240
	v_mov_b32_e32 v15, 0
	s_movk_i32 s15, 0x80
	s_waitcnt lgkmcnt(0)
	s_ashr_i32 s1, s4, 31
	s_mov_b32 s0, s4
	s_lshl_b64 s[0:1], s[0:1], 4
	s_add_u32 s0, s12, s0
	s_addc_u32 s1, s13, s1
	v_lshl_add_u64 v[0:1], s[0:1], 0, v[14:15]
	flat_load_dwordx4 v[2:5], v[0:1]
	s_mov_b32 s12, s5
	s_ashr_i32 s13, s5, 31
	v_accvgpr_write_b32 a0, v0
	v_accvgpr_write_b32 a1, v1
	v_lshl_add_u64 v[0:1], s[12:13], 4, v[0:1]
	s_add_i32 s4, s5, s5
	v_add_u32_e32 v6, s4, v240
	v_accvgpr_write_b32 a3, v1
	v_ashrrev_i32_e32 v7, 31, v6
	v_accvgpr_write_b32 a2, v0
	s_movk_i32 s4, 0x50
	s_movk_i32 s12, 0x60
	;; [unrolled: 1-line block ×40, first 2 shown]
	s_add_i32 s60, s4, 16
	s_add_i32 s59, s12, 16
	;; [unrolled: 1-line block ×29, first 2 shown]
	s_waitcnt vmcnt(0) lgkmcnt(0)
	scratch_store_dwordx4 off, v[2:5], off offset:16
	flat_load_dwordx4 v[2:5], v[0:1]
	v_lshl_add_u64 v[0:1], v[6:7], 4, s[0:1]
	v_add_u32_e32 v6, s5, v6
	v_accvgpr_write_b32 a5, v1
	v_ashrrev_i32_e32 v7, 31, v6
	v_accvgpr_write_b32 a4, v0
	s_add_i32 s27, s71, 16
	s_add_i32 s26, s72, 16
	;; [unrolled: 1-line block ×12, first 2 shown]
	s_mov_b32 s64, 32
	s_mov_b32 s63, 48
	;; [unrolled: 1-line block ×3, first 2 shown]
	s_movk_i32 s61, 0x50
	s_waitcnt vmcnt(0) lgkmcnt(0)
	scratch_store_dwordx4 off, v[2:5], off offset:32
	flat_load_dwordx4 v[2:5], v[0:1]
	v_lshl_add_u64 v[0:1], v[6:7], 4, s[0:1]
	v_add_u32_e32 v6, s5, v6
	v_accvgpr_write_b32 a7, v1
	v_ashrrev_i32_e32 v7, 31, v6
	v_accvgpr_write_b32 a6, v0
	s_waitcnt vmcnt(0) lgkmcnt(0)
	scratch_store_dwordx4 off, v[2:5], off offset:48
	flat_load_dwordx4 v[2:5], v[0:1]
	v_lshl_add_u64 v[0:1], v[6:7], 4, s[0:1]
	v_add_u32_e32 v6, s5, v6
	v_accvgpr_write_b32 a9, v1
	v_ashrrev_i32_e32 v7, 31, v6
	v_accvgpr_write_b32 a8, v0
	;; [unrolled: 8-line block ×45, first 2 shown]
	s_movk_i32 s5, 0x150
	s_add_i32 s44, s5, 16
	s_mov_b64 s[4:5], -1
	s_waitcnt vmcnt(0) lgkmcnt(0)
	scratch_store_dwordx4 off, v[2:5], off offset:752
	flat_load_dwordx4 v[2:5], v[0:1]
	v_lshl_add_u64 v[0:1], v[6:7], 4, s[0:1]
	s_movk_i32 s0, 0x130
	s_movk_i32 s1, 0x140
	v_accvgpr_write_b32 a97, v1
	s_add_i32 s46, s0, 16
	s_add_i32 s45, s1, 16
	v_accvgpr_write_b32 a96, v0
	s_bitcmp0_b32 s14, 0
	s_waitcnt vmcnt(0) lgkmcnt(0)
	scratch_store_dwordx4 off, v[2:5], off offset:768
	flat_load_dwordx4 v[2:5], v[0:1]
	s_waitcnt vmcnt(0) lgkmcnt(0)
	scratch_store_dwordx4 off, v[2:5], off offset:784
	s_cbranch_scc1 .LBB112_208
; %bb.4:
	v_cmp_eq_u32_e64 s[0:1], 0, v240
	s_and_saveexec_b64 s[4:5], s[0:1]
; %bb.5:
	v_mov_b32_e32 v0, 0
	ds_write_b32 v0, v0 offset:1568
; %bb.6:
	s_or_b64 exec, exec, s[4:5]
	s_waitcnt lgkmcnt(0)
	; wave barrier
	scratch_load_dwordx4 v[2:5], v14, off offset:16
	s_waitcnt vmcnt(0)
	v_cmp_eq_f64_e32 vcc, 0, v[2:3]
	v_cmp_eq_f64_e64 s[4:5], 0, v[4:5]
	s_and_b64 s[4:5], vcc, s[4:5]
	s_and_saveexec_b64 s[12:13], s[4:5]
	s_cbranch_execz .LBB112_10
; %bb.7:
	v_mov_b32_e32 v1, 0
	ds_read_b32 v0, v1 offset:1568
	v_add_u32_e32 v2, 1, v240
	s_waitcnt lgkmcnt(0)
	v_readfirstlane_b32 s4, v0
	s_cmp_eq_u32 s4, 0
	s_cselect_b64 s[14:15], -1, 0
	v_cmp_gt_i32_e32 vcc, s4, v2
	s_or_b64 s[14:15], s[14:15], vcc
	s_and_b64 exec, exec, s[14:15]
	s_cbranch_execz .LBB112_10
; %bb.8:
	s_mov_b64 s[14:15], 0
	v_mov_b32_e32 v3, s4
.LBB112_9:                              ; =>This Inner Loop Header: Depth=1
	ds_cmpst_rtn_b32 v3, v1, v3, v2 offset:1568
	s_waitcnt lgkmcnt(0)
	v_cmp_ne_u32_e32 vcc, 0, v3
	v_cmp_le_i32_e64 s[4:5], v3, v2
	s_and_b64 s[4:5], vcc, s[4:5]
	s_and_b64 s[4:5], exec, s[4:5]
	s_or_b64 s[14:15], s[4:5], s[14:15]
	s_andn2_b64 exec, exec, s[14:15]
	s_cbranch_execnz .LBB112_9
.LBB112_10:
	s_or_b64 exec, exec, s[12:13]
	v_mov_b32_e32 v2, 0
	; wave barrier
	ds_read_b32 v1, v2 offset:1568
	s_and_saveexec_b64 s[4:5], s[0:1]
	s_cbranch_execz .LBB112_12
; %bb.11:
	s_lshl_b64 s[12:13], s[2:3], 2
	s_add_u32 s12, s6, s12
	s_addc_u32 s13, s7, s13
	s_waitcnt lgkmcnt(0)
	global_store_dword v2, v1, s[12:13]
.LBB112_12:
	s_or_b64 exec, exec, s[4:5]
	s_waitcnt lgkmcnt(0)
	v_cmp_ne_u32_e32 vcc, 0, v1
	s_mov_b64 s[4:5], 0
	s_cbranch_vccnz .LBB112_208
; %bb.13:
	v_add_u32_e32 v15, 16, v14
	scratch_load_dwordx4 v[2:5], v15, off
                                        ; implicit-def: $vgpr6_vgpr7
                                        ; implicit-def: $vgpr10_vgpr11
	s_waitcnt vmcnt(0)
	v_cmp_ngt_f64_e64 s[4:5], |v[2:3]|, |v[4:5]|
	s_and_saveexec_b64 s[12:13], s[4:5]
	s_xor_b64 s[4:5], exec, s[12:13]
	s_cbranch_execz .LBB112_15
; %bb.14:
	v_div_scale_f64 v[6:7], s[12:13], v[4:5], v[4:5], v[2:3]
	v_rcp_f64_e32 v[8:9], v[6:7]
	v_div_scale_f64 v[10:11], vcc, v[2:3], v[4:5], v[2:3]
	v_fma_f64 v[12:13], -v[6:7], v[8:9], 1.0
	v_fmac_f64_e32 v[8:9], v[8:9], v[12:13]
	v_fma_f64 v[12:13], -v[6:7], v[8:9], 1.0
	v_fmac_f64_e32 v[8:9], v[8:9], v[12:13]
	v_mul_f64 v[12:13], v[10:11], v[8:9]
	v_fma_f64 v[6:7], -v[6:7], v[12:13], v[10:11]
	v_div_fmas_f64 v[6:7], v[6:7], v[8:9], v[12:13]
	v_div_fixup_f64 v[6:7], v[6:7], v[4:5], v[2:3]
	v_fmac_f64_e32 v[4:5], v[2:3], v[6:7]
	v_div_scale_f64 v[2:3], s[12:13], v[4:5], v[4:5], 1.0
	v_rcp_f64_e32 v[8:9], v[2:3]
	s_nop 0
	v_fma_f64 v[10:11], -v[2:3], v[8:9], 1.0
	v_fmac_f64_e32 v[8:9], v[8:9], v[10:11]
	v_fma_f64 v[10:11], -v[2:3], v[8:9], 1.0
	v_fmac_f64_e32 v[8:9], v[8:9], v[10:11]
	v_div_scale_f64 v[10:11], vcc, 1.0, v[4:5], 1.0
	v_mul_f64 v[12:13], v[10:11], v[8:9]
	v_fma_f64 v[2:3], -v[2:3], v[12:13], v[10:11]
	s_nop 1
	v_div_fmas_f64 v[2:3], v[2:3], v[8:9], v[12:13]
	v_div_fixup_f64 v[8:9], v[2:3], v[4:5], 1.0
	v_mul_f64 v[6:7], v[6:7], v[8:9]
	v_xor_b32_e32 v9, 0x80000000, v9
	v_xor_b32_e32 v11, 0x80000000, v7
	v_mov_b32_e32 v10, v6
                                        ; implicit-def: $vgpr2_vgpr3
.LBB112_15:
	s_andn2_saveexec_b64 s[4:5], s[4:5]
	s_cbranch_execz .LBB112_17
; %bb.16:
	v_div_scale_f64 v[6:7], s[12:13], v[2:3], v[2:3], v[4:5]
	v_rcp_f64_e32 v[8:9], v[6:7]
	v_div_scale_f64 v[10:11], vcc, v[4:5], v[2:3], v[4:5]
	v_fma_f64 v[12:13], -v[6:7], v[8:9], 1.0
	v_fmac_f64_e32 v[8:9], v[8:9], v[12:13]
	v_fma_f64 v[12:13], -v[6:7], v[8:9], 1.0
	v_fmac_f64_e32 v[8:9], v[8:9], v[12:13]
	v_mul_f64 v[12:13], v[10:11], v[8:9]
	v_fma_f64 v[6:7], -v[6:7], v[12:13], v[10:11]
	v_div_fmas_f64 v[6:7], v[6:7], v[8:9], v[12:13]
	v_div_fixup_f64 v[8:9], v[6:7], v[2:3], v[4:5]
	v_fmac_f64_e32 v[2:3], v[4:5], v[8:9]
	v_div_scale_f64 v[4:5], s[12:13], v[2:3], v[2:3], 1.0
	v_rcp_f64_e32 v[6:7], v[4:5]
	s_nop 0
	v_fma_f64 v[10:11], -v[4:5], v[6:7], 1.0
	v_fmac_f64_e32 v[6:7], v[6:7], v[10:11]
	v_fma_f64 v[10:11], -v[4:5], v[6:7], 1.0
	v_fmac_f64_e32 v[6:7], v[6:7], v[10:11]
	v_div_scale_f64 v[10:11], vcc, 1.0, v[2:3], 1.0
	v_mul_f64 v[12:13], v[10:11], v[6:7]
	v_fma_f64 v[4:5], -v[4:5], v[12:13], v[10:11]
	s_nop 1
	v_div_fmas_f64 v[4:5], v[4:5], v[6:7], v[12:13]
	v_div_fixup_f64 v[6:7], v[4:5], v[2:3], 1.0
	v_xor_b32_e32 v11, 0x80000000, v7
	v_mov_b32_e32 v10, v6
	v_mul_f64 v[8:9], v[8:9], -v[6:7]
.LBB112_17:
	s_or_b64 exec, exec, s[4:5]
	scratch_store_dwordx4 v15, v[6:9], off
	scratch_load_dwordx4 v[2:5], off, s64
	v_xor_b32_e32 v13, 0x80000000, v9
	v_mov_b32_e32 v12, v8
	v_add_u32_e32 v1, 0x310, v14
	ds_write_b128 v14, v[10:13]
	s_waitcnt vmcnt(0)
	ds_write_b128 v14, v[2:5] offset:784
	s_waitcnt lgkmcnt(0)
	; wave barrier
	s_and_saveexec_b64 s[4:5], s[0:1]
	s_cbranch_execz .LBB112_19
; %bb.18:
	scratch_load_dwordx4 v[2:5], v15, off
	ds_read_b128 v[6:9], v1
	v_mov_b32_e32 v0, 0
	ds_read_b128 v[10:13], v0 offset:16
	s_waitcnt vmcnt(0) lgkmcnt(1)
	v_mul_f64 v[16:17], v[8:9], v[4:5]
	v_mul_f64 v[4:5], v[6:7], v[4:5]
	v_fma_f64 v[6:7], v[6:7], v[2:3], -v[16:17]
	v_fmac_f64_e32 v[4:5], v[8:9], v[2:3]
	v_add_f64 v[2:3], v[6:7], 0
	v_add_f64 v[6:7], v[4:5], 0
	s_waitcnt lgkmcnt(0)
	v_mul_f64 v[8:9], v[6:7], v[12:13]
	v_mul_f64 v[4:5], v[2:3], v[12:13]
	v_fma_f64 v[2:3], v[2:3], v[10:11], -v[8:9]
	v_fmac_f64_e32 v[4:5], v[6:7], v[10:11]
	scratch_store_dwordx4 off, v[2:5], off offset:32
.LBB112_19:
	s_or_b64 exec, exec, s[4:5]
	; wave barrier
	scratch_load_dwordx4 v[2:5], off, s63
	v_cmp_gt_u32_e32 vcc, 2, v240
	s_waitcnt vmcnt(0)
	ds_write_b128 v1, v[2:5]
	s_waitcnt lgkmcnt(0)
	; wave barrier
	s_and_saveexec_b64 s[4:5], vcc
	s_cbranch_execz .LBB112_23
; %bb.20:
	scratch_load_dwordx4 v[2:5], v15, off
	ds_read_b128 v[6:9], v1
	s_waitcnt vmcnt(0) lgkmcnt(0)
	v_mul_f64 v[10:11], v[8:9], v[4:5]
	v_mul_f64 v[12:13], v[6:7], v[4:5]
	v_fma_f64 v[4:5], v[6:7], v[2:3], -v[10:11]
	v_fmac_f64_e32 v[12:13], v[8:9], v[2:3]
	v_add_f64 v[4:5], v[4:5], 0
	v_add_f64 v[2:3], v[12:13], 0
	s_and_saveexec_b64 s[12:13], s[0:1]
	s_cbranch_execz .LBB112_22
; %bb.21:
	scratch_load_dwordx4 v[6:9], off, off offset:32
	v_mov_b32_e32 v0, 0
	ds_read_b128 v[10:13], v0 offset:800
	s_waitcnt vmcnt(0) lgkmcnt(0)
	v_mul_f64 v[16:17], v[10:11], v[8:9]
	v_mul_f64 v[8:9], v[12:13], v[8:9]
	v_fmac_f64_e32 v[16:17], v[12:13], v[6:7]
	v_fma_f64 v[6:7], v[10:11], v[6:7], -v[8:9]
	v_add_f64 v[2:3], v[2:3], v[16:17]
	v_add_f64 v[4:5], v[4:5], v[6:7]
.LBB112_22:
	s_or_b64 exec, exec, s[12:13]
	v_mov_b32_e32 v0, 0
	ds_read_b128 v[6:9], v0 offset:32
	s_waitcnt lgkmcnt(0)
	v_mul_f64 v[12:13], v[2:3], v[8:9]
	v_mul_f64 v[10:11], v[4:5], v[8:9]
	v_fma_f64 v[8:9], v[4:5], v[6:7], -v[12:13]
	v_fmac_f64_e32 v[10:11], v[2:3], v[6:7]
	scratch_store_dwordx4 off, v[8:11], off offset:48
.LBB112_23:
	s_or_b64 exec, exec, s[4:5]
	; wave barrier
	scratch_load_dwordx4 v[2:5], off, s62
	v_cmp_gt_u32_e32 vcc, 3, v240
	v_add_u32_e32 v6, -1, v240
	s_waitcnt vmcnt(0)
	ds_write_b128 v1, v[2:5]
	s_waitcnt lgkmcnt(0)
	; wave barrier
	s_and_saveexec_b64 s[0:1], vcc
	s_cbranch_execz .LBB112_27
; %bb.24:
	v_add_u32_e32 v7, -1, v240
	v_add_u32_e32 v8, 0x310, v14
	v_add_u32_e32 v9, 16, v14
	v_mov_b64_e32 v[2:3], 0
	s_mov_b64 s[4:5], 0
	v_mov_b64_e32 v[4:5], 0
.LBB112_25:                             ; =>This Inner Loop Header: Depth=1
	scratch_load_dwordx4 v[10:13], v9, off
	ds_read_b128 v[16:19], v8
	v_add_u32_e32 v7, 1, v7
	v_cmp_lt_u32_e32 vcc, 1, v7
	v_add_u32_e32 v8, 16, v8
	v_add_u32_e32 v9, 16, v9
	s_or_b64 s[4:5], vcc, s[4:5]
	s_waitcnt vmcnt(0) lgkmcnt(0)
	v_mul_f64 v[20:21], v[18:19], v[12:13]
	v_mul_f64 v[12:13], v[16:17], v[12:13]
	v_fma_f64 v[16:17], v[16:17], v[10:11], -v[20:21]
	v_fmac_f64_e32 v[12:13], v[18:19], v[10:11]
	v_add_f64 v[4:5], v[4:5], v[16:17]
	v_add_f64 v[2:3], v[2:3], v[12:13]
	s_andn2_b64 exec, exec, s[4:5]
	s_cbranch_execnz .LBB112_25
; %bb.26:
	s_or_b64 exec, exec, s[4:5]
	v_mov_b32_e32 v0, 0
	ds_read_b128 v[8:11], v0 offset:48
	s_waitcnt lgkmcnt(0)
	v_mul_f64 v[16:17], v[2:3], v[10:11]
	v_mul_f64 v[12:13], v[4:5], v[10:11]
	v_fma_f64 v[10:11], v[4:5], v[8:9], -v[16:17]
	v_fmac_f64_e32 v[12:13], v[2:3], v[8:9]
	scratch_store_dwordx4 off, v[10:13], off offset:64
.LBB112_27:
	s_or_b64 exec, exec, s[0:1]
	; wave barrier
	scratch_load_dwordx4 v[2:5], off, s61
	v_cmp_gt_u32_e32 vcc, 4, v240
	s_waitcnt vmcnt(0)
	ds_write_b128 v1, v[2:5]
	s_waitcnt lgkmcnt(0)
	; wave barrier
	s_and_saveexec_b64 s[0:1], vcc
	s_cbranch_execz .LBB112_31
; %bb.28:
	v_add_u32_e32 v7, -1, v240
	v_add_u32_e32 v8, 0x310, v14
	v_add_u32_e32 v9, 16, v14
	v_mov_b64_e32 v[2:3], 0
	s_mov_b64 s[4:5], 0
	v_mov_b64_e32 v[4:5], 0
.LBB112_29:                             ; =>This Inner Loop Header: Depth=1
	scratch_load_dwordx4 v[10:13], v9, off
	ds_read_b128 v[16:19], v8
	v_add_u32_e32 v7, 1, v7
	v_cmp_lt_u32_e32 vcc, 2, v7
	v_add_u32_e32 v8, 16, v8
	v_add_u32_e32 v9, 16, v9
	s_or_b64 s[4:5], vcc, s[4:5]
	s_waitcnt vmcnt(0) lgkmcnt(0)
	v_mul_f64 v[20:21], v[18:19], v[12:13]
	v_mul_f64 v[12:13], v[16:17], v[12:13]
	v_fma_f64 v[16:17], v[16:17], v[10:11], -v[20:21]
	v_fmac_f64_e32 v[12:13], v[18:19], v[10:11]
	v_add_f64 v[4:5], v[4:5], v[16:17]
	v_add_f64 v[2:3], v[2:3], v[12:13]
	s_andn2_b64 exec, exec, s[4:5]
	s_cbranch_execnz .LBB112_29
; %bb.30:
	s_or_b64 exec, exec, s[4:5]
	v_mov_b32_e32 v0, 0
	ds_read_b128 v[8:11], v0 offset:64
	s_waitcnt lgkmcnt(0)
	v_mul_f64 v[16:17], v[2:3], v[10:11]
	v_mul_f64 v[12:13], v[4:5], v[10:11]
	v_fma_f64 v[10:11], v[4:5], v[8:9], -v[16:17]
	v_fmac_f64_e32 v[12:13], v[2:3], v[8:9]
	scratch_store_dwordx4 off, v[10:13], off offset:80
.LBB112_31:
	s_or_b64 exec, exec, s[0:1]
	; wave barrier
	scratch_load_dwordx4 v[2:5], off, s60
	v_cmp_gt_u32_e32 vcc, 5, v240
	;; [unrolled: 45-line block ×19, first 2 shown]
	s_waitcnt vmcnt(0)
	ds_write_b128 v1, v[2:5]
	s_waitcnt lgkmcnt(0)
	; wave barrier
	s_and_saveexec_b64 s[0:1], vcc
	s_cbranch_execz .LBB112_103
; %bb.100:
	v_add_u32_e32 v7, -1, v240
	v_add_u32_e32 v8, 0x310, v14
	v_add_u32_e32 v9, 16, v14
	v_mov_b64_e32 v[2:3], 0
	s_mov_b64 s[4:5], 0
	v_mov_b64_e32 v[4:5], 0
.LBB112_101:                            ; =>This Inner Loop Header: Depth=1
	scratch_load_dwordx4 v[10:13], v9, off
	ds_read_b128 v[16:19], v8
	v_add_u32_e32 v7, 1, v7
	v_cmp_lt_u32_e32 vcc, 20, v7
	v_add_u32_e32 v8, 16, v8
	v_add_u32_e32 v9, 16, v9
	s_or_b64 s[4:5], vcc, s[4:5]
	s_waitcnt vmcnt(0) lgkmcnt(0)
	v_mul_f64 v[20:21], v[18:19], v[12:13]
	v_mul_f64 v[12:13], v[16:17], v[12:13]
	v_fma_f64 v[16:17], v[16:17], v[10:11], -v[20:21]
	v_fmac_f64_e32 v[12:13], v[18:19], v[10:11]
	v_add_f64 v[4:5], v[4:5], v[16:17]
	v_add_f64 v[2:3], v[2:3], v[12:13]
	s_andn2_b64 exec, exec, s[4:5]
	s_cbranch_execnz .LBB112_101
; %bb.102:
	s_or_b64 exec, exec, s[4:5]
	v_mov_b32_e32 v0, 0
	ds_read_b128 v[8:11], v0 offset:352
	s_waitcnt lgkmcnt(0)
	v_mul_f64 v[16:17], v[2:3], v[10:11]
	v_mul_f64 v[12:13], v[4:5], v[10:11]
	v_fma_f64 v[10:11], v[4:5], v[8:9], -v[16:17]
	v_fmac_f64_e32 v[12:13], v[2:3], v[8:9]
	scratch_store_dwordx4 off, v[10:13], off offset:368
.LBB112_103:
	s_or_b64 exec, exec, s[0:1]
	; wave barrier
	scratch_load_dwordx4 v[2:5], off, s42
	v_cmp_gt_u32_e32 vcc, 23, v240
	s_waitcnt vmcnt(0)
	ds_write_b128 v1, v[2:5]
	s_waitcnt lgkmcnt(0)
	; wave barrier
	s_and_saveexec_b64 s[0:1], vcc
	s_cbranch_execz .LBB112_107
; %bb.104:
	v_add_u32_e32 v7, -1, v240
	v_add_u32_e32 v8, 0x310, v14
	v_add_u32_e32 v9, 16, v14
	v_mov_b64_e32 v[2:3], 0
	s_mov_b64 s[4:5], 0
	v_mov_b64_e32 v[4:5], 0
.LBB112_105:                            ; =>This Inner Loop Header: Depth=1
	scratch_load_dwordx4 v[10:13], v9, off
	ds_read_b128 v[16:19], v8
	v_add_u32_e32 v7, 1, v7
	v_cmp_lt_u32_e32 vcc, 21, v7
	v_add_u32_e32 v8, 16, v8
	v_add_u32_e32 v9, 16, v9
	s_or_b64 s[4:5], vcc, s[4:5]
	s_waitcnt vmcnt(0) lgkmcnt(0)
	v_mul_f64 v[20:21], v[18:19], v[12:13]
	v_mul_f64 v[12:13], v[16:17], v[12:13]
	v_fma_f64 v[16:17], v[16:17], v[10:11], -v[20:21]
	v_fmac_f64_e32 v[12:13], v[18:19], v[10:11]
	v_add_f64 v[4:5], v[4:5], v[16:17]
	v_add_f64 v[2:3], v[2:3], v[12:13]
	s_andn2_b64 exec, exec, s[4:5]
	s_cbranch_execnz .LBB112_105
; %bb.106:
	s_or_b64 exec, exec, s[4:5]
	v_mov_b32_e32 v0, 0
	ds_read_b128 v[8:11], v0 offset:368
	s_waitcnt lgkmcnt(0)
	v_mul_f64 v[16:17], v[2:3], v[10:11]
	v_mul_f64 v[12:13], v[4:5], v[10:11]
	v_fma_f64 v[10:11], v[4:5], v[8:9], -v[16:17]
	v_fmac_f64_e32 v[12:13], v[2:3], v[8:9]
	scratch_store_dwordx4 off, v[10:13], off offset:384
.LBB112_107:
	s_or_b64 exec, exec, s[0:1]
	; wave barrier
	scratch_load_dwordx4 v[2:5], off, s41
	v_cmp_gt_u32_e32 vcc, 24, v240
	;; [unrolled: 45-line block ×25, first 2 shown]
	s_waitcnt vmcnt(0)
	ds_write_b128 v1, v[2:5]
	s_waitcnt lgkmcnt(0)
	; wave barrier
	s_and_saveexec_b64 s[0:1], vcc
	s_cbranch_execz .LBB112_203
; %bb.200:
	v_add_u32_e32 v7, -1, v240
	v_add_u32_e32 v8, 0x310, v14
	v_add_u32_e32 v9, 16, v14
	v_mov_b64_e32 v[2:3], 0
	s_mov_b64 s[4:5], 0
	v_mov_b64_e32 v[4:5], 0
.LBB112_201:                            ; =>This Inner Loop Header: Depth=1
	scratch_load_dwordx4 v[10:13], v9, off
	ds_read_b128 v[16:19], v8
	v_add_u32_e32 v7, 1, v7
	v_cmp_lt_u32_e32 vcc, 45, v7
	v_add_u32_e32 v8, 16, v8
	v_add_u32_e32 v9, 16, v9
	s_or_b64 s[4:5], vcc, s[4:5]
	s_waitcnt vmcnt(0) lgkmcnt(0)
	v_mul_f64 v[20:21], v[18:19], v[12:13]
	v_mul_f64 v[12:13], v[16:17], v[12:13]
	v_fma_f64 v[16:17], v[16:17], v[10:11], -v[20:21]
	v_fmac_f64_e32 v[12:13], v[18:19], v[10:11]
	v_add_f64 v[4:5], v[4:5], v[16:17]
	v_add_f64 v[2:3], v[2:3], v[12:13]
	s_andn2_b64 exec, exec, s[4:5]
	s_cbranch_execnz .LBB112_201
; %bb.202:
	s_or_b64 exec, exec, s[4:5]
	v_mov_b32_e32 v0, 0
	ds_read_b128 v[8:11], v0 offset:752
	s_waitcnt lgkmcnt(0)
	v_mul_f64 v[16:17], v[2:3], v[10:11]
	v_mul_f64 v[12:13], v[4:5], v[10:11]
	v_fma_f64 v[10:11], v[4:5], v[8:9], -v[16:17]
	v_fmac_f64_e32 v[12:13], v[2:3], v[8:9]
	scratch_store_dwordx4 off, v[10:13], off offset:768
.LBB112_203:
	s_or_b64 exec, exec, s[0:1]
	; wave barrier
	scratch_load_dwordx4 v[2:5], off, s16
	v_cmp_ne_u32_e32 vcc, 48, v240
	s_waitcnt vmcnt(0)
	ds_write_b128 v1, v[2:5]
	s_waitcnt lgkmcnt(0)
	; wave barrier
	s_and_saveexec_b64 s[0:1], vcc
	s_cbranch_execz .LBB112_207
; %bb.204:
	v_add_u32_e32 v1, 0x310, v14
	v_add_u32_e32 v7, 16, v14
	v_mov_b64_e32 v[2:3], 0
	s_mov_b64 s[4:5], 0
	v_mov_b64_e32 v[4:5], 0
.LBB112_205:                            ; =>This Inner Loop Header: Depth=1
	scratch_load_dwordx4 v[8:11], v7, off
	ds_read_b128 v[12:15], v1
	v_add_u32_e32 v6, 1, v6
	v_cmp_lt_u32_e32 vcc, 46, v6
	v_add_u32_e32 v1, 16, v1
	v_add_u32_e32 v7, 16, v7
	s_or_b64 s[4:5], vcc, s[4:5]
	s_waitcnt vmcnt(0) lgkmcnt(0)
	v_mul_f64 v[16:17], v[14:15], v[10:11]
	v_mul_f64 v[10:11], v[12:13], v[10:11]
	v_fma_f64 v[12:13], v[12:13], v[8:9], -v[16:17]
	v_fmac_f64_e32 v[10:11], v[14:15], v[8:9]
	v_add_f64 v[4:5], v[4:5], v[12:13]
	v_add_f64 v[2:3], v[2:3], v[10:11]
	s_andn2_b64 exec, exec, s[4:5]
	s_cbranch_execnz .LBB112_205
; %bb.206:
	s_or_b64 exec, exec, s[4:5]
	v_mov_b32_e32 v0, 0
	ds_read_b128 v[6:9], v0 offset:768
	s_waitcnt lgkmcnt(0)
	v_mul_f64 v[12:13], v[2:3], v[8:9]
	v_mul_f64 v[10:11], v[4:5], v[8:9]
	v_fma_f64 v[8:9], v[4:5], v[6:7], -v[12:13]
	v_fmac_f64_e32 v[10:11], v[2:3], v[6:7]
	scratch_store_dwordx4 off, v[8:11], off offset:784
.LBB112_207:
	s_or_b64 exec, exec, s[0:1]
	s_mov_b64 s[4:5], -1
	; wave barrier
.LBB112_208:
	s_and_b64 vcc, exec, s[4:5]
	s_cbranch_vccz .LBB112_210
; %bb.209:
	s_lshl_b64 s[0:1], s[2:3], 2
	s_add_u32 s0, s6, s0
	s_addc_u32 s1, s7, s1
	v_mov_b32_e32 v0, 0
	global_load_dword v0, v0, s[0:1]
	s_waitcnt vmcnt(0)
	v_cmp_ne_u32_e32 vcc, 0, v0
	s_cbranch_vccz .LBB112_211
.LBB112_210:
	s_endpgm
.LBB112_211:
	v_mov_b32_e32 v0, 0x310
	v_lshl_add_u32 v0, v240, 4, v0
	v_accvgpr_write_b32 a99, v0
	v_cmp_eq_u32_e32 vcc, 48, v240
	s_and_saveexec_b64 s[0:1], vcc
	s_cbranch_execz .LBB112_213
; %bb.212:
	scratch_load_dwordx4 v[2:5], off, s17
	v_mov_b32_e32 v6, 0
	v_mov_b32_e32 v7, v6
	v_mov_b32_e32 v8, v6
	v_mov_b32_e32 v9, v6
	v_accvgpr_read_b32 v0, a99
	scratch_store_dwordx4 off, v[6:9], off offset:768
	s_waitcnt vmcnt(1)
	ds_write_b128 v0, v[2:5]
.LBB112_213:
	s_or_b64 exec, exec, s[0:1]
	s_waitcnt lgkmcnt(0)
	; wave barrier
	scratch_load_dwordx4 v[4:7], off, off offset:784
	scratch_load_dwordx4 v[8:11], off, off offset:768
	v_mov_b32_e32 v2, 0
	ds_read_b128 v[12:15], v2 offset:1552
	v_cmp_lt_u32_e32 vcc, 46, v240
	s_waitcnt vmcnt(1) lgkmcnt(0)
	v_mul_f64 v[16:17], v[12:13], v[6:7]
	v_mul_f64 v[6:7], v[14:15], v[6:7]
	v_fmac_f64_e32 v[16:17], v[14:15], v[4:5]
	v_fma_f64 v[4:5], v[12:13], v[4:5], -v[6:7]
	v_add_f64 v[6:7], v[16:17], 0
	v_add_f64 v[4:5], v[4:5], 0
	s_waitcnt vmcnt(0)
	v_add_f64 v[4:5], v[8:9], -v[4:5]
	v_add_f64 v[6:7], v[10:11], -v[6:7]
	scratch_store_dwordx4 off, v[4:7], off offset:768
	s_and_saveexec_b64 s[0:1], vcc
	s_cbranch_execz .LBB112_215
; %bb.214:
	scratch_load_dwordx4 v[6:9], off, s18
	v_mov_b32_e32 v3, v2
	v_mov_b32_e32 v4, v2
	;; [unrolled: 1-line block ×3, first 2 shown]
	v_accvgpr_read_b32 v0, a99
	scratch_store_dwordx4 off, v[2:5], off offset:752
	s_waitcnt vmcnt(1)
	ds_write_b128 v0, v[6:9]
.LBB112_215:
	s_or_b64 exec, exec, s[0:1]
	s_waitcnt lgkmcnt(0)
	; wave barrier
	scratch_load_dwordx4 v[4:7], off, off offset:768
	scratch_load_dwordx4 v[8:11], off, off offset:784
	;; [unrolled: 1-line block ×3, first 2 shown]
	ds_read_b128 v[16:19], v2 offset:1536
	ds_read_b128 v[20:23], v2 offset:1552
	v_cmp_lt_u32_e32 vcc, 45, v240
	s_waitcnt vmcnt(2) lgkmcnt(1)
	v_mul_f64 v[2:3], v[16:17], v[6:7]
	v_mul_f64 v[6:7], v[18:19], v[6:7]
	s_waitcnt vmcnt(1) lgkmcnt(0)
	v_mul_f64 v[24:25], v[20:21], v[10:11]
	v_mul_f64 v[10:11], v[22:23], v[10:11]
	v_fmac_f64_e32 v[2:3], v[18:19], v[4:5]
	v_fma_f64 v[4:5], v[16:17], v[4:5], -v[6:7]
	v_fmac_f64_e32 v[24:25], v[22:23], v[8:9]
	v_fma_f64 v[6:7], v[20:21], v[8:9], -v[10:11]
	v_add_f64 v[2:3], v[2:3], 0
	v_add_f64 v[4:5], v[4:5], 0
	;; [unrolled: 1-line block ×4, first 2 shown]
	s_waitcnt vmcnt(0)
	v_add_f64 v[2:3], v[12:13], -v[2:3]
	v_add_f64 v[4:5], v[14:15], -v[8:9]
	scratch_store_dwordx4 off, v[2:5], off offset:752
	s_and_saveexec_b64 s[0:1], vcc
	s_cbranch_execz .LBB112_217
; %bb.216:
	scratch_load_dwordx4 v[2:5], off, s19
	v_mov_b32_e32 v6, 0
	v_mov_b32_e32 v7, v6
	;; [unrolled: 1-line block ×4, first 2 shown]
	v_accvgpr_read_b32 v0, a99
	scratch_store_dwordx4 off, v[6:9], off offset:736
	s_waitcnt vmcnt(1)
	ds_write_b128 v0, v[2:5]
.LBB112_217:
	s_or_b64 exec, exec, s[0:1]
	s_waitcnt lgkmcnt(0)
	; wave barrier
	scratch_load_dwordx4 v[4:7], off, off offset:752
	scratch_load_dwordx4 v[8:11], off, off offset:768
	;; [unrolled: 1-line block ×4, first 2 shown]
	v_mov_b32_e32 v2, 0
	ds_read_b128 v[20:23], v2 offset:1520
	ds_read_b128 v[24:27], v2 offset:1536
	;; [unrolled: 1-line block ×3, first 2 shown]
	v_cmp_lt_u32_e32 vcc, 44, v240
	s_waitcnt vmcnt(3) lgkmcnt(2)
	v_mul_f64 v[32:33], v[20:21], v[6:7]
	v_mul_f64 v[6:7], v[22:23], v[6:7]
	s_waitcnt vmcnt(2) lgkmcnt(1)
	v_mul_f64 v[34:35], v[24:25], v[10:11]
	v_mul_f64 v[10:11], v[26:27], v[10:11]
	v_fmac_f64_e32 v[32:33], v[22:23], v[4:5]
	v_fma_f64 v[4:5], v[20:21], v[4:5], -v[6:7]
	s_waitcnt vmcnt(1) lgkmcnt(0)
	v_mul_f64 v[36:37], v[28:29], v[14:15]
	v_mul_f64 v[14:15], v[30:31], v[14:15]
	v_fmac_f64_e32 v[34:35], v[26:27], v[8:9]
	v_fma_f64 v[6:7], v[24:25], v[8:9], -v[10:11]
	v_add_f64 v[10:11], v[32:33], 0
	v_add_f64 v[4:5], v[4:5], 0
	v_fmac_f64_e32 v[36:37], v[30:31], v[12:13]
	v_fma_f64 v[8:9], v[28:29], v[12:13], -v[14:15]
	v_add_f64 v[10:11], v[10:11], v[34:35]
	v_add_f64 v[4:5], v[4:5], v[6:7]
	v_add_f64 v[6:7], v[10:11], v[36:37]
	v_add_f64 v[4:5], v[4:5], v[8:9]
	s_waitcnt vmcnt(0)
	v_add_f64 v[4:5], v[16:17], -v[4:5]
	v_add_f64 v[6:7], v[18:19], -v[6:7]
	scratch_store_dwordx4 off, v[4:7], off offset:736
	s_and_saveexec_b64 s[0:1], vcc
	s_cbranch_execz .LBB112_219
; %bb.218:
	scratch_load_dwordx4 v[6:9], off, s20
	v_mov_b32_e32 v3, v2
	v_mov_b32_e32 v4, v2
	;; [unrolled: 1-line block ×3, first 2 shown]
	v_accvgpr_read_b32 v0, a99
	scratch_store_dwordx4 off, v[2:5], off offset:720
	s_waitcnt vmcnt(1)
	ds_write_b128 v0, v[6:9]
.LBB112_219:
	s_or_b64 exec, exec, s[0:1]
	s_waitcnt lgkmcnt(0)
	; wave barrier
	scratch_load_dwordx4 v[4:7], off, off offset:736
	scratch_load_dwordx4 v[8:11], off, off offset:752
	;; [unrolled: 1-line block ×5, first 2 shown]
	ds_read_b128 v[24:27], v2 offset:1504
	ds_read_b128 v[28:31], v2 offset:1520
	;; [unrolled: 1-line block ×4, first 2 shown]
	v_cmp_lt_u32_e32 vcc, 43, v240
	s_waitcnt vmcnt(4) lgkmcnt(3)
	v_mul_f64 v[2:3], v[24:25], v[6:7]
	v_mul_f64 v[6:7], v[26:27], v[6:7]
	s_waitcnt vmcnt(3) lgkmcnt(2)
	v_mul_f64 v[40:41], v[28:29], v[10:11]
	v_mul_f64 v[10:11], v[30:31], v[10:11]
	v_fmac_f64_e32 v[2:3], v[26:27], v[4:5]
	v_fma_f64 v[4:5], v[24:25], v[4:5], -v[6:7]
	s_waitcnt vmcnt(2) lgkmcnt(1)
	v_mul_f64 v[42:43], v[32:33], v[14:15]
	v_mul_f64 v[14:15], v[34:35], v[14:15]
	v_fmac_f64_e32 v[40:41], v[30:31], v[8:9]
	v_fma_f64 v[6:7], v[28:29], v[8:9], -v[10:11]
	v_add_f64 v[2:3], v[2:3], 0
	v_add_f64 v[4:5], v[4:5], 0
	s_waitcnt vmcnt(1) lgkmcnt(0)
	v_mul_f64 v[44:45], v[36:37], v[18:19]
	v_mul_f64 v[18:19], v[38:39], v[18:19]
	v_fmac_f64_e32 v[42:43], v[34:35], v[12:13]
	v_fma_f64 v[8:9], v[32:33], v[12:13], -v[14:15]
	v_add_f64 v[2:3], v[2:3], v[40:41]
	v_add_f64 v[4:5], v[4:5], v[6:7]
	v_fmac_f64_e32 v[44:45], v[38:39], v[16:17]
	v_fma_f64 v[10:11], v[36:37], v[16:17], -v[18:19]
	v_add_f64 v[2:3], v[2:3], v[42:43]
	v_add_f64 v[4:5], v[4:5], v[8:9]
	;; [unrolled: 1-line block ×4, first 2 shown]
	s_waitcnt vmcnt(0)
	v_add_f64 v[2:3], v[20:21], -v[2:3]
	v_add_f64 v[4:5], v[22:23], -v[6:7]
	scratch_store_dwordx4 off, v[2:5], off offset:720
	s_and_saveexec_b64 s[0:1], vcc
	s_cbranch_execz .LBB112_221
; %bb.220:
	scratch_load_dwordx4 v[2:5], off, s21
	v_mov_b32_e32 v6, 0
	v_mov_b32_e32 v7, v6
	;; [unrolled: 1-line block ×4, first 2 shown]
	v_accvgpr_read_b32 v0, a99
	scratch_store_dwordx4 off, v[6:9], off offset:704
	s_waitcnt vmcnt(1)
	ds_write_b128 v0, v[2:5]
.LBB112_221:
	s_or_b64 exec, exec, s[0:1]
	s_waitcnt lgkmcnt(0)
	; wave barrier
	scratch_load_dwordx4 v[4:7], off, off offset:720
	scratch_load_dwordx4 v[8:11], off, off offset:736
	;; [unrolled: 1-line block ×6, first 2 shown]
	v_mov_b32_e32 v2, 0
	ds_read_b128 v[28:31], v2 offset:1488
	ds_read_b128 v[32:35], v2 offset:1504
	;; [unrolled: 1-line block ×5, first 2 shown]
	v_cmp_lt_u32_e32 vcc, 42, v240
	s_waitcnt vmcnt(5) lgkmcnt(4)
	v_mul_f64 v[48:49], v[28:29], v[6:7]
	v_mul_f64 v[6:7], v[30:31], v[6:7]
	s_waitcnt vmcnt(4) lgkmcnt(3)
	v_mul_f64 v[50:51], v[32:33], v[10:11]
	s_waitcnt vmcnt(3) lgkmcnt(2)
	v_mul_f64 v[52:53], v[36:37], v[14:15]
	v_mul_f64 v[10:11], v[34:35], v[10:11]
	;; [unrolled: 1-line block ×3, first 2 shown]
	v_fmac_f64_e32 v[48:49], v[30:31], v[4:5]
	v_fma_f64 v[4:5], v[28:29], v[4:5], -v[6:7]
	v_fmac_f64_e32 v[50:51], v[34:35], v[8:9]
	v_fma_f64 v[6:7], v[32:33], v[8:9], -v[10:11]
	v_fma_f64 v[8:9], v[36:37], v[12:13], -v[14:15]
	v_add_f64 v[14:15], v[48:49], 0
	v_add_f64 v[4:5], v[4:5], 0
	s_waitcnt vmcnt(2) lgkmcnt(1)
	v_mul_f64 v[54:55], v[40:41], v[18:19]
	v_mul_f64 v[18:19], v[42:43], v[18:19]
	v_fmac_f64_e32 v[52:53], v[38:39], v[12:13]
	v_add_f64 v[14:15], v[14:15], v[50:51]
	v_add_f64 v[4:5], v[4:5], v[6:7]
	s_waitcnt vmcnt(1) lgkmcnt(0)
	v_mul_f64 v[56:57], v[44:45], v[22:23]
	v_mul_f64 v[22:23], v[46:47], v[22:23]
	v_fmac_f64_e32 v[54:55], v[42:43], v[16:17]
	v_fma_f64 v[10:11], v[40:41], v[16:17], -v[18:19]
	v_add_f64 v[6:7], v[14:15], v[52:53]
	v_add_f64 v[4:5], v[4:5], v[8:9]
	v_fmac_f64_e32 v[56:57], v[46:47], v[20:21]
	v_fma_f64 v[12:13], v[44:45], v[20:21], -v[22:23]
	v_add_f64 v[6:7], v[6:7], v[54:55]
	v_add_f64 v[4:5], v[4:5], v[10:11]
	;; [unrolled: 1-line block ×4, first 2 shown]
	s_waitcnt vmcnt(0)
	v_add_f64 v[4:5], v[24:25], -v[4:5]
	v_add_f64 v[6:7], v[26:27], -v[6:7]
	scratch_store_dwordx4 off, v[4:7], off offset:704
	s_and_saveexec_b64 s[0:1], vcc
	s_cbranch_execz .LBB112_223
; %bb.222:
	scratch_load_dwordx4 v[6:9], off, s22
	v_mov_b32_e32 v3, v2
	v_mov_b32_e32 v4, v2
	;; [unrolled: 1-line block ×3, first 2 shown]
	v_accvgpr_read_b32 v0, a99
	scratch_store_dwordx4 off, v[2:5], off offset:688
	s_waitcnt vmcnt(1)
	ds_write_b128 v0, v[6:9]
.LBB112_223:
	s_or_b64 exec, exec, s[0:1]
	s_waitcnt lgkmcnt(0)
	; wave barrier
	scratch_load_dwordx4 v[4:7], off, off offset:704
	scratch_load_dwordx4 v[8:11], off, off offset:720
	;; [unrolled: 1-line block ×7, first 2 shown]
	ds_read_b128 v[32:35], v2 offset:1472
	ds_read_b128 v[36:39], v2 offset:1488
	;; [unrolled: 1-line block ×6, first 2 shown]
	v_cmp_lt_u32_e32 vcc, 41, v240
	s_waitcnt vmcnt(6) lgkmcnt(5)
	v_mul_f64 v[2:3], v[32:33], v[6:7]
	v_mul_f64 v[6:7], v[34:35], v[6:7]
	s_waitcnt vmcnt(5) lgkmcnt(4)
	v_mul_f64 v[56:57], v[36:37], v[10:11]
	v_mul_f64 v[10:11], v[38:39], v[10:11]
	v_fmac_f64_e32 v[2:3], v[34:35], v[4:5]
	v_fma_f64 v[4:5], v[32:33], v[4:5], -v[6:7]
	s_waitcnt vmcnt(4) lgkmcnt(3)
	v_mul_f64 v[58:59], v[40:41], v[14:15]
	v_mul_f64 v[14:15], v[42:43], v[14:15]
	v_fmac_f64_e32 v[56:57], v[38:39], v[8:9]
	v_fma_f64 v[6:7], v[36:37], v[8:9], -v[10:11]
	v_add_f64 v[2:3], v[2:3], 0
	v_add_f64 v[4:5], v[4:5], 0
	s_waitcnt vmcnt(3) lgkmcnt(2)
	v_mul_f64 v[60:61], v[44:45], v[18:19]
	v_mul_f64 v[18:19], v[46:47], v[18:19]
	v_fmac_f64_e32 v[58:59], v[42:43], v[12:13]
	v_fma_f64 v[8:9], v[40:41], v[12:13], -v[14:15]
	v_add_f64 v[2:3], v[2:3], v[56:57]
	v_add_f64 v[4:5], v[4:5], v[6:7]
	;; [unrolled: 7-line block ×4, first 2 shown]
	v_fmac_f64_e32 v[64:65], v[54:55], v[24:25]
	v_fma_f64 v[14:15], v[52:53], v[24:25], -v[26:27]
	v_add_f64 v[2:3], v[2:3], v[62:63]
	v_add_f64 v[4:5], v[4:5], v[12:13]
	;; [unrolled: 1-line block ×4, first 2 shown]
	s_waitcnt vmcnt(0)
	v_add_f64 v[2:3], v[28:29], -v[2:3]
	v_add_f64 v[4:5], v[30:31], -v[6:7]
	scratch_store_dwordx4 off, v[2:5], off offset:688
	s_and_saveexec_b64 s[0:1], vcc
	s_cbranch_execz .LBB112_225
; %bb.224:
	scratch_load_dwordx4 v[2:5], off, s23
	v_mov_b32_e32 v6, 0
	v_mov_b32_e32 v7, v6
	;; [unrolled: 1-line block ×4, first 2 shown]
	v_accvgpr_read_b32 v0, a99
	scratch_store_dwordx4 off, v[6:9], off offset:672
	s_waitcnt vmcnt(1)
	ds_write_b128 v0, v[2:5]
.LBB112_225:
	s_or_b64 exec, exec, s[0:1]
	v_mov_b32_e32 v2, 0
	s_waitcnt lgkmcnt(0)
	; wave barrier
	ds_read_b128 v[4:7], v2 offset:1456
	ds_read_b128 v[8:11], v2 offset:1472
	;; [unrolled: 1-line block ×4, first 2 shown]
	scratch_load_dwordx4 v[20:23], off, off offset:688
	scratch_load_dwordx4 v[40:43], off, off offset:752
	v_cmp_lt_u32_e32 vcc, 40, v240
	scratch_load_dwordx4 v[48:51], off, off offset:768
	scratch_load_dwordx4 v[56:59], off, off offset:784
	s_waitcnt vmcnt(3) lgkmcnt(3)
	v_mul_f64 v[24:25], v[4:5], v[22:23]
	v_fmac_f64_e32 v[24:25], v[6:7], v[20:21]
	v_add_f64 v[28:29], v[24:25], 0
	scratch_load_dwordx4 v[24:27], off, off offset:704
	v_mul_f64 v[6:7], v[6:7], v[22:23]
	v_fma_f64 v[4:5], v[4:5], v[20:21], -v[6:7]
	v_add_f64 v[4:5], v[4:5], 0
	s_waitcnt vmcnt(0) lgkmcnt(2)
	v_mul_f64 v[30:31], v[8:9], v[26:27]
	v_fmac_f64_e32 v[30:31], v[10:11], v[24:25]
	v_add_f64 v[32:33], v[28:29], v[30:31]
	scratch_load_dwordx4 v[28:31], off, off offset:720
	v_mul_f64 v[6:7], v[10:11], v[26:27]
	v_fma_f64 v[6:7], v[8:9], v[24:25], -v[6:7]
	v_add_f64 v[4:5], v[4:5], v[6:7]
	;; [unrolled: 8-line block ×3, first 2 shown]
	s_waitcnt vmcnt(0) lgkmcnt(0)
	v_mul_f64 v[38:39], v[16:17], v[34:35]
	v_fmac_f64_e32 v[38:39], v[18:19], v[32:33]
	v_add_f64 v[44:45], v[36:37], v[38:39]
	ds_read_b128 v[36:39], v2 offset:1520
	v_mul_f64 v[6:7], v[18:19], v[34:35]
	v_fma_f64 v[6:7], v[16:17], v[32:33], -v[6:7]
	v_add_f64 v[4:5], v[4:5], v[6:7]
	s_waitcnt lgkmcnt(0)
	v_mul_f64 v[46:47], v[36:37], v[42:43]
	v_fmac_f64_e32 v[46:47], v[38:39], v[40:41]
	v_add_f64 v[52:53], v[44:45], v[46:47]
	ds_read_b128 v[44:47], v2 offset:1536
	v_mul_f64 v[6:7], v[38:39], v[42:43]
	v_fma_f64 v[6:7], v[36:37], v[40:41], -v[6:7]
	v_add_f64 v[4:5], v[4:5], v[6:7]
	s_waitcnt lgkmcnt(0)
	;; [unrolled: 8-line block ×3, first 2 shown]
	v_mul_f64 v[6:7], v[54:55], v[58:59]
	v_fma_f64 v[6:7], v[52:53], v[56:57], -v[6:7]
	v_add_f64 v[8:9], v[4:5], v[6:7]
	scratch_load_dwordx4 v[4:7], off, off offset:672
	v_mul_f64 v[62:63], v[52:53], v[58:59]
	v_fmac_f64_e32 v[62:63], v[54:55], v[56:57]
	v_add_f64 v[60:61], v[60:61], v[62:63]
	s_waitcnt vmcnt(0)
	v_add_f64 v[4:5], v[4:5], -v[8:9]
	v_add_f64 v[6:7], v[6:7], -v[60:61]
	scratch_store_dwordx4 off, v[4:7], off offset:672
	s_and_saveexec_b64 s[0:1], vcc
	s_cbranch_execz .LBB112_227
; %bb.226:
	scratch_load_dwordx4 v[6:9], off, s24
	v_mov_b32_e32 v3, v2
	v_mov_b32_e32 v4, v2
	;; [unrolled: 1-line block ×3, first 2 shown]
	v_accvgpr_read_b32 v0, a99
	scratch_store_dwordx4 off, v[2:5], off offset:656
	s_waitcnt vmcnt(1)
	ds_write_b128 v0, v[6:9]
.LBB112_227:
	s_or_b64 exec, exec, s[0:1]
	s_waitcnt lgkmcnt(0)
	; wave barrier
	scratch_load_dwordx4 v[4:7], off, off offset:672
	scratch_load_dwordx4 v[8:11], off, off offset:688
	;; [unrolled: 1-line block ×9, first 2 shown]
	ds_read_b128 v[40:43], v2 offset:1440
	ds_read_b128 v[44:47], v2 offset:1456
	;; [unrolled: 1-line block ×8, first 2 shown]
	v_cmp_lt_u32_e32 vcc, 39, v240
	s_waitcnt vmcnt(8) lgkmcnt(7)
	v_mul_f64 v[2:3], v[40:41], v[6:7]
	v_mul_f64 v[6:7], v[42:43], v[6:7]
	s_waitcnt vmcnt(7) lgkmcnt(6)
	v_mul_f64 v[72:73], v[44:45], v[10:11]
	v_mul_f64 v[10:11], v[46:47], v[10:11]
	v_fmac_f64_e32 v[2:3], v[42:43], v[4:5]
	v_fma_f64 v[4:5], v[40:41], v[4:5], -v[6:7]
	s_waitcnt vmcnt(6) lgkmcnt(5)
	v_mul_f64 v[74:75], v[48:49], v[14:15]
	v_mul_f64 v[14:15], v[50:51], v[14:15]
	v_fmac_f64_e32 v[72:73], v[46:47], v[8:9]
	v_fma_f64 v[6:7], v[44:45], v[8:9], -v[10:11]
	v_add_f64 v[2:3], v[2:3], 0
	v_add_f64 v[4:5], v[4:5], 0
	s_waitcnt vmcnt(5) lgkmcnt(4)
	v_mul_f64 v[76:77], v[52:53], v[18:19]
	v_mul_f64 v[18:19], v[54:55], v[18:19]
	v_fmac_f64_e32 v[74:75], v[50:51], v[12:13]
	v_fma_f64 v[8:9], v[48:49], v[12:13], -v[14:15]
	v_add_f64 v[2:3], v[2:3], v[72:73]
	v_add_f64 v[4:5], v[4:5], v[6:7]
	;; [unrolled: 7-line block ×6, first 2 shown]
	v_fmac_f64_e32 v[84:85], v[70:71], v[32:33]
	v_fma_f64 v[18:19], v[68:69], v[32:33], -v[34:35]
	v_add_f64 v[2:3], v[2:3], v[82:83]
	v_add_f64 v[4:5], v[4:5], v[16:17]
	;; [unrolled: 1-line block ×4, first 2 shown]
	s_waitcnt vmcnt(0)
	v_add_f64 v[2:3], v[36:37], -v[2:3]
	v_add_f64 v[4:5], v[38:39], -v[6:7]
	scratch_store_dwordx4 off, v[2:5], off offset:656
	s_and_saveexec_b64 s[0:1], vcc
	s_cbranch_execz .LBB112_229
; %bb.228:
	scratch_load_dwordx4 v[2:5], off, s25
	v_mov_b32_e32 v6, 0
	v_mov_b32_e32 v7, v6
	;; [unrolled: 1-line block ×4, first 2 shown]
	v_accvgpr_read_b32 v0, a99
	scratch_store_dwordx4 off, v[6:9], off offset:640
	s_waitcnt vmcnt(1)
	ds_write_b128 v0, v[2:5]
.LBB112_229:
	s_or_b64 exec, exec, s[0:1]
	s_waitcnt lgkmcnt(0)
	; wave barrier
	scratch_load_dwordx4 v[4:7], off, off offset:656
	scratch_load_dwordx4 v[8:11], off, off offset:672
	;; [unrolled: 1-line block ×10, first 2 shown]
	v_mov_b32_e32 v2, 0
	ds_read_b128 v[44:47], v2 offset:1424
	ds_read_b128 v[48:51], v2 offset:1440
	;; [unrolled: 1-line block ×9, first 2 shown]
	v_cmp_lt_u32_e32 vcc, 38, v240
	s_waitcnt vmcnt(9) lgkmcnt(8)
	v_mul_f64 v[80:81], v[44:45], v[6:7]
	v_mul_f64 v[6:7], v[46:47], v[6:7]
	s_waitcnt vmcnt(8) lgkmcnt(7)
	v_mul_f64 v[82:83], v[48:49], v[10:11]
	s_waitcnt vmcnt(7) lgkmcnt(6)
	v_mul_f64 v[84:85], v[52:53], v[14:15]
	s_waitcnt vmcnt(5) lgkmcnt(4)
	v_mul_f64 v[88:89], v[60:61], v[22:23]
	v_mul_f64 v[10:11], v[50:51], v[10:11]
	;; [unrolled: 1-line block ×4, first 2 shown]
	v_fmac_f64_e32 v[80:81], v[46:47], v[4:5]
	v_fma_f64 v[4:5], v[44:45], v[4:5], -v[6:7]
	v_fmac_f64_e32 v[82:83], v[50:51], v[8:9]
	v_fmac_f64_e32 v[84:85], v[54:55], v[12:13]
	v_fma_f64 v[6:7], v[48:49], v[8:9], -v[10:11]
	v_fma_f64 v[8:9], v[52:53], v[12:13], -v[14:15]
	;; [unrolled: 1-line block ×3, first 2 shown]
	v_add_f64 v[22:23], v[80:81], 0
	v_add_f64 v[4:5], v[4:5], 0
	v_mul_f64 v[86:87], v[56:57], v[18:19]
	v_mul_f64 v[18:19], v[58:59], v[18:19]
	v_add_f64 v[22:23], v[22:23], v[82:83]
	v_add_f64 v[4:5], v[4:5], v[6:7]
	v_fmac_f64_e32 v[86:87], v[58:59], v[16:17]
	v_fma_f64 v[10:11], v[56:57], v[16:17], -v[18:19]
	v_add_f64 v[6:7], v[22:23], v[84:85]
	v_add_f64 v[4:5], v[4:5], v[8:9]
	s_waitcnt vmcnt(4) lgkmcnt(3)
	v_mul_f64 v[90:91], v[64:65], v[26:27]
	v_mul_f64 v[26:27], v[66:67], v[26:27]
	v_fmac_f64_e32 v[88:89], v[62:63], v[20:21]
	v_add_f64 v[6:7], v[6:7], v[86:87]
	v_add_f64 v[4:5], v[4:5], v[10:11]
	s_waitcnt vmcnt(3) lgkmcnt(2)
	v_mul_f64 v[92:93], v[68:69], v[30:31]
	v_mul_f64 v[30:31], v[70:71], v[30:31]
	v_fmac_f64_e32 v[90:91], v[66:67], v[24:25]
	v_fma_f64 v[14:15], v[64:65], v[24:25], -v[26:27]
	v_add_f64 v[6:7], v[6:7], v[88:89]
	v_add_f64 v[4:5], v[4:5], v[12:13]
	s_waitcnt vmcnt(2) lgkmcnt(1)
	v_mul_f64 v[94:95], v[72:73], v[34:35]
	v_mul_f64 v[34:35], v[74:75], v[34:35]
	v_fmac_f64_e32 v[92:93], v[70:71], v[28:29]
	v_fma_f64 v[16:17], v[68:69], v[28:29], -v[30:31]
	;; [unrolled: 7-line block ×3, first 2 shown]
	v_add_f64 v[6:7], v[6:7], v[92:93]
	v_add_f64 v[4:5], v[4:5], v[16:17]
	v_fmac_f64_e32 v[96:97], v[78:79], v[36:37]
	v_fma_f64 v[20:21], v[76:77], v[36:37], -v[38:39]
	v_add_f64 v[6:7], v[6:7], v[94:95]
	v_add_f64 v[4:5], v[4:5], v[18:19]
	;; [unrolled: 1-line block ×4, first 2 shown]
	s_waitcnt vmcnt(0)
	v_add_f64 v[4:5], v[40:41], -v[4:5]
	v_add_f64 v[6:7], v[42:43], -v[6:7]
	scratch_store_dwordx4 off, v[4:7], off offset:640
	s_and_saveexec_b64 s[0:1], vcc
	s_cbranch_execz .LBB112_231
; %bb.230:
	scratch_load_dwordx4 v[6:9], off, s26
	v_mov_b32_e32 v3, v2
	v_mov_b32_e32 v4, v2
	;; [unrolled: 1-line block ×3, first 2 shown]
	v_accvgpr_read_b32 v0, a99
	scratch_store_dwordx4 off, v[2:5], off offset:624
	s_waitcnt vmcnt(1)
	ds_write_b128 v0, v[6:9]
.LBB112_231:
	s_or_b64 exec, exec, s[0:1]
	s_waitcnt lgkmcnt(0)
	; wave barrier
	scratch_load_dwordx4 v[4:7], off, off offset:640
	scratch_load_dwordx4 v[8:11], off, off offset:656
	;; [unrolled: 1-line block ×11, first 2 shown]
	ds_read_b128 v[48:51], v2 offset:1408
	ds_read_b128 v[52:55], v2 offset:1424
	;; [unrolled: 1-line block ×10, first 2 shown]
	v_cmp_lt_u32_e32 vcc, 37, v240
	s_waitcnt vmcnt(10) lgkmcnt(9)
	v_mul_f64 v[2:3], v[48:49], v[6:7]
	v_mul_f64 v[6:7], v[50:51], v[6:7]
	s_waitcnt vmcnt(9) lgkmcnt(8)
	v_mul_f64 v[88:89], v[52:53], v[10:11]
	v_mul_f64 v[10:11], v[54:55], v[10:11]
	v_fmac_f64_e32 v[2:3], v[50:51], v[4:5]
	v_fma_f64 v[4:5], v[48:49], v[4:5], -v[6:7]
	s_waitcnt vmcnt(8) lgkmcnt(7)
	v_mul_f64 v[90:91], v[56:57], v[14:15]
	v_mul_f64 v[14:15], v[58:59], v[14:15]
	v_fmac_f64_e32 v[88:89], v[54:55], v[8:9]
	v_fma_f64 v[6:7], v[52:53], v[8:9], -v[10:11]
	v_add_f64 v[2:3], v[2:3], 0
	v_add_f64 v[4:5], v[4:5], 0
	s_waitcnt vmcnt(7) lgkmcnt(6)
	v_mul_f64 v[92:93], v[60:61], v[18:19]
	v_mul_f64 v[18:19], v[62:63], v[18:19]
	v_fmac_f64_e32 v[90:91], v[58:59], v[12:13]
	v_fma_f64 v[8:9], v[56:57], v[12:13], -v[14:15]
	v_add_f64 v[2:3], v[2:3], v[88:89]
	v_add_f64 v[4:5], v[4:5], v[6:7]
	;; [unrolled: 7-line block ×8, first 2 shown]
	v_fmac_f64_e32 v[104:105], v[86:87], v[40:41]
	v_fma_f64 v[22:23], v[84:85], v[40:41], -v[42:43]
	v_add_f64 v[2:3], v[2:3], v[102:103]
	v_add_f64 v[4:5], v[4:5], v[20:21]
	;; [unrolled: 1-line block ×4, first 2 shown]
	s_waitcnt vmcnt(0)
	v_add_f64 v[2:3], v[44:45], -v[2:3]
	v_add_f64 v[4:5], v[46:47], -v[6:7]
	scratch_store_dwordx4 off, v[2:5], off offset:624
	s_and_saveexec_b64 s[0:1], vcc
	s_cbranch_execz .LBB112_233
; %bb.232:
	scratch_load_dwordx4 v[2:5], off, s27
	v_mov_b32_e32 v6, 0
	v_mov_b32_e32 v7, v6
	;; [unrolled: 1-line block ×4, first 2 shown]
	v_accvgpr_read_b32 v0, a99
	scratch_store_dwordx4 off, v[6:9], off offset:608
	s_waitcnt vmcnt(1)
	ds_write_b128 v0, v[2:5]
.LBB112_233:
	s_or_b64 exec, exec, s[0:1]
	s_waitcnt lgkmcnt(0)
	; wave barrier
	scratch_load_dwordx4 v[4:7], off, off offset:624
	scratch_load_dwordx4 v[8:11], off, off offset:640
	;; [unrolled: 1-line block ×12, first 2 shown]
	v_mov_b32_e32 v2, 0
	ds_read_b128 v[52:55], v2 offset:1392
	ds_read_b128 v[56:59], v2 offset:1408
	;; [unrolled: 1-line block ×11, first 2 shown]
	v_cmp_lt_u32_e32 vcc, 36, v240
	s_waitcnt vmcnt(11) lgkmcnt(10)
	v_mul_f64 v[96:97], v[52:53], v[6:7]
	v_mul_f64 v[6:7], v[54:55], v[6:7]
	s_waitcnt vmcnt(10) lgkmcnt(9)
	v_mul_f64 v[98:99], v[56:57], v[10:11]
	s_waitcnt vmcnt(9) lgkmcnt(8)
	v_mul_f64 v[100:101], v[60:61], v[14:15]
	v_mul_f64 v[10:11], v[58:59], v[10:11]
	s_waitcnt vmcnt(6) lgkmcnt(5)
	v_mul_f64 v[106:107], v[72:73], v[26:27]
	v_mul_f64 v[14:15], v[62:63], v[14:15]
	;; [unrolled: 1-line block ×3, first 2 shown]
	v_fmac_f64_e32 v[96:97], v[54:55], v[4:5]
	v_fma_f64 v[4:5], v[52:53], v[4:5], -v[6:7]
	v_fmac_f64_e32 v[98:99], v[58:59], v[8:9]
	v_fma_f64 v[6:7], v[56:57], v[8:9], -v[10:11]
	v_fma_f64 v[8:9], v[60:61], v[12:13], -v[14:15]
	v_fma_f64 v[14:15], v[72:73], v[24:25], -v[26:27]
	v_add_f64 v[26:27], v[96:97], 0
	v_add_f64 v[4:5], v[4:5], 0
	v_mul_f64 v[102:103], v[64:65], v[18:19]
	v_mul_f64 v[18:19], v[66:67], v[18:19]
	v_fmac_f64_e32 v[100:101], v[62:63], v[12:13]
	v_add_f64 v[26:27], v[26:27], v[98:99]
	v_add_f64 v[4:5], v[4:5], v[6:7]
	v_mul_f64 v[104:105], v[68:69], v[22:23]
	v_mul_f64 v[22:23], v[70:71], v[22:23]
	v_fmac_f64_e32 v[102:103], v[66:67], v[16:17]
	v_fma_f64 v[10:11], v[64:65], v[16:17], -v[18:19]
	v_add_f64 v[6:7], v[26:27], v[100:101]
	v_add_f64 v[4:5], v[4:5], v[8:9]
	v_fmac_f64_e32 v[104:105], v[70:71], v[20:21]
	v_fma_f64 v[12:13], v[68:69], v[20:21], -v[22:23]
	v_add_f64 v[6:7], v[6:7], v[102:103]
	v_add_f64 v[4:5], v[4:5], v[10:11]
	s_waitcnt vmcnt(5) lgkmcnt(4)
	v_mul_f64 v[108:109], v[76:77], v[30:31]
	v_mul_f64 v[30:31], v[78:79], v[30:31]
	v_fmac_f64_e32 v[106:107], v[74:75], v[24:25]
	v_add_f64 v[6:7], v[6:7], v[104:105]
	v_add_f64 v[4:5], v[4:5], v[12:13]
	s_waitcnt vmcnt(4) lgkmcnt(3)
	v_mul_f64 v[110:111], v[80:81], v[34:35]
	v_mul_f64 v[34:35], v[82:83], v[34:35]
	v_fmac_f64_e32 v[108:109], v[78:79], v[28:29]
	v_fma_f64 v[16:17], v[76:77], v[28:29], -v[30:31]
	v_add_f64 v[6:7], v[6:7], v[106:107]
	v_add_f64 v[4:5], v[4:5], v[14:15]
	s_waitcnt vmcnt(3) lgkmcnt(2)
	v_mul_f64 v[112:113], v[84:85], v[38:39]
	v_mul_f64 v[38:39], v[86:87], v[38:39]
	v_fmac_f64_e32 v[110:111], v[82:83], v[32:33]
	v_fma_f64 v[18:19], v[80:81], v[32:33], -v[34:35]
	;; [unrolled: 7-line block ×4, first 2 shown]
	v_add_f64 v[6:7], v[6:7], v[112:113]
	v_add_f64 v[4:5], v[4:5], v[20:21]
	v_fmac_f64_e32 v[116:117], v[94:95], v[44:45]
	v_fma_f64 v[24:25], v[92:93], v[44:45], -v[46:47]
	v_add_f64 v[6:7], v[6:7], v[114:115]
	v_add_f64 v[4:5], v[4:5], v[22:23]
	;; [unrolled: 1-line block ×4, first 2 shown]
	s_waitcnt vmcnt(0)
	v_add_f64 v[4:5], v[48:49], -v[4:5]
	v_add_f64 v[6:7], v[50:51], -v[6:7]
	scratch_store_dwordx4 off, v[4:7], off offset:608
	s_and_saveexec_b64 s[0:1], vcc
	s_cbranch_execz .LBB112_235
; %bb.234:
	scratch_load_dwordx4 v[6:9], off, s28
	v_mov_b32_e32 v3, v2
	v_mov_b32_e32 v4, v2
	;; [unrolled: 1-line block ×3, first 2 shown]
	v_accvgpr_read_b32 v0, a99
	scratch_store_dwordx4 off, v[2:5], off offset:592
	s_waitcnt vmcnt(1)
	ds_write_b128 v0, v[6:9]
.LBB112_235:
	s_or_b64 exec, exec, s[0:1]
	s_waitcnt lgkmcnt(0)
	; wave barrier
	scratch_load_dwordx4 v[4:7], off, off offset:608
	scratch_load_dwordx4 v[8:11], off, off offset:624
	;; [unrolled: 1-line block ×12, first 2 shown]
	ds_read_b128 v[52:55], v2 offset:1376
	ds_read_b128 v[56:59], v2 offset:1392
	;; [unrolled: 1-line block ×4, first 2 shown]
	scratch_load_dwordx4 v[68:71], off, off offset:592
	ds_read_b128 v[72:75], v2 offset:1440
	ds_read_b128 v[76:79], v2 offset:1456
	;; [unrolled: 1-line block ×8, first 2 shown]
	v_cmp_lt_u32_e32 vcc, 35, v240
	s_waitcnt vmcnt(12) lgkmcnt(11)
	v_mul_f64 v[2:3], v[52:53], v[6:7]
	s_waitcnt vmcnt(11) lgkmcnt(10)
	v_mul_f64 v[104:105], v[56:57], v[10:11]
	v_fmac_f64_e32 v[2:3], v[54:55], v[4:5]
	s_waitcnt vmcnt(10) lgkmcnt(9)
	v_mul_f64 v[106:107], v[60:61], v[14:15]
	v_mul_f64 v[6:7], v[54:55], v[6:7]
	v_fmac_f64_e32 v[104:105], v[58:59], v[8:9]
	v_add_f64 v[2:3], v[2:3], 0
	s_waitcnt vmcnt(9) lgkmcnt(8)
	v_mul_f64 v[108:109], v[64:65], v[18:19]
	v_mul_f64 v[10:11], v[58:59], v[10:11]
	v_fmac_f64_e32 v[106:107], v[62:63], v[12:13]
	v_fma_f64 v[4:5], v[52:53], v[4:5], -v[6:7]
	v_add_f64 v[2:3], v[2:3], v[104:105]
	s_waitcnt vmcnt(8) lgkmcnt(7)
	v_mul_f64 v[110:111], v[72:73], v[22:23]
	v_mul_f64 v[14:15], v[62:63], v[14:15]
	v_fmac_f64_e32 v[108:109], v[66:67], v[16:17]
	v_fma_f64 v[6:7], v[56:57], v[8:9], -v[10:11]
	v_add_f64 v[4:5], v[4:5], 0
	v_add_f64 v[2:3], v[2:3], v[106:107]
	s_waitcnt vmcnt(7) lgkmcnt(6)
	v_mul_f64 v[112:113], v[76:77], v[26:27]
	v_mul_f64 v[18:19], v[66:67], v[18:19]
	v_fmac_f64_e32 v[110:111], v[74:75], v[20:21]
	v_fma_f64 v[8:9], v[60:61], v[12:13], -v[14:15]
	v_add_f64 v[4:5], v[4:5], v[6:7]
	;; [unrolled: 7-line block ×8, first 2 shown]
	v_add_f64 v[2:3], v[2:3], v[120:121]
	v_mul_f64 v[46:47], v[98:99], v[46:47]
	v_fmac_f64_e32 v[124:125], v[102:103], v[48:49]
	v_fma_f64 v[22:23], v[92:93], v[40:41], -v[42:43]
	v_add_f64 v[4:5], v[4:5], v[20:21]
	v_add_f64 v[2:3], v[2:3], v[122:123]
	;; [unrolled: 1-line block ×4, first 2 shown]
	v_fma_f64 v[2:3], v[96:97], v[44:45], -v[46:47]
	v_add_f64 v[2:3], v[4:5], v[2:3]
	v_mul_f64 v[4:5], v[102:103], v[50:51]
	v_fma_f64 v[4:5], v[100:101], v[48:49], -v[4:5]
	v_add_f64 v[2:3], v[2:3], v[4:5]
	s_waitcnt vmcnt(0)
	v_add_f64 v[2:3], v[68:69], -v[2:3]
	v_add_f64 v[4:5], v[70:71], -v[6:7]
	scratch_store_dwordx4 off, v[2:5], off offset:592
	s_and_saveexec_b64 s[0:1], vcc
	s_cbranch_execz .LBB112_237
; %bb.236:
	scratch_load_dwordx4 v[2:5], off, s29
	v_mov_b32_e32 v6, 0
	v_mov_b32_e32 v7, v6
	;; [unrolled: 1-line block ×4, first 2 shown]
	v_accvgpr_read_b32 v0, a99
	scratch_store_dwordx4 off, v[6:9], off offset:576
	s_waitcnt vmcnt(1)
	ds_write_b128 v0, v[2:5]
.LBB112_237:
	s_or_b64 exec, exec, s[0:1]
	s_waitcnt lgkmcnt(0)
	; wave barrier
	scratch_load_dwordx4 v[4:7], off, off offset:592
	scratch_load_dwordx4 v[8:11], off, off offset:608
	;; [unrolled: 1-line block ×14, first 2 shown]
	v_mov_b32_e32 v2, 0
	ds_read_b128 v[60:63], v2 offset:1360
	ds_read_b128 v[64:67], v2 offset:1376
	;; [unrolled: 1-line block ×13, first 2 shown]
	v_cmp_lt_u32_e32 vcc, 34, v240
	s_waitcnt vmcnt(13) lgkmcnt(12)
	v_mul_f64 v[112:113], v[60:61], v[6:7]
	v_mul_f64 v[6:7], v[62:63], v[6:7]
	s_waitcnt vmcnt(12) lgkmcnt(11)
	v_mul_f64 v[114:115], v[64:65], v[10:11]
	v_mul_f64 v[10:11], v[66:67], v[10:11]
	v_fmac_f64_e32 v[112:113], v[62:63], v[4:5]
	v_fma_f64 v[4:5], v[60:61], v[4:5], -v[6:7]
	s_waitcnt vmcnt(11) lgkmcnt(10)
	v_mul_f64 v[116:117], v[68:69], v[14:15]
	v_mul_f64 v[14:15], v[70:71], v[14:15]
	v_fma_f64 v[6:7], v[64:65], v[8:9], -v[10:11]
	v_add_f64 v[4:5], v[4:5], 0
	s_waitcnt vmcnt(10) lgkmcnt(9)
	v_mul_f64 v[118:119], v[72:73], v[18:19]
	v_mul_f64 v[18:19], v[74:75], v[18:19]
	v_fmac_f64_e32 v[114:115], v[66:67], v[8:9]
	v_fma_f64 v[8:9], v[68:69], v[12:13], -v[14:15]
	v_add_f64 v[4:5], v[4:5], v[6:7]
	s_waitcnt vmcnt(9) lgkmcnt(8)
	v_mul_f64 v[120:121], v[76:77], v[22:23]
	v_mul_f64 v[22:23], v[78:79], v[22:23]
	v_fma_f64 v[10:11], v[72:73], v[16:17], -v[18:19]
	v_add_f64 v[4:5], v[4:5], v[8:9]
	s_waitcnt vmcnt(8) lgkmcnt(7)
	v_mul_f64 v[122:123], v[80:81], v[26:27]
	v_mul_f64 v[26:27], v[82:83], v[26:27]
	v_fmac_f64_e32 v[116:117], v[70:71], v[12:13]
	v_fma_f64 v[12:13], v[76:77], v[20:21], -v[22:23]
	v_add_f64 v[22:23], v[112:113], 0
	v_add_f64 v[4:5], v[4:5], v[10:11]
	s_waitcnt vmcnt(7) lgkmcnt(6)
	v_mul_f64 v[124:125], v[84:85], v[30:31]
	v_mul_f64 v[30:31], v[86:87], v[30:31]
	v_fma_f64 v[14:15], v[80:81], v[24:25], -v[26:27]
	v_add_f64 v[22:23], v[22:23], v[114:115]
	v_add_f64 v[4:5], v[4:5], v[12:13]
	s_waitcnt vmcnt(6) lgkmcnt(5)
	v_mul_f64 v[126:127], v[88:89], v[34:35]
	v_mul_f64 v[34:35], v[90:91], v[34:35]
	v_fmac_f64_e32 v[118:119], v[74:75], v[16:17]
	v_fma_f64 v[16:17], v[84:85], v[28:29], -v[30:31]
	v_add_f64 v[6:7], v[22:23], v[116:117]
	v_add_f64 v[4:5], v[4:5], v[14:15]
	s_waitcnt vmcnt(5) lgkmcnt(4)
	v_mul_f64 v[128:129], v[92:93], v[38:39]
	v_mul_f64 v[38:39], v[94:95], v[38:39]
	v_fmac_f64_e32 v[120:121], v[78:79], v[20:21]
	v_fma_f64 v[18:19], v[88:89], v[32:33], -v[34:35]
	v_add_f64 v[6:7], v[6:7], v[118:119]
	v_add_f64 v[4:5], v[4:5], v[16:17]
	v_fmac_f64_e32 v[122:123], v[82:83], v[24:25]
	v_fma_f64 v[20:21], v[92:93], v[36:37], -v[38:39]
	v_add_f64 v[6:7], v[6:7], v[120:121]
	v_add_f64 v[4:5], v[4:5], v[18:19]
	s_waitcnt vmcnt(4) lgkmcnt(3)
	v_mul_f64 v[8:9], v[98:99], v[42:43]
	v_fmac_f64_e32 v[124:125], v[86:87], v[28:29]
	v_add_f64 v[6:7], v[6:7], v[122:123]
	v_add_f64 v[4:5], v[4:5], v[20:21]
	v_fma_f64 v[8:9], v[96:97], v[40:41], -v[8:9]
	v_fmac_f64_e32 v[126:127], v[90:91], v[32:33]
	v_add_f64 v[6:7], v[6:7], v[124:125]
	v_add_f64 v[4:5], v[4:5], v[8:9]
	s_waitcnt vmcnt(3) lgkmcnt(2)
	v_mul_f64 v[8:9], v[102:103], v[46:47]
	v_mul_f64 v[130:131], v[96:97], v[42:43]
	v_fmac_f64_e32 v[128:129], v[94:95], v[36:37]
	v_add_f64 v[6:7], v[6:7], v[126:127]
	v_fma_f64 v[8:9], v[100:101], v[44:45], -v[8:9]
	v_mul_f64 v[132:133], v[100:101], v[46:47]
	v_fmac_f64_e32 v[130:131], v[98:99], v[40:41]
	v_add_f64 v[6:7], v[6:7], v[128:129]
	v_add_f64 v[4:5], v[4:5], v[8:9]
	s_waitcnt vmcnt(2) lgkmcnt(1)
	v_mul_f64 v[8:9], v[106:107], v[50:51]
	v_mul_f64 v[134:135], v[104:105], v[50:51]
	v_fmac_f64_e32 v[132:133], v[102:103], v[44:45]
	v_add_f64 v[6:7], v[6:7], v[130:131]
	v_fma_f64 v[8:9], v[104:105], v[48:49], -v[8:9]
	s_waitcnt vmcnt(1) lgkmcnt(0)
	v_mul_f64 v[136:137], v[108:109], v[54:55]
	v_fmac_f64_e32 v[134:135], v[106:107], v[48:49]
	v_add_f64 v[6:7], v[6:7], v[132:133]
	v_add_f64 v[4:5], v[4:5], v[8:9]
	v_mul_f64 v[8:9], v[110:111], v[54:55]
	v_fmac_f64_e32 v[136:137], v[110:111], v[52:53]
	v_add_f64 v[6:7], v[6:7], v[134:135]
	v_fma_f64 v[8:9], v[108:109], v[52:53], -v[8:9]
	v_add_f64 v[6:7], v[6:7], v[136:137]
	v_add_f64 v[4:5], v[4:5], v[8:9]
	s_waitcnt vmcnt(0)
	v_add_f64 v[4:5], v[56:57], -v[4:5]
	v_add_f64 v[6:7], v[58:59], -v[6:7]
	scratch_store_dwordx4 off, v[4:7], off offset:576
	s_and_saveexec_b64 s[0:1], vcc
	s_cbranch_execz .LBB112_239
; %bb.238:
	scratch_load_dwordx4 v[6:9], off, s30
	v_mov_b32_e32 v3, v2
	v_mov_b32_e32 v4, v2
	;; [unrolled: 1-line block ×3, first 2 shown]
	v_accvgpr_read_b32 v0, a99
	scratch_store_dwordx4 off, v[2:5], off offset:560
	s_waitcnt vmcnt(1)
	ds_write_b128 v0, v[6:9]
.LBB112_239:
	s_or_b64 exec, exec, s[0:1]
	s_waitcnt lgkmcnt(0)
	; wave barrier
	scratch_load_dwordx4 v[4:7], off, off offset:576
	scratch_load_dwordx4 v[8:11], off, off offset:592
	;; [unrolled: 1-line block ×14, first 2 shown]
	ds_read_b128 v[60:63], v2 offset:1344
	ds_read_b128 v[64:67], v2 offset:1360
	ds_read_b128 v[68:71], v2 offset:1376
	ds_read_b128 v[72:75], v2 offset:1392
	ds_read_b128 v[76:79], v2 offset:1408
	ds_read_b128 v[80:83], v2 offset:1424
	ds_read_b128 v[84:87], v2 offset:1440
	ds_read_b128 v[88:91], v2 offset:1456
	ds_read_b128 v[92:95], v2 offset:1472
	ds_read_b128 v[96:99], v2 offset:1488
	ds_read_b128 v[100:103], v2 offset:1504
	ds_read_b128 v[104:107], v2 offset:1520
	ds_read_b128 v[108:111], v2 offset:1536
	ds_read_b128 v[112:115], v2 offset:1552
	scratch_load_dwordx4 v[116:119], off, off offset:560
	v_cmp_lt_u32_e32 vcc, 33, v240
	s_waitcnt vmcnt(14) lgkmcnt(13)
	v_mul_f64 v[2:3], v[60:61], v[6:7]
	s_waitcnt vmcnt(13) lgkmcnt(12)
	v_mul_f64 v[120:121], v[64:65], v[10:11]
	v_fmac_f64_e32 v[2:3], v[62:63], v[4:5]
	s_waitcnt vmcnt(12) lgkmcnt(11)
	v_mul_f64 v[122:123], v[68:69], v[14:15]
	v_fmac_f64_e32 v[120:121], v[66:67], v[8:9]
	v_add_f64 v[2:3], v[2:3], 0
	s_waitcnt vmcnt(11) lgkmcnt(10)
	v_mul_f64 v[124:125], v[72:73], v[18:19]
	v_fmac_f64_e32 v[122:123], v[70:71], v[12:13]
	v_add_f64 v[2:3], v[2:3], v[120:121]
	;; [unrolled: 4-line block ×4, first 2 shown]
	s_waitcnt vmcnt(8) lgkmcnt(7)
	v_mul_f64 v[130:131], v[84:85], v[30:31]
	v_mul_f64 v[6:7], v[62:63], v[6:7]
	v_fmac_f64_e32 v[128:129], v[82:83], v[24:25]
	v_add_f64 v[2:3], v[2:3], v[126:127]
	s_waitcnt vmcnt(7) lgkmcnt(6)
	v_mul_f64 v[132:133], v[88:89], v[34:35]
	v_mul_f64 v[10:11], v[66:67], v[10:11]
	v_fmac_f64_e32 v[130:131], v[86:87], v[28:29]
	v_fma_f64 v[4:5], v[60:61], v[4:5], -v[6:7]
	v_add_f64 v[2:3], v[2:3], v[128:129]
	s_waitcnt vmcnt(6) lgkmcnt(5)
	v_mul_f64 v[134:135], v[92:93], v[38:39]
	v_mul_f64 v[14:15], v[70:71], v[14:15]
	v_fmac_f64_e32 v[132:133], v[90:91], v[32:33]
	v_fma_f64 v[6:7], v[64:65], v[8:9], -v[10:11]
	v_add_f64 v[4:5], v[4:5], 0
	v_add_f64 v[2:3], v[2:3], v[130:131]
	s_waitcnt vmcnt(5) lgkmcnt(4)
	v_mul_f64 v[136:137], v[96:97], v[42:43]
	v_mul_f64 v[18:19], v[74:75], v[18:19]
	v_fmac_f64_e32 v[134:135], v[94:95], v[36:37]
	v_fma_f64 v[8:9], v[68:69], v[12:13], -v[14:15]
	v_add_f64 v[4:5], v[4:5], v[6:7]
	;; [unrolled: 7-line block ×6, first 2 shown]
	v_add_f64 v[2:3], v[2:3], v[140:141]
	v_fmac_f64_e32 v[144:145], v[114:115], v[56:57]
	v_fma_f64 v[18:19], v[88:89], v[32:33], -v[34:35]
	v_add_f64 v[4:5], v[4:5], v[16:17]
	v_add_f64 v[2:3], v[2:3], v[142:143]
	;; [unrolled: 1-line block ×4, first 2 shown]
	v_mul_f64 v[4:5], v[94:95], v[38:39]
	v_fma_f64 v[4:5], v[92:93], v[36:37], -v[4:5]
	v_add_f64 v[2:3], v[2:3], v[4:5]
	v_mul_f64 v[4:5], v[98:99], v[42:43]
	v_fma_f64 v[4:5], v[96:97], v[40:41], -v[4:5]
	v_add_f64 v[2:3], v[2:3], v[4:5]
	;; [unrolled: 3-line block ×6, first 2 shown]
	s_waitcnt vmcnt(0)
	v_add_f64 v[2:3], v[116:117], -v[2:3]
	v_add_f64 v[4:5], v[118:119], -v[6:7]
	scratch_store_dwordx4 off, v[2:5], off offset:560
	s_and_saveexec_b64 s[0:1], vcc
	s_cbranch_execz .LBB112_241
; %bb.240:
	scratch_load_dwordx4 v[2:5], off, s31
	v_mov_b32_e32 v6, 0
	v_mov_b32_e32 v7, v6
	;; [unrolled: 1-line block ×4, first 2 shown]
	v_accvgpr_read_b32 v0, a99
	scratch_store_dwordx4 off, v[6:9], off offset:544
	s_waitcnt vmcnt(1)
	ds_write_b128 v0, v[2:5]
.LBB112_241:
	s_or_b64 exec, exec, s[0:1]
	v_mov_b32_e32 v2, 0
	s_waitcnt lgkmcnt(0)
	; wave barrier
	ds_read_b128 v[16:19], v2 offset:1328
	ds_read_b128 v[12:15], v2 offset:1344
	;; [unrolled: 1-line block ×4, first 2 shown]
	scratch_load_dwordx4 v[20:23], off, off offset:560
	scratch_load_dwordx4 v[40:43], off, off offset:624
	scratch_load_dwordx4 v[74:77], off, off offset:688
	scratch_load_dwordx4 v[82:85], off, off offset:704
	scratch_load_dwordx4 v[90:93], off, off offset:720
	scratch_load_dwordx4 v[98:101], off, off offset:736
	scratch_load_dwordx4 v[106:109], off, off offset:752
	scratch_load_dwordx4 v[114:117], off, off offset:768
	scratch_load_dwordx4 v[122:125], off, off offset:784
	v_cmp_lt_u32_e32 vcc, 32, v240
	scratch_load_dwordx4 v[50:53], off, off offset:640
	scratch_load_dwordx4 v[58:61], off, off offset:656
	;; [unrolled: 1-line block ×3, first 2 shown]
	s_waitcnt vmcnt(11) lgkmcnt(3)
	v_mul_f64 v[24:25], v[16:17], v[22:23]
	v_fmac_f64_e32 v[24:25], v[18:19], v[20:21]
	v_add_f64 v[28:29], v[24:25], 0
	scratch_load_dwordx4 v[24:27], off, off offset:576
	v_mul_f64 v[18:19], v[18:19], v[22:23]
	v_fma_f64 v[16:17], v[16:17], v[20:21], -v[18:19]
	v_add_f64 v[16:17], v[16:17], 0
	s_waitcnt vmcnt(0) lgkmcnt(2)
	v_mul_f64 v[30:31], v[12:13], v[26:27]
	v_fmac_f64_e32 v[30:31], v[14:15], v[24:25]
	v_add_f64 v[32:33], v[28:29], v[30:31]
	scratch_load_dwordx4 v[28:31], off, off offset:592
	v_mul_f64 v[14:15], v[14:15], v[26:27]
	v_fma_f64 v[12:13], v[12:13], v[24:25], -v[14:15]
	v_add_f64 v[12:13], v[16:17], v[12:13]
	s_waitcnt vmcnt(0) lgkmcnt(1)
	v_mul_f64 v[34:35], v[8:9], v[30:31]
	v_fmac_f64_e32 v[34:35], v[10:11], v[28:29]
	v_add_f64 v[36:37], v[32:33], v[34:35]
	scratch_load_dwordx4 v[32:35], off, off offset:608
	v_mul_f64 v[10:11], v[10:11], v[30:31]
	v_fma_f64 v[8:9], v[8:9], v[28:29], -v[10:11]
	v_add_f64 v[8:9], v[12:13], v[8:9]
	s_waitcnt vmcnt(0) lgkmcnt(0)
	v_mul_f64 v[38:39], v[4:5], v[34:35]
	v_fmac_f64_e32 v[38:39], v[6:7], v[32:33]
	v_add_f64 v[44:45], v[36:37], v[38:39]
	ds_read_b128 v[36:39], v2 offset:1392
	v_mul_f64 v[6:7], v[6:7], v[34:35]
	v_fma_f64 v[4:5], v[4:5], v[32:33], -v[6:7]
	v_add_f64 v[4:5], v[8:9], v[4:5]
	s_waitcnt lgkmcnt(0)
	v_mul_f64 v[46:47], v[36:37], v[42:43]
	v_fmac_f64_e32 v[46:47], v[38:39], v[40:41]
	v_add_f64 v[48:49], v[44:45], v[46:47]
	ds_read_b128 v[44:47], v2 offset:1408
	v_mul_f64 v[6:7], v[38:39], v[42:43]
	v_fma_f64 v[6:7], v[36:37], v[40:41], -v[6:7]
	v_add_f64 v[4:5], v[4:5], v[6:7]
	s_waitcnt lgkmcnt(0)
	;; [unrolled: 8-line block ×11, first 2 shown]
	v_mul_f64 v[6:7], v[120:121], v[124:125]
	v_fma_f64 v[6:7], v[118:119], v[122:123], -v[6:7]
	v_add_f64 v[8:9], v[4:5], v[6:7]
	scratch_load_dwordx4 v[4:7], off, off offset:544
	v_mul_f64 v[126:127], v[118:119], v[124:125]
	v_fmac_f64_e32 v[126:127], v[120:121], v[122:123]
	v_add_f64 v[48:49], v[48:49], v[126:127]
	s_waitcnt vmcnt(0)
	v_add_f64 v[4:5], v[4:5], -v[8:9]
	v_add_f64 v[6:7], v[6:7], -v[48:49]
	scratch_store_dwordx4 off, v[4:7], off offset:544
	s_and_saveexec_b64 s[0:1], vcc
	s_cbranch_execz .LBB112_243
; %bb.242:
	scratch_load_dwordx4 v[6:9], off, s33
	v_mov_b32_e32 v3, v2
	v_mov_b32_e32 v4, v2
	;; [unrolled: 1-line block ×3, first 2 shown]
	v_accvgpr_read_b32 v0, a99
	scratch_store_dwordx4 off, v[2:5], off offset:528
	s_waitcnt vmcnt(1)
	ds_write_b128 v0, v[6:9]
.LBB112_243:
	s_or_b64 exec, exec, s[0:1]
	s_waitcnt lgkmcnt(0)
	; wave barrier
	ds_read_b128 v[16:19], v2 offset:1312
	ds_read_b128 v[12:15], v2 offset:1328
	;; [unrolled: 1-line block ×4, first 2 shown]
	scratch_load_dwordx4 v[20:23], off, off offset:544
	scratch_load_dwordx4 v[40:43], off, off offset:608
	;; [unrolled: 1-line block ×10, first 2 shown]
	v_cmp_lt_u32_e32 vcc, 31, v240
	scratch_load_dwordx4 v[48:51], off, off offset:624
	scratch_load_dwordx4 v[56:59], off, off offset:640
	scratch_load_dwordx4 v[66:69], off, off offset:656
	s_waitcnt vmcnt(12) lgkmcnt(3)
	v_mul_f64 v[24:25], v[16:17], v[22:23]
	v_fmac_f64_e32 v[24:25], v[18:19], v[20:21]
	v_add_f64 v[28:29], v[24:25], 0
	scratch_load_dwordx4 v[24:27], off, off offset:560
	s_waitcnt vmcnt(0) lgkmcnt(2)
	v_mul_f64 v[30:31], v[12:13], v[26:27]
	v_fmac_f64_e32 v[30:31], v[14:15], v[24:25]
	v_add_f64 v[32:33], v[28:29], v[30:31]
	scratch_load_dwordx4 v[28:31], off, off offset:576
	v_mul_f64 v[14:15], v[14:15], v[26:27]
	v_fma_f64 v[12:13], v[12:13], v[24:25], -v[14:15]
	s_waitcnt vmcnt(0) lgkmcnt(1)
	v_mul_f64 v[34:35], v[8:9], v[30:31]
	v_fmac_f64_e32 v[34:35], v[10:11], v[28:29]
	v_add_f64 v[36:37], v[32:33], v[34:35]
	scratch_load_dwordx4 v[32:35], off, off offset:592
	v_mul_f64 v[10:11], v[10:11], v[30:31]
	v_fma_f64 v[8:9], v[8:9], v[28:29], -v[10:11]
	s_waitcnt vmcnt(0) lgkmcnt(0)
	v_mul_f64 v[38:39], v[4:5], v[34:35]
	v_fmac_f64_e32 v[38:39], v[6:7], v[32:33]
	v_add_f64 v[44:45], v[36:37], v[38:39]
	ds_read_b128 v[36:39], v2 offset:1376
	v_mul_f64 v[6:7], v[6:7], v[34:35]
	v_fma_f64 v[4:5], v[4:5], v[32:33], -v[6:7]
	s_waitcnt lgkmcnt(0)
	v_mul_f64 v[46:47], v[36:37], v[42:43]
	v_fmac_f64_e32 v[46:47], v[38:39], v[40:41]
	v_add_f64 v[52:53], v[44:45], v[46:47]
	ds_read_b128 v[44:47], v2 offset:1392
	s_waitcnt lgkmcnt(0)
	v_mul_f64 v[54:55], v[44:45], v[50:51]
	v_fmac_f64_e32 v[54:55], v[46:47], v[48:49]
	v_add_f64 v[60:61], v[52:53], v[54:55]
	ds_read_b128 v[52:55], v2 offset:1408
	;; [unrolled: 5-line block ×11, first 2 shown]
	s_waitcnt lgkmcnt(0)
	v_mul_f64 v[2:3], v[126:127], v[132:133]
	v_fmac_f64_e32 v[2:3], v[128:129], v[130:131]
	v_add_f64 v[64:65], v[64:65], v[2:3]
	v_mul_f64 v[2:3], v[18:19], v[22:23]
	v_fma_f64 v[2:3], v[16:17], v[20:21], -v[2:3]
	v_add_f64 v[2:3], v[2:3], 0
	v_add_f64 v[2:3], v[2:3], v[12:13]
	;; [unrolled: 1-line block ×4, first 2 shown]
	v_mul_f64 v[4:5], v[38:39], v[42:43]
	v_fma_f64 v[4:5], v[36:37], v[40:41], -v[4:5]
	v_add_f64 v[2:3], v[2:3], v[4:5]
	v_mul_f64 v[4:5], v[46:47], v[50:51]
	v_fma_f64 v[4:5], v[44:45], v[48:49], -v[4:5]
	v_add_f64 v[2:3], v[2:3], v[4:5]
	;; [unrolled: 3-line block ×12, first 2 shown]
	scratch_load_dwordx4 v[2:5], off, off offset:528
	s_waitcnt vmcnt(0)
	v_add_f64 v[2:3], v[2:3], -v[6:7]
	v_add_f64 v[4:5], v[4:5], -v[64:65]
	scratch_store_dwordx4 off, v[2:5], off offset:528
	s_and_saveexec_b64 s[0:1], vcc
	s_cbranch_execz .LBB112_245
; %bb.244:
	scratch_load_dwordx4 v[2:5], off, s34
	v_mov_b32_e32 v6, 0
	v_mov_b32_e32 v7, v6
	v_mov_b32_e32 v8, v6
	v_mov_b32_e32 v9, v6
	v_accvgpr_read_b32 v0, a99
	scratch_store_dwordx4 off, v[6:9], off offset:512
	s_waitcnt vmcnt(1)
	ds_write_b128 v0, v[2:5]
.LBB112_245:
	s_or_b64 exec, exec, s[0:1]
	v_mov_b32_e32 v2, 0
	s_waitcnt lgkmcnt(0)
	; wave barrier
	ds_read_b128 v[16:19], v2 offset:1296
	ds_read_b128 v[12:15], v2 offset:1312
	;; [unrolled: 1-line block ×4, first 2 shown]
	scratch_load_dwordx4 v[20:23], off, off offset:528
	scratch_load_dwordx4 v[40:43], off, off offset:592
	scratch_load_dwordx4 v[74:77], off, off offset:656
	scratch_load_dwordx4 v[82:85], off, off offset:672
	scratch_load_dwordx4 v[90:93], off, off offset:688
	scratch_load_dwordx4 v[98:101], off, off offset:704
	scratch_load_dwordx4 v[106:109], off, off offset:720
	scratch_load_dwordx4 v[114:117], off, off offset:736
	scratch_load_dwordx4 v[122:125], off, off offset:752
	scratch_load_dwordx4 v[130:133], off, off offset:768
	scratch_load_dwordx4 v[138:141], off, off offset:784
	v_cmp_lt_u32_e32 vcc, 30, v240
	scratch_load_dwordx4 v[48:51], off, off offset:608
	scratch_load_dwordx4 v[56:59], off, off offset:624
	;; [unrolled: 1-line block ×3, first 2 shown]
	s_waitcnt vmcnt(13) lgkmcnt(3)
	v_mul_f64 v[24:25], v[16:17], v[22:23]
	v_fmac_f64_e32 v[24:25], v[18:19], v[20:21]
	v_add_f64 v[28:29], v[24:25], 0
	scratch_load_dwordx4 v[24:27], off, off offset:544
	v_mul_f64 v[18:19], v[18:19], v[22:23]
	v_fma_f64 v[16:17], v[16:17], v[20:21], -v[18:19]
	v_add_f64 v[16:17], v[16:17], 0
	s_waitcnt vmcnt(0) lgkmcnt(2)
	v_mul_f64 v[30:31], v[12:13], v[26:27]
	v_fmac_f64_e32 v[30:31], v[14:15], v[24:25]
	v_add_f64 v[32:33], v[28:29], v[30:31]
	scratch_load_dwordx4 v[28:31], off, off offset:560
	v_mul_f64 v[14:15], v[14:15], v[26:27]
	v_fma_f64 v[12:13], v[12:13], v[24:25], -v[14:15]
	v_add_f64 v[12:13], v[16:17], v[12:13]
	;; [unrolled: 8-line block ×3, first 2 shown]
	s_waitcnt vmcnt(0) lgkmcnt(0)
	v_mul_f64 v[38:39], v[4:5], v[34:35]
	v_fmac_f64_e32 v[38:39], v[6:7], v[32:33]
	v_add_f64 v[44:45], v[36:37], v[38:39]
	ds_read_b128 v[36:39], v2 offset:1360
	v_mul_f64 v[6:7], v[6:7], v[34:35]
	v_fma_f64 v[4:5], v[4:5], v[32:33], -v[6:7]
	v_add_f64 v[4:5], v[8:9], v[4:5]
	s_waitcnt lgkmcnt(0)
	v_mul_f64 v[46:47], v[36:37], v[42:43]
	v_fmac_f64_e32 v[46:47], v[38:39], v[40:41]
	v_add_f64 v[52:53], v[44:45], v[46:47]
	ds_read_b128 v[44:47], v2 offset:1376
	v_mul_f64 v[6:7], v[38:39], v[42:43]
	v_fma_f64 v[6:7], v[36:37], v[40:41], -v[6:7]
	v_add_f64 v[4:5], v[4:5], v[6:7]
	s_waitcnt lgkmcnt(0)
	;; [unrolled: 8-line block ×13, first 2 shown]
	v_mul_f64 v[6:7], v[136:137], v[140:141]
	v_fma_f64 v[6:7], v[134:135], v[138:139], -v[6:7]
	v_add_f64 v[8:9], v[4:5], v[6:7]
	scratch_load_dwordx4 v[4:7], off, off offset:512
	v_mul_f64 v[142:143], v[134:135], v[140:141]
	v_fmac_f64_e32 v[142:143], v[136:137], v[138:139]
	v_add_f64 v[72:73], v[72:73], v[142:143]
	s_waitcnt vmcnt(0)
	v_add_f64 v[4:5], v[4:5], -v[8:9]
	v_add_f64 v[6:7], v[6:7], -v[72:73]
	scratch_store_dwordx4 off, v[4:7], off offset:512
	s_and_saveexec_b64 s[0:1], vcc
	s_cbranch_execz .LBB112_247
; %bb.246:
	scratch_load_dwordx4 v[6:9], off, s35
	v_mov_b32_e32 v3, v2
	v_mov_b32_e32 v4, v2
	;; [unrolled: 1-line block ×3, first 2 shown]
	v_accvgpr_read_b32 v0, a99
	scratch_store_dwordx4 off, v[2:5], off offset:496
	s_waitcnt vmcnt(1)
	ds_write_b128 v0, v[6:9]
.LBB112_247:
	s_or_b64 exec, exec, s[0:1]
	s_waitcnt lgkmcnt(0)
	; wave barrier
	ds_read_b128 v[16:19], v2 offset:1280
	ds_read_b128 v[12:15], v2 offset:1296
	;; [unrolled: 1-line block ×4, first 2 shown]
	scratch_load_dwordx4 v[20:23], off, off offset:512
	scratch_load_dwordx4 v[40:43], off, off offset:576
	;; [unrolled: 1-line block ×12, first 2 shown]
	v_cmp_lt_u32_e32 vcc, 29, v240
	scratch_load_dwordx4 v[48:51], off, off offset:592
	scratch_load_dwordx4 v[56:59], off, off offset:608
	;; [unrolled: 1-line block ×3, first 2 shown]
	s_waitcnt vmcnt(14) lgkmcnt(3)
	v_mul_f64 v[24:25], v[16:17], v[22:23]
	v_fmac_f64_e32 v[24:25], v[18:19], v[20:21]
	v_add_f64 v[28:29], v[24:25], 0
	scratch_load_dwordx4 v[24:27], off, off offset:528
	s_waitcnt vmcnt(0) lgkmcnt(2)
	v_mul_f64 v[30:31], v[12:13], v[26:27]
	v_fmac_f64_e32 v[30:31], v[14:15], v[24:25]
	v_add_f64 v[32:33], v[28:29], v[30:31]
	scratch_load_dwordx4 v[28:31], off, off offset:544
	v_mul_f64 v[14:15], v[14:15], v[26:27]
	v_fma_f64 v[12:13], v[12:13], v[24:25], -v[14:15]
	s_waitcnt vmcnt(0) lgkmcnt(1)
	v_mul_f64 v[34:35], v[8:9], v[30:31]
	v_fmac_f64_e32 v[34:35], v[10:11], v[28:29]
	v_add_f64 v[36:37], v[32:33], v[34:35]
	scratch_load_dwordx4 v[32:35], off, off offset:560
	v_mul_f64 v[10:11], v[10:11], v[30:31]
	v_fma_f64 v[8:9], v[8:9], v[28:29], -v[10:11]
	s_waitcnt vmcnt(0) lgkmcnt(0)
	v_mul_f64 v[38:39], v[4:5], v[34:35]
	v_fmac_f64_e32 v[38:39], v[6:7], v[32:33]
	v_add_f64 v[44:45], v[36:37], v[38:39]
	ds_read_b128 v[36:39], v2 offset:1344
	v_mul_f64 v[6:7], v[6:7], v[34:35]
	v_fma_f64 v[4:5], v[4:5], v[32:33], -v[6:7]
	s_waitcnt lgkmcnt(0)
	v_mul_f64 v[46:47], v[36:37], v[42:43]
	v_fmac_f64_e32 v[46:47], v[38:39], v[40:41]
	v_add_f64 v[52:53], v[44:45], v[46:47]
	ds_read_b128 v[44:47], v2 offset:1360
	s_waitcnt lgkmcnt(0)
	v_mul_f64 v[54:55], v[44:45], v[50:51]
	v_fmac_f64_e32 v[54:55], v[46:47], v[48:49]
	v_add_f64 v[60:61], v[52:53], v[54:55]
	ds_read_b128 v[52:55], v2 offset:1376
	s_waitcnt lgkmcnt(0)
	v_mul_f64 v[62:63], v[52:53], v[58:59]
	v_fmac_f64_e32 v[62:63], v[54:55], v[56:57]
	v_add_f64 v[68:69], v[60:61], v[62:63]
	ds_read_b128 v[60:63], v2 offset:1392
	s_waitcnt lgkmcnt(0)
	v_mul_f64 v[70:71], v[60:61], v[66:67]
	v_fmac_f64_e32 v[70:71], v[62:63], v[64:65]
	v_add_f64 v[76:77], v[68:69], v[70:71]
	ds_read_b128 v[68:71], v2 offset:1408
	s_waitcnt lgkmcnt(0)
	v_mul_f64 v[78:79], v[68:69], v[74:75]
	v_fmac_f64_e32 v[78:79], v[70:71], v[72:73]
	v_add_f64 v[80:81], v[76:77], v[78:79]
	ds_read_b128 v[76:79], v2 offset:1424
	s_waitcnt lgkmcnt(0)
	v_mul_f64 v[86:87], v[76:77], v[84:85]
	v_fmac_f64_e32 v[86:87], v[78:79], v[82:83]
	v_add_f64 v[80:81], v[80:81], v[86:87]
	ds_read_b128 v[86:89], v2 offset:1440
	s_waitcnt lgkmcnt(0)
	v_mul_f64 v[94:95], v[86:87], v[92:93]
	v_fmac_f64_e32 v[94:95], v[88:89], v[90:91]
	v_add_f64 v[80:81], v[80:81], v[94:95]
	ds_read_b128 v[94:97], v2 offset:1456
	s_waitcnt lgkmcnt(0)
	v_mul_f64 v[102:103], v[94:95], v[100:101]
	v_fmac_f64_e32 v[102:103], v[96:97], v[98:99]
	v_add_f64 v[80:81], v[80:81], v[102:103]
	ds_read_b128 v[102:105], v2 offset:1472
	s_waitcnt lgkmcnt(0)
	v_mul_f64 v[110:111], v[102:103], v[108:109]
	v_fmac_f64_e32 v[110:111], v[104:105], v[106:107]
	v_add_f64 v[80:81], v[80:81], v[110:111]
	ds_read_b128 v[110:113], v2 offset:1488
	s_waitcnt lgkmcnt(0)
	v_mul_f64 v[118:119], v[110:111], v[116:117]
	v_fmac_f64_e32 v[118:119], v[112:113], v[114:115]
	v_add_f64 v[80:81], v[80:81], v[118:119]
	ds_read_b128 v[118:121], v2 offset:1504
	s_waitcnt lgkmcnt(0)
	v_mul_f64 v[126:127], v[118:119], v[124:125]
	v_fmac_f64_e32 v[126:127], v[120:121], v[122:123]
	v_add_f64 v[80:81], v[80:81], v[126:127]
	ds_read_b128 v[126:129], v2 offset:1520
	s_waitcnt lgkmcnt(0)
	v_mul_f64 v[134:135], v[126:127], v[132:133]
	v_fmac_f64_e32 v[134:135], v[128:129], v[130:131]
	v_add_f64 v[80:81], v[80:81], v[134:135]
	ds_read_b128 v[134:137], v2 offset:1536
	s_waitcnt lgkmcnt(0)
	v_mul_f64 v[142:143], v[134:135], v[140:141]
	v_fmac_f64_e32 v[142:143], v[136:137], v[138:139]
	v_add_f64 v[80:81], v[80:81], v[142:143]
	ds_read_b128 v[142:145], v2 offset:1552
	s_waitcnt lgkmcnt(0)
	v_mul_f64 v[2:3], v[142:143], v[148:149]
	v_fmac_f64_e32 v[2:3], v[144:145], v[146:147]
	v_add_f64 v[80:81], v[80:81], v[2:3]
	v_mul_f64 v[2:3], v[18:19], v[22:23]
	v_fma_f64 v[2:3], v[16:17], v[20:21], -v[2:3]
	v_add_f64 v[2:3], v[2:3], 0
	v_add_f64 v[2:3], v[2:3], v[12:13]
	;; [unrolled: 1-line block ×4, first 2 shown]
	v_mul_f64 v[4:5], v[38:39], v[42:43]
	v_fma_f64 v[4:5], v[36:37], v[40:41], -v[4:5]
	v_add_f64 v[2:3], v[2:3], v[4:5]
	v_mul_f64 v[4:5], v[46:47], v[50:51]
	v_fma_f64 v[4:5], v[44:45], v[48:49], -v[4:5]
	v_add_f64 v[2:3], v[2:3], v[4:5]
	;; [unrolled: 3-line block ×14, first 2 shown]
	scratch_load_dwordx4 v[2:5], off, off offset:496
	s_waitcnt vmcnt(0)
	v_add_f64 v[2:3], v[2:3], -v[6:7]
	v_add_f64 v[4:5], v[4:5], -v[80:81]
	scratch_store_dwordx4 off, v[2:5], off offset:496
	s_and_saveexec_b64 s[0:1], vcc
	s_cbranch_execz .LBB112_249
; %bb.248:
	scratch_load_dwordx4 v[2:5], off, s36
	v_mov_b32_e32 v6, 0
	v_mov_b32_e32 v7, v6
	;; [unrolled: 1-line block ×4, first 2 shown]
	v_accvgpr_read_b32 v0, a99
	scratch_store_dwordx4 off, v[6:9], off offset:480
	s_waitcnt vmcnt(1)
	ds_write_b128 v0, v[2:5]
.LBB112_249:
	s_or_b64 exec, exec, s[0:1]
	v_mov_b32_e32 v2, 0
	s_waitcnt lgkmcnt(0)
	; wave barrier
	ds_read_b128 v[16:19], v2 offset:1264
	ds_read_b128 v[12:15], v2 offset:1280
	;; [unrolled: 1-line block ×4, first 2 shown]
	scratch_load_dwordx4 v[20:23], off, off offset:496
	scratch_load_dwordx4 v[40:43], off, off offset:560
	;; [unrolled: 1-line block ×13, first 2 shown]
	v_cmp_lt_u32_e32 vcc, 28, v240
	scratch_load_dwordx4 v[48:51], off, off offset:576
	scratch_load_dwordx4 v[56:59], off, off offset:592
	;; [unrolled: 1-line block ×3, first 2 shown]
	s_waitcnt vmcnt(15) lgkmcnt(3)
	v_mul_f64 v[24:25], v[16:17], v[22:23]
	v_fmac_f64_e32 v[24:25], v[18:19], v[20:21]
	v_add_f64 v[28:29], v[24:25], 0
	scratch_load_dwordx4 v[24:27], off, off offset:512
	v_mul_f64 v[18:19], v[18:19], v[22:23]
	v_fma_f64 v[16:17], v[16:17], v[20:21], -v[18:19]
	v_add_f64 v[16:17], v[16:17], 0
	s_waitcnt vmcnt(0) lgkmcnt(2)
	v_mul_f64 v[30:31], v[12:13], v[26:27]
	v_fmac_f64_e32 v[30:31], v[14:15], v[24:25]
	v_add_f64 v[32:33], v[28:29], v[30:31]
	scratch_load_dwordx4 v[28:31], off, off offset:528
	v_mul_f64 v[14:15], v[14:15], v[26:27]
	v_fma_f64 v[12:13], v[12:13], v[24:25], -v[14:15]
	v_add_f64 v[12:13], v[16:17], v[12:13]
	;; [unrolled: 8-line block ×3, first 2 shown]
	s_waitcnt vmcnt(0) lgkmcnt(0)
	v_mul_f64 v[38:39], v[4:5], v[34:35]
	v_fmac_f64_e32 v[38:39], v[6:7], v[32:33]
	v_add_f64 v[44:45], v[36:37], v[38:39]
	ds_read_b128 v[36:39], v2 offset:1328
	v_mul_f64 v[6:7], v[6:7], v[34:35]
	v_fma_f64 v[4:5], v[4:5], v[32:33], -v[6:7]
	v_add_f64 v[4:5], v[8:9], v[4:5]
	s_waitcnt lgkmcnt(0)
	v_mul_f64 v[46:47], v[36:37], v[42:43]
	v_fmac_f64_e32 v[46:47], v[38:39], v[40:41]
	v_add_f64 v[52:53], v[44:45], v[46:47]
	ds_read_b128 v[44:47], v2 offset:1344
	v_mul_f64 v[6:7], v[38:39], v[42:43]
	v_fma_f64 v[6:7], v[36:37], v[40:41], -v[6:7]
	v_add_f64 v[4:5], v[4:5], v[6:7]
	s_waitcnt lgkmcnt(0)
	;; [unrolled: 8-line block ×15, first 2 shown]
	v_mul_f64 v[6:7], v[152:153], v[156:157]
	v_fma_f64 v[6:7], v[150:151], v[154:155], -v[6:7]
	v_add_f64 v[8:9], v[4:5], v[6:7]
	scratch_load_dwordx4 v[4:7], off, off offset:480
	v_mul_f64 v[158:159], v[150:151], v[156:157]
	v_fmac_f64_e32 v[158:159], v[152:153], v[154:155]
	v_add_f64 v[88:89], v[88:89], v[158:159]
	s_waitcnt vmcnt(0)
	v_add_f64 v[4:5], v[4:5], -v[8:9]
	v_add_f64 v[6:7], v[6:7], -v[88:89]
	scratch_store_dwordx4 off, v[4:7], off offset:480
	s_and_saveexec_b64 s[0:1], vcc
	s_cbranch_execz .LBB112_251
; %bb.250:
	scratch_load_dwordx4 v[6:9], off, s37
	v_mov_b32_e32 v3, v2
	v_mov_b32_e32 v4, v2
	;; [unrolled: 1-line block ×3, first 2 shown]
	v_accvgpr_read_b32 v0, a99
	scratch_store_dwordx4 off, v[2:5], off offset:464
	s_waitcnt vmcnt(1)
	ds_write_b128 v0, v[6:9]
.LBB112_251:
	s_or_b64 exec, exec, s[0:1]
	s_waitcnt lgkmcnt(0)
	; wave barrier
	ds_read_b128 v[16:19], v2 offset:1248
	ds_read_b128 v[12:15], v2 offset:1264
	;; [unrolled: 1-line block ×4, first 2 shown]
	scratch_load_dwordx4 v[20:23], off, off offset:480
	scratch_load_dwordx4 v[40:43], off, off offset:544
	;; [unrolled: 1-line block ×14, first 2 shown]
	v_cmp_lt_u32_e32 vcc, 27, v240
	scratch_load_dwordx4 v[48:51], off, off offset:560
	scratch_load_dwordx4 v[56:59], off, off offset:576
	;; [unrolled: 1-line block ×3, first 2 shown]
	s_waitcnt vmcnt(16) lgkmcnt(3)
	v_mul_f64 v[24:25], v[16:17], v[22:23]
	v_fmac_f64_e32 v[24:25], v[18:19], v[20:21]
	v_add_f64 v[28:29], v[24:25], 0
	scratch_load_dwordx4 v[24:27], off, off offset:496
	s_waitcnt vmcnt(0) lgkmcnt(2)
	v_mul_f64 v[30:31], v[12:13], v[26:27]
	v_fmac_f64_e32 v[30:31], v[14:15], v[24:25]
	v_add_f64 v[32:33], v[28:29], v[30:31]
	scratch_load_dwordx4 v[28:31], off, off offset:512
	v_mul_f64 v[14:15], v[14:15], v[26:27]
	v_fma_f64 v[12:13], v[12:13], v[24:25], -v[14:15]
	s_waitcnt vmcnt(0) lgkmcnt(1)
	v_mul_f64 v[34:35], v[8:9], v[30:31]
	v_fmac_f64_e32 v[34:35], v[10:11], v[28:29]
	v_add_f64 v[36:37], v[32:33], v[34:35]
	scratch_load_dwordx4 v[32:35], off, off offset:528
	v_mul_f64 v[10:11], v[10:11], v[30:31]
	v_fma_f64 v[8:9], v[8:9], v[28:29], -v[10:11]
	s_waitcnt vmcnt(0) lgkmcnt(0)
	v_mul_f64 v[38:39], v[4:5], v[34:35]
	v_fmac_f64_e32 v[38:39], v[6:7], v[32:33]
	v_add_f64 v[44:45], v[36:37], v[38:39]
	ds_read_b128 v[36:39], v2 offset:1312
	v_mul_f64 v[6:7], v[6:7], v[34:35]
	v_fma_f64 v[4:5], v[4:5], v[32:33], -v[6:7]
	s_waitcnt lgkmcnt(0)
	v_mul_f64 v[46:47], v[36:37], v[42:43]
	v_fmac_f64_e32 v[46:47], v[38:39], v[40:41]
	v_add_f64 v[52:53], v[44:45], v[46:47]
	ds_read_b128 v[44:47], v2 offset:1328
	s_waitcnt lgkmcnt(0)
	v_mul_f64 v[54:55], v[44:45], v[50:51]
	v_fmac_f64_e32 v[54:55], v[46:47], v[48:49]
	v_add_f64 v[60:61], v[52:53], v[54:55]
	ds_read_b128 v[52:55], v2 offset:1344
	;; [unrolled: 5-line block ×15, first 2 shown]
	s_waitcnt lgkmcnt(0)
	v_mul_f64 v[2:3], v[158:159], v[164:165]
	v_fmac_f64_e32 v[2:3], v[160:161], v[162:163]
	v_add_f64 v[96:97], v[96:97], v[2:3]
	v_mul_f64 v[2:3], v[18:19], v[22:23]
	v_fma_f64 v[2:3], v[16:17], v[20:21], -v[2:3]
	v_add_f64 v[2:3], v[2:3], 0
	v_add_f64 v[2:3], v[2:3], v[12:13]
	;; [unrolled: 1-line block ×4, first 2 shown]
	v_mul_f64 v[4:5], v[38:39], v[42:43]
	v_fma_f64 v[4:5], v[36:37], v[40:41], -v[4:5]
	v_add_f64 v[2:3], v[2:3], v[4:5]
	v_mul_f64 v[4:5], v[46:47], v[50:51]
	v_fma_f64 v[4:5], v[44:45], v[48:49], -v[4:5]
	v_add_f64 v[2:3], v[2:3], v[4:5]
	;; [unrolled: 3-line block ×16, first 2 shown]
	scratch_load_dwordx4 v[2:5], off, off offset:464
	s_waitcnt vmcnt(0)
	v_add_f64 v[2:3], v[2:3], -v[6:7]
	v_add_f64 v[4:5], v[4:5], -v[96:97]
	scratch_store_dwordx4 off, v[2:5], off offset:464
	s_and_saveexec_b64 s[0:1], vcc
	s_cbranch_execz .LBB112_253
; %bb.252:
	scratch_load_dwordx4 v[2:5], off, s38
	v_mov_b32_e32 v6, 0
	v_mov_b32_e32 v7, v6
	v_mov_b32_e32 v8, v6
	v_mov_b32_e32 v9, v6
	v_accvgpr_read_b32 v0, a99
	scratch_store_dwordx4 off, v[6:9], off offset:448
	s_waitcnt vmcnt(1)
	ds_write_b128 v0, v[2:5]
.LBB112_253:
	s_or_b64 exec, exec, s[0:1]
	v_mov_b32_e32 v2, 0
	s_waitcnt lgkmcnt(0)
	; wave barrier
	ds_read_b128 v[16:19], v2 offset:1232
	ds_read_b128 v[12:15], v2 offset:1248
	;; [unrolled: 1-line block ×4, first 2 shown]
	scratch_load_dwordx4 v[20:23], off, off offset:464
	scratch_load_dwordx4 v[40:43], off, off offset:528
	;; [unrolled: 1-line block ×15, first 2 shown]
	v_cmp_lt_u32_e32 vcc, 26, v240
	scratch_load_dwordx4 v[48:51], off, off offset:544
	scratch_load_dwordx4 v[56:59], off, off offset:560
	;; [unrolled: 1-line block ×3, first 2 shown]
	s_waitcnt vmcnt(17) lgkmcnt(3)
	v_mul_f64 v[24:25], v[16:17], v[22:23]
	v_fmac_f64_e32 v[24:25], v[18:19], v[20:21]
	v_add_f64 v[28:29], v[24:25], 0
	scratch_load_dwordx4 v[24:27], off, off offset:480
	v_mul_f64 v[18:19], v[18:19], v[22:23]
	v_fma_f64 v[16:17], v[16:17], v[20:21], -v[18:19]
	v_add_f64 v[16:17], v[16:17], 0
	s_waitcnt vmcnt(0) lgkmcnt(2)
	v_mul_f64 v[30:31], v[12:13], v[26:27]
	v_fmac_f64_e32 v[30:31], v[14:15], v[24:25]
	v_add_f64 v[32:33], v[28:29], v[30:31]
	scratch_load_dwordx4 v[28:31], off, off offset:496
	v_mul_f64 v[14:15], v[14:15], v[26:27]
	v_fma_f64 v[12:13], v[12:13], v[24:25], -v[14:15]
	v_add_f64 v[12:13], v[16:17], v[12:13]
	;; [unrolled: 8-line block ×3, first 2 shown]
	s_waitcnt vmcnt(0) lgkmcnt(0)
	v_mul_f64 v[38:39], v[4:5], v[34:35]
	v_fmac_f64_e32 v[38:39], v[6:7], v[32:33]
	v_add_f64 v[44:45], v[36:37], v[38:39]
	ds_read_b128 v[36:39], v2 offset:1296
	v_mul_f64 v[6:7], v[6:7], v[34:35]
	v_fma_f64 v[4:5], v[4:5], v[32:33], -v[6:7]
	v_add_f64 v[4:5], v[8:9], v[4:5]
	s_waitcnt lgkmcnt(0)
	v_mul_f64 v[46:47], v[36:37], v[42:43]
	v_fmac_f64_e32 v[46:47], v[38:39], v[40:41]
	v_add_f64 v[52:53], v[44:45], v[46:47]
	ds_read_b128 v[44:47], v2 offset:1312
	v_mul_f64 v[6:7], v[38:39], v[42:43]
	v_fma_f64 v[6:7], v[36:37], v[40:41], -v[6:7]
	v_add_f64 v[4:5], v[4:5], v[6:7]
	s_waitcnt lgkmcnt(0)
	;; [unrolled: 8-line block ×17, first 2 shown]
	v_mul_f64 v[6:7], v[168:169], v[172:173]
	v_fma_f64 v[6:7], v[166:167], v[170:171], -v[6:7]
	v_add_f64 v[8:9], v[4:5], v[6:7]
	scratch_load_dwordx4 v[4:7], off, off offset:448
	v_mul_f64 v[174:175], v[166:167], v[172:173]
	v_fmac_f64_e32 v[174:175], v[168:169], v[170:171]
	v_add_f64 v[104:105], v[104:105], v[174:175]
	s_waitcnt vmcnt(0)
	v_add_f64 v[4:5], v[4:5], -v[8:9]
	v_add_f64 v[6:7], v[6:7], -v[104:105]
	scratch_store_dwordx4 off, v[4:7], off offset:448
	s_and_saveexec_b64 s[0:1], vcc
	s_cbranch_execz .LBB112_255
; %bb.254:
	scratch_load_dwordx4 v[6:9], off, s39
	v_mov_b32_e32 v3, v2
	v_mov_b32_e32 v4, v2
	;; [unrolled: 1-line block ×3, first 2 shown]
	v_accvgpr_read_b32 v0, a99
	scratch_store_dwordx4 off, v[2:5], off offset:432
	s_waitcnt vmcnt(1)
	ds_write_b128 v0, v[6:9]
.LBB112_255:
	s_or_b64 exec, exec, s[0:1]
	s_waitcnt lgkmcnt(0)
	; wave barrier
	ds_read_b128 v[16:19], v2 offset:1216
	ds_read_b128 v[12:15], v2 offset:1232
	;; [unrolled: 1-line block ×4, first 2 shown]
	scratch_load_dwordx4 v[20:23], off, off offset:448
	scratch_load_dwordx4 v[40:43], off, off offset:512
	;; [unrolled: 1-line block ×16, first 2 shown]
	v_cmp_lt_u32_e32 vcc, 25, v240
	scratch_load_dwordx4 v[48:51], off, off offset:528
	scratch_load_dwordx4 v[56:59], off, off offset:544
	;; [unrolled: 1-line block ×3, first 2 shown]
	s_waitcnt vmcnt(18) lgkmcnt(3)
	v_mul_f64 v[24:25], v[16:17], v[22:23]
	v_fmac_f64_e32 v[24:25], v[18:19], v[20:21]
	v_add_f64 v[28:29], v[24:25], 0
	scratch_load_dwordx4 v[24:27], off, off offset:464
	s_waitcnt vmcnt(0) lgkmcnt(2)
	v_mul_f64 v[30:31], v[12:13], v[26:27]
	v_fmac_f64_e32 v[30:31], v[14:15], v[24:25]
	v_add_f64 v[32:33], v[28:29], v[30:31]
	scratch_load_dwordx4 v[28:31], off, off offset:480
	v_mul_f64 v[14:15], v[14:15], v[26:27]
	v_fma_f64 v[12:13], v[12:13], v[24:25], -v[14:15]
	s_waitcnt vmcnt(0) lgkmcnt(1)
	v_mul_f64 v[34:35], v[8:9], v[30:31]
	v_fmac_f64_e32 v[34:35], v[10:11], v[28:29]
	v_add_f64 v[36:37], v[32:33], v[34:35]
	scratch_load_dwordx4 v[32:35], off, off offset:496
	v_mul_f64 v[10:11], v[10:11], v[30:31]
	v_fma_f64 v[8:9], v[8:9], v[28:29], -v[10:11]
	s_waitcnt vmcnt(0) lgkmcnt(0)
	v_mul_f64 v[38:39], v[4:5], v[34:35]
	v_fmac_f64_e32 v[38:39], v[6:7], v[32:33]
	v_add_f64 v[44:45], v[36:37], v[38:39]
	ds_read_b128 v[36:39], v2 offset:1280
	v_mul_f64 v[6:7], v[6:7], v[34:35]
	v_fma_f64 v[4:5], v[4:5], v[32:33], -v[6:7]
	s_waitcnt lgkmcnt(0)
	v_mul_f64 v[46:47], v[36:37], v[42:43]
	v_fmac_f64_e32 v[46:47], v[38:39], v[40:41]
	v_add_f64 v[52:53], v[44:45], v[46:47]
	ds_read_b128 v[44:47], v2 offset:1296
	s_waitcnt lgkmcnt(0)
	v_mul_f64 v[54:55], v[44:45], v[50:51]
	v_fmac_f64_e32 v[54:55], v[46:47], v[48:49]
	v_add_f64 v[60:61], v[52:53], v[54:55]
	ds_read_b128 v[52:55], v2 offset:1312
	;; [unrolled: 5-line block ×17, first 2 shown]
	s_waitcnt lgkmcnt(0)
	v_mul_f64 v[2:3], v[174:175], v[180:181]
	v_fmac_f64_e32 v[2:3], v[176:177], v[178:179]
	v_add_f64 v[120:121], v[120:121], v[2:3]
	v_mul_f64 v[2:3], v[18:19], v[22:23]
	v_fma_f64 v[2:3], v[16:17], v[20:21], -v[2:3]
	v_add_f64 v[2:3], v[2:3], 0
	v_add_f64 v[2:3], v[2:3], v[12:13]
	v_add_f64 v[2:3], v[2:3], v[8:9]
	v_add_f64 v[2:3], v[2:3], v[4:5]
	v_mul_f64 v[4:5], v[38:39], v[42:43]
	v_fma_f64 v[4:5], v[36:37], v[40:41], -v[4:5]
	v_add_f64 v[2:3], v[2:3], v[4:5]
	v_mul_f64 v[4:5], v[46:47], v[50:51]
	v_fma_f64 v[4:5], v[44:45], v[48:49], -v[4:5]
	v_add_f64 v[2:3], v[2:3], v[4:5]
	;; [unrolled: 3-line block ×18, first 2 shown]
	scratch_load_dwordx4 v[2:5], off, off offset:432
	s_waitcnt vmcnt(0)
	v_add_f64 v[2:3], v[2:3], -v[6:7]
	v_add_f64 v[4:5], v[4:5], -v[120:121]
	scratch_store_dwordx4 off, v[2:5], off offset:432
	s_and_saveexec_b64 s[0:1], vcc
	s_cbranch_execz .LBB112_257
; %bb.256:
	scratch_load_dwordx4 v[2:5], off, s40
	v_mov_b32_e32 v6, 0
	v_mov_b32_e32 v7, v6
	;; [unrolled: 1-line block ×4, first 2 shown]
	v_accvgpr_read_b32 v0, a99
	scratch_store_dwordx4 off, v[6:9], off offset:416
	s_waitcnt vmcnt(1)
	ds_write_b128 v0, v[2:5]
.LBB112_257:
	s_or_b64 exec, exec, s[0:1]
	v_mov_b32_e32 v2, 0
	s_waitcnt lgkmcnt(0)
	; wave barrier
	ds_read_b128 v[16:19], v2 offset:1200
	ds_read_b128 v[12:15], v2 offset:1216
	;; [unrolled: 1-line block ×4, first 2 shown]
	scratch_load_dwordx4 v[20:23], off, off offset:432
	scratch_load_dwordx4 v[40:43], off, off offset:496
	;; [unrolled: 1-line block ×17, first 2 shown]
	v_cmp_lt_u32_e32 vcc, 24, v240
	scratch_load_dwordx4 v[48:51], off, off offset:512
	scratch_load_dwordx4 v[56:59], off, off offset:528
	;; [unrolled: 1-line block ×3, first 2 shown]
	s_waitcnt vmcnt(19) lgkmcnt(3)
	v_mul_f64 v[24:25], v[16:17], v[22:23]
	v_fmac_f64_e32 v[24:25], v[18:19], v[20:21]
	v_add_f64 v[28:29], v[24:25], 0
	scratch_load_dwordx4 v[24:27], off, off offset:448
	v_mul_f64 v[18:19], v[18:19], v[22:23]
	v_fma_f64 v[16:17], v[16:17], v[20:21], -v[18:19]
	v_add_f64 v[16:17], v[16:17], 0
	s_waitcnt vmcnt(0) lgkmcnt(2)
	v_mul_f64 v[30:31], v[12:13], v[26:27]
	v_fmac_f64_e32 v[30:31], v[14:15], v[24:25]
	v_add_f64 v[32:33], v[28:29], v[30:31]
	scratch_load_dwordx4 v[28:31], off, off offset:464
	v_mul_f64 v[14:15], v[14:15], v[26:27]
	v_fma_f64 v[12:13], v[12:13], v[24:25], -v[14:15]
	v_add_f64 v[12:13], v[16:17], v[12:13]
	;; [unrolled: 8-line block ×3, first 2 shown]
	s_waitcnt vmcnt(0) lgkmcnt(0)
	v_mul_f64 v[38:39], v[4:5], v[34:35]
	v_fmac_f64_e32 v[38:39], v[6:7], v[32:33]
	v_add_f64 v[44:45], v[36:37], v[38:39]
	ds_read_b128 v[36:39], v2 offset:1264
	v_mul_f64 v[6:7], v[6:7], v[34:35]
	v_fma_f64 v[4:5], v[4:5], v[32:33], -v[6:7]
	v_add_f64 v[4:5], v[8:9], v[4:5]
	s_waitcnt lgkmcnt(0)
	v_mul_f64 v[46:47], v[36:37], v[42:43]
	v_fmac_f64_e32 v[46:47], v[38:39], v[40:41]
	v_add_f64 v[52:53], v[44:45], v[46:47]
	ds_read_b128 v[44:47], v2 offset:1280
	v_mul_f64 v[6:7], v[38:39], v[42:43]
	v_fma_f64 v[6:7], v[36:37], v[40:41], -v[6:7]
	v_add_f64 v[4:5], v[4:5], v[6:7]
	s_waitcnt lgkmcnt(0)
	;; [unrolled: 8-line block ×19, first 2 shown]
	v_mul_f64 v[6:7], v[184:185], v[188:189]
	v_fma_f64 v[6:7], v[182:183], v[186:187], -v[6:7]
	v_add_f64 v[8:9], v[4:5], v[6:7]
	scratch_load_dwordx4 v[4:7], off, off offset:416
	v_mul_f64 v[190:191], v[182:183], v[188:189]
	v_fmac_f64_e32 v[190:191], v[184:185], v[186:187]
	v_add_f64 v[128:129], v[128:129], v[190:191]
	s_waitcnt vmcnt(0)
	v_add_f64 v[4:5], v[4:5], -v[8:9]
	v_add_f64 v[6:7], v[6:7], -v[128:129]
	scratch_store_dwordx4 off, v[4:7], off offset:416
	s_and_saveexec_b64 s[0:1], vcc
	s_cbranch_execz .LBB112_259
; %bb.258:
	scratch_load_dwordx4 v[6:9], off, s41
	v_mov_b32_e32 v3, v2
	v_mov_b32_e32 v4, v2
	;; [unrolled: 1-line block ×3, first 2 shown]
	v_accvgpr_read_b32 v0, a99
	scratch_store_dwordx4 off, v[2:5], off offset:400
	s_waitcnt vmcnt(1)
	ds_write_b128 v0, v[6:9]
.LBB112_259:
	s_or_b64 exec, exec, s[0:1]
	s_waitcnt lgkmcnt(0)
	; wave barrier
	ds_read_b128 v[16:19], v2 offset:1184
	ds_read_b128 v[12:15], v2 offset:1200
	;; [unrolled: 1-line block ×4, first 2 shown]
	scratch_load_dwordx4 v[20:23], off, off offset:416
	scratch_load_dwordx4 v[40:43], off, off offset:480
	;; [unrolled: 1-line block ×18, first 2 shown]
	v_cmp_lt_u32_e32 vcc, 23, v240
	scratch_load_dwordx4 v[48:51], off, off offset:496
	scratch_load_dwordx4 v[56:59], off, off offset:512
	;; [unrolled: 1-line block ×3, first 2 shown]
	s_waitcnt vmcnt(20) lgkmcnt(3)
	v_mul_f64 v[24:25], v[16:17], v[22:23]
	v_fmac_f64_e32 v[24:25], v[18:19], v[20:21]
	v_add_f64 v[28:29], v[24:25], 0
	scratch_load_dwordx4 v[24:27], off, off offset:432
	s_waitcnt vmcnt(0) lgkmcnt(2)
	v_mul_f64 v[30:31], v[12:13], v[26:27]
	v_fmac_f64_e32 v[30:31], v[14:15], v[24:25]
	v_add_f64 v[32:33], v[28:29], v[30:31]
	scratch_load_dwordx4 v[28:31], off, off offset:448
	v_mul_f64 v[14:15], v[14:15], v[26:27]
	v_fma_f64 v[12:13], v[12:13], v[24:25], -v[14:15]
	s_waitcnt vmcnt(0) lgkmcnt(1)
	v_mul_f64 v[34:35], v[8:9], v[30:31]
	v_fmac_f64_e32 v[34:35], v[10:11], v[28:29]
	v_add_f64 v[36:37], v[32:33], v[34:35]
	scratch_load_dwordx4 v[32:35], off, off offset:464
	v_mul_f64 v[10:11], v[10:11], v[30:31]
	v_fma_f64 v[8:9], v[8:9], v[28:29], -v[10:11]
	s_waitcnt vmcnt(0) lgkmcnt(0)
	v_mul_f64 v[38:39], v[4:5], v[34:35]
	v_fmac_f64_e32 v[38:39], v[6:7], v[32:33]
	v_add_f64 v[44:45], v[36:37], v[38:39]
	ds_read_b128 v[36:39], v2 offset:1248
	v_mul_f64 v[6:7], v[6:7], v[34:35]
	v_fma_f64 v[4:5], v[4:5], v[32:33], -v[6:7]
	s_waitcnt lgkmcnt(0)
	v_mul_f64 v[46:47], v[36:37], v[42:43]
	v_fmac_f64_e32 v[46:47], v[38:39], v[40:41]
	v_add_f64 v[52:53], v[44:45], v[46:47]
	ds_read_b128 v[44:47], v2 offset:1264
	s_waitcnt lgkmcnt(0)
	v_mul_f64 v[54:55], v[44:45], v[50:51]
	v_fmac_f64_e32 v[54:55], v[46:47], v[48:49]
	v_add_f64 v[60:61], v[52:53], v[54:55]
	ds_read_b128 v[52:55], v2 offset:1280
	;; [unrolled: 5-line block ×19, first 2 shown]
	s_waitcnt lgkmcnt(0)
	v_mul_f64 v[2:3], v[190:191], v[196:197]
	v_fmac_f64_e32 v[2:3], v[192:193], v[194:195]
	v_add_f64 v[148:149], v[148:149], v[2:3]
	v_mul_f64 v[2:3], v[18:19], v[22:23]
	v_fma_f64 v[2:3], v[16:17], v[20:21], -v[2:3]
	v_add_f64 v[2:3], v[2:3], 0
	v_add_f64 v[2:3], v[2:3], v[12:13]
	;; [unrolled: 1-line block ×4, first 2 shown]
	v_mul_f64 v[4:5], v[38:39], v[42:43]
	v_fma_f64 v[4:5], v[36:37], v[40:41], -v[4:5]
	v_add_f64 v[2:3], v[2:3], v[4:5]
	v_mul_f64 v[4:5], v[46:47], v[50:51]
	v_fma_f64 v[4:5], v[44:45], v[48:49], -v[4:5]
	v_add_f64 v[2:3], v[2:3], v[4:5]
	;; [unrolled: 3-line block ×20, first 2 shown]
	scratch_load_dwordx4 v[2:5], off, off offset:400
	s_waitcnt vmcnt(0)
	v_add_f64 v[2:3], v[2:3], -v[6:7]
	v_add_f64 v[4:5], v[4:5], -v[148:149]
	scratch_store_dwordx4 off, v[2:5], off offset:400
	s_and_saveexec_b64 s[0:1], vcc
	s_cbranch_execz .LBB112_261
; %bb.260:
	scratch_load_dwordx4 v[2:5], off, s42
	v_mov_b32_e32 v6, 0
	v_mov_b32_e32 v7, v6
	;; [unrolled: 1-line block ×4, first 2 shown]
	v_accvgpr_read_b32 v0, a99
	scratch_store_dwordx4 off, v[6:9], off offset:384
	s_waitcnt vmcnt(1)
	ds_write_b128 v0, v[2:5]
.LBB112_261:
	s_or_b64 exec, exec, s[0:1]
	v_mov_b32_e32 v2, 0
	s_waitcnt lgkmcnt(0)
	; wave barrier
	ds_read_b128 v[16:19], v2 offset:1168
	ds_read_b128 v[12:15], v2 offset:1184
	;; [unrolled: 1-line block ×4, first 2 shown]
	scratch_load_dwordx4 v[20:23], off, off offset:400
	scratch_load_dwordx4 v[40:43], off, off offset:464
	;; [unrolled: 1-line block ×19, first 2 shown]
	v_cmp_lt_u32_e32 vcc, 22, v240
	scratch_load_dwordx4 v[48:51], off, off offset:480
	scratch_load_dwordx4 v[56:59], off, off offset:496
	;; [unrolled: 1-line block ×3, first 2 shown]
	s_waitcnt vmcnt(21) lgkmcnt(3)
	v_mul_f64 v[24:25], v[16:17], v[22:23]
	v_fmac_f64_e32 v[24:25], v[18:19], v[20:21]
	v_add_f64 v[28:29], v[24:25], 0
	scratch_load_dwordx4 v[24:27], off, off offset:416
	v_mul_f64 v[18:19], v[18:19], v[22:23]
	v_fma_f64 v[16:17], v[16:17], v[20:21], -v[18:19]
	v_add_f64 v[16:17], v[16:17], 0
	s_waitcnt vmcnt(0) lgkmcnt(2)
	v_mul_f64 v[30:31], v[12:13], v[26:27]
	v_fmac_f64_e32 v[30:31], v[14:15], v[24:25]
	v_add_f64 v[32:33], v[28:29], v[30:31]
	scratch_load_dwordx4 v[28:31], off, off offset:432
	v_mul_f64 v[14:15], v[14:15], v[26:27]
	v_fma_f64 v[12:13], v[12:13], v[24:25], -v[14:15]
	v_add_f64 v[12:13], v[16:17], v[12:13]
	s_waitcnt vmcnt(0) lgkmcnt(1)
	v_mul_f64 v[34:35], v[8:9], v[30:31]
	v_fmac_f64_e32 v[34:35], v[10:11], v[28:29]
	v_add_f64 v[36:37], v[32:33], v[34:35]
	scratch_load_dwordx4 v[32:35], off, off offset:448
	v_mul_f64 v[10:11], v[10:11], v[30:31]
	v_fma_f64 v[8:9], v[8:9], v[28:29], -v[10:11]
	v_add_f64 v[8:9], v[12:13], v[8:9]
	s_waitcnt vmcnt(0) lgkmcnt(0)
	v_mul_f64 v[38:39], v[4:5], v[34:35]
	v_fmac_f64_e32 v[38:39], v[6:7], v[32:33]
	v_add_f64 v[44:45], v[36:37], v[38:39]
	ds_read_b128 v[36:39], v2 offset:1232
	v_mul_f64 v[6:7], v[6:7], v[34:35]
	v_fma_f64 v[4:5], v[4:5], v[32:33], -v[6:7]
	v_add_f64 v[4:5], v[8:9], v[4:5]
	s_waitcnt lgkmcnt(0)
	v_mul_f64 v[46:47], v[36:37], v[42:43]
	v_fmac_f64_e32 v[46:47], v[38:39], v[40:41]
	v_add_f64 v[52:53], v[44:45], v[46:47]
	ds_read_b128 v[44:47], v2 offset:1248
	v_mul_f64 v[6:7], v[38:39], v[42:43]
	v_fma_f64 v[6:7], v[36:37], v[40:41], -v[6:7]
	v_add_f64 v[4:5], v[4:5], v[6:7]
	s_waitcnt lgkmcnt(0)
	;; [unrolled: 8-line block ×21, first 2 shown]
	v_mul_f64 v[6:7], v[200:201], v[204:205]
	v_fma_f64 v[6:7], v[198:199], v[202:203], -v[6:7]
	v_add_f64 v[8:9], v[4:5], v[6:7]
	scratch_load_dwordx4 v[4:7], off, off offset:384
	v_mul_f64 v[206:207], v[198:199], v[204:205]
	v_fmac_f64_e32 v[206:207], v[200:201], v[202:203]
	v_add_f64 v[144:145], v[144:145], v[206:207]
	s_waitcnt vmcnt(0)
	v_add_f64 v[4:5], v[4:5], -v[8:9]
	v_add_f64 v[6:7], v[6:7], -v[144:145]
	scratch_store_dwordx4 off, v[4:7], off offset:384
	s_and_saveexec_b64 s[0:1], vcc
	s_cbranch_execz .LBB112_263
; %bb.262:
	scratch_load_dwordx4 v[6:9], off, s43
	v_mov_b32_e32 v3, v2
	v_mov_b32_e32 v4, v2
	;; [unrolled: 1-line block ×3, first 2 shown]
	v_accvgpr_read_b32 v0, a99
	scratch_store_dwordx4 off, v[2:5], off offset:368
	s_waitcnt vmcnt(1)
	ds_write_b128 v0, v[6:9]
.LBB112_263:
	s_or_b64 exec, exec, s[0:1]
	s_waitcnt lgkmcnt(0)
	; wave barrier
	ds_read_b128 v[16:19], v2 offset:1152
	ds_read_b128 v[12:15], v2 offset:1168
	;; [unrolled: 1-line block ×4, first 2 shown]
	scratch_load_dwordx4 v[20:23], off, off offset:384
	scratch_load_dwordx4 v[40:43], off, off offset:448
	;; [unrolled: 1-line block ×20, first 2 shown]
	v_cmp_lt_u32_e32 vcc, 21, v240
	scratch_load_dwordx4 v[48:51], off, off offset:464
	scratch_load_dwordx4 v[56:59], off, off offset:480
	;; [unrolled: 1-line block ×3, first 2 shown]
	s_waitcnt vmcnt(22) lgkmcnt(3)
	v_mul_f64 v[24:25], v[16:17], v[22:23]
	v_fmac_f64_e32 v[24:25], v[18:19], v[20:21]
	v_add_f64 v[28:29], v[24:25], 0
	scratch_load_dwordx4 v[24:27], off, off offset:400
	s_waitcnt vmcnt(0) lgkmcnt(2)
	v_mul_f64 v[30:31], v[12:13], v[26:27]
	v_fmac_f64_e32 v[30:31], v[14:15], v[24:25]
	v_add_f64 v[32:33], v[28:29], v[30:31]
	scratch_load_dwordx4 v[28:31], off, off offset:416
	v_mul_f64 v[14:15], v[14:15], v[26:27]
	v_fma_f64 v[12:13], v[12:13], v[24:25], -v[14:15]
	s_waitcnt vmcnt(0) lgkmcnt(1)
	v_mul_f64 v[34:35], v[8:9], v[30:31]
	v_fmac_f64_e32 v[34:35], v[10:11], v[28:29]
	v_add_f64 v[36:37], v[32:33], v[34:35]
	scratch_load_dwordx4 v[32:35], off, off offset:432
	v_mul_f64 v[10:11], v[10:11], v[30:31]
	v_fma_f64 v[8:9], v[8:9], v[28:29], -v[10:11]
	s_waitcnt vmcnt(0) lgkmcnt(0)
	v_mul_f64 v[38:39], v[4:5], v[34:35]
	v_fmac_f64_e32 v[38:39], v[6:7], v[32:33]
	v_add_f64 v[44:45], v[36:37], v[38:39]
	ds_read_b128 v[36:39], v2 offset:1216
	v_mul_f64 v[6:7], v[6:7], v[34:35]
	v_fma_f64 v[4:5], v[4:5], v[32:33], -v[6:7]
	s_waitcnt lgkmcnt(0)
	v_mul_f64 v[46:47], v[36:37], v[42:43]
	v_fmac_f64_e32 v[46:47], v[38:39], v[40:41]
	v_add_f64 v[52:53], v[44:45], v[46:47]
	ds_read_b128 v[44:47], v2 offset:1232
	s_waitcnt lgkmcnt(0)
	v_mul_f64 v[54:55], v[44:45], v[50:51]
	v_fmac_f64_e32 v[54:55], v[46:47], v[48:49]
	v_add_f64 v[60:61], v[52:53], v[54:55]
	ds_read_b128 v[52:55], v2 offset:1248
	;; [unrolled: 5-line block ×21, first 2 shown]
	s_waitcnt lgkmcnt(0)
	v_mul_f64 v[2:3], v[206:207], v[212:213]
	v_fmac_f64_e32 v[2:3], v[208:209], v[210:211]
	v_add_f64 v[168:169], v[168:169], v[2:3]
	v_mul_f64 v[2:3], v[18:19], v[22:23]
	v_fma_f64 v[2:3], v[16:17], v[20:21], -v[2:3]
	v_add_f64 v[2:3], v[2:3], 0
	v_add_f64 v[2:3], v[2:3], v[12:13]
	;; [unrolled: 1-line block ×4, first 2 shown]
	v_mul_f64 v[4:5], v[38:39], v[42:43]
	v_fma_f64 v[4:5], v[36:37], v[40:41], -v[4:5]
	v_add_f64 v[2:3], v[2:3], v[4:5]
	v_mul_f64 v[4:5], v[46:47], v[50:51]
	v_fma_f64 v[4:5], v[44:45], v[48:49], -v[4:5]
	v_add_f64 v[2:3], v[2:3], v[4:5]
	v_mul_f64 v[4:5], v[54:55], v[58:59]
	v_fma_f64 v[4:5], v[52:53], v[56:57], -v[4:5]
	v_add_f64 v[2:3], v[2:3], v[4:5]
	v_mul_f64 v[4:5], v[62:63], v[66:67]
	v_fma_f64 v[4:5], v[60:61], v[64:65], -v[4:5]
	v_add_f64 v[2:3], v[2:3], v[4:5]
	v_mul_f64 v[4:5], v[70:71], v[74:75]
	v_fma_f64 v[4:5], v[68:69], v[72:73], -v[4:5]
	v_add_f64 v[2:3], v[2:3], v[4:5]
	v_mul_f64 v[4:5], v[78:79], v[82:83]
	v_fma_f64 v[4:5], v[76:77], v[80:81], -v[4:5]
	v_add_f64 v[2:3], v[2:3], v[4:5]
	v_mul_f64 v[4:5], v[86:87], v[90:91]
	v_fma_f64 v[4:5], v[84:85], v[88:89], -v[4:5]
	v_add_f64 v[2:3], v[2:3], v[4:5]
	v_mul_f64 v[4:5], v[94:95], v[98:99]
	v_fma_f64 v[4:5], v[92:93], v[96:97], -v[4:5]
	v_add_f64 v[2:3], v[2:3], v[4:5]
	v_mul_f64 v[4:5], v[102:103], v[106:107]
	v_fma_f64 v[4:5], v[100:101], v[104:105], -v[4:5]
	v_add_f64 v[2:3], v[2:3], v[4:5]
	v_mul_f64 v[4:5], v[110:111], v[114:115]
	v_fma_f64 v[4:5], v[108:109], v[112:113], -v[4:5]
	v_add_f64 v[2:3], v[2:3], v[4:5]
	v_mul_f64 v[4:5], v[118:119], v[122:123]
	v_fma_f64 v[4:5], v[116:117], v[120:121], -v[4:5]
	v_add_f64 v[2:3], v[2:3], v[4:5]
	v_mul_f64 v[4:5], v[126:127], v[130:131]
	v_fma_f64 v[4:5], v[124:125], v[128:129], -v[4:5]
	v_add_f64 v[2:3], v[2:3], v[4:5]
	v_mul_f64 v[4:5], v[134:135], v[138:139]
	v_fma_f64 v[4:5], v[132:133], v[136:137], -v[4:5]
	v_add_f64 v[2:3], v[2:3], v[4:5]
	v_mul_f64 v[4:5], v[142:143], v[146:147]
	v_fma_f64 v[4:5], v[140:141], v[144:145], -v[4:5]
	v_add_f64 v[2:3], v[2:3], v[4:5]
	v_mul_f64 v[4:5], v[150:151], v[154:155]
	v_fma_f64 v[4:5], v[148:149], v[152:153], -v[4:5]
	v_add_f64 v[2:3], v[2:3], v[4:5]
	v_mul_f64 v[4:5], v[158:159], v[162:163]
	v_fma_f64 v[4:5], v[156:157], v[160:161], -v[4:5]
	v_add_f64 v[2:3], v[2:3], v[4:5]
	v_mul_f64 v[4:5], v[166:167], v[172:173]
	v_fma_f64 v[4:5], v[164:165], v[170:171], -v[4:5]
	v_add_f64 v[2:3], v[2:3], v[4:5]
	v_mul_f64 v[4:5], v[176:177], v[180:181]
	v_fma_f64 v[4:5], v[174:175], v[178:179], -v[4:5]
	v_add_f64 v[2:3], v[2:3], v[4:5]
	v_mul_f64 v[4:5], v[184:185], v[188:189]
	v_fma_f64 v[4:5], v[182:183], v[186:187], -v[4:5]
	v_add_f64 v[2:3], v[2:3], v[4:5]
	v_mul_f64 v[4:5], v[192:193], v[196:197]
	v_fma_f64 v[4:5], v[190:191], v[194:195], -v[4:5]
	v_add_f64 v[2:3], v[2:3], v[4:5]
	v_mul_f64 v[4:5], v[200:201], v[204:205]
	v_fma_f64 v[4:5], v[198:199], v[202:203], -v[4:5]
	v_add_f64 v[2:3], v[2:3], v[4:5]
	v_mul_f64 v[4:5], v[208:209], v[212:213]
	v_fma_f64 v[4:5], v[206:207], v[210:211], -v[4:5]
	v_add_f64 v[6:7], v[2:3], v[4:5]
	scratch_load_dwordx4 v[2:5], off, off offset:368
	s_waitcnt vmcnt(0)
	v_add_f64 v[2:3], v[2:3], -v[6:7]
	v_add_f64 v[4:5], v[4:5], -v[168:169]
	scratch_store_dwordx4 off, v[2:5], off offset:368
	s_and_saveexec_b64 s[0:1], vcc
	s_cbranch_execz .LBB112_265
; %bb.264:
	scratch_load_dwordx4 v[2:5], off, s44
	v_mov_b32_e32 v6, 0
	v_mov_b32_e32 v7, v6
	;; [unrolled: 1-line block ×4, first 2 shown]
	v_accvgpr_read_b32 v0, a99
	scratch_store_dwordx4 off, v[6:9], off offset:352
	s_waitcnt vmcnt(1)
	ds_write_b128 v0, v[2:5]
.LBB112_265:
	s_or_b64 exec, exec, s[0:1]
	v_mov_b32_e32 v2, 0
	s_waitcnt lgkmcnt(0)
	; wave barrier
	ds_read_b128 v[16:19], v2 offset:1136
	ds_read_b128 v[12:15], v2 offset:1152
	;; [unrolled: 1-line block ×4, first 2 shown]
	scratch_load_dwordx4 v[20:23], off, off offset:368
	scratch_load_dwordx4 v[40:43], off, off offset:432
	;; [unrolled: 1-line block ×21, first 2 shown]
	v_cmp_lt_u32_e32 vcc, 20, v240
	scratch_load_dwordx4 v[48:51], off, off offset:448
	scratch_load_dwordx4 v[56:59], off, off offset:464
	;; [unrolled: 1-line block ×3, first 2 shown]
	s_waitcnt vmcnt(23) lgkmcnt(3)
	v_mul_f64 v[24:25], v[16:17], v[22:23]
	v_fmac_f64_e32 v[24:25], v[18:19], v[20:21]
	v_add_f64 v[28:29], v[24:25], 0
	scratch_load_dwordx4 v[24:27], off, off offset:384
	v_mul_f64 v[18:19], v[18:19], v[22:23]
	v_fma_f64 v[16:17], v[16:17], v[20:21], -v[18:19]
	v_add_f64 v[16:17], v[16:17], 0
	s_waitcnt vmcnt(0) lgkmcnt(2)
	v_mul_f64 v[30:31], v[12:13], v[26:27]
	v_fmac_f64_e32 v[30:31], v[14:15], v[24:25]
	v_add_f64 v[32:33], v[28:29], v[30:31]
	scratch_load_dwordx4 v[28:31], off, off offset:400
	v_mul_f64 v[14:15], v[14:15], v[26:27]
	v_fma_f64 v[12:13], v[12:13], v[24:25], -v[14:15]
	v_add_f64 v[12:13], v[16:17], v[12:13]
	;; [unrolled: 8-line block ×3, first 2 shown]
	s_waitcnt vmcnt(0) lgkmcnt(0)
	v_mul_f64 v[38:39], v[4:5], v[34:35]
	v_fmac_f64_e32 v[38:39], v[6:7], v[32:33]
	v_add_f64 v[44:45], v[36:37], v[38:39]
	ds_read_b128 v[36:39], v2 offset:1200
	v_mul_f64 v[6:7], v[6:7], v[34:35]
	v_fma_f64 v[4:5], v[4:5], v[32:33], -v[6:7]
	v_add_f64 v[4:5], v[8:9], v[4:5]
	s_waitcnt lgkmcnt(0)
	v_mul_f64 v[46:47], v[36:37], v[42:43]
	v_fmac_f64_e32 v[46:47], v[38:39], v[40:41]
	v_add_f64 v[52:53], v[44:45], v[46:47]
	ds_read_b128 v[44:47], v2 offset:1216
	v_mul_f64 v[6:7], v[38:39], v[42:43]
	v_fma_f64 v[6:7], v[36:37], v[40:41], -v[6:7]
	v_add_f64 v[4:5], v[4:5], v[6:7]
	s_waitcnt lgkmcnt(0)
	v_mul_f64 v[54:55], v[44:45], v[50:51]
	v_fmac_f64_e32 v[54:55], v[46:47], v[48:49]
	v_add_f64 v[60:61], v[52:53], v[54:55]
	ds_read_b128 v[52:55], v2 offset:1232
	v_mul_f64 v[6:7], v[46:47], v[50:51]
	v_fma_f64 v[6:7], v[44:45], v[48:49], -v[6:7]
	v_add_f64 v[4:5], v[4:5], v[6:7]
	s_waitcnt lgkmcnt(0)
	v_mul_f64 v[62:63], v[52:53], v[58:59]
	v_fmac_f64_e32 v[62:63], v[54:55], v[56:57]
	v_add_f64 v[68:69], v[60:61], v[62:63]
	ds_read_b128 v[60:63], v2 offset:1248
	v_mul_f64 v[6:7], v[54:55], v[58:59]
	v_fma_f64 v[6:7], v[52:53], v[56:57], -v[6:7]
	v_add_f64 v[4:5], v[4:5], v[6:7]
	s_waitcnt lgkmcnt(0)
	v_mul_f64 v[70:71], v[60:61], v[66:67]
	v_fmac_f64_e32 v[70:71], v[62:63], v[64:65]
	v_add_f64 v[76:77], v[68:69], v[70:71]
	ds_read_b128 v[68:71], v2 offset:1264
	v_mul_f64 v[6:7], v[62:63], v[66:67]
	v_fma_f64 v[6:7], v[60:61], v[64:65], -v[6:7]
	v_add_f64 v[4:5], v[4:5], v[6:7]
	s_waitcnt lgkmcnt(0)
	v_mul_f64 v[78:79], v[68:69], v[74:75]
	v_fmac_f64_e32 v[78:79], v[70:71], v[72:73]
	v_add_f64 v[84:85], v[76:77], v[78:79]
	ds_read_b128 v[76:79], v2 offset:1280
	v_mul_f64 v[6:7], v[70:71], v[74:75]
	v_fma_f64 v[6:7], v[68:69], v[72:73], -v[6:7]
	v_add_f64 v[4:5], v[4:5], v[6:7]
	s_waitcnt lgkmcnt(0)
	v_mul_f64 v[86:87], v[76:77], v[82:83]
	v_fmac_f64_e32 v[86:87], v[78:79], v[80:81]
	v_add_f64 v[92:93], v[84:85], v[86:87]
	ds_read_b128 v[84:87], v2 offset:1296
	v_mul_f64 v[6:7], v[78:79], v[82:83]
	v_fma_f64 v[6:7], v[76:77], v[80:81], -v[6:7]
	v_add_f64 v[4:5], v[4:5], v[6:7]
	s_waitcnt lgkmcnt(0)
	v_mul_f64 v[94:95], v[84:85], v[90:91]
	v_fmac_f64_e32 v[94:95], v[86:87], v[88:89]
	v_add_f64 v[100:101], v[92:93], v[94:95]
	ds_read_b128 v[92:95], v2 offset:1312
	v_mul_f64 v[6:7], v[86:87], v[90:91]
	v_fma_f64 v[6:7], v[84:85], v[88:89], -v[6:7]
	v_add_f64 v[4:5], v[4:5], v[6:7]
	s_waitcnt lgkmcnt(0)
	v_mul_f64 v[102:103], v[92:93], v[98:99]
	v_fmac_f64_e32 v[102:103], v[94:95], v[96:97]
	v_add_f64 v[108:109], v[100:101], v[102:103]
	ds_read_b128 v[100:103], v2 offset:1328
	v_mul_f64 v[6:7], v[94:95], v[98:99]
	v_fma_f64 v[6:7], v[92:93], v[96:97], -v[6:7]
	v_add_f64 v[4:5], v[4:5], v[6:7]
	s_waitcnt lgkmcnt(0)
	v_mul_f64 v[110:111], v[100:101], v[106:107]
	v_fmac_f64_e32 v[110:111], v[102:103], v[104:105]
	v_add_f64 v[116:117], v[108:109], v[110:111]
	ds_read_b128 v[108:111], v2 offset:1344
	v_mul_f64 v[6:7], v[102:103], v[106:107]
	v_fma_f64 v[6:7], v[100:101], v[104:105], -v[6:7]
	v_add_f64 v[4:5], v[4:5], v[6:7]
	s_waitcnt lgkmcnt(0)
	v_mul_f64 v[118:119], v[108:109], v[114:115]
	v_fmac_f64_e32 v[118:119], v[110:111], v[112:113]
	v_add_f64 v[124:125], v[116:117], v[118:119]
	ds_read_b128 v[116:119], v2 offset:1360
	v_mul_f64 v[6:7], v[110:111], v[114:115]
	v_fma_f64 v[6:7], v[108:109], v[112:113], -v[6:7]
	v_add_f64 v[4:5], v[4:5], v[6:7]
	s_waitcnt lgkmcnt(0)
	v_mul_f64 v[126:127], v[116:117], v[122:123]
	v_fmac_f64_e32 v[126:127], v[118:119], v[120:121]
	v_add_f64 v[132:133], v[124:125], v[126:127]
	ds_read_b128 v[124:127], v2 offset:1376
	v_mul_f64 v[6:7], v[118:119], v[122:123]
	v_fma_f64 v[6:7], v[116:117], v[120:121], -v[6:7]
	v_add_f64 v[4:5], v[4:5], v[6:7]
	s_waitcnt lgkmcnt(0)
	v_mul_f64 v[134:135], v[124:125], v[130:131]
	v_fmac_f64_e32 v[134:135], v[126:127], v[128:129]
	v_add_f64 v[140:141], v[132:133], v[134:135]
	ds_read_b128 v[132:135], v2 offset:1392
	v_mul_f64 v[6:7], v[126:127], v[130:131]
	v_fma_f64 v[6:7], v[124:125], v[128:129], -v[6:7]
	v_add_f64 v[4:5], v[4:5], v[6:7]
	s_waitcnt lgkmcnt(0)
	v_mul_f64 v[142:143], v[132:133], v[138:139]
	v_fmac_f64_e32 v[142:143], v[134:135], v[136:137]
	v_add_f64 v[148:149], v[140:141], v[142:143]
	ds_read_b128 v[140:143], v2 offset:1408
	v_mul_f64 v[6:7], v[134:135], v[138:139]
	v_fma_f64 v[6:7], v[132:133], v[136:137], -v[6:7]
	v_add_f64 v[4:5], v[4:5], v[6:7]
	s_waitcnt lgkmcnt(0)
	v_mul_f64 v[150:151], v[140:141], v[146:147]
	v_fmac_f64_e32 v[150:151], v[142:143], v[144:145]
	v_add_f64 v[156:157], v[148:149], v[150:151]
	ds_read_b128 v[148:151], v2 offset:1424
	v_mul_f64 v[6:7], v[142:143], v[146:147]
	v_fma_f64 v[6:7], v[140:141], v[144:145], -v[6:7]
	v_add_f64 v[4:5], v[4:5], v[6:7]
	s_waitcnt lgkmcnt(0)
	v_mul_f64 v[158:159], v[148:149], v[154:155]
	v_fmac_f64_e32 v[158:159], v[150:151], v[152:153]
	v_add_f64 v[160:161], v[156:157], v[158:159]
	ds_read_b128 v[156:159], v2 offset:1440
	v_mul_f64 v[6:7], v[150:151], v[154:155]
	v_fma_f64 v[6:7], v[148:149], v[152:153], -v[6:7]
	v_add_f64 v[4:5], v[4:5], v[6:7]
	s_waitcnt lgkmcnt(0)
	v_mul_f64 v[166:167], v[156:157], v[164:165]
	v_fmac_f64_e32 v[166:167], v[158:159], v[162:163]
	v_add_f64 v[160:161], v[160:161], v[166:167]
	ds_read_b128 v[166:169], v2 offset:1456
	v_mul_f64 v[6:7], v[158:159], v[164:165]
	v_fma_f64 v[6:7], v[156:157], v[162:163], -v[6:7]
	v_add_f64 v[4:5], v[4:5], v[6:7]
	s_waitcnt lgkmcnt(0)
	v_mul_f64 v[174:175], v[166:167], v[172:173]
	v_fmac_f64_e32 v[174:175], v[168:169], v[170:171]
	v_add_f64 v[160:161], v[160:161], v[174:175]
	ds_read_b128 v[174:177], v2 offset:1472
	v_mul_f64 v[6:7], v[168:169], v[172:173]
	v_fma_f64 v[6:7], v[166:167], v[170:171], -v[6:7]
	v_add_f64 v[4:5], v[4:5], v[6:7]
	s_waitcnt lgkmcnt(0)
	v_mul_f64 v[182:183], v[174:175], v[180:181]
	v_fmac_f64_e32 v[182:183], v[176:177], v[178:179]
	v_add_f64 v[160:161], v[160:161], v[182:183]
	ds_read_b128 v[182:185], v2 offset:1488
	v_mul_f64 v[6:7], v[176:177], v[180:181]
	v_fma_f64 v[6:7], v[174:175], v[178:179], -v[6:7]
	v_add_f64 v[4:5], v[4:5], v[6:7]
	s_waitcnt lgkmcnt(0)
	v_mul_f64 v[190:191], v[182:183], v[188:189]
	v_fmac_f64_e32 v[190:191], v[184:185], v[186:187]
	v_add_f64 v[160:161], v[160:161], v[190:191]
	ds_read_b128 v[190:193], v2 offset:1504
	v_mul_f64 v[6:7], v[184:185], v[188:189]
	v_fma_f64 v[6:7], v[182:183], v[186:187], -v[6:7]
	v_add_f64 v[4:5], v[4:5], v[6:7]
	s_waitcnt lgkmcnt(0)
	v_mul_f64 v[198:199], v[190:191], v[196:197]
	v_fmac_f64_e32 v[198:199], v[192:193], v[194:195]
	v_add_f64 v[160:161], v[160:161], v[198:199]
	ds_read_b128 v[198:201], v2 offset:1520
	v_mul_f64 v[6:7], v[192:193], v[196:197]
	v_fma_f64 v[6:7], v[190:191], v[194:195], -v[6:7]
	v_add_f64 v[4:5], v[4:5], v[6:7]
	s_waitcnt lgkmcnt(0)
	v_mul_f64 v[206:207], v[198:199], v[204:205]
	v_fmac_f64_e32 v[206:207], v[200:201], v[202:203]
	v_add_f64 v[160:161], v[160:161], v[206:207]
	ds_read_b128 v[206:209], v2 offset:1536
	v_mul_f64 v[6:7], v[200:201], v[204:205]
	v_fma_f64 v[6:7], v[198:199], v[202:203], -v[6:7]
	v_add_f64 v[4:5], v[4:5], v[6:7]
	s_waitcnt lgkmcnt(0)
	v_mul_f64 v[214:215], v[206:207], v[212:213]
	v_fmac_f64_e32 v[214:215], v[208:209], v[210:211]
	v_add_f64 v[160:161], v[160:161], v[214:215]
	ds_read_b128 v[214:217], v2 offset:1552
	v_mul_f64 v[6:7], v[208:209], v[212:213]
	v_fma_f64 v[6:7], v[206:207], v[210:211], -v[6:7]
	v_add_f64 v[4:5], v[4:5], v[6:7]
	s_waitcnt lgkmcnt(0)
	v_mul_f64 v[6:7], v[216:217], v[220:221]
	v_fma_f64 v[6:7], v[214:215], v[218:219], -v[6:7]
	v_add_f64 v[8:9], v[4:5], v[6:7]
	scratch_load_dwordx4 v[4:7], off, off offset:352
	v_mul_f64 v[222:223], v[214:215], v[220:221]
	v_fmac_f64_e32 v[222:223], v[216:217], v[218:219]
	v_add_f64 v[160:161], v[160:161], v[222:223]
	s_waitcnt vmcnt(0)
	v_add_f64 v[4:5], v[4:5], -v[8:9]
	v_add_f64 v[6:7], v[6:7], -v[160:161]
	scratch_store_dwordx4 off, v[4:7], off offset:352
	s_and_saveexec_b64 s[0:1], vcc
	s_cbranch_execz .LBB112_267
; %bb.266:
	scratch_load_dwordx4 v[6:9], off, s45
	v_mov_b32_e32 v3, v2
	v_mov_b32_e32 v4, v2
	v_mov_b32_e32 v5, v2
	v_accvgpr_read_b32 v0, a99
	scratch_store_dwordx4 off, v[2:5], off offset:336
	s_waitcnt vmcnt(1)
	ds_write_b128 v0, v[6:9]
.LBB112_267:
	s_or_b64 exec, exec, s[0:1]
	s_waitcnt lgkmcnt(0)
	; wave barrier
	ds_read_b128 v[16:19], v2 offset:1120
	ds_read_b128 v[12:15], v2 offset:1136
	;; [unrolled: 1-line block ×4, first 2 shown]
	scratch_load_dwordx4 v[20:23], off, off offset:352
	scratch_load_dwordx4 v[40:43], off, off offset:416
	;; [unrolled: 1-line block ×22, first 2 shown]
	v_cmp_lt_u32_e32 vcc, 19, v240
	scratch_load_dwordx4 v[48:51], off, off offset:432
	scratch_load_dwordx4 v[56:59], off, off offset:448
	;; [unrolled: 1-line block ×3, first 2 shown]
	s_waitcnt vmcnt(24) lgkmcnt(3)
	v_mul_f64 v[24:25], v[16:17], v[22:23]
	v_fmac_f64_e32 v[24:25], v[18:19], v[20:21]
	v_add_f64 v[28:29], v[24:25], 0
	scratch_load_dwordx4 v[24:27], off, off offset:368
	s_waitcnt vmcnt(0) lgkmcnt(2)
	v_mul_f64 v[30:31], v[12:13], v[26:27]
	v_fmac_f64_e32 v[30:31], v[14:15], v[24:25]
	v_add_f64 v[32:33], v[28:29], v[30:31]
	scratch_load_dwordx4 v[28:31], off, off offset:384
	v_mul_f64 v[14:15], v[14:15], v[26:27]
	v_fma_f64 v[12:13], v[12:13], v[24:25], -v[14:15]
	s_waitcnt vmcnt(0) lgkmcnt(1)
	v_mul_f64 v[34:35], v[8:9], v[30:31]
	v_fmac_f64_e32 v[34:35], v[10:11], v[28:29]
	v_add_f64 v[36:37], v[32:33], v[34:35]
	scratch_load_dwordx4 v[32:35], off, off offset:400
	v_mul_f64 v[10:11], v[10:11], v[30:31]
	v_fma_f64 v[8:9], v[8:9], v[28:29], -v[10:11]
	s_waitcnt vmcnt(0) lgkmcnt(0)
	v_mul_f64 v[38:39], v[4:5], v[34:35]
	v_fmac_f64_e32 v[38:39], v[6:7], v[32:33]
	v_add_f64 v[44:45], v[36:37], v[38:39]
	ds_read_b128 v[36:39], v2 offset:1184
	v_mul_f64 v[6:7], v[6:7], v[34:35]
	v_fma_f64 v[4:5], v[4:5], v[32:33], -v[6:7]
	s_waitcnt lgkmcnt(0)
	v_mul_f64 v[46:47], v[36:37], v[42:43]
	v_fmac_f64_e32 v[46:47], v[38:39], v[40:41]
	v_add_f64 v[52:53], v[44:45], v[46:47]
	ds_read_b128 v[44:47], v2 offset:1200
	s_waitcnt lgkmcnt(0)
	v_mul_f64 v[54:55], v[44:45], v[50:51]
	v_fmac_f64_e32 v[54:55], v[46:47], v[48:49]
	v_add_f64 v[60:61], v[52:53], v[54:55]
	ds_read_b128 v[52:55], v2 offset:1216
	s_waitcnt lgkmcnt(0)
	v_mul_f64 v[62:63], v[52:53], v[58:59]
	v_fmac_f64_e32 v[62:63], v[54:55], v[56:57]
	v_add_f64 v[68:69], v[60:61], v[62:63]
	ds_read_b128 v[60:63], v2 offset:1232
	s_waitcnt lgkmcnt(0)
	v_mul_f64 v[70:71], v[60:61], v[66:67]
	v_fmac_f64_e32 v[70:71], v[62:63], v[64:65]
	v_add_f64 v[76:77], v[68:69], v[70:71]
	ds_read_b128 v[68:71], v2 offset:1248
	s_waitcnt lgkmcnt(0)
	v_mul_f64 v[78:79], v[68:69], v[74:75]
	v_fmac_f64_e32 v[78:79], v[70:71], v[72:73]
	v_add_f64 v[84:85], v[76:77], v[78:79]
	ds_read_b128 v[76:79], v2 offset:1264
	s_waitcnt lgkmcnt(0)
	v_mul_f64 v[86:87], v[76:77], v[82:83]
	v_fmac_f64_e32 v[86:87], v[78:79], v[80:81]
	v_add_f64 v[92:93], v[84:85], v[86:87]
	ds_read_b128 v[84:87], v2 offset:1280
	s_waitcnt lgkmcnt(0)
	v_mul_f64 v[94:95], v[84:85], v[90:91]
	v_fmac_f64_e32 v[94:95], v[86:87], v[88:89]
	v_add_f64 v[100:101], v[92:93], v[94:95]
	ds_read_b128 v[92:95], v2 offset:1296
	s_waitcnt lgkmcnt(0)
	v_mul_f64 v[102:103], v[92:93], v[98:99]
	v_fmac_f64_e32 v[102:103], v[94:95], v[96:97]
	v_add_f64 v[108:109], v[100:101], v[102:103]
	ds_read_b128 v[100:103], v2 offset:1312
	s_waitcnt lgkmcnt(0)
	v_mul_f64 v[110:111], v[100:101], v[106:107]
	v_fmac_f64_e32 v[110:111], v[102:103], v[104:105]
	v_add_f64 v[116:117], v[108:109], v[110:111]
	ds_read_b128 v[108:111], v2 offset:1328
	s_waitcnt lgkmcnt(0)
	v_mul_f64 v[118:119], v[108:109], v[114:115]
	v_fmac_f64_e32 v[118:119], v[110:111], v[112:113]
	v_add_f64 v[124:125], v[116:117], v[118:119]
	ds_read_b128 v[116:119], v2 offset:1344
	s_waitcnt lgkmcnt(0)
	v_mul_f64 v[126:127], v[116:117], v[122:123]
	v_fmac_f64_e32 v[126:127], v[118:119], v[120:121]
	v_add_f64 v[132:133], v[124:125], v[126:127]
	ds_read_b128 v[124:127], v2 offset:1360
	s_waitcnt lgkmcnt(0)
	v_mul_f64 v[134:135], v[124:125], v[130:131]
	v_fmac_f64_e32 v[134:135], v[126:127], v[128:129]
	v_add_f64 v[140:141], v[132:133], v[134:135]
	ds_read_b128 v[132:135], v2 offset:1376
	s_waitcnt lgkmcnt(0)
	v_mul_f64 v[142:143], v[132:133], v[138:139]
	v_fmac_f64_e32 v[142:143], v[134:135], v[136:137]
	v_add_f64 v[148:149], v[140:141], v[142:143]
	ds_read_b128 v[140:143], v2 offset:1392
	s_waitcnt lgkmcnt(0)
	v_mul_f64 v[150:151], v[140:141], v[146:147]
	v_fmac_f64_e32 v[150:151], v[142:143], v[144:145]
	v_add_f64 v[156:157], v[148:149], v[150:151]
	ds_read_b128 v[148:151], v2 offset:1408
	s_waitcnt lgkmcnt(0)
	v_mul_f64 v[158:159], v[148:149], v[154:155]
	v_fmac_f64_e32 v[158:159], v[150:151], v[152:153]
	v_add_f64 v[164:165], v[156:157], v[158:159]
	ds_read_b128 v[156:159], v2 offset:1424
	s_waitcnt lgkmcnt(0)
	v_mul_f64 v[166:167], v[156:157], v[162:163]
	v_fmac_f64_e32 v[166:167], v[158:159], v[160:161]
	v_add_f64 v[172:173], v[164:165], v[166:167]
	ds_read_b128 v[164:167], v2 offset:1440
	s_waitcnt lgkmcnt(0)
	v_mul_f64 v[174:175], v[164:165], v[170:171]
	v_fmac_f64_e32 v[174:175], v[166:167], v[168:169]
	v_add_f64 v[176:177], v[172:173], v[174:175]
	ds_read_b128 v[172:175], v2 offset:1456
	s_waitcnt lgkmcnt(0)
	v_mul_f64 v[182:183], v[172:173], v[180:181]
	v_fmac_f64_e32 v[182:183], v[174:175], v[178:179]
	v_add_f64 v[176:177], v[176:177], v[182:183]
	ds_read_b128 v[182:185], v2 offset:1472
	s_waitcnt lgkmcnt(0)
	v_mul_f64 v[190:191], v[182:183], v[188:189]
	v_fmac_f64_e32 v[190:191], v[184:185], v[186:187]
	v_add_f64 v[176:177], v[176:177], v[190:191]
	ds_read_b128 v[190:193], v2 offset:1488
	s_waitcnt lgkmcnt(0)
	v_mul_f64 v[198:199], v[190:191], v[196:197]
	v_fmac_f64_e32 v[198:199], v[192:193], v[194:195]
	v_add_f64 v[176:177], v[176:177], v[198:199]
	ds_read_b128 v[198:201], v2 offset:1504
	s_waitcnt lgkmcnt(0)
	v_mul_f64 v[206:207], v[198:199], v[204:205]
	v_fmac_f64_e32 v[206:207], v[200:201], v[202:203]
	v_add_f64 v[176:177], v[176:177], v[206:207]
	ds_read_b128 v[206:209], v2 offset:1520
	s_waitcnt lgkmcnt(0)
	v_mul_f64 v[214:215], v[206:207], v[212:213]
	v_fmac_f64_e32 v[214:215], v[208:209], v[210:211]
	v_add_f64 v[176:177], v[176:177], v[214:215]
	ds_read_b128 v[214:217], v2 offset:1536
	s_waitcnt lgkmcnt(0)
	v_mul_f64 v[222:223], v[214:215], v[220:221]
	v_fmac_f64_e32 v[222:223], v[216:217], v[218:219]
	v_add_f64 v[176:177], v[176:177], v[222:223]
	ds_read_b128 v[222:225], v2 offset:1552
	s_waitcnt lgkmcnt(0)
	v_mul_f64 v[2:3], v[222:223], v[228:229]
	v_fmac_f64_e32 v[2:3], v[224:225], v[226:227]
	v_add_f64 v[176:177], v[176:177], v[2:3]
	v_mul_f64 v[2:3], v[18:19], v[22:23]
	v_fma_f64 v[2:3], v[16:17], v[20:21], -v[2:3]
	v_add_f64 v[2:3], v[2:3], 0
	v_add_f64 v[2:3], v[2:3], v[12:13]
	;; [unrolled: 1-line block ×4, first 2 shown]
	v_mul_f64 v[4:5], v[38:39], v[42:43]
	v_fma_f64 v[4:5], v[36:37], v[40:41], -v[4:5]
	v_add_f64 v[2:3], v[2:3], v[4:5]
	v_mul_f64 v[4:5], v[46:47], v[50:51]
	v_fma_f64 v[4:5], v[44:45], v[48:49], -v[4:5]
	v_add_f64 v[2:3], v[2:3], v[4:5]
	;; [unrolled: 3-line block ×24, first 2 shown]
	scratch_load_dwordx4 v[2:5], off, off offset:336
	s_waitcnt vmcnt(0)
	v_add_f64 v[2:3], v[2:3], -v[6:7]
	v_add_f64 v[4:5], v[4:5], -v[176:177]
	scratch_store_dwordx4 off, v[2:5], off offset:336
	s_and_saveexec_b64 s[0:1], vcc
	s_cbranch_execz .LBB112_269
; %bb.268:
	scratch_load_dwordx4 v[2:5], off, s46
	v_mov_b32_e32 v6, 0
	v_mov_b32_e32 v7, v6
	;; [unrolled: 1-line block ×4, first 2 shown]
	v_accvgpr_read_b32 v0, a99
	scratch_store_dwordx4 off, v[6:9], off offset:320
	s_waitcnt vmcnt(1)
	ds_write_b128 v0, v[2:5]
.LBB112_269:
	s_or_b64 exec, exec, s[0:1]
	v_mov_b32_e32 v2, 0
	s_waitcnt lgkmcnt(0)
	; wave barrier
	ds_read_b128 v[16:19], v2 offset:1104
	ds_read_b128 v[12:15], v2 offset:1120
	;; [unrolled: 1-line block ×4, first 2 shown]
	scratch_load_dwordx4 v[20:23], off, off offset:336
	scratch_load_dwordx4 v[40:43], off, off offset:400
	;; [unrolled: 1-line block ×23, first 2 shown]
	v_cmp_lt_u32_e32 vcc, 18, v240
	scratch_load_dwordx4 v[48:51], off, off offset:416
	scratch_load_dwordx4 v[56:59], off, off offset:432
	;; [unrolled: 1-line block ×3, first 2 shown]
	s_waitcnt vmcnt(25) lgkmcnt(3)
	v_mul_f64 v[24:25], v[16:17], v[22:23]
	v_fmac_f64_e32 v[24:25], v[18:19], v[20:21]
	v_add_f64 v[28:29], v[24:25], 0
	scratch_load_dwordx4 v[24:27], off, off offset:352
	v_mul_f64 v[18:19], v[18:19], v[22:23]
	v_fma_f64 v[16:17], v[16:17], v[20:21], -v[18:19]
	v_add_f64 v[16:17], v[16:17], 0
	s_waitcnt vmcnt(0) lgkmcnt(2)
	v_mul_f64 v[30:31], v[12:13], v[26:27]
	v_fmac_f64_e32 v[30:31], v[14:15], v[24:25]
	v_add_f64 v[32:33], v[28:29], v[30:31]
	scratch_load_dwordx4 v[28:31], off, off offset:368
	v_mul_f64 v[14:15], v[14:15], v[26:27]
	v_fma_f64 v[12:13], v[12:13], v[24:25], -v[14:15]
	v_add_f64 v[12:13], v[16:17], v[12:13]
	;; [unrolled: 8-line block ×3, first 2 shown]
	s_waitcnt vmcnt(0) lgkmcnt(0)
	v_mul_f64 v[38:39], v[4:5], v[34:35]
	v_fmac_f64_e32 v[38:39], v[6:7], v[32:33]
	v_add_f64 v[44:45], v[36:37], v[38:39]
	ds_read_b128 v[36:39], v2 offset:1168
	v_mul_f64 v[6:7], v[6:7], v[34:35]
	v_fma_f64 v[4:5], v[4:5], v[32:33], -v[6:7]
	v_add_f64 v[4:5], v[8:9], v[4:5]
	s_waitcnt lgkmcnt(0)
	v_mul_f64 v[46:47], v[36:37], v[42:43]
	v_fmac_f64_e32 v[46:47], v[38:39], v[40:41]
	v_add_f64 v[52:53], v[44:45], v[46:47]
	ds_read_b128 v[44:47], v2 offset:1184
	v_mul_f64 v[6:7], v[38:39], v[42:43]
	v_fma_f64 v[6:7], v[36:37], v[40:41], -v[6:7]
	v_add_f64 v[4:5], v[4:5], v[6:7]
	s_waitcnt lgkmcnt(0)
	;; [unrolled: 8-line block ×25, first 2 shown]
	v_mul_f64 v[6:7], v[232:233], v[236:237]
	v_fma_f64 v[6:7], v[230:231], v[234:235], -v[6:7]
	v_add_f64 v[8:9], v[4:5], v[6:7]
	scratch_load_dwordx4 v[4:7], off, off offset:320
	v_mul_f64 v[238:239], v[230:231], v[236:237]
	v_fmac_f64_e32 v[238:239], v[232:233], v[234:235]
	v_add_f64 v[176:177], v[176:177], v[238:239]
	s_waitcnt vmcnt(0)
	v_add_f64 v[4:5], v[4:5], -v[8:9]
	v_add_f64 v[6:7], v[6:7], -v[176:177]
	scratch_store_dwordx4 off, v[4:7], off offset:320
	s_and_saveexec_b64 s[0:1], vcc
	s_cbranch_execz .LBB112_271
; %bb.270:
	scratch_load_dwordx4 v[6:9], off, s47
	v_mov_b32_e32 v3, v2
	v_mov_b32_e32 v4, v2
	;; [unrolled: 1-line block ×3, first 2 shown]
	v_accvgpr_read_b32 v0, a99
	scratch_store_dwordx4 off, v[2:5], off offset:304
	s_waitcnt vmcnt(1)
	ds_write_b128 v0, v[6:9]
.LBB112_271:
	s_or_b64 exec, exec, s[0:1]
	s_waitcnt lgkmcnt(0)
	; wave barrier
	ds_read_b128 v[16:19], v2 offset:1088
	ds_read_b128 v[12:15], v2 offset:1104
	;; [unrolled: 1-line block ×4, first 2 shown]
	scratch_load_dwordx4 v[20:23], off, off offset:320
	scratch_load_dwordx4 v[40:43], off, off offset:384
	;; [unrolled: 1-line block ×24, first 2 shown]
	v_cmp_lt_u32_e32 vcc, 17, v240
	scratch_load_dwordx4 v[48:51], off, off offset:400
	scratch_load_dwordx4 v[56:59], off, off offset:416
	;; [unrolled: 1-line block ×3, first 2 shown]
	ds_read_b128 v[242:245], v2 offset:1552
	s_waitcnt vmcnt(26) lgkmcnt(4)
	v_mul_f64 v[24:25], v[16:17], v[22:23]
	v_fmac_f64_e32 v[24:25], v[18:19], v[20:21]
	v_add_f64 v[28:29], v[24:25], 0
	scratch_load_dwordx4 v[24:27], off, off offset:336
	s_waitcnt vmcnt(0) lgkmcnt(3)
	v_mul_f64 v[30:31], v[12:13], v[26:27]
	v_fmac_f64_e32 v[30:31], v[14:15], v[24:25]
	v_add_f64 v[32:33], v[28:29], v[30:31]
	scratch_load_dwordx4 v[28:31], off, off offset:352
	v_mul_f64 v[14:15], v[14:15], v[26:27]
	v_fma_f64 v[12:13], v[12:13], v[24:25], -v[14:15]
	s_waitcnt vmcnt(0) lgkmcnt(2)
	v_mul_f64 v[34:35], v[8:9], v[30:31]
	v_fmac_f64_e32 v[34:35], v[10:11], v[28:29]
	v_add_f64 v[36:37], v[32:33], v[34:35]
	scratch_load_dwordx4 v[32:35], off, off offset:368
	v_mul_f64 v[10:11], v[10:11], v[30:31]
	v_fma_f64 v[8:9], v[8:9], v[28:29], -v[10:11]
	s_waitcnt vmcnt(0) lgkmcnt(1)
	v_mul_f64 v[38:39], v[4:5], v[34:35]
	v_fmac_f64_e32 v[38:39], v[6:7], v[32:33]
	v_add_f64 v[44:45], v[36:37], v[38:39]
	ds_read_b128 v[36:39], v2 offset:1152
	v_mul_f64 v[6:7], v[6:7], v[34:35]
	v_fma_f64 v[4:5], v[4:5], v[32:33], -v[6:7]
	s_waitcnt lgkmcnt(0)
	v_mul_f64 v[46:47], v[36:37], v[42:43]
	v_fmac_f64_e32 v[46:47], v[38:39], v[40:41]
	v_add_f64 v[52:53], v[44:45], v[46:47]
	ds_read_b128 v[44:47], v2 offset:1168
	s_waitcnt lgkmcnt(0)
	v_mul_f64 v[54:55], v[44:45], v[50:51]
	v_fmac_f64_e32 v[54:55], v[46:47], v[48:49]
	v_add_f64 v[60:61], v[52:53], v[54:55]
	ds_read_b128 v[52:55], v2 offset:1184
	;; [unrolled: 5-line block ×24, first 2 shown]
	v_mul_f64 v[2:3], v[242:243], v[248:249]
	v_fmac_f64_e32 v[2:3], v[244:245], v[246:247]
	s_waitcnt lgkmcnt(0)
	v_mul_f64 v[238:239], v[230:231], v[236:237]
	v_fmac_f64_e32 v[238:239], v[232:233], v[234:235]
	v_add_f64 v[184:185], v[184:185], v[238:239]
	v_add_f64 v[184:185], v[184:185], v[2:3]
	v_mul_f64 v[2:3], v[18:19], v[22:23]
	v_fma_f64 v[2:3], v[16:17], v[20:21], -v[2:3]
	v_add_f64 v[2:3], v[2:3], 0
	v_add_f64 v[2:3], v[2:3], v[12:13]
	;; [unrolled: 1-line block ×4, first 2 shown]
	v_mul_f64 v[4:5], v[38:39], v[42:43]
	v_fma_f64 v[4:5], v[36:37], v[40:41], -v[4:5]
	v_add_f64 v[2:3], v[2:3], v[4:5]
	v_mul_f64 v[4:5], v[46:47], v[50:51]
	v_fma_f64 v[4:5], v[44:45], v[48:49], -v[4:5]
	v_add_f64 v[2:3], v[2:3], v[4:5]
	;; [unrolled: 3-line block ×26, first 2 shown]
	scratch_load_dwordx4 v[2:5], off, off offset:304
	s_waitcnt vmcnt(0)
	v_add_f64 v[2:3], v[2:3], -v[6:7]
	v_add_f64 v[4:5], v[4:5], -v[184:185]
	scratch_store_dwordx4 off, v[2:5], off offset:304
	s_and_saveexec_b64 s[0:1], vcc
	s_cbranch_execz .LBB112_273
; %bb.272:
	scratch_load_dwordx4 v[2:5], off, s48
	v_mov_b32_e32 v6, 0
	v_mov_b32_e32 v7, v6
	;; [unrolled: 1-line block ×4, first 2 shown]
	v_accvgpr_read_b32 v0, a99
	scratch_store_dwordx4 off, v[6:9], off offset:288
	s_waitcnt vmcnt(1)
	ds_write_b128 v0, v[2:5]
.LBB112_273:
	s_or_b64 exec, exec, s[0:1]
	s_waitcnt lgkmcnt(0)
	; wave barrier
	scratch_load_dwordx4 v[16:19], off, off offset:304
	scratch_load_dwordx4 v[12:15], off, off offset:320
	;; [unrolled: 1-line block ×32, first 2 shown]
	v_mov_b32_e32 v2, 0
	ds_read_b128 v[132:135], v2 offset:1072
	ds_read_b128 v[136:139], v2 offset:1088
	ds_read_b128 v[140:143], v2 offset:1104
	ds_read_b128 v[144:147], v2 offset:1120
	ds_read_b128 v[148:151], v2 offset:1136
	ds_read_b128 v[152:155], v2 offset:1152
	ds_read_b128 v[156:159], v2 offset:1168
	ds_read_b128 v[160:163], v2 offset:1184
	ds_read_b128 v[164:167], v2 offset:1200
	ds_read_b128 v[168:171], v2 offset:1216
	ds_read_b128 v[172:175], v2 offset:1232
	ds_read_b128 v[176:179], v2 offset:1248
	ds_read_b128 v[180:183], v2 offset:1264
	ds_read_b128 v[184:187], v2 offset:1280
	ds_read_b128 v[188:191], v2 offset:1296
	ds_read_b128 v[192:195], v2 offset:1312
	ds_read_b128 v[196:199], v2 offset:1328
	v_cmp_lt_u32_e32 vcc, 16, v240
	s_waitcnt vmcnt(31) lgkmcnt(14)
	v_mul_f64 v[200:201], v[132:133], v[18:19]
	s_waitcnt vmcnt(30)
	v_mul_f64 v[202:203], v[136:137], v[14:15]
	v_fmac_f64_e32 v[200:201], v[134:135], v[16:17]
	s_waitcnt vmcnt(29)
	v_mul_f64 v[204:205], v[140:141], v[10:11]
	v_fmac_f64_e32 v[202:203], v[138:139], v[12:13]
	v_add_f64 v[200:201], v[200:201], 0
	s_waitcnt vmcnt(28) lgkmcnt(13)
	v_mul_f64 v[206:207], v[144:145], v[6:7]
	v_fmac_f64_e32 v[204:205], v[142:143], v[8:9]
	v_add_f64 v[200:201], v[200:201], v[202:203]
	s_waitcnt vmcnt(27) lgkmcnt(12)
	v_mul_f64 v[208:209], v[148:149], v[22:23]
	v_fmac_f64_e32 v[206:207], v[146:147], v[4:5]
	v_add_f64 v[200:201], v[200:201], v[204:205]
	s_waitcnt vmcnt(26) lgkmcnt(11)
	v_mul_f64 v[210:211], v[152:153], v[26:27]
	v_fmac_f64_e32 v[208:209], v[150:151], v[20:21]
	v_add_f64 v[200:201], v[200:201], v[206:207]
	s_waitcnt vmcnt(25) lgkmcnt(10)
	v_mul_f64 v[212:213], v[156:157], v[30:31]
	v_fmac_f64_e32 v[210:211], v[154:155], v[24:25]
	v_add_f64 v[200:201], v[200:201], v[208:209]
	s_waitcnt vmcnt(24) lgkmcnt(9)
	v_mul_f64 v[214:215], v[160:161], v[34:35]
	v_fmac_f64_e32 v[212:213], v[158:159], v[28:29]
	v_add_f64 v[200:201], v[200:201], v[210:211]
	s_waitcnt vmcnt(23) lgkmcnt(8)
	v_mul_f64 v[216:217], v[164:165], v[38:39]
	v_fmac_f64_e32 v[214:215], v[162:163], v[32:33]
	v_add_f64 v[200:201], v[200:201], v[212:213]
	s_waitcnt vmcnt(22) lgkmcnt(7)
	v_mul_f64 v[218:219], v[168:169], v[42:43]
	v_fmac_f64_e32 v[216:217], v[166:167], v[36:37]
	v_add_f64 v[200:201], v[200:201], v[214:215]
	s_waitcnt vmcnt(21) lgkmcnt(6)
	v_mul_f64 v[220:221], v[172:173], v[46:47]
	v_fmac_f64_e32 v[218:219], v[170:171], v[40:41]
	v_add_f64 v[200:201], v[200:201], v[216:217]
	s_waitcnt vmcnt(20) lgkmcnt(5)
	v_mul_f64 v[222:223], v[176:177], v[50:51]
	v_fmac_f64_e32 v[220:221], v[174:175], v[44:45]
	v_add_f64 v[200:201], v[200:201], v[218:219]
	s_waitcnt vmcnt(19) lgkmcnt(4)
	v_mul_f64 v[224:225], v[180:181], v[54:55]
	v_fmac_f64_e32 v[222:223], v[178:179], v[48:49]
	v_add_f64 v[200:201], v[200:201], v[220:221]
	s_waitcnt vmcnt(18) lgkmcnt(3)
	v_mul_f64 v[226:227], v[184:185], v[58:59]
	v_fmac_f64_e32 v[224:225], v[182:183], v[52:53]
	v_add_f64 v[200:201], v[200:201], v[222:223]
	s_waitcnt vmcnt(17) lgkmcnt(2)
	v_mul_f64 v[228:229], v[188:189], v[62:63]
	v_fmac_f64_e32 v[226:227], v[186:187], v[56:57]
	v_add_f64 v[200:201], v[200:201], v[224:225]
	v_fmac_f64_e32 v[228:229], v[190:191], v[60:61]
	v_add_f64 v[200:201], v[200:201], v[226:227]
	s_waitcnt vmcnt(16) lgkmcnt(1)
	v_mul_f64 v[202:203], v[192:193], v[66:67]
	v_add_f64 v[200:201], v[200:201], v[228:229]
	v_fmac_f64_e32 v[202:203], v[194:195], v[64:65]
	s_waitcnt vmcnt(15) lgkmcnt(0)
	v_mul_f64 v[206:207], v[196:197], v[70:71]
	v_add_f64 v[204:205], v[200:201], v[202:203]
	ds_read_b128 v[200:203], v2 offset:1344
	v_fmac_f64_e32 v[206:207], v[198:199], v[68:69]
	v_add_f64 v[208:209], v[204:205], v[206:207]
	ds_read_b128 v[204:207], v2 offset:1360
	v_mul_f64 v[18:19], v[134:135], v[18:19]
	s_waitcnt vmcnt(14) lgkmcnt(1)
	v_mul_f64 v[210:211], v[200:201], v[74:75]
	v_fmac_f64_e32 v[210:211], v[202:203], v[72:73]
	v_add_f64 v[212:213], v[208:209], v[210:211]
	s_waitcnt vmcnt(13) lgkmcnt(0)
	v_mul_f64 v[214:215], v[204:205], v[78:79]
	ds_read_b128 v[208:211], v2 offset:1376
	v_fmac_f64_e32 v[214:215], v[206:207], v[76:77]
	v_add_f64 v[216:217], v[212:213], v[214:215]
	ds_read_b128 v[212:215], v2 offset:1392
	v_fma_f64 v[244:245], v[132:133], v[16:17], -v[18:19]
	s_waitcnt vmcnt(12) lgkmcnt(1)
	v_mul_f64 v[218:219], v[208:209], v[82:83]
	v_fmac_f64_e32 v[218:219], v[210:211], v[80:81]
	v_add_f64 v[220:221], v[216:217], v[218:219]
	s_waitcnt vmcnt(11) lgkmcnt(0)
	v_mul_f64 v[222:223], v[212:213], v[86:87]
	ds_read_b128 v[216:219], v2 offset:1408
	v_fmac_f64_e32 v[222:223], v[214:215], v[84:85]
	v_add_f64 v[224:225], v[220:221], v[222:223]
	ds_read_b128 v[220:223], v2 offset:1424
	ds_read_b128 v[16:19], v2 offset:1504
	s_waitcnt vmcnt(10) lgkmcnt(2)
	v_mul_f64 v[226:227], v[216:217], v[90:91]
	v_fmac_f64_e32 v[226:227], v[218:219], v[88:89]
	v_add_f64 v[228:229], v[224:225], v[226:227]
	s_waitcnt vmcnt(9) lgkmcnt(1)
	v_mul_f64 v[230:231], v[220:221], v[94:95]
	ds_read_b128 v[224:227], v2 offset:1440
	v_fmac_f64_e32 v[230:231], v[222:223], v[92:93]
	v_add_f64 v[232:233], v[228:229], v[230:231]
	ds_read_b128 v[228:231], v2 offset:1456
	v_mul_f64 v[14:15], v[138:139], v[14:15]
	s_waitcnt vmcnt(8) lgkmcnt(1)
	v_mul_f64 v[234:235], v[224:225], v[98:99]
	v_fmac_f64_e32 v[234:235], v[226:227], v[96:97]
	v_add_f64 v[236:237], v[232:233], v[234:235]
	s_waitcnt vmcnt(7) lgkmcnt(0)
	v_mul_f64 v[238:239], v[228:229], v[102:103]
	ds_read_b128 v[232:235], v2 offset:1472
	v_fmac_f64_e32 v[238:239], v[230:231], v[100:101]
	v_add_f64 v[242:243], v[236:237], v[238:239]
	ds_read_b128 v[236:239], v2 offset:1488
	v_fma_f64 v[136:137], v[136:137], v[12:13], -v[14:15]
	s_waitcnt vmcnt(6) lgkmcnt(1)
	v_mul_f64 v[132:133], v[232:233], v[106:107]
	v_fmac_f64_e32 v[132:133], v[234:235], v[104:105]
	v_add_f64 v[132:133], v[242:243], v[132:133]
	s_waitcnt vmcnt(5) lgkmcnt(0)
	v_mul_f64 v[134:135], v[236:237], v[110:111]
	v_fmac_f64_e32 v[134:135], v[238:239], v[108:109]
	v_add_f64 v[132:133], v[132:133], v[134:135]
	ds_read_b128 v[12:15], v2 offset:1520
	s_waitcnt vmcnt(4)
	v_mul_f64 v[134:135], v[16:17], v[114:115]
	v_fmac_f64_e32 v[134:135], v[18:19], v[112:113]
	v_add_f64 v[138:139], v[132:133], v[134:135]
	ds_read_b128 v[132:135], v2 offset:1536
	v_mul_f64 v[10:11], v[142:143], v[10:11]
	v_fma_f64 v[140:141], v[140:141], v[8:9], -v[10:11]
	ds_read_b128 v[8:11], v2 offset:1552
	s_waitcnt vmcnt(3) lgkmcnt(2)
	v_mul_f64 v[142:143], v[12:13], v[118:119]
	v_fmac_f64_e32 v[142:143], v[14:15], v[116:117]
	v_add_f64 v[138:139], v[138:139], v[142:143]
	s_waitcnt vmcnt(2) lgkmcnt(1)
	v_mul_f64 v[142:143], v[132:133], v[122:123]
	v_fmac_f64_e32 v[142:143], v[134:135], v[120:121]
	v_add_f64 v[138:139], v[138:139], v[142:143]
	;; [unrolled: 4-line block ×3, first 2 shown]
	v_add_f64 v[142:143], v[244:245], 0
	v_add_f64 v[136:137], v[142:143], v[136:137]
	v_mul_f64 v[6:7], v[146:147], v[6:7]
	v_add_f64 v[136:137], v[136:137], v[140:141]
	v_fma_f64 v[4:5], v[144:145], v[4:5], -v[6:7]
	v_mul_f64 v[6:7], v[150:151], v[22:23]
	v_add_f64 v[4:5], v[136:137], v[4:5]
	v_fma_f64 v[6:7], v[148:149], v[20:21], -v[6:7]
	v_add_f64 v[4:5], v[4:5], v[6:7]
	v_mul_f64 v[6:7], v[154:155], v[26:27]
	v_fma_f64 v[6:7], v[152:153], v[24:25], -v[6:7]
	v_add_f64 v[4:5], v[4:5], v[6:7]
	v_mul_f64 v[6:7], v[158:159], v[30:31]
	;; [unrolled: 3-line block ×26, first 2 shown]
	v_fma_f64 v[6:7], v[8:9], v[124:125], -v[6:7]
	v_add_f64 v[4:5], v[4:5], v[6:7]
	s_waitcnt vmcnt(0)
	v_add_f64 v[4:5], v[128:129], -v[4:5]
	v_add_f64 v[6:7], v[130:131], -v[138:139]
	scratch_store_dwordx4 off, v[4:7], off offset:288
	s_and_saveexec_b64 s[0:1], vcc
	s_cbranch_execz .LBB112_275
; %bb.274:
	scratch_load_dwordx4 v[6:9], off, s49
	v_mov_b32_e32 v3, v2
	v_mov_b32_e32 v4, v2
	;; [unrolled: 1-line block ×3, first 2 shown]
	v_accvgpr_read_b32 v0, a99
	scratch_store_dwordx4 off, v[2:5], off offset:272
	s_waitcnt vmcnt(1)
	ds_write_b128 v0, v[6:9]
.LBB112_275:
	s_or_b64 exec, exec, s[0:1]
	s_waitcnt lgkmcnt(0)
	; wave barrier
	scratch_load_dwordx4 v[140:143], off, off offset:288
	scratch_load_dwordx4 v[148:151], off, off offset:304
	;; [unrolled: 1-line block ×16, first 2 shown]
	ds_read_b128 v[188:191], v2 offset:1056
	ds_read_b128 v[184:187], v2 offset:1072
	scratch_load_dwordx4 v[56:59], off, off offset:544
	ds_read_b128 v[192:195], v2 offset:1088
	ds_read_b128 v[68:71], v2 offset:1104
	scratch_load_dwordx4 v[60:63], off, off offset:560
	ds_read_b128 v[88:91], v2 offset:1120
	ds_read_b128 v[84:87], v2 offset:1136
	;; [unrolled: 1-line block ×4, first 2 shown]
	scratch_load_dwordx4 v[64:67], off, off offset:576
	ds_read_b128 v[100:103], v2 offset:1184
	ds_read_b128 v[96:99], v2 offset:1200
	scratch_load_dwordx4 v[72:75], off, off offset:592
	ds_read_b128 v[116:119], v2 offset:1216
	ds_read_b128 v[112:115], v2 offset:1232
	;; [unrolled: 1-line block ×4, first 2 shown]
	scratch_load_dwordx4 v[92:95], off, off offset:608
	ds_read_b128 v[132:135], v2 offset:1280
	ds_read_b128 v[128:131], v2 offset:1296
	;; [unrolled: 1-line block ×3, first 2 shown]
	scratch_load_dwordx4 v[120:123], off, off offset:624
	scratch_load_dwordx4 v[136:139], off, off offset:640
	scratch_load_dwordx4 v[144:147], off, off offset:656
	scratch_load_dwordx4 v[156:159], off, off offset:672
	scratch_load_dwordx4 v[160:163], off, off offset:688
	scratch_load_dwordx4 v[164:167], off, off offset:704
	scratch_load_dwordx4 v[168:171], off, off offset:720
	scratch_load_dwordx4 v[172:175], off, off offset:736
	scratch_load_dwordx4 v[176:179], off, off offset:752
	scratch_load_dwordx4 v[180:183], off, off offset:768
	scratch_load_dwordx4 v[196:199], off, off offset:784
	v_cmp_lt_u32_e32 vcc, 15, v240
	s_waitcnt vmcnt(31) lgkmcnt(14)
	v_mul_f64 v[200:201], v[188:189], v[142:143]
	s_waitcnt vmcnt(30)
	v_mul_f64 v[202:203], v[184:185], v[150:151]
	v_fmac_f64_e32 v[200:201], v[190:191], v[140:141]
	s_waitcnt vmcnt(29)
	v_mul_f64 v[204:205], v[192:193], v[154:155]
	v_fmac_f64_e32 v[202:203], v[186:187], v[148:149]
	v_add_f64 v[200:201], v[200:201], 0
	s_waitcnt vmcnt(28) lgkmcnt(13)
	v_mul_f64 v[206:207], v[68:69], v[6:7]
	v_fmac_f64_e32 v[204:205], v[194:195], v[152:153]
	v_add_f64 v[200:201], v[200:201], v[202:203]
	s_waitcnt vmcnt(27) lgkmcnt(12)
	;; [unrolled: 4-line block ×13, first 2 shown]
	v_mul_f64 v[230:231], v[128:129], v[54:55]
	v_fmac_f64_e32 v[228:229], v[134:135], v[48:49]
	v_add_f64 v[200:201], v[200:201], v[226:227]
	v_add_f64 v[200:201], v[200:201], v[228:229]
	v_fmac_f64_e32 v[230:231], v[130:131], v[52:53]
	v_add_f64 v[204:205], v[200:201], v[230:231]
	ds_read_b128 v[200:203], v2 offset:1328
	s_waitcnt vmcnt(15) lgkmcnt(1)
	v_mul_f64 v[206:207], v[124:125], v[58:59]
	v_fmac_f64_e32 v[206:207], v[126:127], v[56:57]
	v_add_f64 v[208:209], v[204:205], v[206:207]
	ds_read_b128 v[204:207], v2 offset:1344
	s_waitcnt vmcnt(14) lgkmcnt(1)
	v_mul_f64 v[210:211], v[200:201], v[62:63]
	;; [unrolled: 5-line block ×10, first 2 shown]
	v_fmac_f64_e32 v[244:245], v[234:235], v[160:161]
	v_mul_f64 v[142:143], v[190:191], v[142:143]
	v_add_f64 v[244:245], v[242:243], v[244:245]
	v_fma_f64 v[242:243], v[188:189], v[140:141], -v[142:143]
	ds_read_b128 v[140:143], v2 offset:1488
	s_waitcnt vmcnt(5) lgkmcnt(1)
	v_mul_f64 v[188:189], v[236:237], v[166:167]
	v_fmac_f64_e32 v[188:189], v[238:239], v[164:165]
	v_mul_f64 v[150:151], v[186:187], v[150:151]
	v_add_f64 v[188:189], v[244:245], v[188:189]
	v_fma_f64 v[244:245], v[184:185], v[148:149], -v[150:151]
	ds_read_b128 v[148:151], v2 offset:1504
	s_waitcnt vmcnt(4) lgkmcnt(1)
	v_mul_f64 v[184:185], v[140:141], v[170:171]
	v_fmac_f64_e32 v[184:185], v[142:143], v[168:169]
	v_add_f64 v[188:189], v[188:189], v[184:185]
	ds_read_b128 v[184:187], v2 offset:1520
	v_mul_f64 v[154:155], v[194:195], v[154:155]
	s_waitcnt vmcnt(3) lgkmcnt(1)
	v_mul_f64 v[190:191], v[148:149], v[174:175]
	v_fma_f64 v[248:249], v[192:193], v[152:153], -v[154:155]
	ds_read_b128 v[152:155], v2 offset:1536
	v_fmac_f64_e32 v[190:191], v[150:151], v[172:173]
	v_add_f64 v[246:247], v[188:189], v[190:191]
	ds_read_b128 v[188:191], v2 offset:1552
	s_waitcnt vmcnt(2) lgkmcnt(2)
	v_mul_f64 v[192:193], v[184:185], v[178:179]
	v_fmac_f64_e32 v[192:193], v[186:187], v[176:177]
	v_add_f64 v[2:3], v[246:247], v[192:193]
	s_waitcnt vmcnt(1) lgkmcnt(1)
	v_mul_f64 v[192:193], v[152:153], v[182:183]
	v_fmac_f64_e32 v[192:193], v[154:155], v[180:181]
	v_add_f64 v[2:3], v[2:3], v[192:193]
	;; [unrolled: 4-line block ×3, first 2 shown]
	scratch_load_dwordx4 v[192:195], off, off offset:272
	v_add_f64 v[242:243], v[242:243], 0
	v_add_f64 v[242:243], v[242:243], v[244:245]
	v_mul_f64 v[6:7], v[70:71], v[6:7]
	v_add_f64 v[242:243], v[242:243], v[248:249]
	v_fma_f64 v[4:5], v[68:69], v[4:5], -v[6:7]
	v_mul_f64 v[6:7], v[90:91], v[10:11]
	v_add_f64 v[4:5], v[242:243], v[4:5]
	v_fma_f64 v[6:7], v[88:89], v[8:9], -v[6:7]
	v_add_f64 v[4:5], v[4:5], v[6:7]
	v_mul_f64 v[6:7], v[86:87], v[14:15]
	v_fma_f64 v[6:7], v[84:85], v[12:13], -v[6:7]
	v_add_f64 v[4:5], v[4:5], v[6:7]
	v_mul_f64 v[6:7], v[82:83], v[18:19]
	;; [unrolled: 3-line block ×27, first 2 shown]
	v_fma_f64 v[6:7], v[188:189], v[196:197], -v[6:7]
	v_add_f64 v[4:5], v[4:5], v[6:7]
	s_waitcnt vmcnt(0)
	v_add_f64 v[4:5], v[192:193], -v[4:5]
	v_add_f64 v[6:7], v[194:195], -v[2:3]
	scratch_store_dwordx4 off, v[4:7], off offset:272
	s_and_saveexec_b64 s[0:1], vcc
	s_cbranch_execz .LBB112_277
; %bb.276:
	scratch_load_dwordx4 v[2:5], off, s50
	v_mov_b32_e32 v6, 0
	v_mov_b32_e32 v7, v6
	;; [unrolled: 1-line block ×4, first 2 shown]
	v_accvgpr_read_b32 v0, a99
	scratch_store_dwordx4 off, v[6:9], off offset:256
	s_waitcnt vmcnt(1)
	ds_write_b128 v0, v[2:5]
.LBB112_277:
	s_or_b64 exec, exec, s[0:1]
	s_waitcnt lgkmcnt(0)
	; wave barrier
	scratch_load_dwordx4 v[108:111], off, off offset:272
	scratch_load_dwordx4 v[116:119], off, off offset:288
	;; [unrolled: 1-line block ×33, first 2 shown]
	v_mov_b32_e32 v2, 0
	ds_read_b128 v[220:223], v2 offset:1040
	ds_read_b128 v[224:227], v2 offset:1056
	;; [unrolled: 1-line block ×16, first 2 shown]
	v_cmp_lt_u32_e32 vcc, 14, v240
	s_waitcnt vmcnt(32) lgkmcnt(14)
	v_mul_f64 v[180:181], v[220:221], v[110:111]
	s_waitcnt vmcnt(31)
	v_mul_f64 v[182:183], v[224:225], v[118:119]
	v_fmac_f64_e32 v[180:181], v[222:223], v[108:109]
	s_waitcnt vmcnt(30) lgkmcnt(13)
	v_mul_f64 v[184:185], v[234:235], v[122:123]
	v_fmac_f64_e32 v[182:183], v[226:227], v[116:117]
	v_add_f64 v[180:181], v[180:181], 0
	s_waitcnt vmcnt(29) lgkmcnt(12)
	v_mul_f64 v[186:187], v[242:243], v[126:127]
	v_fmac_f64_e32 v[184:185], v[236:237], v[120:121]
	v_add_f64 v[180:181], v[180:181], v[182:183]
	;; [unrolled: 4-line block ×13, first 2 shown]
	v_fmac_f64_e32 v[208:209], v[142:143], v[40:41]
	v_add_f64 v[180:181], v[180:181], v[206:207]
	v_add_f64 v[184:185], v[180:181], v[208:209]
	ds_read_b128 v[180:183], v2 offset:1296
	s_waitcnt vmcnt(17) lgkmcnt(1)
	v_mul_f64 v[186:187], v[136:137], v[46:47]
	v_fmac_f64_e32 v[186:187], v[138:139], v[44:45]
	v_add_f64 v[188:189], v[184:185], v[186:187]
	ds_read_b128 v[184:187], v2 offset:1312
	s_waitcnt vmcnt(16) lgkmcnt(1)
	v_mul_f64 v[190:191], v[180:181], v[50:51]
	v_fmac_f64_e32 v[190:191], v[182:183], v[48:49]
	;; [unrolled: 5-line block ×10, first 2 shown]
	v_mul_f64 v[110:111], v[222:223], v[110:111]
	v_add_f64 v[228:229], v[228:229], v[230:231]
	v_fma_f64 v[230:231], v[220:221], v[108:109], -v[110:111]
	ds_read_b128 v[108:111], v2 offset:1456
	s_waitcnt vmcnt(7) lgkmcnt(1)
	v_mul_f64 v[220:221], v[216:217], v[86:87]
	v_mul_f64 v[118:119], v[226:227], v[118:119]
	v_fmac_f64_e32 v[220:221], v[218:219], v[84:85]
	v_fma_f64 v[232:233], v[224:225], v[116:117], -v[118:119]
	ds_read_b128 v[116:119], v2 offset:1472
	s_waitcnt vmcnt(6) lgkmcnt(1)
	v_mul_f64 v[222:223], v[108:109], v[90:91]
	v_add_f64 v[220:221], v[228:229], v[220:221]
	v_fmac_f64_e32 v[222:223], v[110:111], v[88:89]
	v_add_f64 v[224:225], v[220:221], v[222:223]
	ds_read_b128 v[220:223], v2 offset:1488
	v_mul_f64 v[122:123], v[236:237], v[122:123]
	v_fma_f64 v[234:235], v[234:235], v[120:121], -v[122:123]
	ds_read_b128 v[120:123], v2 offset:1504
	s_waitcnt vmcnt(5) lgkmcnt(2)
	v_mul_f64 v[226:227], v[116:117], v[94:95]
	v_fmac_f64_e32 v[226:227], v[118:119], v[92:93]
	v_mul_f64 v[126:127], v[244:245], v[126:127]
	v_add_f64 v[224:225], v[224:225], v[226:227]
	s_waitcnt vmcnt(4) lgkmcnt(1)
	v_mul_f64 v[226:227], v[220:221], v[98:99]
	v_fma_f64 v[236:237], v[242:243], v[124:125], -v[126:127]
	ds_read_b128 v[124:127], v2 offset:1520
	v_fmac_f64_e32 v[226:227], v[222:223], v[96:97]
	v_add_f64 v[228:229], v[224:225], v[226:227]
	s_waitcnt vmcnt(3) lgkmcnt(1)
	v_mul_f64 v[238:239], v[120:121], v[102:103]
	ds_read_b128 v[224:227], v2 offset:1536
	v_fmac_f64_e32 v[238:239], v[122:123], v[100:101]
	v_mul_f64 v[130:131], v[248:249], v[130:131]
	v_add_f64 v[228:229], v[228:229], v[238:239]
	v_fma_f64 v[238:239], v[246:247], v[128:129], -v[130:131]
	ds_read_b128 v[128:131], v2 offset:1552
	s_waitcnt vmcnt(2) lgkmcnt(2)
	v_mul_f64 v[242:243], v[124:125], v[106:107]
	v_fmac_f64_e32 v[242:243], v[126:127], v[104:105]
	v_add_f64 v[228:229], v[228:229], v[242:243]
	s_waitcnt vmcnt(1) lgkmcnt(1)
	v_mul_f64 v[242:243], v[224:225], v[114:115]
	v_fmac_f64_e32 v[242:243], v[226:227], v[112:113]
	v_add_f64 v[228:229], v[228:229], v[242:243]
	;; [unrolled: 4-line block ×3, first 2 shown]
	scratch_load_dwordx4 v[242:245], off, off offset:256
	v_add_f64 v[230:231], v[230:231], 0
	v_add_f64 v[230:231], v[230:231], v[232:233]
	;; [unrolled: 1-line block ×4, first 2 shown]
	v_mul_f64 v[6:7], v[178:179], v[6:7]
	v_add_f64 v[230:231], v[230:231], v[238:239]
	v_fma_f64 v[4:5], v[176:177], v[4:5], -v[6:7]
	v_mul_f64 v[6:7], v[174:175], v[10:11]
	v_add_f64 v[4:5], v[230:231], v[4:5]
	v_fma_f64 v[6:7], v[172:173], v[8:9], -v[6:7]
	v_add_f64 v[4:5], v[4:5], v[6:7]
	v_mul_f64 v[6:7], v[170:171], v[14:15]
	v_fma_f64 v[6:7], v[168:169], v[12:13], -v[6:7]
	v_add_f64 v[4:5], v[4:5], v[6:7]
	v_mul_f64 v[6:7], v[166:167], v[18:19]
	v_fma_f64 v[6:7], v[164:165], v[16:17], -v[6:7]
	v_add_f64 v[4:5], v[4:5], v[6:7]
	v_mul_f64 v[6:7], v[162:163], v[22:23]
	v_fma_f64 v[6:7], v[160:161], v[20:21], -v[6:7]
	v_add_f64 v[4:5], v[4:5], v[6:7]
	v_mul_f64 v[6:7], v[158:159], v[26:27]
	v_fma_f64 v[6:7], v[156:157], v[24:25], -v[6:7]
	v_add_f64 v[4:5], v[4:5], v[6:7]
	v_mul_f64 v[6:7], v[154:155], v[30:31]
	v_fma_f64 v[6:7], v[152:153], v[28:29], -v[6:7]
	v_add_f64 v[4:5], v[4:5], v[6:7]
	v_mul_f64 v[6:7], v[150:151], v[34:35]
	v_fma_f64 v[6:7], v[148:149], v[32:33], -v[6:7]
	v_add_f64 v[4:5], v[4:5], v[6:7]
	v_mul_f64 v[6:7], v[146:147], v[38:39]
	v_fma_f64 v[6:7], v[144:145], v[36:37], -v[6:7]
	v_add_f64 v[4:5], v[4:5], v[6:7]
	v_mul_f64 v[6:7], v[142:143], v[42:43]
	v_fma_f64 v[6:7], v[140:141], v[40:41], -v[6:7]
	v_add_f64 v[4:5], v[4:5], v[6:7]
	v_mul_f64 v[6:7], v[138:139], v[46:47]
	v_fma_f64 v[6:7], v[136:137], v[44:45], -v[6:7]
	v_add_f64 v[4:5], v[4:5], v[6:7]
	v_mul_f64 v[6:7], v[182:183], v[50:51]
	v_fma_f64 v[6:7], v[180:181], v[48:49], -v[6:7]
	v_add_f64 v[4:5], v[4:5], v[6:7]
	v_mul_f64 v[6:7], v[186:187], v[54:55]
	v_fma_f64 v[6:7], v[184:185], v[52:53], -v[6:7]
	v_add_f64 v[4:5], v[4:5], v[6:7]
	v_mul_f64 v[6:7], v[190:191], v[58:59]
	v_fma_f64 v[6:7], v[188:189], v[56:57], -v[6:7]
	v_add_f64 v[4:5], v[4:5], v[6:7]
	v_mul_f64 v[6:7], v[194:195], v[62:63]
	v_fma_f64 v[6:7], v[192:193], v[60:61], -v[6:7]
	v_add_f64 v[4:5], v[4:5], v[6:7]
	v_mul_f64 v[6:7], v[198:199], v[66:67]
	v_fma_f64 v[6:7], v[196:197], v[64:65], -v[6:7]
	v_add_f64 v[4:5], v[4:5], v[6:7]
	v_mul_f64 v[6:7], v[202:203], v[70:71]
	v_fma_f64 v[6:7], v[200:201], v[68:69], -v[6:7]
	v_add_f64 v[4:5], v[4:5], v[6:7]
	v_mul_f64 v[6:7], v[206:207], v[74:75]
	v_fma_f64 v[6:7], v[204:205], v[72:73], -v[6:7]
	v_add_f64 v[4:5], v[4:5], v[6:7]
	v_mul_f64 v[6:7], v[210:211], v[78:79]
	v_fma_f64 v[6:7], v[208:209], v[76:77], -v[6:7]
	v_add_f64 v[4:5], v[4:5], v[6:7]
	v_mul_f64 v[6:7], v[214:215], v[82:83]
	v_fma_f64 v[6:7], v[212:213], v[80:81], -v[6:7]
	v_add_f64 v[4:5], v[4:5], v[6:7]
	v_mul_f64 v[6:7], v[218:219], v[86:87]
	v_fma_f64 v[6:7], v[216:217], v[84:85], -v[6:7]
	v_add_f64 v[4:5], v[4:5], v[6:7]
	v_mul_f64 v[6:7], v[110:111], v[90:91]
	v_fma_f64 v[6:7], v[108:109], v[88:89], -v[6:7]
	v_add_f64 v[4:5], v[4:5], v[6:7]
	v_mul_f64 v[6:7], v[118:119], v[94:95]
	v_fma_f64 v[6:7], v[116:117], v[92:93], -v[6:7]
	v_add_f64 v[4:5], v[4:5], v[6:7]
	v_mul_f64 v[6:7], v[222:223], v[98:99]
	v_fma_f64 v[6:7], v[220:221], v[96:97], -v[6:7]
	v_add_f64 v[4:5], v[4:5], v[6:7]
	v_mul_f64 v[6:7], v[122:123], v[102:103]
	v_fma_f64 v[6:7], v[120:121], v[100:101], -v[6:7]
	v_add_f64 v[4:5], v[4:5], v[6:7]
	v_mul_f64 v[6:7], v[126:127], v[106:107]
	v_fma_f64 v[6:7], v[124:125], v[104:105], -v[6:7]
	v_add_f64 v[4:5], v[4:5], v[6:7]
	v_mul_f64 v[6:7], v[226:227], v[114:115]
	v_fma_f64 v[6:7], v[224:225], v[112:113], -v[6:7]
	v_add_f64 v[4:5], v[4:5], v[6:7]
	v_mul_f64 v[6:7], v[130:131], v[134:135]
	v_fma_f64 v[6:7], v[128:129], v[132:133], -v[6:7]
	v_add_f64 v[4:5], v[4:5], v[6:7]
	s_waitcnt vmcnt(0)
	v_add_f64 v[4:5], v[242:243], -v[4:5]
	v_add_f64 v[6:7], v[244:245], -v[228:229]
	scratch_store_dwordx4 off, v[4:7], off offset:256
	s_and_saveexec_b64 s[0:1], vcc
	s_cbranch_execz .LBB112_279
; %bb.278:
	scratch_load_dwordx4 v[6:9], off, s51
	v_mov_b32_e32 v3, v2
	v_mov_b32_e32 v4, v2
	;; [unrolled: 1-line block ×3, first 2 shown]
	v_accvgpr_read_b32 v0, a99
	scratch_store_dwordx4 off, v[2:5], off offset:240
	s_waitcnt vmcnt(1)
	ds_write_b128 v0, v[6:9]
.LBB112_279:
	s_or_b64 exec, exec, s[0:1]
	s_waitcnt lgkmcnt(0)
	; wave barrier
	scratch_load_dwordx4 v[144:147], off, off offset:256
	scratch_load_dwordx4 v[152:155], off, off offset:272
	;; [unrolled: 1-line block ×16, first 2 shown]
	ds_read_b128 v[196:199], v2 offset:1024
	ds_read_b128 v[188:191], v2 offset:1040
	ds_read_b128 v[180:183], v2 offset:1056
	scratch_load_dwordx4 v[48:51], off, off offset:512
	ds_read_b128 v[192:195], v2 offset:1072
	ds_read_b128 v[184:187], v2 offset:1088
	ds_read_b128 v[64:67], v2 offset:1104
	scratch_load_dwordx4 v[52:55], off, off offset:528
	;; [unrolled: 4-line block ×5, first 2 shown]
	ds_read_b128 v[116:119], v2 offset:1264
	ds_read_b128 v[112:115], v2 offset:1280
	scratch_load_dwordx4 v[108:111], off, off offset:592
	scratch_load_dwordx4 v[120:123], off, off offset:608
	;; [unrolled: 1-line block ×12, first 2 shown]
	v_cmp_lt_u32_e32 vcc, 13, v240
	s_waitcnt vmcnt(32) lgkmcnt(14)
	v_mul_f64 v[204:205], v[196:197], v[146:147]
	s_waitcnt vmcnt(31)
	v_mul_f64 v[206:207], v[188:189], v[154:155]
	v_fmac_f64_e32 v[204:205], v[198:199], v[144:145]
	s_waitcnt vmcnt(30)
	v_mul_f64 v[208:209], v[180:181], v[158:159]
	v_fmac_f64_e32 v[206:207], v[190:191], v[152:153]
	v_add_f64 v[204:205], v[204:205], 0
	s_waitcnt vmcnt(29) lgkmcnt(13)
	v_mul_f64 v[210:211], v[192:193], v[162:163]
	v_fmac_f64_e32 v[208:209], v[182:183], v[156:157]
	v_add_f64 v[204:205], v[204:205], v[206:207]
	s_waitcnt vmcnt(28) lgkmcnt(12)
	;; [unrolled: 4-line block ×12, first 2 shown]
	v_mul_f64 v[232:233], v[96:97], v[42:43]
	v_fmac_f64_e32 v[230:231], v[102:103], v[36:37]
	v_add_f64 v[204:205], v[204:205], v[228:229]
	v_fmac_f64_e32 v[232:233], v[98:99], v[40:41]
	v_add_f64 v[204:205], v[204:205], v[230:231]
	s_waitcnt vmcnt(17) lgkmcnt(1)
	v_mul_f64 v[206:207], v[116:117], v[46:47]
	v_add_f64 v[204:205], v[204:205], v[232:233]
	v_fmac_f64_e32 v[206:207], v[118:119], v[44:45]
	s_waitcnt vmcnt(16) lgkmcnt(0)
	v_mul_f64 v[210:211], v[112:113], v[50:51]
	v_add_f64 v[208:209], v[204:205], v[206:207]
	ds_read_b128 v[204:207], v2 offset:1296
	v_fmac_f64_e32 v[210:211], v[114:115], v[48:49]
	v_add_f64 v[212:213], v[208:209], v[210:211]
	ds_read_b128 v[208:211], v2 offset:1312
	v_mul_f64 v[146:147], v[198:199], v[146:147]
	s_waitcnt vmcnt(15) lgkmcnt(1)
	v_mul_f64 v[214:215], v[204:205], v[54:55]
	v_fmac_f64_e32 v[214:215], v[206:207], v[52:53]
	v_add_f64 v[216:217], v[212:213], v[214:215]
	s_waitcnt vmcnt(14) lgkmcnt(0)
	v_mul_f64 v[218:219], v[208:209], v[58:59]
	ds_read_b128 v[212:215], v2 offset:1328
	v_fmac_f64_e32 v[218:219], v[210:211], v[56:57]
	v_add_f64 v[220:221], v[216:217], v[218:219]
	ds_read_b128 v[216:219], v2 offset:1344
	v_mul_f64 v[154:155], v[190:191], v[154:155]
	s_waitcnt vmcnt(13) lgkmcnt(1)
	v_mul_f64 v[222:223], v[212:213], v[62:63]
	v_fmac_f64_e32 v[222:223], v[214:215], v[60:61]
	v_add_f64 v[224:225], v[220:221], v[222:223]
	s_waitcnt vmcnt(12) lgkmcnt(0)
	v_mul_f64 v[226:227], v[216:217], v[94:95]
	ds_read_b128 v[220:223], v2 offset:1360
	v_fmac_f64_e32 v[226:227], v[218:219], v[92:93]
	v_add_f64 v[228:229], v[224:225], v[226:227]
	ds_read_b128 v[224:227], v2 offset:1376
	v_fma_f64 v[246:247], v[188:189], v[152:153], -v[154:155]
	s_waitcnt vmcnt(11) lgkmcnt(1)
	v_mul_f64 v[230:231], v[220:221], v[110:111]
	v_fmac_f64_e32 v[230:231], v[222:223], v[108:109]
	v_add_f64 v[232:233], v[228:229], v[230:231]
	s_waitcnt vmcnt(10) lgkmcnt(0)
	v_mul_f64 v[234:235], v[224:225], v[122:123]
	ds_read_b128 v[228:231], v2 offset:1392
	v_fmac_f64_e32 v[234:235], v[226:227], v[120:121]
	v_add_f64 v[236:237], v[232:233], v[234:235]
	ds_read_b128 v[232:235], v2 offset:1408
	ds_read_b128 v[152:155], v2 offset:1456
	s_waitcnt vmcnt(9) lgkmcnt(2)
	v_mul_f64 v[238:239], v[228:229], v[126:127]
	v_fmac_f64_e32 v[238:239], v[230:231], v[124:125]
	v_add_f64 v[242:243], v[236:237], v[238:239]
	s_waitcnt vmcnt(8) lgkmcnt(1)
	v_mul_f64 v[244:245], v[232:233], v[130:131]
	ds_read_b128 v[236:239], v2 offset:1424
	v_fmac_f64_e32 v[244:245], v[234:235], v[128:129]
	v_add_f64 v[242:243], v[242:243], v[244:245]
	v_fma_f64 v[244:245], v[196:197], v[144:145], -v[146:147]
	ds_read_b128 v[144:147], v2 offset:1440
	s_waitcnt vmcnt(7) lgkmcnt(1)
	v_mul_f64 v[196:197], v[236:237], v[134:135]
	v_fmac_f64_e32 v[196:197], v[238:239], v[132:133]
	v_add_f64 v[188:189], v[242:243], v[196:197]
	v_mul_f64 v[158:159], v[182:183], v[158:159]
	s_waitcnt vmcnt(6) lgkmcnt(0)
	v_mul_f64 v[190:191], v[144:145], v[138:139]
	v_fmac_f64_e32 v[190:191], v[146:147], v[136:137]
	v_add_f64 v[196:197], v[188:189], v[190:191]
	ds_read_b128 v[188:191], v2 offset:1472
	v_fma_f64 v[242:243], v[180:181], v[156:157], -v[158:159]
	ds_read_b128 v[156:159], v2 offset:1488
	s_waitcnt vmcnt(5)
	v_mul_f64 v[198:199], v[152:153], v[142:143]
	v_fmac_f64_e32 v[198:199], v[154:155], v[140:141]
	s_waitcnt vmcnt(4) lgkmcnt(1)
	v_mul_f64 v[180:181], v[188:189], v[150:151]
	v_add_f64 v[196:197], v[196:197], v[198:199]
	v_fmac_f64_e32 v[180:181], v[190:191], v[148:149]
	v_mul_f64 v[162:163], v[194:195], v[162:163]
	v_add_f64 v[198:199], v[196:197], v[180:181]
	v_fma_f64 v[196:197], v[192:193], v[160:161], -v[162:163]
	ds_read_b128 v[160:163], v2 offset:1504
	s_waitcnt vmcnt(3) lgkmcnt(1)
	v_mul_f64 v[192:193], v[156:157], v[166:167]
	ds_read_b128 v[180:183], v2 offset:1520
	v_fmac_f64_e32 v[192:193], v[158:159], v[164:165]
	v_mul_f64 v[170:171], v[186:187], v[170:171]
	v_add_f64 v[192:193], v[198:199], v[192:193]
	v_fma_f64 v[198:199], v[184:185], v[168:169], -v[170:171]
	ds_read_b128 v[168:171], v2 offset:1536
	s_waitcnt vmcnt(2) lgkmcnt(2)
	v_mul_f64 v[184:185], v[160:161], v[174:175]
	v_fmac_f64_e32 v[184:185], v[162:163], v[172:173]
	s_waitcnt vmcnt(1) lgkmcnt(1)
	v_mul_f64 v[186:187], v[180:181], v[178:179]
	v_add_f64 v[184:185], v[192:193], v[184:185]
	v_fmac_f64_e32 v[186:187], v[182:183], v[176:177]
	v_add_f64 v[184:185], v[184:185], v[186:187]
	s_waitcnt vmcnt(0) lgkmcnt(0)
	v_mul_f64 v[186:187], v[168:169], v[202:203]
	v_fmac_f64_e32 v[186:187], v[170:171], v[200:201]
	v_add_f64 v[248:249], v[184:185], v[186:187]
	scratch_load_dwordx4 v[184:187], off, off offset:784
	v_add_f64 v[244:245], v[244:245], 0
	v_add_f64 v[244:245], v[244:245], v[246:247]
	v_add_f64 v[242:243], v[244:245], v[242:243]
	scratch_load_dwordx4 v[244:247], off, off offset:240
	v_add_f64 v[196:197], v[242:243], v[196:197]
	v_mul_f64 v[6:7], v[66:67], v[6:7]
	v_add_f64 v[196:197], v[196:197], v[198:199]
	v_fma_f64 v[4:5], v[64:65], v[4:5], -v[6:7]
	v_mul_f64 v[6:7], v[78:79], v[10:11]
	v_add_f64 v[4:5], v[196:197], v[4:5]
	v_fma_f64 v[6:7], v[76:77], v[8:9], -v[6:7]
	v_add_f64 v[4:5], v[4:5], v[6:7]
	v_mul_f64 v[6:7], v[74:75], v[14:15]
	v_fma_f64 v[6:7], v[72:73], v[12:13], -v[6:7]
	v_add_f64 v[4:5], v[4:5], v[6:7]
	v_mul_f64 v[6:7], v[70:71], v[18:19]
	;; [unrolled: 3-line block ×24, first 2 shown]
	ds_read_b128 v[192:195], v2 offset:1552
	v_fma_f64 v[6:7], v[160:161], v[172:173], -v[6:7]
	v_add_f64 v[4:5], v[4:5], v[6:7]
	v_mul_f64 v[6:7], v[182:183], v[178:179]
	v_fma_f64 v[6:7], v[180:181], v[176:177], -v[6:7]
	v_add_f64 v[4:5], v[4:5], v[6:7]
	v_mul_f64 v[6:7], v[170:171], v[202:203]
	v_fma_f64 v[6:7], v[168:169], v[200:201], -v[6:7]
	s_waitcnt vmcnt(1) lgkmcnt(0)
	v_mul_f64 v[2:3], v[192:193], v[186:187]
	v_add_f64 v[4:5], v[4:5], v[6:7]
	v_mul_f64 v[6:7], v[194:195], v[186:187]
	v_fmac_f64_e32 v[2:3], v[194:195], v[184:185]
	v_fma_f64 v[6:7], v[192:193], v[184:185], -v[6:7]
	v_add_f64 v[2:3], v[248:249], v[2:3]
	v_add_f64 v[4:5], v[4:5], v[6:7]
	s_waitcnt vmcnt(0)
	v_add_f64 v[4:5], v[244:245], -v[4:5]
	v_add_f64 v[6:7], v[246:247], -v[2:3]
	scratch_store_dwordx4 off, v[4:7], off offset:240
	s_and_saveexec_b64 s[0:1], vcc
	s_cbranch_execz .LBB112_281
; %bb.280:
	scratch_load_dwordx4 v[2:5], off, s52
	v_mov_b32_e32 v6, 0
	v_mov_b32_e32 v7, v6
	;; [unrolled: 1-line block ×4, first 2 shown]
	v_accvgpr_read_b32 v0, a99
	scratch_store_dwordx4 off, v[6:9], off offset:224
	s_waitcnt vmcnt(1)
	ds_write_b128 v0, v[2:5]
.LBB112_281:
	s_or_b64 exec, exec, s[0:1]
	s_waitcnt lgkmcnt(0)
	; wave barrier
	scratch_load_dwordx4 v[184:187], off, off offset:240
	scratch_load_dwordx4 v[188:191], off, off offset:256
	;; [unrolled: 1-line block ×32, first 2 shown]
	v_mov_b32_e32 v2, 0
	ds_read_b128 v[192:195], v2 offset:1008
	ds_read_b128 v[204:207], v2 offset:1024
	;; [unrolled: 1-line block ×16, first 2 shown]
	v_cmp_lt_u32_e32 vcc, 12, v240
	s_waitcnt vmcnt(31) lgkmcnt(14)
	v_mul_f64 v[104:105], v[192:193], v[186:187]
	s_waitcnt vmcnt(30)
	v_mul_f64 v[106:107], v[204:205], v[190:191]
	v_fmac_f64_e32 v[104:105], v[194:195], v[184:185]
	s_waitcnt vmcnt(29) lgkmcnt(13)
	v_mul_f64 v[112:113], v[216:217], v[198:199]
	v_fmac_f64_e32 v[106:107], v[206:207], v[188:189]
	v_add_f64 v[104:105], v[104:105], 0
	s_waitcnt vmcnt(28) lgkmcnt(12)
	v_mul_f64 v[114:115], v[224:225], v[202:203]
	v_fmac_f64_e32 v[112:113], v[218:219], v[196:197]
	v_add_f64 v[104:105], v[104:105], v[106:107]
	;; [unrolled: 4-line block ×10, first 2 shown]
	ds_read_b128 v[152:155], v2 offset:1264
	ds_read_b128 v[156:159], v2 offset:1280
	s_waitcnt vmcnt(19) lgkmcnt(5)
	v_mul_f64 v[164:165], v[124:125], v[26:27]
	v_fmac_f64_e32 v[162:163], v[134:135], v[20:21]
	v_add_f64 v[104:105], v[104:105], v[160:161]
	s_waitcnt vmcnt(18) lgkmcnt(4)
	v_mul_f64 v[166:167], v[120:121], v[30:31]
	v_fmac_f64_e32 v[164:165], v[126:127], v[24:25]
	v_add_f64 v[104:105], v[104:105], v[162:163]
	;; [unrolled: 4-line block ×4, first 2 shown]
	v_add_f64 v[112:113], v[104:105], v[168:169]
	v_fmac_f64_e32 v[170:171], v[110:111], v[36:37]
	scratch_load_dwordx4 v[104:107], off, off offset:752
	s_waitcnt vmcnt(16) lgkmcnt(1)
	v_mul_f64 v[114:115], v[152:153], v[42:43]
	v_add_f64 v[112:113], v[112:113], v[170:171]
	v_fmac_f64_e32 v[114:115], v[154:155], v[40:41]
	v_add_f64 v[128:129], v[112:113], v[114:115]
	scratch_load_dwordx4 v[112:115], off, off offset:768
	s_waitcnt vmcnt(16) lgkmcnt(0)
	v_mul_f64 v[130:131], v[156:157], v[46:47]
	v_fmac_f64_e32 v[130:131], v[158:159], v[44:45]
	v_add_f64 v[168:169], v[128:129], v[130:131]
	scratch_load_dwordx4 v[128:131], off, off offset:784
	ds_read_b128 v[160:163], v2 offset:1296
	ds_read_b128 v[164:167], v2 offset:1312
	v_mul_f64 v[186:187], v[194:195], v[186:187]
	v_fma_f64 v[254:255], v[192:193], v[184:185], -v[186:187]
	ds_read_b128 v[184:187], v2 offset:1392
	s_waitcnt vmcnt(16) lgkmcnt(2)
	v_mul_f64 v[170:171], v[160:161], v[50:51]
	v_fmac_f64_e32 v[170:171], v[162:163], v[48:49]
	s_waitcnt vmcnt(15) lgkmcnt(1)
	v_mul_f64 v[174:175], v[164:165], v[54:55]
	v_add_f64 v[172:173], v[168:169], v[170:171]
	ds_read_b128 v[168:171], v2 offset:1328
	v_fmac_f64_e32 v[174:175], v[166:167], v[52:53]
	v_add_f64 v[176:177], v[172:173], v[174:175]
	ds_read_b128 v[172:175], v2 offset:1344
	v_mul_f64 v[190:191], v[206:207], v[190:191]
	s_waitcnt vmcnt(14) lgkmcnt(1)
	v_mul_f64 v[178:179], v[168:169], v[58:59]
	v_fmac_f64_e32 v[178:179], v[170:171], v[56:57]
	v_add_f64 v[180:181], v[176:177], v[178:179]
	s_waitcnt vmcnt(13) lgkmcnt(0)
	v_mul_f64 v[182:183], v[172:173], v[62:63]
	ds_read_b128 v[176:179], v2 offset:1360
	v_fmac_f64_e32 v[182:183], v[174:175], v[60:61]
	v_add_f64 v[232:233], v[180:181], v[182:183]
	ds_read_b128 v[180:183], v2 offset:1376
	v_fma_f64 v[250:251], v[204:205], v[188:189], -v[190:191]
	s_waitcnt vmcnt(12) lgkmcnt(1)
	v_mul_f64 v[234:235], v[176:177], v[66:67]
	v_fmac_f64_e32 v[234:235], v[178:179], v[64:65]
	v_add_f64 v[232:233], v[232:233], v[234:235]
	s_waitcnt vmcnt(11) lgkmcnt(0)
	v_mul_f64 v[192:193], v[180:181], v[70:71]
	v_fmac_f64_e32 v[192:193], v[182:183], v[68:69]
	ds_read_b128 v[188:191], v2 offset:1408
	s_waitcnt vmcnt(10)
	v_mul_f64 v[194:195], v[184:185], v[74:75]
	v_add_f64 v[192:193], v[232:233], v[192:193]
	v_fmac_f64_e32 v[194:195], v[186:187], v[72:73]
	v_add_f64 v[204:205], v[192:193], v[194:195]
	ds_read_b128 v[192:195], v2 offset:1424
	v_mul_f64 v[198:199], v[218:219], v[198:199]
	v_fma_f64 v[252:253], v[216:217], v[196:197], -v[198:199]
	ds_read_b128 v[196:199], v2 offset:1440
	s_waitcnt vmcnt(9) lgkmcnt(2)
	v_mul_f64 v[206:207], v[188:189], v[78:79]
	v_fmac_f64_e32 v[206:207], v[190:191], v[76:77]
	v_add_f64 v[204:205], v[204:205], v[206:207]
	s_waitcnt vmcnt(8) lgkmcnt(1)
	v_mul_f64 v[206:207], v[192:193], v[82:83]
	v_fmac_f64_e32 v[206:207], v[194:195], v[80:81]
	v_mul_f64 v[202:203], v[226:227], v[202:203]
	v_add_f64 v[204:205], v[204:205], v[206:207]
	v_fma_f64 v[234:235], v[224:225], v[200:201], -v[202:203]
	ds_read_b128 v[200:203], v2 offset:1456
	s_waitcnt vmcnt(7) lgkmcnt(1)
	v_mul_f64 v[206:207], v[196:197], v[86:87]
	v_fmac_f64_e32 v[206:207], v[198:199], v[84:85]
	v_add_f64 v[216:217], v[204:205], v[206:207]
	ds_read_b128 v[204:207], v2 offset:1472
	v_mul_f64 v[210:211], v[230:231], v[210:211]
	v_fma_f64 v[236:237], v[228:229], v[208:209], -v[210:211]
	ds_read_b128 v[208:211], v2 offset:1488
	s_waitcnt vmcnt(6) lgkmcnt(2)
	v_mul_f64 v[218:219], v[200:201], v[90:91]
	v_fmac_f64_e32 v[218:219], v[202:203], v[88:89]
	v_add_f64 v[216:217], v[216:217], v[218:219]
	s_waitcnt vmcnt(5) lgkmcnt(1)
	v_mul_f64 v[218:219], v[204:205], v[94:95]
	v_fmac_f64_e32 v[218:219], v[206:207], v[92:93]
	v_mul_f64 v[214:215], v[244:245], v[214:215]
	v_fma_f64 v[238:239], v[242:243], v[212:213], -v[214:215]
	ds_read_b128 v[212:215], v2 offset:1504
	v_add_f64 v[216:217], v[216:217], v[218:219]
	s_waitcnt vmcnt(4) lgkmcnt(1)
	v_mul_f64 v[218:219], v[208:209], v[102:103]
	v_fmac_f64_e32 v[218:219], v[210:211], v[100:101]
	v_add_f64 v[224:225], v[216:217], v[218:219]
	ds_read_b128 v[216:219], v2 offset:1520
	v_mul_f64 v[222:223], v[248:249], v[222:223]
	v_fma_f64 v[242:243], v[246:247], v[220:221], -v[222:223]
	ds_read_b128 v[220:223], v2 offset:1536
	s_waitcnt vmcnt(3) lgkmcnt(2)
	v_mul_f64 v[226:227], v[212:213], v[98:99]
	v_fmac_f64_e32 v[226:227], v[214:215], v[96:97]
	v_add_f64 v[224:225], v[224:225], v[226:227]
	s_waitcnt vmcnt(2) lgkmcnt(1)
	v_mul_f64 v[226:227], v[216:217], v[106:107]
	v_fmac_f64_e32 v[226:227], v[218:219], v[104:105]
	v_add_f64 v[224:225], v[224:225], v[226:227]
	;; [unrolled: 4-line block ×3, first 2 shown]
	ds_read_b128 v[224:227], v2 offset:1552
	v_mul_f64 v[6:7], v[150:151], v[6:7]
	v_fma_f64 v[4:5], v[148:149], v[4:5], -v[6:7]
	v_mul_f64 v[6:7], v[146:147], v[10:11]
	v_fma_f64 v[6:7], v[144:145], v[8:9], -v[6:7]
	s_waitcnt vmcnt(0) lgkmcnt(0)
	v_mul_f64 v[230:231], v[224:225], v[130:131]
	v_fmac_f64_e32 v[230:231], v[226:227], v[128:129]
	v_add_f64 v[232:233], v[228:229], v[230:231]
	v_add_f64 v[228:229], v[254:255], 0
	v_add_f64 v[228:229], v[228:229], v[250:251]
	v_add_f64 v[244:245], v[228:229], v[252:253]
	scratch_load_dwordx4 v[228:231], off, off offset:224
	v_add_f64 v[234:235], v[244:245], v[234:235]
	v_add_f64 v[234:235], v[234:235], v[236:237]
	;; [unrolled: 1-line block ×6, first 2 shown]
	v_mul_f64 v[6:7], v[142:143], v[14:15]
	v_fma_f64 v[6:7], v[140:141], v[12:13], -v[6:7]
	v_add_f64 v[4:5], v[4:5], v[6:7]
	v_mul_f64 v[6:7], v[138:139], v[18:19]
	v_fma_f64 v[6:7], v[136:137], v[16:17], -v[6:7]
	v_add_f64 v[4:5], v[4:5], v[6:7]
	v_mul_f64 v[6:7], v[134:135], v[22:23]
	v_fma_f64 v[6:7], v[132:133], v[20:21], -v[6:7]
	v_add_f64 v[4:5], v[4:5], v[6:7]
	v_mul_f64 v[6:7], v[126:127], v[26:27]
	v_fma_f64 v[6:7], v[124:125], v[24:25], -v[6:7]
	v_add_f64 v[4:5], v[4:5], v[6:7]
	v_mul_f64 v[6:7], v[122:123], v[30:31]
	v_fma_f64 v[6:7], v[120:121], v[28:29], -v[6:7]
	v_add_f64 v[4:5], v[4:5], v[6:7]
	v_mul_f64 v[6:7], v[118:119], v[34:35]
	v_fma_f64 v[6:7], v[116:117], v[32:33], -v[6:7]
	v_add_f64 v[4:5], v[4:5], v[6:7]
	v_mul_f64 v[6:7], v[110:111], v[38:39]
	v_fma_f64 v[6:7], v[108:109], v[36:37], -v[6:7]
	v_add_f64 v[4:5], v[4:5], v[6:7]
	v_mul_f64 v[6:7], v[154:155], v[42:43]
	v_fma_f64 v[6:7], v[152:153], v[40:41], -v[6:7]
	v_add_f64 v[4:5], v[4:5], v[6:7]
	v_mul_f64 v[6:7], v[158:159], v[46:47]
	v_fma_f64 v[6:7], v[156:157], v[44:45], -v[6:7]
	v_add_f64 v[4:5], v[4:5], v[6:7]
	v_mul_f64 v[6:7], v[162:163], v[50:51]
	v_fma_f64 v[6:7], v[160:161], v[48:49], -v[6:7]
	v_add_f64 v[4:5], v[4:5], v[6:7]
	v_mul_f64 v[6:7], v[166:167], v[54:55]
	v_fma_f64 v[6:7], v[164:165], v[52:53], -v[6:7]
	v_add_f64 v[4:5], v[4:5], v[6:7]
	v_mul_f64 v[6:7], v[170:171], v[58:59]
	v_fma_f64 v[6:7], v[168:169], v[56:57], -v[6:7]
	v_add_f64 v[4:5], v[4:5], v[6:7]
	v_mul_f64 v[6:7], v[174:175], v[62:63]
	v_fma_f64 v[6:7], v[172:173], v[60:61], -v[6:7]
	v_add_f64 v[4:5], v[4:5], v[6:7]
	v_mul_f64 v[6:7], v[178:179], v[66:67]
	v_fma_f64 v[6:7], v[176:177], v[64:65], -v[6:7]
	v_add_f64 v[4:5], v[4:5], v[6:7]
	v_mul_f64 v[6:7], v[182:183], v[70:71]
	v_fma_f64 v[6:7], v[180:181], v[68:69], -v[6:7]
	v_add_f64 v[4:5], v[4:5], v[6:7]
	v_mul_f64 v[6:7], v[186:187], v[74:75]
	v_fma_f64 v[6:7], v[184:185], v[72:73], -v[6:7]
	v_add_f64 v[4:5], v[4:5], v[6:7]
	v_mul_f64 v[6:7], v[190:191], v[78:79]
	v_fma_f64 v[6:7], v[188:189], v[76:77], -v[6:7]
	v_add_f64 v[4:5], v[4:5], v[6:7]
	v_mul_f64 v[6:7], v[194:195], v[82:83]
	v_fma_f64 v[6:7], v[192:193], v[80:81], -v[6:7]
	v_add_f64 v[4:5], v[4:5], v[6:7]
	v_mul_f64 v[6:7], v[198:199], v[86:87]
	v_fma_f64 v[6:7], v[196:197], v[84:85], -v[6:7]
	v_add_f64 v[4:5], v[4:5], v[6:7]
	v_mul_f64 v[6:7], v[202:203], v[90:91]
	v_fma_f64 v[6:7], v[200:201], v[88:89], -v[6:7]
	v_add_f64 v[4:5], v[4:5], v[6:7]
	v_mul_f64 v[6:7], v[206:207], v[94:95]
	v_fma_f64 v[6:7], v[204:205], v[92:93], -v[6:7]
	v_add_f64 v[4:5], v[4:5], v[6:7]
	v_mul_f64 v[6:7], v[210:211], v[102:103]
	v_fma_f64 v[6:7], v[208:209], v[100:101], -v[6:7]
	v_add_f64 v[4:5], v[4:5], v[6:7]
	v_mul_f64 v[6:7], v[214:215], v[98:99]
	v_fma_f64 v[6:7], v[212:213], v[96:97], -v[6:7]
	v_add_f64 v[4:5], v[4:5], v[6:7]
	v_mul_f64 v[6:7], v[218:219], v[106:107]
	v_fma_f64 v[6:7], v[216:217], v[104:105], -v[6:7]
	v_add_f64 v[4:5], v[4:5], v[6:7]
	v_mul_f64 v[6:7], v[222:223], v[114:115]
	v_fma_f64 v[6:7], v[220:221], v[112:113], -v[6:7]
	v_add_f64 v[4:5], v[4:5], v[6:7]
	v_mul_f64 v[6:7], v[226:227], v[130:131]
	v_fma_f64 v[6:7], v[224:225], v[128:129], -v[6:7]
	v_add_f64 v[4:5], v[4:5], v[6:7]
	s_waitcnt vmcnt(0)
	v_add_f64 v[4:5], v[228:229], -v[4:5]
	v_add_f64 v[6:7], v[230:231], -v[232:233]
	scratch_store_dwordx4 off, v[4:7], off offset:224
	s_and_saveexec_b64 s[0:1], vcc
	s_cbranch_execz .LBB112_283
; %bb.282:
	scratch_load_dwordx4 v[6:9], off, s53
	v_mov_b32_e32 v3, v2
	v_mov_b32_e32 v4, v2
	;; [unrolled: 1-line block ×3, first 2 shown]
	v_accvgpr_read_b32 v0, a99
	scratch_store_dwordx4 off, v[2:5], off offset:208
	s_waitcnt vmcnt(1)
	ds_write_b128 v0, v[6:9]
.LBB112_283:
	s_or_b64 exec, exec, s[0:1]
	s_waitcnt lgkmcnt(0)
	; wave barrier
	scratch_load_dwordx4 v[140:143], off, off offset:224
	scratch_load_dwordx4 v[144:147], off, off offset:240
	;; [unrolled: 1-line block ×16, first 2 shown]
	ds_read_b128 v[208:211], v2 offset:992
	ds_read_b128 v[200:203], v2 offset:1008
	;; [unrolled: 1-line block ×3, first 2 shown]
	scratch_load_dwordx4 v[40:43], off, off offset:480
	ds_read_b128 v[204:207], v2 offset:1040
	ds_read_b128 v[192:195], v2 offset:1056
	;; [unrolled: 1-line block ×3, first 2 shown]
	scratch_load_dwordx4 v[44:47], off, off offset:496
	ds_read_b128 v[196:199], v2 offset:1088
	ds_read_b128 v[64:67], v2 offset:1104
	;; [unrolled: 1-line block ×4, first 2 shown]
	scratch_load_dwordx4 v[48:51], off, off offset:512
	ds_read_b128 v[72:75], v2 offset:1152
	ds_read_b128 v[68:71], v2 offset:1168
	scratch_load_dwordx4 v[56:59], off, off offset:528
	ds_read_b128 v[92:95], v2 offset:1184
	ds_read_b128 v[88:91], v2 offset:1200
	;; [unrolled: 1-line block ×4, first 2 shown]
	scratch_load_dwordx4 v[76:79], off, off offset:544
	scratch_load_dwordx4 v[96:99], off, off offset:560
	;; [unrolled: 1-line block ×12, first 2 shown]
	ds_read_b128 v[168:171], v2 offset:1248
	v_accvgpr_write_b32 a98, v240
	v_cmp_lt_u32_e32 vcc, 11, v240
	s_waitcnt vmcnt(31) lgkmcnt(14)
	v_mul_f64 v[172:173], v[208:209], v[142:143]
	s_waitcnt vmcnt(30)
	v_mul_f64 v[174:175], v[200:201], v[146:147]
	v_fmac_f64_e32 v[172:173], v[210:211], v[140:141]
	s_waitcnt vmcnt(29)
	v_mul_f64 v[176:177], v[188:189], v[150:151]
	v_fmac_f64_e32 v[174:175], v[202:203], v[144:145]
	v_add_f64 v[172:173], v[172:173], 0
	s_waitcnt vmcnt(28) lgkmcnt(13)
	v_mul_f64 v[178:179], v[204:205], v[154:155]
	v_fmac_f64_e32 v[176:177], v[190:191], v[148:149]
	v_add_f64 v[172:173], v[172:173], v[174:175]
	s_waitcnt vmcnt(27) lgkmcnt(12)
	;; [unrolled: 4-line block ×10, first 2 shown]
	v_mul_f64 v[224:225], v[92:93], v[26:27]
	v_fmac_f64_e32 v[222:223], v[70:71], v[20:21]
	v_add_f64 v[172:173], v[172:173], v[220:221]
	ds_read_b128 v[212:215], v2 offset:1264
	s_waitcnt vmcnt(18) lgkmcnt(4)
	v_mul_f64 v[226:227], v[88:89], v[30:31]
	v_fmac_f64_e32 v[224:225], v[94:95], v[24:25]
	v_add_f64 v[172:173], v[172:173], v[222:223]
	ds_read_b128 v[216:219], v2 offset:1280
	ds_read_b128 v[220:223], v2 offset:1296
	s_waitcnt vmcnt(17) lgkmcnt(5)
	v_mul_f64 v[228:229], v[84:85], v[34:35]
	v_fmac_f64_e32 v[226:227], v[90:91], v[28:29]
	v_add_f64 v[172:173], v[172:173], v[224:225]
	s_waitcnt vmcnt(16) lgkmcnt(4)
	v_mul_f64 v[230:231], v[80:81], v[38:39]
	v_fmac_f64_e32 v[228:229], v[86:87], v[32:33]
	v_add_f64 v[172:173], v[172:173], v[226:227]
	v_add_f64 v[176:177], v[172:173], v[228:229]
	v_fmac_f64_e32 v[230:231], v[82:83], v[36:37]
	s_waitcnt vmcnt(15) lgkmcnt(3)
	v_mul_f64 v[178:179], v[168:169], v[42:43]
	v_add_f64 v[176:177], v[176:177], v[230:231]
	v_fmac_f64_e32 v[178:179], v[170:171], v[40:41]
	s_waitcnt vmcnt(14) lgkmcnt(2)
	v_mul_f64 v[182:183], v[212:213], v[46:47]
	;; [unrolled: 4-line block ×3, first 2 shown]
	v_add_f64 v[224:225], v[180:181], v[182:183]
	v_fmac_f64_e32 v[226:227], v[218:219], v[48:49]
	v_add_f64 v[228:229], v[224:225], v[226:227]
	ds_read_b128 v[224:227], v2 offset:1312
	s_waitcnt vmcnt(12) lgkmcnt(1)
	v_mul_f64 v[230:231], v[220:221], v[58:59]
	v_fmac_f64_e32 v[230:231], v[222:223], v[56:57]
	v_add_f64 v[232:233], v[228:229], v[230:231]
	ds_read_b128 v[228:231], v2 offset:1328
	s_waitcnt vmcnt(11) lgkmcnt(1)
	v_mul_f64 v[234:235], v[224:225], v[78:79]
	;; [unrolled: 5-line block ×4, first 2 shown]
	v_fmac_f64_e32 v[244:245], v[234:235], v[100:101]
	v_mul_f64 v[142:143], v[210:211], v[142:143]
	v_add_f64 v[242:243], v[242:243], v[244:245]
	v_fma_f64 v[244:245], v[208:209], v[140:141], -v[142:143]
	ds_read_b128 v[140:143], v2 offset:1376
	s_waitcnt vmcnt(8) lgkmcnt(1)
	v_mul_f64 v[208:209], v[236:237], v[106:107]
	v_fmac_f64_e32 v[208:209], v[238:239], v[104:105]
	v_mul_f64 v[146:147], v[202:203], v[146:147]
	v_add_f64 v[208:209], v[242:243], v[208:209]
	v_fma_f64 v[242:243], v[200:201], v[144:145], -v[146:147]
	ds_read_b128 v[144:147], v2 offset:1392
	s_waitcnt vmcnt(7) lgkmcnt(1)
	v_mul_f64 v[200:201], v[140:141], v[110:111]
	scratch_load_dwordx4 v[172:175], off, off offset:736
	v_fmac_f64_e32 v[200:201], v[142:143], v[108:109]
	v_add_f64 v[208:209], v[208:209], v[200:201]
	ds_read_b128 v[200:203], v2 offset:1408
	v_mul_f64 v[150:151], v[190:191], v[150:151]
	scratch_load_dwordx4 v[176:179], off, off offset:752
	scratch_load_dwordx4 v[180:183], off, off offset:768
	v_fma_f64 v[246:247], v[188:189], v[148:149], -v[150:151]
	ds_read_b128 v[148:151], v2 offset:1424
	s_waitcnt vmcnt(9) lgkmcnt(2)
	v_mul_f64 v[210:211], v[144:145], v[114:115]
	v_fmac_f64_e32 v[210:211], v[146:147], v[112:113]
	s_waitcnt vmcnt(8) lgkmcnt(1)
	v_mul_f64 v[188:189], v[200:201], v[118:119]
	v_add_f64 v[208:209], v[208:209], v[210:211]
	v_fmac_f64_e32 v[188:189], v[202:203], v[116:117]
	v_mul_f64 v[154:155], v[206:207], v[154:155]
	s_waitcnt vmcnt(7) lgkmcnt(0)
	v_mul_f64 v[190:191], v[148:149], v[122:123]
	v_add_f64 v[188:189], v[208:209], v[188:189]
	v_fma_f64 v[248:249], v[204:205], v[152:153], -v[154:155]
	ds_read_b128 v[152:155], v2 offset:1440
	v_fmac_f64_e32 v[190:191], v[150:151], v[120:121]
	v_add_f64 v[204:205], v[188:189], v[190:191]
	ds_read_b128 v[188:191], v2 offset:1456
	v_mul_f64 v[158:159], v[194:195], v[158:159]
	s_waitcnt vmcnt(6) lgkmcnt(1)
	v_mul_f64 v[206:207], v[152:153], v[126:127]
	v_fmac_f64_e32 v[206:207], v[154:155], v[124:125]
	v_fma_f64 v[250:251], v[192:193], v[156:157], -v[158:159]
	s_waitcnt vmcnt(5) lgkmcnt(0)
	v_mul_f64 v[192:193], v[188:189], v[130:131]
	v_add_f64 v[204:205], v[204:205], v[206:207]
	v_fmac_f64_e32 v[192:193], v[190:191], v[128:129]
	v_mul_f64 v[162:163], v[186:187], v[162:163]
	v_fma_f64 v[208:209], v[184:185], v[160:161], -v[162:163]
	v_add_f64 v[184:185], v[204:205], v[192:193]
	scratch_load_dwordx4 v[204:207], off, off offset:784
	v_add_f64 v[244:245], v[244:245], 0
	v_add_f64 v[242:243], v[244:245], v[242:243]
	;; [unrolled: 1-line block ×3, first 2 shown]
	scratch_load_dwordx4 v[244:247], off, off offset:208
	v_add_f64 v[242:243], v[242:243], v[248:249]
	v_mul_f64 v[166:167], v[198:199], v[166:167]
	v_add_f64 v[242:243], v[242:243], v[250:251]
	v_fma_f64 v[210:211], v[196:197], v[164:165], -v[166:167]
	v_add_f64 v[208:209], v[242:243], v[208:209]
	v_mul_f64 v[6:7], v[66:67], v[6:7]
	v_add_f64 v[208:209], v[208:209], v[210:211]
	v_fma_f64 v[4:5], v[64:65], v[4:5], -v[6:7]
	v_mul_f64 v[6:7], v[62:63], v[10:11]
	v_add_f64 v[4:5], v[208:209], v[4:5]
	v_fma_f64 v[6:7], v[60:61], v[8:9], -v[6:7]
	v_add_f64 v[4:5], v[4:5], v[6:7]
	v_mul_f64 v[6:7], v[54:55], v[14:15]
	v_fma_f64 v[6:7], v[52:53], v[12:13], -v[6:7]
	v_add_f64 v[4:5], v[4:5], v[6:7]
	v_mul_f64 v[6:7], v[74:75], v[18:19]
	v_fma_f64 v[6:7], v[72:73], v[16:17], -v[6:7]
	v_add_f64 v[4:5], v[4:5], v[6:7]
	v_mul_f64 v[6:7], v[70:71], v[22:23]
	v_fma_f64 v[6:7], v[68:69], v[20:21], -v[6:7]
	v_add_f64 v[4:5], v[4:5], v[6:7]
	v_mul_f64 v[6:7], v[94:95], v[26:27]
	v_fma_f64 v[6:7], v[92:93], v[24:25], -v[6:7]
	v_add_f64 v[4:5], v[4:5], v[6:7]
	v_mul_f64 v[6:7], v[90:91], v[30:31]
	v_fma_f64 v[6:7], v[88:89], v[28:29], -v[6:7]
	v_add_f64 v[4:5], v[4:5], v[6:7]
	v_mul_f64 v[6:7], v[86:87], v[34:35]
	v_fma_f64 v[6:7], v[84:85], v[32:33], -v[6:7]
	v_add_f64 v[4:5], v[4:5], v[6:7]
	v_mul_f64 v[6:7], v[82:83], v[38:39]
	v_fma_f64 v[6:7], v[80:81], v[36:37], -v[6:7]
	v_add_f64 v[4:5], v[4:5], v[6:7]
	v_mul_f64 v[6:7], v[170:171], v[42:43]
	v_fma_f64 v[6:7], v[168:169], v[40:41], -v[6:7]
	v_add_f64 v[4:5], v[4:5], v[6:7]
	v_mul_f64 v[6:7], v[214:215], v[46:47]
	v_fma_f64 v[6:7], v[212:213], v[44:45], -v[6:7]
	v_add_f64 v[4:5], v[4:5], v[6:7]
	v_mul_f64 v[6:7], v[218:219], v[50:51]
	v_fma_f64 v[6:7], v[216:217], v[48:49], -v[6:7]
	v_add_f64 v[4:5], v[4:5], v[6:7]
	v_mul_f64 v[6:7], v[222:223], v[58:59]
	v_fma_f64 v[6:7], v[220:221], v[56:57], -v[6:7]
	v_add_f64 v[4:5], v[4:5], v[6:7]
	v_mul_f64 v[6:7], v[226:227], v[78:79]
	v_fma_f64 v[6:7], v[224:225], v[76:77], -v[6:7]
	ds_read_b128 v[156:159], v2 offset:1472
	ds_read_b128 v[160:163], v2 offset:1488
	v_add_f64 v[4:5], v[4:5], v[6:7]
	v_mul_f64 v[6:7], v[230:231], v[98:99]
	v_fma_f64 v[6:7], v[228:229], v[96:97], -v[6:7]
	v_add_f64 v[4:5], v[4:5], v[6:7]
	v_mul_f64 v[6:7], v[234:235], v[102:103]
	v_fma_f64 v[6:7], v[232:233], v[100:101], -v[6:7]
	v_add_f64 v[4:5], v[4:5], v[6:7]
	v_mul_f64 v[6:7], v[238:239], v[106:107]
	s_waitcnt vmcnt(6) lgkmcnt(1)
	v_mul_f64 v[186:187], v[156:157], v[138:139]
	v_fma_f64 v[6:7], v[236:237], v[104:105], -v[6:7]
	v_fmac_f64_e32 v[186:187], v[158:159], v[136:137]
	v_add_f64 v[4:5], v[4:5], v[6:7]
	v_mul_f64 v[6:7], v[142:143], v[110:111]
	v_add_f64 v[192:193], v[184:185], v[186:187]
	ds_read_b128 v[184:187], v2 offset:1504
	ds_read_b128 v[164:167], v2 offset:1520
	v_fma_f64 v[6:7], v[140:141], v[108:109], -v[6:7]
	v_add_f64 v[4:5], v[4:5], v[6:7]
	v_mul_f64 v[6:7], v[146:147], v[114:115]
	v_fma_f64 v[6:7], v[144:145], v[112:113], -v[6:7]
	s_waitcnt vmcnt(5) lgkmcnt(2)
	v_mul_f64 v[194:195], v[160:161], v[134:135]
	v_add_f64 v[4:5], v[4:5], v[6:7]
	v_mul_f64 v[6:7], v[202:203], v[118:119]
	v_fmac_f64_e32 v[194:195], v[162:163], v[132:133]
	v_fma_f64 v[6:7], v[200:201], v[116:117], -v[6:7]
	v_add_f64 v[192:193], v[192:193], v[194:195]
	s_waitcnt vmcnt(4) lgkmcnt(1)
	v_mul_f64 v[194:195], v[184:185], v[174:175]
	v_add_f64 v[4:5], v[4:5], v[6:7]
	v_mul_f64 v[6:7], v[150:151], v[122:123]
	v_fmac_f64_e32 v[194:195], v[186:187], v[172:173]
	v_fma_f64 v[6:7], v[148:149], v[120:121], -v[6:7]
	v_add_f64 v[192:193], v[192:193], v[194:195]
	;; [unrolled: 7-line block ×3, first 2 shown]
	ds_read_b128 v[192:195], v2 offset:1536
	v_add_f64 v[4:5], v[4:5], v[6:7]
	v_mul_f64 v[6:7], v[190:191], v[130:131]
	v_fma_f64 v[6:7], v[188:189], v[128:129], -v[6:7]
	v_add_f64 v[4:5], v[4:5], v[6:7]
	v_mul_f64 v[6:7], v[158:159], v[138:139]
	v_fma_f64 v[6:7], v[156:157], v[136:137], -v[6:7]
	v_add_f64 v[4:5], v[4:5], v[6:7]
	v_mul_f64 v[6:7], v[162:163], v[134:135]
	s_waitcnt vmcnt(2) lgkmcnt(0)
	v_mul_f64 v[198:199], v[192:193], v[182:183]
	v_fma_f64 v[6:7], v[160:161], v[132:133], -v[6:7]
	v_fmac_f64_e32 v[198:199], v[194:195], v[180:181]
	v_add_f64 v[4:5], v[4:5], v[6:7]
	v_mul_f64 v[6:7], v[186:187], v[174:175]
	v_add_f64 v[252:253], v[196:197], v[198:199]
	ds_read_b128 v[196:199], v2 offset:1552
	v_fma_f64 v[6:7], v[184:185], v[172:173], -v[6:7]
	v_add_f64 v[4:5], v[4:5], v[6:7]
	v_mul_f64 v[6:7], v[166:167], v[178:179]
	v_fma_f64 v[6:7], v[164:165], v[176:177], -v[6:7]
	v_add_f64 v[4:5], v[4:5], v[6:7]
	v_mul_f64 v[6:7], v[194:195], v[182:183]
	v_fma_f64 v[6:7], v[192:193], v[180:181], -v[6:7]
	s_waitcnt vmcnt(1) lgkmcnt(0)
	v_mul_f64 v[2:3], v[196:197], v[206:207]
	v_add_f64 v[4:5], v[4:5], v[6:7]
	v_mul_f64 v[6:7], v[198:199], v[206:207]
	v_fmac_f64_e32 v[2:3], v[198:199], v[204:205]
	v_fma_f64 v[6:7], v[196:197], v[204:205], -v[6:7]
	v_add_f64 v[2:3], v[252:253], v[2:3]
	v_add_f64 v[4:5], v[4:5], v[6:7]
	s_waitcnt vmcnt(0)
	v_add_f64 v[4:5], v[244:245], -v[4:5]
	v_add_f64 v[6:7], v[246:247], -v[2:3]
	scratch_store_dwordx4 off, v[4:7], off offset:208
	s_and_saveexec_b64 s[0:1], vcc
	s_cbranch_execz .LBB112_285
; %bb.284:
	scratch_load_dwordx4 v[2:5], off, s54
	v_mov_b32_e32 v6, 0
	v_mov_b32_e32 v7, v6
	;; [unrolled: 1-line block ×4, first 2 shown]
	v_accvgpr_read_b32 v0, a99
	scratch_store_dwordx4 off, v[6:9], off offset:192
	s_waitcnt vmcnt(1)
	ds_write_b128 v0, v[2:5]
.LBB112_285:
	s_or_b64 exec, exec, s[0:1]
	s_waitcnt lgkmcnt(0)
	; wave barrier
	scratch_load_dwordx4 v[168:171], off, off offset:208
	scratch_load_dwordx4 v[172:175], off, off offset:224
	scratch_load_dwordx4 v[180:183], off, off offset:240
	scratch_load_dwordx4 v[184:187], off, off offset:256
	scratch_load_dwordx4 v[192:195], off, off offset:272
	scratch_load_dwordx4 v[196:199], off, off offset:288
	scratch_load_dwordx4 v[204:207], off, off offset:304
	scratch_load_dwordx4 v[208:211], off, off offset:320
	scratch_load_dwordx4 v[216:219], off, off offset:336
	scratch_load_dwordx4 v[4:7], off, off offset:352
	scratch_load_dwordx4 v[8:11], off, off offset:368
	scratch_load_dwordx4 v[12:15], off, off offset:384
	scratch_load_dwordx4 v[16:19], off, off offset:400
	scratch_load_dwordx4 v[20:23], off, off offset:416
	scratch_load_dwordx4 v[24:27], off, off offset:432
	scratch_load_dwordx4 v[28:31], off, off offset:448
	scratch_load_dwordx4 v[32:35], off, off offset:464
	scratch_load_dwordx4 v[36:39], off, off offset:480
	scratch_load_dwordx4 v[40:43], off, off offset:496
	scratch_load_dwordx4 v[44:47], off, off offset:512
	scratch_load_dwordx4 v[48:51], off, off offset:528
	scratch_load_dwordx4 v[52:55], off, off offset:544
	scratch_load_dwordx4 v[56:59], off, off offset:560
	scratch_load_dwordx4 v[60:63], off, off offset:576
	scratch_load_dwordx4 v[64:67], off, off offset:592
	scratch_load_dwordx4 v[68:71], off, off offset:608
	scratch_load_dwordx4 v[72:75], off, off offset:624
	scratch_load_dwordx4 v[76:79], off, off offset:640
	scratch_load_dwordx4 v[80:83], off, off offset:656
	scratch_load_dwordx4 v[84:87], off, off offset:672
	scratch_load_dwordx4 v[92:95], off, off offset:688
	scratch_load_dwordx4 v[88:91], off, off offset:704
	v_mov_b32_e32 v2, 0
	ds_read_b128 v[176:179], v2 offset:976
	ds_read_b128 v[188:191], v2 offset:992
	;; [unrolled: 1-line block ×17, first 2 shown]
	v_accvgpr_read_b32 v0, a98
	v_cmp_lt_u32_e32 vcc, 10, v0
	s_waitcnt vmcnt(31) lgkmcnt(14)
	v_mul_f64 v[104:105], v[176:177], v[170:171]
	s_waitcnt vmcnt(30)
	v_mul_f64 v[106:107], v[188:189], v[174:175]
	v_fmac_f64_e32 v[104:105], v[178:179], v[168:169]
	s_waitcnt vmcnt(29)
	v_mul_f64 v[108:109], v[200:201], v[182:183]
	v_fmac_f64_e32 v[106:107], v[190:191], v[172:173]
	v_add_f64 v[104:105], v[104:105], 0
	s_waitcnt vmcnt(28) lgkmcnt(13)
	v_mul_f64 v[110:111], v[212:213], v[186:187]
	v_fmac_f64_e32 v[108:109], v[202:203], v[180:181]
	v_add_f64 v[104:105], v[104:105], v[106:107]
	s_waitcnt vmcnt(27) lgkmcnt(12)
	;; [unrolled: 4-line block ×12, first 2 shown]
	v_mul_f64 v[156:157], v[112:113], v[26:27]
	v_fmac_f64_e32 v[154:155], v[118:119], v[20:21]
	v_add_f64 v[104:105], v[104:105], v[152:153]
	v_fmac_f64_e32 v[156:157], v[114:115], v[24:25]
	v_add_f64 v[104:105], v[104:105], v[154:155]
	s_waitcnt vmcnt(16) lgkmcnt(1)
	v_mul_f64 v[106:107], v[100:101], v[30:31]
	v_add_f64 v[104:105], v[104:105], v[156:157]
	v_fmac_f64_e32 v[106:107], v[102:103], v[28:29]
	v_add_f64 v[108:109], v[104:105], v[106:107]
	ds_read_b128 v[144:147], v2 offset:1248
	ds_read_b128 v[148:151], v2 offset:1264
	scratch_load_dwordx4 v[104:107], off, off offset:720
	s_waitcnt vmcnt(16) lgkmcnt(2)
	v_mul_f64 v[110:111], v[96:97], v[34:35]
	v_fmac_f64_e32 v[110:111], v[98:99], v[32:33]
	v_add_f64 v[120:121], v[108:109], v[110:111]
	scratch_load_dwordx4 v[108:111], off, off offset:736
	s_waitcnt vmcnt(16) lgkmcnt(1)
	v_mul_f64 v[122:123], v[144:145], v[38:39]
	v_fmac_f64_e32 v[122:123], v[146:147], v[36:37]
	v_add_f64 v[132:133], v[120:121], v[122:123]
	s_waitcnt vmcnt(15) lgkmcnt(0)
	v_mul_f64 v[134:135], v[148:149], v[42:43]
	scratch_load_dwordx4 v[120:123], off, off offset:752
	v_fmac_f64_e32 v[134:135], v[150:151], v[40:41]
	v_add_f64 v[160:161], v[132:133], v[134:135]
	scratch_load_dwordx4 v[132:135], off, off offset:768
	ds_read_b128 v[152:155], v2 offset:1280
	ds_read_b128 v[156:159], v2 offset:1296
	v_mul_f64 v[170:171], v[178:179], v[170:171]
	v_fma_f64 v[250:251], v[176:177], v[168:169], -v[170:171]
	ds_read_b128 v[168:171], v2 offset:1344
	s_waitcnt vmcnt(16) lgkmcnt(2)
	v_mul_f64 v[162:163], v[152:153], v[46:47]
	v_fmac_f64_e32 v[162:163], v[154:155], v[44:45]
	s_waitcnt vmcnt(15) lgkmcnt(1)
	v_mul_f64 v[166:167], v[156:157], v[50:51]
	v_add_f64 v[164:165], v[160:161], v[162:163]
	ds_read_b128 v[160:163], v2 offset:1312
	v_fmac_f64_e32 v[166:167], v[158:159], v[48:49]
	v_add_f64 v[232:233], v[164:165], v[166:167]
	ds_read_b128 v[164:167], v2 offset:1328
	v_mul_f64 v[174:175], v[190:191], v[174:175]
	s_waitcnt vmcnt(14) lgkmcnt(1)
	v_mul_f64 v[234:235], v[160:161], v[54:55]
	v_fmac_f64_e32 v[234:235], v[162:163], v[52:53]
	v_add_f64 v[232:233], v[232:233], v[234:235]
	s_waitcnt vmcnt(13) lgkmcnt(0)
	v_mul_f64 v[176:177], v[164:165], v[58:59]
	v_fmac_f64_e32 v[176:177], v[166:167], v[56:57]
	v_fma_f64 v[252:253], v[188:189], v[172:173], -v[174:175]
	ds_read_b128 v[172:175], v2 offset:1360
	s_waitcnt vmcnt(12)
	v_mul_f64 v[178:179], v[168:169], v[62:63]
	v_add_f64 v[176:177], v[232:233], v[176:177]
	v_fmac_f64_e32 v[178:179], v[170:171], v[60:61]
	v_add_f64 v[188:189], v[176:177], v[178:179]
	ds_read_b128 v[176:179], v2 offset:1376
	v_mul_f64 v[182:183], v[202:203], v[182:183]
	v_fma_f64 v[254:255], v[200:201], v[180:181], -v[182:183]
	ds_read_b128 v[180:183], v2 offset:1392
	s_waitcnt vmcnt(11) lgkmcnt(2)
	v_mul_f64 v[190:191], v[172:173], v[66:67]
	v_fmac_f64_e32 v[190:191], v[174:175], v[64:65]
	v_add_f64 v[188:189], v[188:189], v[190:191]
	s_waitcnt vmcnt(10) lgkmcnt(1)
	v_mul_f64 v[190:191], v[176:177], v[70:71]
	v_fmac_f64_e32 v[190:191], v[178:179], v[68:69]
	v_mul_f64 v[186:187], v[214:215], v[186:187]
	v_fma_f64 v[240:241], v[212:213], v[184:185], -v[186:187]
	ds_read_b128 v[184:187], v2 offset:1408
	v_add_f64 v[188:189], v[188:189], v[190:191]
	s_waitcnt vmcnt(9) lgkmcnt(1)
	v_mul_f64 v[190:191], v[180:181], v[74:75]
	v_fmac_f64_e32 v[190:191], v[182:183], v[72:73]
	v_add_f64 v[200:201], v[188:189], v[190:191]
	ds_read_b128 v[188:191], v2 offset:1424
	v_mul_f64 v[194:195], v[222:223], v[194:195]
	v_fma_f64 v[232:233], v[220:221], v[192:193], -v[194:195]
	ds_read_b128 v[192:195], v2 offset:1440
	s_waitcnt vmcnt(8) lgkmcnt(2)
	v_mul_f64 v[202:203], v[184:185], v[78:79]
	v_fmac_f64_e32 v[202:203], v[186:187], v[76:77]
	v_add_f64 v[200:201], v[200:201], v[202:203]
	s_waitcnt vmcnt(7) lgkmcnt(1)
	v_mul_f64 v[202:203], v[188:189], v[82:83]
	v_fmac_f64_e32 v[202:203], v[190:191], v[80:81]
	v_mul_f64 v[198:199], v[226:227], v[198:199]
	v_add_f64 v[200:201], v[200:201], v[202:203]
	v_fma_f64 v[234:235], v[224:225], v[196:197], -v[198:199]
	ds_read_b128 v[196:199], v2 offset:1456
	s_waitcnt vmcnt(6) lgkmcnt(1)
	v_mul_f64 v[202:203], v[192:193], v[86:87]
	v_fmac_f64_e32 v[202:203], v[194:195], v[84:85]
	v_add_f64 v[212:213], v[200:201], v[202:203]
	ds_read_b128 v[200:203], v2 offset:1472
	v_mul_f64 v[206:207], v[230:231], v[206:207]
	v_fma_f64 v[236:237], v[228:229], v[204:205], -v[206:207]
	ds_read_b128 v[204:207], v2 offset:1488
	s_waitcnt vmcnt(5) lgkmcnt(2)
	v_mul_f64 v[214:215], v[196:197], v[94:95]
	v_fmac_f64_e32 v[214:215], v[198:199], v[92:93]
	v_add_f64 v[212:213], v[212:213], v[214:215]
	s_waitcnt vmcnt(4) lgkmcnt(1)
	v_mul_f64 v[214:215], v[200:201], v[90:91]
	v_fmac_f64_e32 v[214:215], v[202:203], v[88:89]
	v_mul_f64 v[210:211], v[244:245], v[210:211]
	v_fma_f64 v[238:239], v[242:243], v[208:209], -v[210:211]
	ds_read_b128 v[208:211], v2 offset:1504
	v_add_f64 v[212:213], v[212:213], v[214:215]
	s_waitcnt vmcnt(3) lgkmcnt(1)
	v_mul_f64 v[214:215], v[204:205], v[106:107]
	v_fmac_f64_e32 v[214:215], v[206:207], v[104:105]
	v_add_f64 v[220:221], v[212:213], v[214:215]
	ds_read_b128 v[212:215], v2 offset:1520
	v_mul_f64 v[218:219], v[248:249], v[218:219]
	v_fma_f64 v[242:243], v[246:247], v[216:217], -v[218:219]
	ds_read_b128 v[216:219], v2 offset:1536
	ds_read_b128 v[224:227], v2 offset:1552
	s_waitcnt vmcnt(2) lgkmcnt(3)
	v_mul_f64 v[222:223], v[208:209], v[110:111]
	v_fmac_f64_e32 v[222:223], v[210:211], v[108:109]
	v_add_f64 v[220:221], v[220:221], v[222:223]
	s_waitcnt vmcnt(1) lgkmcnt(2)
	v_mul_f64 v[222:223], v[212:213], v[122:123]
	v_fmac_f64_e32 v[222:223], v[214:215], v[120:121]
	v_add_f64 v[220:221], v[220:221], v[222:223]
	;; [unrolled: 4-line block ×3, first 2 shown]
	scratch_load_dwordx4 v[220:223], off, off offset:784
	v_mul_f64 v[6:7], v[142:143], v[6:7]
	v_fma_f64 v[4:5], v[140:141], v[4:5], -v[6:7]
	v_mul_f64 v[6:7], v[138:139], v[10:11]
	v_fma_f64 v[6:7], v[136:137], v[8:9], -v[6:7]
	s_waitcnt vmcnt(0) lgkmcnt(0)
	v_mul_f64 v[230:231], v[224:225], v[222:223]
	v_fmac_f64_e32 v[230:231], v[226:227], v[220:221]
	v_add_f64 v[246:247], v[228:229], v[230:231]
	v_add_f64 v[228:229], v[250:251], 0
	;; [unrolled: 1-line block ×6, first 2 shown]
	scratch_load_dwordx4 v[228:231], off, off offset:192
	v_add_f64 v[232:233], v[244:245], v[234:235]
	v_add_f64 v[232:233], v[232:233], v[236:237]
	;; [unrolled: 1-line block ×6, first 2 shown]
	v_mul_f64 v[6:7], v[130:131], v[14:15]
	v_fma_f64 v[6:7], v[128:129], v[12:13], -v[6:7]
	v_add_f64 v[4:5], v[4:5], v[6:7]
	v_mul_f64 v[6:7], v[126:127], v[18:19]
	v_fma_f64 v[6:7], v[124:125], v[16:17], -v[6:7]
	v_add_f64 v[4:5], v[4:5], v[6:7]
	;; [unrolled: 3-line block ×26, first 2 shown]
	s_waitcnt vmcnt(0)
	v_add_f64 v[4:5], v[228:229], -v[4:5]
	v_add_f64 v[6:7], v[230:231], -v[246:247]
	scratch_store_dwordx4 off, v[4:7], off offset:192
	s_and_saveexec_b64 s[0:1], vcc
	s_cbranch_execz .LBB112_287
; %bb.286:
	scratch_load_dwordx4 v[6:9], off, s55
	v_mov_b32_e32 v3, v2
	v_mov_b32_e32 v4, v2
	;; [unrolled: 1-line block ×3, first 2 shown]
	v_accvgpr_read_b32 v0, a99
	scratch_store_dwordx4 off, v[2:5], off offset:176
	s_waitcnt vmcnt(1)
	ds_write_b128 v0, v[6:9]
.LBB112_287:
	s_or_b64 exec, exec, s[0:1]
	s_waitcnt lgkmcnt(0)
	; wave barrier
	scratch_load_dwordx4 v[168:171], off, off offset:192
	scratch_load_dwordx4 v[172:175], off, off offset:208
	;; [unrolled: 1-line block ×16, first 2 shown]
	ds_read_b128 v[232:235], v2 offset:960
	ds_read_b128 v[176:179], v2 offset:976
	scratch_load_dwordx4 v[32:35], off, off offset:448
	ds_read_b128 v[236:239], v2 offset:992
	ds_read_b128 v[188:191], v2 offset:1008
	;; [unrolled: 1-line block ×5, first 2 shown]
	scratch_load_dwordx4 v[36:39], off, off offset:464
	ds_read_b128 v[224:227], v2 offset:1072
	ds_read_b128 v[220:223], v2 offset:1088
	;; [unrolled: 1-line block ×3, first 2 shown]
	scratch_load_dwordx4 v[40:43], off, off offset:480
	ds_read_b128 v[64:67], v2 offset:1120
	ds_read_b128 v[60:63], v2 offset:1136
	;; [unrolled: 1-line block ×4, first 2 shown]
	scratch_load_dwordx4 v[48:51], off, off offset:496
	ds_read_b128 v[80:83], v2 offset:1184
	ds_read_b128 v[72:75], v2 offset:1200
	;; [unrolled: 1-line block ×3, first 2 shown]
	scratch_load_dwordx4 v[76:79], off, off offset:512
	scratch_load_dwordx4 v[84:87], off, off offset:528
	scratch_load_dwordx4 v[88:91], off, off offset:544
	scratch_load_dwordx4 v[92:95], off, off offset:560
	scratch_load_dwordx4 v[96:99], off, off offset:576
	scratch_load_dwordx4 v[100:103], off, off offset:592
	scratch_load_dwordx4 v[104:107], off, off offset:608
	scratch_load_dwordx4 v[108:111], off, off offset:624
	scratch_load_dwordx4 v[112:115], off, off offset:640
	scratch_load_dwordx4 v[116:119], off, off offset:656
	scratch_load_dwordx4 v[124:127], off, off offset:672
	scratch_load_dwordx4 v[120:123], off, off offset:688
	v_accvgpr_read_b32 v0, a98
	v_cmp_lt_u32_e32 vcc, 9, v0
	s_waitcnt vmcnt(31) lgkmcnt(14)
	v_mul_f64 v[128:129], v[232:233], v[170:171]
	s_waitcnt vmcnt(30)
	v_mul_f64 v[130:131], v[176:177], v[174:175]
	v_fmac_f64_e32 v[128:129], v[234:235], v[168:169]
	s_waitcnt vmcnt(29)
	v_mul_f64 v[132:133], v[236:237], v[182:183]
	v_fmac_f64_e32 v[130:131], v[178:179], v[172:173]
	v_add_f64 v[128:129], v[128:129], 0
	s_waitcnt vmcnt(28) lgkmcnt(13)
	v_mul_f64 v[134:135], v[188:189], v[186:187]
	v_fmac_f64_e32 v[132:133], v[238:239], v[180:181]
	v_add_f64 v[128:129], v[128:129], v[130:131]
	s_waitcnt vmcnt(27) lgkmcnt(12)
	;; [unrolled: 4-line block ×13, first 2 shown]
	v_mul_f64 v[158:159], v[72:73], v[30:31]
	v_fmac_f64_e32 v[156:157], v[82:83], v[24:25]
	v_add_f64 v[128:129], v[128:129], v[154:155]
	v_add_f64 v[128:129], v[128:129], v[156:157]
	v_fmac_f64_e32 v[158:159], v[74:75], v[28:29]
	v_add_f64 v[132:133], v[128:129], v[158:159]
	ds_read_b128 v[144:147], v2 offset:1232
	ds_read_b128 v[148:151], v2 offset:1248
	scratch_load_dwordx4 v[128:131], off, off offset:704
	s_waitcnt vmcnt(16) lgkmcnt(2)
	v_mul_f64 v[134:135], v[68:69], v[34:35]
	v_fmac_f64_e32 v[134:135], v[70:71], v[32:33]
	s_waitcnt vmcnt(15) lgkmcnt(1)
	v_mul_f64 v[138:139], v[144:145], v[38:39]
	v_add_f64 v[136:137], v[132:133], v[134:135]
	scratch_load_dwordx4 v[132:135], off, off offset:720
	v_fmac_f64_e32 v[138:139], v[146:147], v[36:37]
	v_add_f64 v[140:141], v[136:137], v[138:139]
	s_waitcnt vmcnt(15) lgkmcnt(0)
	v_mul_f64 v[142:143], v[148:149], v[42:43]
	scratch_load_dwordx4 v[136:139], off, off offset:736
	v_fmac_f64_e32 v[142:143], v[150:151], v[40:41]
	v_add_f64 v[160:161], v[140:141], v[142:143]
	scratch_load_dwordx4 v[140:143], off, off offset:752
	ds_read_b128 v[152:155], v2 offset:1264
	ds_read_b128 v[156:159], v2 offset:1280
	v_mul_f64 v[170:171], v[234:235], v[170:171]
	v_fma_f64 v[246:247], v[232:233], v[168:169], -v[170:171]
	ds_read_b128 v[168:171], v2 offset:1328
	s_waitcnt vmcnt(16) lgkmcnt(2)
	v_mul_f64 v[162:163], v[152:153], v[50:51]
	v_fmac_f64_e32 v[162:163], v[154:155], v[48:49]
	s_waitcnt vmcnt(15) lgkmcnt(1)
	v_mul_f64 v[166:167], v[156:157], v[78:79]
	v_add_f64 v[164:165], v[160:161], v[162:163]
	ds_read_b128 v[160:163], v2 offset:1296
	v_fmac_f64_e32 v[166:167], v[158:159], v[76:77]
	v_add_f64 v[240:241], v[164:165], v[166:167]
	ds_read_b128 v[164:167], v2 offset:1312
	v_mul_f64 v[174:175], v[178:179], v[174:175]
	s_waitcnt vmcnt(14) lgkmcnt(1)
	v_mul_f64 v[242:243], v[160:161], v[86:87]
	v_fmac_f64_e32 v[242:243], v[162:163], v[84:85]
	v_add_f64 v[240:241], v[240:241], v[242:243]
	s_waitcnt vmcnt(13) lgkmcnt(0)
	v_mul_f64 v[232:233], v[164:165], v[90:91]
	v_fmac_f64_e32 v[232:233], v[166:167], v[88:89]
	v_add_f64 v[232:233], v[240:241], v[232:233]
	v_fma_f64 v[240:241], v[176:177], v[172:173], -v[174:175]
	ds_read_b128 v[172:175], v2 offset:1344
	s_waitcnt vmcnt(12)
	v_mul_f64 v[176:177], v[168:169], v[94:95]
	v_fmac_f64_e32 v[176:177], v[170:171], v[92:93]
	v_add_f64 v[232:233], v[232:233], v[176:177]
	ds_read_b128 v[176:179], v2 offset:1360
	v_mul_f64 v[182:183], v[238:239], v[182:183]
	v_fma_f64 v[236:237], v[236:237], v[180:181], -v[182:183]
	ds_read_b128 v[180:183], v2 offset:1376
	s_waitcnt vmcnt(11) lgkmcnt(2)
	v_mul_f64 v[234:235], v[172:173], v[98:99]
	v_fmac_f64_e32 v[234:235], v[174:175], v[96:97]
	v_add_f64 v[232:233], v[232:233], v[234:235]
	s_waitcnt vmcnt(10) lgkmcnt(1)
	v_mul_f64 v[234:235], v[176:177], v[102:103]
	v_fmac_f64_e32 v[234:235], v[178:179], v[100:101]
	v_mul_f64 v[186:187], v[190:191], v[186:187]
	s_waitcnt vmcnt(9) lgkmcnt(0)
	v_mul_f64 v[190:191], v[180:181], v[106:107]
	v_fma_f64 v[238:239], v[188:189], v[184:185], -v[186:187]
	ds_read_b128 v[184:187], v2 offset:1392
	v_add_f64 v[188:189], v[232:233], v[234:235]
	v_fmac_f64_e32 v[190:191], v[182:183], v[104:105]
	v_add_f64 v[232:233], v[188:189], v[190:191]
	ds_read_b128 v[188:191], v2 offset:1408
	v_mul_f64 v[194:195], v[230:231], v[194:195]
	v_fma_f64 v[248:249], v[228:229], v[192:193], -v[194:195]
	ds_read_b128 v[192:195], v2 offset:1424
	s_waitcnt vmcnt(8) lgkmcnt(2)
	v_mul_f64 v[234:235], v[184:185], v[110:111]
	v_fmac_f64_e32 v[234:235], v[186:187], v[108:109]
	s_waitcnt vmcnt(7) lgkmcnt(1)
	v_mul_f64 v[228:229], v[188:189], v[114:115]
	v_mul_f64 v[198:199], v[202:203], v[198:199]
	v_add_f64 v[232:233], v[232:233], v[234:235]
	v_fmac_f64_e32 v[228:229], v[190:191], v[112:113]
	v_fma_f64 v[250:251], v[200:201], v[196:197], -v[198:199]
	ds_read_b128 v[196:199], v2 offset:1440
	s_waitcnt vmcnt(6) lgkmcnt(1)
	v_mul_f64 v[200:201], v[192:193], v[118:119]
	v_add_f64 v[228:229], v[232:233], v[228:229]
	v_fmac_f64_e32 v[200:201], v[194:195], v[116:117]
	v_add_f64 v[228:229], v[228:229], v[200:201]
	ds_read_b128 v[200:203], v2 offset:1456
	v_mul_f64 v[206:207], v[214:215], v[206:207]
	v_fma_f64 v[252:253], v[212:213], v[204:205], -v[206:207]
	ds_read_b128 v[204:207], v2 offset:1472
	s_waitcnt vmcnt(5) lgkmcnt(2)
	v_mul_f64 v[230:231], v[196:197], v[126:127]
	v_fmac_f64_e32 v[230:231], v[198:199], v[124:125]
	s_waitcnt vmcnt(4) lgkmcnt(1)
	v_mul_f64 v[212:213], v[200:201], v[122:123]
	v_add_f64 v[228:229], v[228:229], v[230:231]
	v_fmac_f64_e32 v[212:213], v[202:203], v[120:121]
	v_mul_f64 v[210:211], v[226:227], v[210:211]
	s_waitcnt vmcnt(3) lgkmcnt(0)
	v_mul_f64 v[214:215], v[204:205], v[130:131]
	v_fma_f64 v[242:243], v[224:225], v[208:209], -v[210:211]
	ds_read_b128 v[208:211], v2 offset:1488
	v_add_f64 v[212:213], v[228:229], v[212:213]
	v_fmac_f64_e32 v[214:215], v[206:207], v[128:129]
	v_add_f64 v[224:225], v[212:213], v[214:215]
	ds_read_b128 v[212:215], v2 offset:1504
	v_mul_f64 v[218:219], v[222:223], v[218:219]
	v_fma_f64 v[244:245], v[220:221], v[216:217], -v[218:219]
	ds_read_b128 v[216:219], v2 offset:1520
	s_waitcnt vmcnt(2) lgkmcnt(2)
	v_mul_f64 v[220:221], v[208:209], v[134:135]
	v_fmac_f64_e32 v[220:221], v[210:211], v[132:133]
	s_waitcnt vmcnt(1) lgkmcnt(1)
	v_mul_f64 v[222:223], v[212:213], v[138:139]
	v_add_f64 v[220:221], v[224:225], v[220:221]
	v_fmac_f64_e32 v[222:223], v[214:215], v[136:137]
	v_add_f64 v[220:221], v[220:221], v[222:223]
	ds_read_b128 v[224:227], v2 offset:1536
	s_waitcnt vmcnt(0) lgkmcnt(1)
	v_mul_f64 v[222:223], v[216:217], v[142:143]
	v_fmac_f64_e32 v[222:223], v[218:219], v[140:141]
	v_add_f64 v[228:229], v[220:221], v[222:223]
	scratch_load_dwordx4 v[220:223], off, off offset:768
	scratch_load_dwordx4 v[232:235], off, off offset:784
	v_add_f64 v[246:247], v[246:247], 0
	v_add_f64 v[240:241], v[246:247], v[240:241]
	v_add_f64 v[236:237], v[240:241], v[236:237]
	v_add_f64 v[236:237], v[236:237], v[238:239]
	v_add_f64 v[236:237], v[236:237], v[248:249]
	v_add_f64 v[236:237], v[236:237], v[250:251]
	v_mul_f64 v[6:7], v[46:47], v[6:7]
	v_fma_f64 v[4:5], v[44:45], v[4:5], -v[6:7]
	v_mul_f64 v[6:7], v[66:67], v[10:11]
	v_fma_f64 v[6:7], v[64:65], v[8:9], -v[6:7]
	s_waitcnt vmcnt(1) lgkmcnt(0)
	v_mul_f64 v[230:231], v[224:225], v[222:223]
	v_fmac_f64_e32 v[230:231], v[226:227], v[220:221]
	v_add_f64 v[254:255], v[228:229], v[230:231]
	ds_read_b128 v[228:231], v2 offset:1552
	s_waitcnt vmcnt(0) lgkmcnt(0)
	v_mul_f64 v[2:3], v[228:229], v[234:235]
	v_fmac_f64_e32 v[2:3], v[230:231], v[232:233]
	v_add_f64 v[2:3], v[254:255], v[2:3]
	v_add_f64 v[254:255], v[236:237], v[252:253]
	scratch_load_dwordx4 v[236:239], off, off offset:176
	v_add_f64 v[240:241], v[254:255], v[242:243]
	v_add_f64 v[240:241], v[240:241], v[244:245]
	;; [unrolled: 1-line block ×4, first 2 shown]
	v_mul_f64 v[6:7], v[62:63], v[14:15]
	v_fma_f64 v[6:7], v[60:61], v[12:13], -v[6:7]
	v_add_f64 v[4:5], v[4:5], v[6:7]
	v_mul_f64 v[6:7], v[58:59], v[18:19]
	v_fma_f64 v[6:7], v[56:57], v[16:17], -v[6:7]
	v_add_f64 v[4:5], v[4:5], v[6:7]
	v_mul_f64 v[6:7], v[54:55], v[22:23]
	v_fma_f64 v[6:7], v[52:53], v[20:21], -v[6:7]
	v_add_f64 v[4:5], v[4:5], v[6:7]
	v_mul_f64 v[6:7], v[82:83], v[26:27]
	v_fma_f64 v[6:7], v[80:81], v[24:25], -v[6:7]
	v_add_f64 v[4:5], v[4:5], v[6:7]
	v_mul_f64 v[6:7], v[74:75], v[30:31]
	v_fma_f64 v[6:7], v[72:73], v[28:29], -v[6:7]
	v_add_f64 v[4:5], v[4:5], v[6:7]
	v_mul_f64 v[6:7], v[70:71], v[34:35]
	v_fma_f64 v[6:7], v[68:69], v[32:33], -v[6:7]
	v_add_f64 v[4:5], v[4:5], v[6:7]
	v_mul_f64 v[6:7], v[146:147], v[38:39]
	v_fma_f64 v[6:7], v[144:145], v[36:37], -v[6:7]
	v_add_f64 v[4:5], v[4:5], v[6:7]
	v_mul_f64 v[6:7], v[150:151], v[42:43]
	v_fma_f64 v[6:7], v[148:149], v[40:41], -v[6:7]
	v_add_f64 v[4:5], v[4:5], v[6:7]
	v_mul_f64 v[6:7], v[154:155], v[50:51]
	v_fma_f64 v[6:7], v[152:153], v[48:49], -v[6:7]
	v_add_f64 v[4:5], v[4:5], v[6:7]
	v_mul_f64 v[6:7], v[158:159], v[78:79]
	v_fma_f64 v[6:7], v[156:157], v[76:77], -v[6:7]
	v_add_f64 v[4:5], v[4:5], v[6:7]
	v_mul_f64 v[6:7], v[162:163], v[86:87]
	v_fma_f64 v[6:7], v[160:161], v[84:85], -v[6:7]
	v_add_f64 v[4:5], v[4:5], v[6:7]
	v_mul_f64 v[6:7], v[166:167], v[90:91]
	v_fma_f64 v[6:7], v[164:165], v[88:89], -v[6:7]
	v_add_f64 v[4:5], v[4:5], v[6:7]
	v_mul_f64 v[6:7], v[170:171], v[94:95]
	v_fma_f64 v[6:7], v[168:169], v[92:93], -v[6:7]
	v_add_f64 v[4:5], v[4:5], v[6:7]
	v_mul_f64 v[6:7], v[174:175], v[98:99]
	v_fma_f64 v[6:7], v[172:173], v[96:97], -v[6:7]
	v_add_f64 v[4:5], v[4:5], v[6:7]
	v_mul_f64 v[6:7], v[178:179], v[102:103]
	v_fma_f64 v[6:7], v[176:177], v[100:101], -v[6:7]
	v_add_f64 v[4:5], v[4:5], v[6:7]
	v_mul_f64 v[6:7], v[182:183], v[106:107]
	v_fma_f64 v[6:7], v[180:181], v[104:105], -v[6:7]
	v_add_f64 v[4:5], v[4:5], v[6:7]
	v_mul_f64 v[6:7], v[186:187], v[110:111]
	v_fma_f64 v[6:7], v[184:185], v[108:109], -v[6:7]
	v_add_f64 v[4:5], v[4:5], v[6:7]
	v_mul_f64 v[6:7], v[190:191], v[114:115]
	v_fma_f64 v[6:7], v[188:189], v[112:113], -v[6:7]
	v_add_f64 v[4:5], v[4:5], v[6:7]
	v_mul_f64 v[6:7], v[194:195], v[118:119]
	v_fma_f64 v[6:7], v[192:193], v[116:117], -v[6:7]
	v_add_f64 v[4:5], v[4:5], v[6:7]
	v_mul_f64 v[6:7], v[198:199], v[126:127]
	v_fma_f64 v[6:7], v[196:197], v[124:125], -v[6:7]
	v_add_f64 v[4:5], v[4:5], v[6:7]
	v_mul_f64 v[6:7], v[202:203], v[122:123]
	v_fma_f64 v[6:7], v[200:201], v[120:121], -v[6:7]
	v_add_f64 v[4:5], v[4:5], v[6:7]
	v_mul_f64 v[6:7], v[206:207], v[130:131]
	v_fma_f64 v[6:7], v[204:205], v[128:129], -v[6:7]
	v_add_f64 v[4:5], v[4:5], v[6:7]
	v_mul_f64 v[6:7], v[210:211], v[134:135]
	v_fma_f64 v[6:7], v[208:209], v[132:133], -v[6:7]
	v_add_f64 v[4:5], v[4:5], v[6:7]
	v_mul_f64 v[6:7], v[214:215], v[138:139]
	v_fma_f64 v[6:7], v[212:213], v[136:137], -v[6:7]
	v_add_f64 v[4:5], v[4:5], v[6:7]
	v_mul_f64 v[6:7], v[218:219], v[142:143]
	v_fma_f64 v[6:7], v[216:217], v[140:141], -v[6:7]
	v_add_f64 v[4:5], v[4:5], v[6:7]
	v_mul_f64 v[6:7], v[226:227], v[222:223]
	v_fma_f64 v[6:7], v[224:225], v[220:221], -v[6:7]
	v_add_f64 v[4:5], v[4:5], v[6:7]
	v_mul_f64 v[6:7], v[230:231], v[234:235]
	v_fma_f64 v[6:7], v[228:229], v[232:233], -v[6:7]
	v_add_f64 v[4:5], v[4:5], v[6:7]
	s_waitcnt vmcnt(0)
	v_add_f64 v[4:5], v[236:237], -v[4:5]
	v_add_f64 v[6:7], v[238:239], -v[2:3]
	scratch_store_dwordx4 off, v[4:7], off offset:176
	s_and_saveexec_b64 s[0:1], vcc
	s_cbranch_execz .LBB112_289
; %bb.288:
	scratch_load_dwordx4 v[2:5], off, s56
	v_mov_b32_e32 v6, 0
	v_mov_b32_e32 v7, v6
	;; [unrolled: 1-line block ×4, first 2 shown]
	v_accvgpr_read_b32 v0, a99
	scratch_store_dwordx4 off, v[6:9], off offset:160
	s_waitcnt vmcnt(1)
	ds_write_b128 v0, v[2:5]
.LBB112_289:
	s_or_b64 exec, exec, s[0:1]
	s_waitcnt lgkmcnt(0)
	; wave barrier
	scratch_load_dwordx4 v[80:83], off, off offset:176
	scratch_load_dwordx4 v[84:87], off, off offset:192
	;; [unrolled: 1-line block ×31, first 2 shown]
	v_mov_b32_e32 v2, 0
	ds_read_b128 v[196:199], v2 offset:944
	ds_read_b128 v[200:203], v2 offset:960
	;; [unrolled: 1-line block ×20, first 2 shown]
	s_waitcnt vmcnt(30) lgkmcnt(14)
	v_mul_f64 v[140:141], v[196:197], v[82:83]
	s_waitcnt vmcnt(29)
	v_mul_f64 v[142:143], v[200:201], v[86:87]
	v_fmac_f64_e32 v[140:141], v[198:199], v[80:81]
	s_waitcnt vmcnt(28)
	v_mul_f64 v[152:153], v[204:205], v[90:91]
	v_fmac_f64_e32 v[142:143], v[202:203], v[84:85]
	v_add_f64 v[140:141], v[140:141], 0
	s_waitcnt vmcnt(27)
	v_mul_f64 v[154:155], v[208:209], v[94:95]
	v_fmac_f64_e32 v[152:153], v[206:207], v[88:89]
	v_add_f64 v[140:141], v[140:141], v[142:143]
	;; [unrolled: 4-line block ×4, first 2 shown]
	s_waitcnt vmcnt(24) lgkmcnt(13)
	v_mul_f64 v[164:165], v[220:221], v[106:107]
	v_fmac_f64_e32 v[162:163], v[218:219], v[100:101]
	v_add_f64 v[140:141], v[140:141], v[160:161]
	s_waitcnt vmcnt(23) lgkmcnt(12)
	v_mul_f64 v[166:167], v[224:225], v[110:111]
	v_fmac_f64_e32 v[164:165], v[222:223], v[104:105]
	v_add_f64 v[140:141], v[140:141], v[162:163]
	;; [unrolled: 4-line block ×8, first 2 shown]
	v_fmac_f64_e32 v[178:179], v[146:147], v[12:13]
	v_add_f64 v[140:141], v[140:141], v[176:177]
	v_add_f64 v[140:141], v[140:141], v[178:179]
	ds_read_b128 v[176:179], v2 offset:1216
	s_waitcnt vmcnt(16) lgkmcnt(6)
	v_mul_f64 v[180:181], v[136:137], v[18:19]
	s_waitcnt vmcnt(15) lgkmcnt(5)
	v_mul_f64 v[182:183], v[132:133], v[22:23]
	v_fmac_f64_e32 v[180:181], v[138:139], v[16:17]
	v_add_f64 v[152:153], v[140:141], v[180:181]
	v_fmac_f64_e32 v[182:183], v[134:135], v[20:21]
	scratch_load_dwordx4 v[140:143], off, off offset:672
	s_waitcnt vmcnt(15) lgkmcnt(4)
	v_mul_f64 v[154:155], v[128:129], v[26:27]
	v_add_f64 v[152:153], v[152:153], v[182:183]
	v_fmac_f64_e32 v[154:155], v[130:131], v[24:25]
	v_add_f64 v[160:161], v[152:153], v[154:155]
	ds_read_b128 v[180:183], v2 offset:1232
	s_waitcnt vmcnt(14) lgkmcnt(1)
	v_mul_f64 v[162:163], v[176:177], v[30:31]
	scratch_load_dwordx4 v[152:155], off, off offset:688
	v_fmac_f64_e32 v[162:163], v[178:179], v[28:29]
	v_add_f64 v[164:165], v[160:161], v[162:163]
	scratch_load_dwordx4 v[160:163], off, off offset:704
	s_waitcnt vmcnt(15) lgkmcnt(0)
	v_mul_f64 v[166:167], v[180:181], v[34:35]
	v_fmac_f64_e32 v[166:167], v[182:183], v[32:33]
	v_add_f64 v[168:169], v[164:165], v[166:167]
	s_waitcnt vmcnt(14)
	v_mul_f64 v[170:171], v[184:185], v[38:39]
	scratch_load_dwordx4 v[164:167], off, off offset:720
	v_fmac_f64_e32 v[170:171], v[186:187], v[36:37]
	v_add_f64 v[168:169], v[168:169], v[170:171]
	s_waitcnt vmcnt(14)
	v_mul_f64 v[170:171], v[188:189], v[42:43]
	scratch_load_dwordx4 v[172:175], off, off offset:736
	v_fmac_f64_e32 v[170:171], v[190:191], v[40:41]
	v_add_f64 v[232:233], v[168:169], v[170:171]
	scratch_load_dwordx4 v[168:171], off, off offset:752
	v_mul_f64 v[82:83], v[198:199], v[82:83]
	v_fma_f64 v[240:241], v[196:197], v[80:81], -v[82:83]
	ds_read_b128 v[196:199], v2 offset:1296
	s_waitcnt vmcnt(15)
	v_mul_f64 v[80:81], v[192:193], v[46:47]
	v_fmac_f64_e32 v[80:81], v[194:195], v[44:45]
	v_add_f64 v[232:233], v[232:233], v[80:81]
	v_mul_f64 v[80:81], v[202:203], v[86:87]
	v_fma_f64 v[250:251], v[200:201], v[84:85], -v[80:81]
	scratch_load_dwordx4 v[80:83], off, off offset:768
	ds_read_b128 v[84:87], v2 offset:1312
	v_mul_f64 v[90:91], v[206:207], v[90:91]
	v_fma_f64 v[252:253], v[204:205], v[88:89], -v[90:91]
	ds_read_b128 v[88:91], v2 offset:1328
	s_waitcnt vmcnt(15) lgkmcnt(2)
	v_mul_f64 v[200:201], v[196:197], v[50:51]
	v_fmac_f64_e32 v[200:201], v[198:199], v[48:49]
	s_waitcnt vmcnt(14) lgkmcnt(1)
	v_mul_f64 v[202:203], v[84:85], v[54:55]
	v_add_f64 v[200:201], v[232:233], v[200:201]
	v_fmac_f64_e32 v[202:203], v[86:87], v[52:53]
	v_mul_f64 v[94:95], v[210:211], v[94:95]
	v_fma_f64 v[254:255], v[208:209], v[92:93], -v[94:95]
	ds_read_b128 v[92:95], v2 offset:1344
	v_add_f64 v[200:201], v[200:201], v[202:203]
	s_waitcnt vmcnt(13) lgkmcnt(1)
	v_mul_f64 v[202:203], v[88:89], v[58:59]
	v_fmac_f64_e32 v[202:203], v[90:91], v[56:57]
	v_add_f64 v[204:205], v[200:201], v[202:203]
	ds_read_b128 v[200:203], v2 offset:1360
	v_mul_f64 v[98:99], v[214:215], v[98:99]
	v_fma_f64 v[232:233], v[212:213], v[96:97], -v[98:99]
	ds_read_b128 v[96:99], v2 offset:1376
	s_waitcnt vmcnt(12) lgkmcnt(2)
	v_mul_f64 v[206:207], v[92:93], v[62:63]
	v_fmac_f64_e32 v[206:207], v[94:95], v[60:61]
	v_add_f64 v[204:205], v[204:205], v[206:207]
	s_waitcnt vmcnt(11) lgkmcnt(1)
	v_mul_f64 v[206:207], v[200:201], v[66:67]
	v_fmac_f64_e32 v[206:207], v[202:203], v[64:65]
	v_mul_f64 v[102:103], v[218:219], v[102:103]
	v_add_f64 v[204:205], v[204:205], v[206:207]
	v_fma_f64 v[4:5], v[216:217], v[100:101], -v[102:103]
	ds_read_b128 v[100:103], v2 offset:1392
	s_waitcnt vmcnt(10) lgkmcnt(1)
	v_mul_f64 v[206:207], v[96:97], v[70:71]
	v_fmac_f64_e32 v[206:207], v[98:99], v[68:69]
	v_add_f64 v[208:209], v[204:205], v[206:207]
	ds_read_b128 v[204:207], v2 offset:1408
	v_mul_f64 v[106:107], v[222:223], v[106:107]
	v_fma_f64 v[0:1], v[220:221], v[104:105], -v[106:107]
	ds_read_b128 v[104:107], v2 offset:1424
	s_waitcnt vmcnt(9) lgkmcnt(2)
	v_mul_f64 v[210:211], v[100:101], v[74:75]
	v_fmac_f64_e32 v[210:211], v[102:103], v[72:73]
	v_add_f64 v[208:209], v[208:209], v[210:211]
	s_waitcnt vmcnt(8) lgkmcnt(1)
	v_mul_f64 v[210:211], v[204:205], v[78:79]
	v_fmac_f64_e32 v[210:211], v[206:207], v[76:77]
	v_mul_f64 v[6:7], v[226:227], v[110:111]
	v_fma_f64 v[6:7], v[224:225], v[108:109], -v[6:7]
	ds_read_b128 v[108:111], v2 offset:1440
	v_add_f64 v[208:209], v[208:209], v[210:211]
	s_waitcnt vmcnt(7) lgkmcnt(1)
	v_mul_f64 v[210:211], v[104:105], v[126:127]
	v_fmac_f64_e32 v[210:211], v[106:107], v[124:125]
	v_mul_f64 v[114:115], v[230:231], v[114:115]
	v_add_f64 v[212:213], v[208:209], v[210:211]
	ds_read_b128 v[208:211], v2 offset:1456
	v_fma_f64 v[112:113], v[228:229], v[112:113], -v[114:115]
	v_accvgpr_write_b32 a100, v112
	v_accvgpr_write_b32 a101, v113
	ds_read_b128 v[112:115], v2 offset:1472
	s_waitcnt vmcnt(6) lgkmcnt(2)
	v_mul_f64 v[214:215], v[108:109], v[142:143]
	v_fmac_f64_e32 v[214:215], v[110:111], v[140:141]
	v_add_f64 v[212:213], v[212:213], v[214:215]
	s_waitcnt vmcnt(5) lgkmcnt(1)
	v_mul_f64 v[214:215], v[208:209], v[154:155]
	v_fmac_f64_e32 v[214:215], v[210:211], v[152:153]
	v_mul_f64 v[118:119], v[244:245], v[118:119]
	v_add_f64 v[212:213], v[212:213], v[214:215]
	v_fma_f64 v[238:239], v[242:243], v[116:117], -v[118:119]
	ds_read_b128 v[116:119], v2 offset:1488
	s_waitcnt vmcnt(4) lgkmcnt(1)
	v_mul_f64 v[214:215], v[112:113], v[162:163]
	v_fmac_f64_e32 v[214:215], v[114:115], v[160:161]
	v_add_f64 v[216:217], v[212:213], v[214:215]
	ds_read_b128 v[212:215], v2 offset:1504
	v_mul_f64 v[122:123], v[248:249], v[122:123]
	v_fma_f64 v[242:243], v[246:247], v[120:121], -v[122:123]
	ds_read_b128 v[120:123], v2 offset:1520
	s_waitcnt vmcnt(3) lgkmcnt(2)
	v_mul_f64 v[218:219], v[116:117], v[166:167]
	v_fmac_f64_e32 v[218:219], v[118:119], v[164:165]
	v_add_f64 v[216:217], v[216:217], v[218:219]
	s_waitcnt vmcnt(2) lgkmcnt(1)
	v_mul_f64 v[218:219], v[212:213], v[174:175]
	v_fmac_f64_e32 v[218:219], v[214:215], v[172:173]
	v_add_f64 v[216:217], v[216:217], v[218:219]
	;; [unrolled: 4-line block ×3, first 2 shown]
	ds_read_b128 v[216:219], v2 offset:1536
	ds_read_b128 v[224:227], v2 offset:1552
	s_waitcnt vmcnt(0) lgkmcnt(1)
	v_mul_f64 v[222:223], v[216:217], v[82:83]
	v_fmac_f64_e32 v[222:223], v[218:219], v[80:81]
	v_add_f64 v[228:229], v[220:221], v[222:223]
	scratch_load_dwordx4 v[220:223], off, off offset:784
	s_waitcnt vmcnt(0) lgkmcnt(0)
	v_mul_f64 v[230:231], v[224:225], v[222:223]
	v_fmac_f64_e32 v[230:231], v[226:227], v[220:221]
	v_add_f64 v[246:247], v[228:229], v[230:231]
	v_add_f64 v[228:229], v[240:241], 0
	;; [unrolled: 1-line block ×7, first 2 shown]
	scratch_load_dwordx4 v[228:231], off, off offset:160
	v_add_f64 v[244:245], v[4:5], v[0:1]
	v_accvgpr_read_b32 v4, a100
	v_add_f64 v[0:1], v[244:245], v[6:7]
	v_accvgpr_read_b32 v5, a101
	v_add_f64 v[0:1], v[0:1], v[4:5]
	v_add_f64 v[0:1], v[0:1], v[238:239]
	v_mul_f64 v[4:5], v[158:159], v[236:237]
	v_add_f64 v[0:1], v[0:1], v[242:243]
	v_fma_f64 v[4:5], v[156:157], v[234:235], -v[4:5]
	v_add_f64 v[0:1], v[0:1], v[4:5]
	v_mul_f64 v[4:5], v[150:151], v[10:11]
	v_fma_f64 v[4:5], v[148:149], v[8:9], -v[4:5]
	v_add_f64 v[0:1], v[0:1], v[4:5]
	v_mul_f64 v[4:5], v[146:147], v[14:15]
	;; [unrolled: 3-line block ×27, first 2 shown]
	v_fma_f64 v[4:5], v[224:225], v[220:221], -v[4:5]
	v_add_f64 v[0:1], v[0:1], v[4:5]
	s_waitcnt vmcnt(0)
	v_add_f64 v[4:5], v[228:229], -v[0:1]
	v_accvgpr_read_b32 v0, a98
	v_add_f64 v[6:7], v[230:231], -v[246:247]
	v_cmp_lt_u32_e32 vcc, 8, v0
	scratch_store_dwordx4 off, v[4:7], off offset:160
	s_and_saveexec_b64 s[0:1], vcc
	s_cbranch_execz .LBB112_291
; %bb.290:
	scratch_load_dwordx4 v[6:9], off, s57
	v_mov_b32_e32 v3, v2
	v_mov_b32_e32 v4, v2
	;; [unrolled: 1-line block ×3, first 2 shown]
	v_accvgpr_read_b32 v0, a99
	scratch_store_dwordx4 off, v[2:5], off offset:144
	s_waitcnt vmcnt(1)
	ds_write_b128 v0, v[6:9]
.LBB112_291:
	s_or_b64 exec, exec, s[0:1]
	s_waitcnt lgkmcnt(0)
	; wave barrier
	scratch_load_dwordx4 v[132:135], off, off offset:160
	scratch_load_dwordx4 v[160:163], off, off offset:176
	;; [unrolled: 1-line block ×16, first 2 shown]
	ds_read_b128 v[156:159], v2 offset:928
	ds_read_b128 v[172:175], v2 offset:944
	scratch_load_dwordx4 v[24:27], off, off offset:416
	ds_read_b128 v[232:235], v2 offset:960
	ds_read_b128 v[228:231], v2 offset:976
	scratch_load_dwordx4 v[28:31], off, off offset:432
	ds_read_b128 v[236:239], v2 offset:992
	ds_read_b128 v[184:187], v2 offset:1008
	;; [unrolled: 1-line block ×5, first 2 shown]
	scratch_load_dwordx4 v[32:35], off, off offset:448
	ds_read_b128 v[220:223], v2 offset:1072
	ds_read_b128 v[216:219], v2 offset:1088
	;; [unrolled: 1-line block ×3, first 2 shown]
	scratch_load_dwordx4 v[36:39], off, off offset:464
	ds_read_b128 v[64:67], v2 offset:1120
	ds_read_b128 v[60:63], v2 offset:1136
	;; [unrolled: 1-line block ×5, first 2 shown]
	scratch_load_dwordx4 v[52:55], off, off offset:480
	scratch_load_dwordx4 v[68:71], off, off offset:496
	;; [unrolled: 1-line block ×11, first 2 shown]
	ds_read_b128 v[144:147], v2 offset:1232
	ds_read_b128 v[148:151], v2 offset:1248
	;; [unrolled: 1-line block ×3, first 2 shown]
	s_waitcnt vmcnt(30) lgkmcnt(14)
	v_mul_f64 v[0:1], v[156:157], v[134:135]
	s_waitcnt vmcnt(29)
	v_mul_f64 v[108:109], v[172:173], v[162:163]
	v_fmac_f64_e32 v[0:1], v[158:159], v[132:133]
	s_waitcnt vmcnt(28)
	v_mul_f64 v[110:111], v[232:233], v[166:167]
	v_fmac_f64_e32 v[108:109], v[174:175], v[160:161]
	v_add_f64 v[0:1], v[0:1], 0
	s_waitcnt vmcnt(27)
	v_mul_f64 v[112:113], v[228:229], v[170:171]
	v_fmac_f64_e32 v[110:111], v[234:235], v[164:165]
	v_add_f64 v[0:1], v[0:1], v[108:109]
	;; [unrolled: 4-line block ×4, first 2 shown]
	s_waitcnt vmcnt(24) lgkmcnt(13)
	v_mul_f64 v[118:119], v[224:225], v[190:191]
	v_fmac_f64_e32 v[116:117], v[186:187], v[180:181]
	v_add_f64 v[0:1], v[0:1], v[114:115]
	s_waitcnt vmcnt(23) lgkmcnt(12)
	v_mul_f64 v[120:121], v[196:197], v[194:195]
	v_fmac_f64_e32 v[118:119], v[226:227], v[188:189]
	v_add_f64 v[0:1], v[0:1], v[116:117]
	;; [unrolled: 4-line block ×9, first 2 shown]
	v_fmac_f64_e32 v[138:139], v[58:59], v[16:17]
	v_add_f64 v[0:1], v[0:1], v[136:137]
	v_add_f64 v[0:1], v[0:1], v[138:139]
	ds_read_b128 v[136:139], v2 offset:1200
	s_waitcnt vmcnt(15) lgkmcnt(5)
	v_mul_f64 v[140:141], v[48:49], v[22:23]
	v_fmac_f64_e32 v[140:141], v[50:51], v[20:21]
	s_waitcnt vmcnt(14) lgkmcnt(4)
	v_mul_f64 v[112:113], v[44:45], v[26:27]
	scratch_load_dwordx4 v[108:111], off, off offset:656
	v_add_f64 v[0:1], v[0:1], v[140:141]
	v_fmac_f64_e32 v[112:113], v[46:47], v[24:25]
	v_add_f64 v[0:1], v[0:1], v[112:113]
	scratch_load_dwordx4 v[112:115], off, off offset:672
	ds_read_b128 v[140:143], v2 offset:1216
	s_waitcnt vmcnt(15) lgkmcnt(1)
	v_mul_f64 v[116:117], v[136:137], v[30:31]
	v_fmac_f64_e32 v[116:117], v[138:139], v[28:29]
	v_add_f64 v[0:1], v[0:1], v[116:117]
	scratch_load_dwordx4 v[116:119], off, off offset:688
	s_waitcnt vmcnt(15) lgkmcnt(0)
	v_mul_f64 v[120:121], v[140:141], v[34:35]
	v_fmac_f64_e32 v[120:121], v[142:143], v[32:33]
	s_waitcnt vmcnt(14)
	v_mul_f64 v[124:125], v[144:145], v[38:39]
	v_add_f64 v[0:1], v[0:1], v[120:121]
	scratch_load_dwordx4 v[120:123], off, off offset:704
	v_fmac_f64_e32 v[124:125], v[146:147], v[36:37]
	v_add_f64 v[0:1], v[0:1], v[124:125]
	s_waitcnt vmcnt(14)
	v_mul_f64 v[124:125], v[148:149], v[54:55]
	scratch_load_dwordx4 v[128:131], off, off offset:720
	v_fmac_f64_e32 v[124:125], v[150:151], v[52:53]
	v_add_f64 v[0:1], v[0:1], v[124:125]
	scratch_load_dwordx4 v[124:127], off, off offset:736
	v_mul_f64 v[134:135], v[158:159], v[134:135]
	v_fma_f64 v[240:241], v[156:157], v[132:133], -v[134:135]
	ds_read_b128 v[156:159], v2 offset:1280
	s_waitcnt vmcnt(15)
	v_mul_f64 v[132:133], v[152:153], v[70:71]
	v_fmac_f64_e32 v[132:133], v[154:155], v[68:69]
	v_add_f64 v[0:1], v[0:1], v[132:133]
	v_mul_f64 v[132:133], v[174:175], v[162:163]
	v_fma_f64 v[246:247], v[172:173], v[160:161], -v[132:133]
	scratch_load_dwordx4 v[132:135], off, off offset:752
	ds_read_b128 v[160:163], v2 offset:1296
	v_mul_f64 v[166:167], v[234:235], v[166:167]
	v_fma_f64 v[248:249], v[232:233], v[164:165], -v[166:167]
	ds_read_b128 v[164:167], v2 offset:1312
	s_waitcnt vmcnt(15) lgkmcnt(2)
	v_mul_f64 v[172:173], v[156:157], v[74:75]
	v_fmac_f64_e32 v[172:173], v[158:159], v[72:73]
	v_add_f64 v[0:1], v[0:1], v[172:173]
	s_waitcnt vmcnt(14) lgkmcnt(1)
	v_mul_f64 v[172:173], v[160:161], v[78:79]
	v_fmac_f64_e32 v[172:173], v[162:163], v[76:77]
	v_mul_f64 v[170:171], v[230:231], v[170:171]
	v_fma_f64 v[250:251], v[228:229], v[168:169], -v[170:171]
	ds_read_b128 v[168:171], v2 offset:1328
	v_add_f64 v[0:1], v[0:1], v[172:173]
	s_waitcnt vmcnt(13) lgkmcnt(1)
	v_mul_f64 v[172:173], v[164:165], v[82:83]
	v_fmac_f64_e32 v[172:173], v[166:167], v[80:81]
	v_add_f64 v[0:1], v[0:1], v[172:173]
	ds_read_b128 v[172:175], v2 offset:1344
	v_mul_f64 v[178:179], v[238:239], v[178:179]
	v_fma_f64 v[236:237], v[236:237], v[176:177], -v[178:179]
	ds_read_b128 v[176:179], v2 offset:1360
	s_waitcnt vmcnt(12) lgkmcnt(2)
	v_mul_f64 v[228:229], v[168:169], v[86:87]
	v_fmac_f64_e32 v[228:229], v[170:171], v[84:85]
	v_add_f64 v[0:1], v[0:1], v[228:229]
	s_waitcnt vmcnt(11) lgkmcnt(1)
	v_mul_f64 v[228:229], v[172:173], v[90:91]
	v_mul_f64 v[182:183], v[186:187], v[182:183]
	v_fmac_f64_e32 v[228:229], v[174:175], v[88:89]
	v_fma_f64 v[238:239], v[184:185], v[180:181], -v[182:183]
	ds_read_b128 v[180:183], v2 offset:1376
	s_waitcnt vmcnt(10) lgkmcnt(1)
	v_mul_f64 v[184:185], v[176:177], v[94:95]
	v_add_f64 v[0:1], v[0:1], v[228:229]
	v_fmac_f64_e32 v[184:185], v[178:179], v[92:93]
	v_add_f64 v[0:1], v[0:1], v[184:185]
	ds_read_b128 v[184:187], v2 offset:1392
	v_mul_f64 v[190:191], v[226:227], v[190:191]
	v_fma_f64 v[252:253], v[224:225], v[188:189], -v[190:191]
	ds_read_b128 v[188:191], v2 offset:1408
	s_waitcnt vmcnt(9) lgkmcnt(2)
	v_mul_f64 v[228:229], v[180:181], v[98:99]
	v_fmac_f64_e32 v[228:229], v[182:183], v[96:97]
	s_waitcnt vmcnt(8) lgkmcnt(1)
	v_mul_f64 v[224:225], v[184:185], v[102:103]
	v_mul_f64 v[194:195], v[198:199], v[194:195]
	v_add_f64 v[0:1], v[0:1], v[228:229]
	v_fmac_f64_e32 v[224:225], v[186:187], v[100:101]
	v_fma_f64 v[254:255], v[196:197], v[192:193], -v[194:195]
	s_waitcnt vmcnt(7) lgkmcnt(0)
	v_mul_f64 v[196:197], v[188:189], v[106:107]
	ds_read_b128 v[192:195], v2 offset:1424
	v_add_f64 v[0:1], v[0:1], v[224:225]
	v_fmac_f64_e32 v[196:197], v[190:191], v[104:105]
	v_add_f64 v[0:1], v[0:1], v[196:197]
	ds_read_b128 v[196:199], v2 offset:1440
	v_mul_f64 v[202:203], v[210:211], v[202:203]
	v_fma_f64 v[242:243], v[208:209], v[200:201], -v[202:203]
	ds_read_b128 v[200:203], v2 offset:1456
	s_waitcnt vmcnt(6) lgkmcnt(2)
	v_mul_f64 v[224:225], v[192:193], v[110:111]
	v_fmac_f64_e32 v[224:225], v[194:195], v[108:109]
	s_waitcnt vmcnt(5) lgkmcnt(1)
	v_mul_f64 v[208:209], v[196:197], v[114:115]
	v_add_f64 v[0:1], v[0:1], v[224:225]
	v_fmac_f64_e32 v[208:209], v[198:199], v[112:113]
	v_add_f64 v[208:209], v[0:1], v[208:209]
	v_mul_f64 v[0:1], v[222:223], v[206:207]
	v_fma_f64 v[0:1], v[220:221], v[204:205], -v[0:1]
	ds_read_b128 v[204:207], v2 offset:1472
	s_waitcnt vmcnt(4) lgkmcnt(1)
	v_mul_f64 v[210:211], v[200:201], v[118:119]
	v_fmac_f64_e32 v[210:211], v[202:203], v[116:117]
	v_add_f64 v[220:221], v[208:209], v[210:211]
	ds_read_b128 v[208:211], v2 offset:1488
	v_mul_f64 v[214:215], v[218:219], v[214:215]
	v_fma_f64 v[244:245], v[216:217], v[212:213], -v[214:215]
	ds_read_b128 v[212:215], v2 offset:1504
	s_waitcnt vmcnt(3) lgkmcnt(2)
	v_mul_f64 v[216:217], v[204:205], v[122:123]
	v_fmac_f64_e32 v[216:217], v[206:207], v[120:121]
	s_waitcnt vmcnt(2) lgkmcnt(1)
	v_mul_f64 v[218:219], v[208:209], v[130:131]
	v_add_f64 v[216:217], v[220:221], v[216:217]
	v_fmac_f64_e32 v[218:219], v[210:211], v[128:129]
	v_add_f64 v[216:217], v[216:217], v[218:219]
	s_waitcnt vmcnt(1) lgkmcnt(0)
	v_mul_f64 v[218:219], v[212:213], v[126:127]
	v_fmac_f64_e32 v[218:219], v[214:215], v[124:125]
	v_add_f64 v[220:221], v[216:217], v[218:219]
	ds_read_b128 v[216:219], v2 offset:1520
	ds_read_b128 v[224:227], v2 offset:1536
	scratch_load_dwordx4 v[232:235], off, off offset:784
	v_accvgpr_write_b32 a101, v1
	v_accvgpr_write_b32 a100, v0
	s_waitcnt vmcnt(1) lgkmcnt(1)
	v_mul_f64 v[222:223], v[216:217], v[134:135]
	v_fmac_f64_e32 v[222:223], v[218:219], v[132:133]
	v_add_f64 v[228:229], v[220:221], v[222:223]
	scratch_load_dwordx4 v[220:223], off, off offset:768
	v_mul_f64 v[6:7], v[42:43], v[6:7]
	v_fma_f64 v[4:5], v[40:41], v[4:5], -v[6:7]
	s_waitcnt vmcnt(0) lgkmcnt(0)
	v_mul_f64 v[230:231], v[224:225], v[222:223]
	v_fmac_f64_e32 v[230:231], v[226:227], v[220:221]
	v_add_f64 v[0:1], v[228:229], v[230:231]
	ds_read_b128 v[228:231], v2 offset:1552
	s_waitcnt lgkmcnt(0)
	v_mul_f64 v[2:3], v[228:229], v[234:235]
	v_fmac_f64_e32 v[2:3], v[230:231], v[232:233]
	v_add_f64 v[2:3], v[0:1], v[2:3]
	v_add_f64 v[0:1], v[240:241], 0
	;; [unrolled: 1-line block ×7, first 2 shown]
	scratch_load_dwordx4 v[236:239], off, off offset:144
	v_add_f64 v[0:1], v[0:1], v[252:253]
	v_add_f64 v[0:1], v[0:1], v[254:255]
	;; [unrolled: 1-line block ×3, first 2 shown]
	v_accvgpr_read_b32 v0, a100
	v_accvgpr_read_b32 v1, a101
	v_add_f64 v[0:1], v[254:255], v[0:1]
	v_add_f64 v[0:1], v[0:1], v[244:245]
	;; [unrolled: 1-line block ×3, first 2 shown]
	v_mul_f64 v[4:5], v[66:67], v[10:11]
	v_fma_f64 v[4:5], v[64:65], v[8:9], -v[4:5]
	v_add_f64 v[0:1], v[0:1], v[4:5]
	v_mul_f64 v[4:5], v[62:63], v[14:15]
	v_fma_f64 v[4:5], v[60:61], v[12:13], -v[4:5]
	v_add_f64 v[0:1], v[0:1], v[4:5]
	;; [unrolled: 3-line block ×28, first 2 shown]
	s_waitcnt vmcnt(0)
	v_add_f64 v[4:5], v[236:237], -v[0:1]
	v_accvgpr_read_b32 v0, a98
	v_add_f64 v[6:7], v[238:239], -v[2:3]
	v_cmp_lt_u32_e32 vcc, 7, v0
	scratch_store_dwordx4 off, v[4:7], off offset:144
	s_and_saveexec_b64 s[0:1], vcc
	s_cbranch_execz .LBB112_293
; %bb.292:
	scratch_load_dwordx4 v[2:5], off, s58
	v_mov_b32_e32 v6, 0
	v_mov_b32_e32 v7, v6
	;; [unrolled: 1-line block ×4, first 2 shown]
	v_accvgpr_read_b32 v0, a99
	scratch_store_dwordx4 off, v[6:9], off offset:128
	s_waitcnt vmcnt(1)
	ds_write_b128 v0, v[2:5]
.LBB112_293:
	s_or_b64 exec, exec, s[0:1]
	s_waitcnt lgkmcnt(0)
	; wave barrier
	scratch_load_dwordx4 v[112:115], off, off offset:144
	scratch_load_dwordx4 v[116:119], off, off offset:160
	;; [unrolled: 1-line block ×30, first 2 shown]
	v_mov_b32_e32 v2, 0
	ds_read_b128 v[144:147], v2 offset:912
	ds_read_b128 v[156:159], v2 offset:928
	;; [unrolled: 1-line block ×20, first 2 shown]
	s_waitcnt vmcnt(29) lgkmcnt(14)
	v_mul_f64 v[0:1], v[144:145], v[114:115]
	s_waitcnt vmcnt(28)
	v_mul_f64 v[88:89], v[156:157], v[118:119]
	v_fmac_f64_e32 v[0:1], v[146:147], v[112:113]
	s_waitcnt vmcnt(27)
	v_mul_f64 v[90:91], v[168:169], v[122:123]
	v_fmac_f64_e32 v[88:89], v[158:159], v[116:117]
	v_add_f64 v[0:1], v[0:1], 0
	s_waitcnt vmcnt(26)
	v_mul_f64 v[92:93], v[180:181], v[154:155]
	v_fmac_f64_e32 v[90:91], v[170:171], v[120:121]
	v_add_f64 v[0:1], v[0:1], v[88:89]
	s_waitcnt vmcnt(25)
	v_mul_f64 v[94:95], v[192:193], v[162:163]
	v_fmac_f64_e32 v[92:93], v[182:183], v[152:153]
	v_add_f64 v[0:1], v[0:1], v[90:91]
	s_waitcnt vmcnt(24)
	v_mul_f64 v[96:97], v[204:205], v[166:167]
	v_fmac_f64_e32 v[94:95], v[194:195], v[160:161]
	v_add_f64 v[0:1], v[0:1], v[92:93]
	s_waitcnt vmcnt(23) lgkmcnt(13)
	v_mul_f64 v[98:99], v[212:213], v[174:175]
	v_fmac_f64_e32 v[96:97], v[206:207], v[164:165]
	v_add_f64 v[0:1], v[0:1], v[94:95]
	s_waitcnt vmcnt(22) lgkmcnt(12)
	v_mul_f64 v[100:101], v[216:217], v[178:179]
	v_fmac_f64_e32 v[98:99], v[214:215], v[172:173]
	v_add_f64 v[0:1], v[0:1], v[96:97]
	;; [unrolled: 4-line block ×9, first 2 shown]
	v_fmac_f64_e32 v[126:127], v[82:83], v[8:9]
	v_add_f64 v[0:1], v[0:1], v[124:125]
	scratch_load_dwordx4 v[88:91], off, off offset:624
	s_waitcnt vmcnt(15) lgkmcnt(4)
	v_mul_f64 v[128:129], v[76:77], v[236:237]
	v_add_f64 v[0:1], v[0:1], v[126:127]
	ds_read_b128 v[124:127], v2 offset:1184
	v_fmac_f64_e32 v[128:129], v[78:79], v[234:235]
	v_add_f64 v[0:1], v[0:1], v[128:129]
	ds_read_b128 v[128:131], v2 offset:1200
	s_waitcnt vmcnt(14) lgkmcnt(5)
	v_mul_f64 v[92:93], v[72:73], v[18:19]
	v_fmac_f64_e32 v[92:93], v[74:75], v[16:17]
	v_add_f64 v[0:1], v[0:1], v[92:93]
	s_waitcnt vmcnt(13) lgkmcnt(1)
	v_mul_f64 v[96:97], v[124:125], v[22:23]
	scratch_load_dwordx4 v[92:95], off, off offset:640
	v_fmac_f64_e32 v[96:97], v[126:127], v[20:21]
	v_add_f64 v[0:1], v[0:1], v[96:97]
	s_waitcnt vmcnt(13) lgkmcnt(0)
	v_mul_f64 v[100:101], v[128:129], v[26:27]
	scratch_load_dwordx4 v[96:99], off, off offset:656
	v_fmac_f64_e32 v[100:101], v[130:131], v[24:25]
	v_add_f64 v[0:1], v[0:1], v[100:101]
	scratch_load_dwordx4 v[100:103], off, off offset:672
	s_waitcnt vmcnt(14)
	v_mul_f64 v[104:105], v[132:133], v[30:31]
	v_fmac_f64_e32 v[104:105], v[134:135], v[28:29]
	v_add_f64 v[0:1], v[0:1], v[104:105]
	s_waitcnt vmcnt(13)
	v_mul_f64 v[104:105], v[136:137], v[34:35]
	v_fmac_f64_e32 v[104:105], v[138:139], v[32:33]
	v_add_f64 v[0:1], v[0:1], v[104:105]
	scratch_load_dwordx4 v[104:107], off, off offset:688
	s_waitcnt vmcnt(13)
	v_mul_f64 v[108:109], v[140:141], v[38:39]
	v_fmac_f64_e32 v[108:109], v[142:143], v[36:37]
	v_add_f64 v[0:1], v[0:1], v[108:109]
	scratch_load_dwordx4 v[108:111], off, off offset:704
	v_mul_f64 v[114:115], v[146:147], v[114:115]
	v_fma_f64 v[240:241], v[144:145], v[112:113], -v[114:115]
	v_mul_f64 v[112:113], v[158:159], v[118:119]
	ds_read_b128 v[148:151], v2 offset:1264
	ds_read_b128 v[144:147], v2 offset:1280
	v_fma_f64 v[250:251], v[156:157], v[116:117], -v[112:113]
	scratch_load_dwordx4 v[116:119], off, off offset:720
	scratch_load_dwordx4 v[112:115], off, off offset:736
	v_mul_f64 v[122:123], v[170:171], v[122:123]
	v_fma_f64 v[252:253], v[168:169], v[120:121], -v[122:123]
	scratch_load_dwordx4 v[120:123], off, off offset:752
	s_waitcnt vmcnt(16) lgkmcnt(1)
	v_mul_f64 v[156:157], v[148:149], v[42:43]
	v_fmac_f64_e32 v[156:157], v[150:151], v[40:41]
	v_mul_f64 v[154:155], v[182:183], v[154:155]
	v_add_f64 v[0:1], v[0:1], v[156:157]
	v_fma_f64 v[254:255], v[180:181], v[152:153], -v[154:155]
	ds_read_b128 v[152:155], v2 offset:1296
	s_waitcnt vmcnt(15) lgkmcnt(1)
	v_mul_f64 v[156:157], v[144:145], v[46:47]
	v_fmac_f64_e32 v[156:157], v[146:147], v[44:45]
	v_add_f64 v[0:1], v[0:1], v[156:157]
	ds_read_b128 v[156:159], v2 offset:1312
	v_mul_f64 v[162:163], v[194:195], v[162:163]
	v_fma_f64 v[232:233], v[192:193], v[160:161], -v[162:163]
	ds_read_b128 v[160:163], v2 offset:1328
	s_waitcnt vmcnt(14) lgkmcnt(2)
	v_mul_f64 v[168:169], v[152:153], v[50:51]
	v_fmac_f64_e32 v[168:169], v[154:155], v[48:49]
	v_mul_f64 v[166:167], v[206:207], v[166:167]
	v_add_f64 v[0:1], v[0:1], v[168:169]
	s_waitcnt vmcnt(13) lgkmcnt(1)
	v_mul_f64 v[168:169], v[156:157], v[54:55]
	v_fma_f64 v[12:13], v[204:205], v[164:165], -v[166:167]
	ds_read_b128 v[164:167], v2 offset:1344
	v_accvgpr_write_b32 a103, v7
	v_fmac_f64_e32 v[168:169], v[158:159], v[52:53]
	v_accvgpr_write_b32 a102, v6
	v_accvgpr_write_b32 a101, v5
	;; [unrolled: 1-line block ×3, first 2 shown]
	v_add_f64 v[0:1], v[0:1], v[168:169]
	s_waitcnt vmcnt(12) lgkmcnt(1)
	v_mul_f64 v[6:7], v[160:161], v[58:59]
	ds_read_b128 v[168:171], v2 offset:1360
	v_fmac_f64_e32 v[6:7], v[162:163], v[56:57]
	v_accvgpr_write_b32 a107, v11
	v_add_f64 v[0:1], v[0:1], v[6:7]
	v_mul_f64 v[6:7], v[214:215], v[174:175]
	v_accvgpr_write_b32 a106, v10
	v_accvgpr_write_b32 a105, v9
	;; [unrolled: 1-line block ×3, first 2 shown]
	v_fma_f64 v[8:9], v[212:213], v[172:173], -v[6:7]
	s_waitcnt vmcnt(11) lgkmcnt(1)
	v_mul_f64 v[6:7], v[164:165], v[62:63]
	v_fmac_f64_e32 v[6:7], v[166:167], v[60:61]
	ds_read_b128 v[172:175], v2 offset:1376
	v_add_f64 v[0:1], v[0:1], v[6:7]
	s_waitcnt vmcnt(10) lgkmcnt(1)
	v_mul_f64 v[6:7], v[168:169], v[66:67]
	v_fmac_f64_e32 v[6:7], v[170:171], v[64:65]
	v_add_f64 v[0:1], v[0:1], v[6:7]
	v_mul_f64 v[6:7], v[218:219], v[178:179]
	v_fma_f64 v[10:11], v[216:217], v[176:177], -v[6:7]
	ds_read_b128 v[176:179], v2 offset:1392
	ds_read_b128 v[180:183], v2 offset:1408
	s_waitcnt vmcnt(9) lgkmcnt(2)
	v_mul_f64 v[6:7], v[172:173], v[70:71]
	v_fmac_f64_e32 v[6:7], v[174:175], v[68:69]
	v_add_f64 v[0:1], v[0:1], v[6:7]
	s_waitcnt vmcnt(8) lgkmcnt(1)
	v_mul_f64 v[6:7], v[176:177], v[90:91]
	v_fmac_f64_e32 v[6:7], v[178:179], v[88:89]
	v_add_f64 v[0:1], v[0:1], v[6:7]
	v_mul_f64 v[6:7], v[222:223], v[186:187]
	v_fma_f64 v[4:5], v[220:221], v[184:185], -v[6:7]
	ds_read_b128 v[184:187], v2 offset:1424
	v_mul_f64 v[6:7], v[226:227], v[190:191]
	v_fma_f64 v[6:7], v[224:225], v[188:189], -v[6:7]
	ds_read_b128 v[188:191], v2 offset:1440
	s_waitcnt vmcnt(7) lgkmcnt(2)
	v_mul_f64 v[14:15], v[180:181], v[94:95]
	v_fmac_f64_e32 v[14:15], v[182:183], v[92:93]
	v_add_f64 v[0:1], v[0:1], v[14:15]
	s_waitcnt vmcnt(6) lgkmcnt(1)
	v_mul_f64 v[14:15], v[184:185], v[98:99]
	v_fmac_f64_e32 v[14:15], v[186:187], v[96:97]
	v_add_f64 v[0:1], v[0:1], v[14:15]
	s_waitcnt vmcnt(5) lgkmcnt(0)
	v_mul_f64 v[14:15], v[188:189], v[102:103]
	ds_read_b128 v[192:195], v2 offset:1456
	v_fmac_f64_e32 v[14:15], v[190:191], v[100:101]
	v_add_f64 v[14:15], v[0:1], v[14:15]
	v_mul_f64 v[0:1], v[230:231], v[198:199]
	v_fma_f64 v[0:1], v[228:229], v[196:197], -v[0:1]
	ds_read_b128 v[196:199], v2 offset:1472
	v_mul_f64 v[202:203], v[244:245], v[202:203]
	s_waitcnt vmcnt(4) lgkmcnt(1)
	v_mul_f64 v[204:205], v[192:193], v[106:107]
	v_fma_f64 v[238:239], v[242:243], v[200:201], -v[202:203]
	ds_read_b128 v[200:203], v2 offset:1488
	v_fmac_f64_e32 v[204:205], v[194:195], v[104:105]
	v_add_f64 v[14:15], v[14:15], v[204:205]
	ds_read_b128 v[204:207], v2 offset:1504
	s_waitcnt vmcnt(3) lgkmcnt(2)
	v_mul_f64 v[212:213], v[196:197], v[110:111]
	v_mul_f64 v[210:211], v[248:249], v[210:211]
	v_fmac_f64_e32 v[212:213], v[198:199], v[108:109]
	v_fma_f64 v[242:243], v[246:247], v[208:209], -v[210:211]
	ds_read_b128 v[208:211], v2 offset:1520
	ds_read_b128 v[216:219], v2 offset:1536
	v_add_f64 v[14:15], v[14:15], v[212:213]
	s_waitcnt vmcnt(2) lgkmcnt(3)
	v_mul_f64 v[212:213], v[200:201], v[118:119]
	v_fmac_f64_e32 v[212:213], v[202:203], v[116:117]
	v_add_f64 v[14:15], v[14:15], v[212:213]
	s_waitcnt vmcnt(1) lgkmcnt(2)
	v_mul_f64 v[212:213], v[204:205], v[114:115]
	v_fmac_f64_e32 v[212:213], v[206:207], v[112:113]
	;; [unrolled: 4-line block ×3, first 2 shown]
	v_add_f64 v[14:15], v[14:15], v[212:213]
	scratch_load_dwordx4 v[212:215], off, off offset:768
	ds_read_b128 v[224:227], v2 offset:1552
	s_waitcnt vmcnt(0) lgkmcnt(1)
	v_mul_f64 v[220:221], v[216:217], v[214:215]
	v_fmac_f64_e32 v[220:221], v[218:219], v[212:213]
	v_add_f64 v[14:15], v[14:15], v[220:221]
	scratch_load_dwordx4 v[220:223], off, off offset:784
	s_waitcnt vmcnt(0) lgkmcnt(0)
	v_mul_f64 v[228:229], v[224:225], v[222:223]
	v_fmac_f64_e32 v[228:229], v[226:227], v[220:221]
	v_add_f64 v[246:247], v[14:15], v[228:229]
	scratch_load_dwordx4 v[228:231], off, off offset:128
	v_add_f64 v[14:15], v[240:241], 0
	v_add_f64 v[14:15], v[14:15], v[250:251]
	;; [unrolled: 1-line block ×10, first 2 shown]
	v_accvgpr_read_b32 v6, a100
	v_accvgpr_read_b32 v8, a102
	;; [unrolled: 1-line block ×3, first 2 shown]
	v_add_f64 v[0:1], v[4:5], v[0:1]
	v_accvgpr_read_b32 v7, a101
	v_mul_f64 v[4:5], v[86:87], v[8:9]
	v_add_f64 v[0:1], v[0:1], v[238:239]
	v_fma_f64 v[4:5], v[84:85], v[6:7], -v[4:5]
	v_accvgpr_read_b32 v6, a104
	v_add_f64 v[0:1], v[0:1], v[242:243]
	v_accvgpr_read_b32 v8, a106
	v_accvgpr_read_b32 v9, a107
	v_add_f64 v[0:1], v[0:1], v[4:5]
	v_accvgpr_read_b32 v7, a105
	v_mul_f64 v[4:5], v[82:83], v[8:9]
	v_fma_f64 v[4:5], v[80:81], v[6:7], -v[4:5]
	v_add_f64 v[0:1], v[0:1], v[4:5]
	v_mul_f64 v[4:5], v[78:79], v[236:237]
	v_fma_f64 v[4:5], v[76:77], v[234:235], -v[4:5]
	v_add_f64 v[0:1], v[0:1], v[4:5]
	;; [unrolled: 3-line block ×27, first 2 shown]
	s_waitcnt vmcnt(0)
	v_add_f64 v[4:5], v[228:229], -v[0:1]
	v_accvgpr_read_b32 v0, a98
	v_add_f64 v[6:7], v[230:231], -v[246:247]
	v_cmp_lt_u32_e32 vcc, 6, v0
	scratch_store_dwordx4 off, v[4:7], off offset:128
	s_and_saveexec_b64 s[0:1], vcc
	s_cbranch_execz .LBB112_295
; %bb.294:
	scratch_load_dwordx4 v[6:9], off, s59
	v_mov_b32_e32 v3, v2
	v_mov_b32_e32 v4, v2
	;; [unrolled: 1-line block ×3, first 2 shown]
	v_accvgpr_read_b32 v0, a99
	scratch_store_dwordx4 off, v[2:5], off offset:112
	s_waitcnt vmcnt(1)
	ds_write_b128 v0, v[6:9]
.LBB112_295:
	s_or_b64 exec, exec, s[0:1]
	s_waitcnt lgkmcnt(0)
	; wave barrier
	scratch_load_dwordx4 v[88:91], off, off offset:128
	scratch_load_dwordx4 v[92:95], off, off offset:144
	;; [unrolled: 1-line block ×17, first 2 shown]
	ds_read_b128 v[212:215], v2 offset:896
	ds_read_b128 v[204:207], v2 offset:912
	;; [unrolled: 1-line block ×3, first 2 shown]
	scratch_load_dwordx4 v[20:23], off, off offset:400
	ds_read_b128 v[216:219], v2 offset:944
	ds_read_b128 v[208:211], v2 offset:960
	;; [unrolled: 1-line block ×5, first 2 shown]
	scratch_load_dwordx4 v[24:27], off, off offset:416
	ds_read_b128 v[180:183], v2 offset:1024
	ds_read_b128 v[160:163], v2 offset:1040
	;; [unrolled: 1-line block ×3, first 2 shown]
	scratch_load_dwordx4 v[28:31], off, off offset:432
	ds_read_b128 v[172:175], v2 offset:1072
	ds_read_b128 v[148:151], v2 offset:1088
	;; [unrolled: 1-line block ×5, first 2 shown]
	scratch_load_dwordx4 v[36:39], off, off offset:448
	ds_read_b128 v[48:51], v2 offset:1152
	scratch_load_dwordx4 v[52:55], off, off offset:464
	scratch_load_dwordx4 v[56:59], off, off offset:480
	;; [unrolled: 1-line block ×9, first 2 shown]
	ds_read_b128 v[140:143], v2 offset:1168
	ds_read_b128 v[232:235], v2 offset:1232
	;; [unrolled: 1-line block ×3, first 2 shown]
	s_waitcnt vmcnt(29) lgkmcnt(14)
	v_mul_f64 v[0:1], v[212:213], v[90:91]
	s_waitcnt vmcnt(28)
	v_mul_f64 v[152:153], v[204:205], v[94:95]
	v_fmac_f64_e32 v[0:1], v[214:215], v[88:89]
	s_waitcnt vmcnt(27)
	v_mul_f64 v[154:155], v[196:197], v[98:99]
	v_fmac_f64_e32 v[152:153], v[206:207], v[92:93]
	v_add_f64 v[0:1], v[0:1], 0
	s_waitcnt vmcnt(26)
	v_mul_f64 v[164:165], v[216:217], v[102:103]
	v_fmac_f64_e32 v[154:155], v[198:199], v[96:97]
	v_add_f64 v[0:1], v[0:1], v[152:153]
	s_waitcnt vmcnt(25)
	v_mul_f64 v[166:167], v[208:209], v[106:107]
	v_fmac_f64_e32 v[164:165], v[218:219], v[100:101]
	v_add_f64 v[0:1], v[0:1], v[154:155]
	s_waitcnt vmcnt(24)
	v_mul_f64 v[168:169], v[200:201], v[110:111]
	v_fmac_f64_e32 v[166:167], v[210:211], v[104:105]
	v_add_f64 v[0:1], v[0:1], v[164:165]
	s_waitcnt vmcnt(23) lgkmcnt(13)
	v_mul_f64 v[170:171], v[184:185], v[114:115]
	v_fmac_f64_e32 v[168:169], v[202:203], v[108:109]
	v_add_f64 v[0:1], v[0:1], v[166:167]
	s_waitcnt vmcnt(22) lgkmcnt(12)
	v_mul_f64 v[176:177], v[156:157], v[118:119]
	v_fmac_f64_e32 v[170:171], v[186:187], v[112:113]
	v_add_f64 v[0:1], v[0:1], v[168:169]
	;; [unrolled: 4-line block ×10, first 2 shown]
	v_fmac_f64_e32 v[224:225], v[34:35], v[12:13]
	v_add_f64 v[0:1], v[0:1], v[222:223]
	ds_read_b128 v[220:223], v2 offset:1184
	v_add_f64 v[0:1], v[0:1], v[224:225]
	ds_read_b128 v[224:227], v2 offset:1200
	s_waitcnt vmcnt(13) lgkmcnt(5)
	v_mul_f64 v[164:165], v[48:49], v[18:19]
	scratch_load_dwordx4 v[152:155], off, off offset:608
	v_fmac_f64_e32 v[164:165], v[50:51], v[16:17]
	s_waitcnt vmcnt(13) lgkmcnt(4)
	v_mul_f64 v[168:169], v[140:141], v[22:23]
	v_add_f64 v[0:1], v[0:1], v[164:165]
	v_fmac_f64_e32 v[168:169], v[142:143], v[20:21]
	scratch_load_dwordx4 v[164:167], off, off offset:624
	v_add_f64 v[0:1], v[0:1], v[168:169]
	s_waitcnt vmcnt(13) lgkmcnt(1)
	v_mul_f64 v[176:177], v[220:221], v[26:27]
	scratch_load_dwordx4 v[168:171], off, off offset:640
	v_fmac_f64_e32 v[176:177], v[222:223], v[24:25]
	s_waitcnt vmcnt(13) lgkmcnt(0)
	v_mul_f64 v[188:189], v[224:225], v[30:31]
	v_add_f64 v[0:1], v[0:1], v[176:177]
	scratch_load_dwordx4 v[176:179], off, off offset:656
	v_fmac_f64_e32 v[188:189], v[226:227], v[28:29]
	v_add_f64 v[0:1], v[0:1], v[188:189]
	s_waitcnt vmcnt(13)
	v_mul_f64 v[188:189], v[228:229], v[38:39]
	v_fmac_f64_e32 v[188:189], v[230:231], v[36:37]
	v_add_f64 v[0:1], v[0:1], v[188:189]
	scratch_load_dwordx4 v[188:191], off, off offset:672
	s_waitcnt vmcnt(13)
	v_mul_f64 v[192:193], v[232:233], v[54:55]
	v_fmac_f64_e32 v[192:193], v[234:235], v[52:53]
	v_mul_f64 v[90:91], v[214:215], v[90:91]
	v_add_f64 v[0:1], v[0:1], v[192:193]
	scratch_load_dwordx4 v[192:195], off, off offset:688
	v_fma_f64 v[240:241], v[212:213], v[88:89], -v[90:91]
	v_mul_f64 v[88:89], v[206:207], v[94:95]
	ds_read_b128 v[236:239], v2 offset:1248
	ds_read_b128 v[212:215], v2 offset:1264
	v_fma_f64 v[246:247], v[204:205], v[92:93], -v[88:89]
	scratch_load_dwordx4 v[92:95], off, off offset:704
	scratch_load_dwordx4 v[88:91], off, off offset:720
	v_mul_f64 v[98:99], v[198:199], v[98:99]
	v_fma_f64 v[248:249], v[196:197], v[96:97], -v[98:99]
	scratch_load_dwordx4 v[96:99], off, off offset:736
	s_waitcnt vmcnt(16) lgkmcnt(1)
	v_mul_f64 v[204:205], v[236:237], v[58:59]
	v_mul_f64 v[102:103], v[218:219], v[102:103]
	v_fmac_f64_e32 v[204:205], v[238:239], v[56:57]
	v_fma_f64 v[216:217], v[216:217], v[100:101], -v[102:103]
	ds_read_b128 v[100:103], v2 offset:1280
	s_waitcnt vmcnt(15) lgkmcnt(1)
	v_mul_f64 v[196:197], v[212:213], v[62:63]
	v_add_f64 v[0:1], v[0:1], v[204:205]
	v_fmac_f64_e32 v[196:197], v[214:215], v[60:61]
	v_add_f64 v[0:1], v[0:1], v[196:197]
	ds_read_b128 v[196:199], v2 offset:1296
	v_mul_f64 v[106:107], v[210:211], v[106:107]
	v_fma_f64 v[218:219], v[208:209], v[104:105], -v[106:107]
	ds_read_b128 v[104:107], v2 offset:1312
	s_waitcnt vmcnt(14) lgkmcnt(2)
	v_mul_f64 v[204:205], v[100:101], v[66:67]
	v_fmac_f64_e32 v[204:205], v[102:103], v[64:65]
	v_add_f64 v[0:1], v[0:1], v[204:205]
	s_waitcnt vmcnt(13) lgkmcnt(1)
	v_mul_f64 v[204:205], v[196:197], v[70:71]
	v_mul_f64 v[110:111], v[202:203], v[110:111]
	v_fmac_f64_e32 v[204:205], v[198:199], v[68:69]
	v_fma_f64 v[250:251], v[200:201], v[108:109], -v[110:111]
	ds_read_b128 v[108:111], v2 offset:1328
	s_waitcnt vmcnt(12) lgkmcnt(1)
	v_mul_f64 v[200:201], v[104:105], v[74:75]
	v_add_f64 v[0:1], v[0:1], v[204:205]
	v_fmac_f64_e32 v[200:201], v[106:107], v[72:73]
	v_add_f64 v[0:1], v[0:1], v[200:201]
	ds_read_b128 v[200:203], v2 offset:1344
	v_mul_f64 v[114:115], v[186:187], v[114:115]
	v_fma_f64 v[252:253], v[184:185], v[112:113], -v[114:115]
	ds_read_b128 v[112:115], v2 offset:1360
	s_waitcnt vmcnt(11) lgkmcnt(2)
	v_mul_f64 v[184:185], v[108:109], v[78:79]
	v_fmac_f64_e32 v[184:185], v[110:111], v[76:77]
	v_add_f64 v[0:1], v[0:1], v[184:185]
	s_waitcnt vmcnt(10) lgkmcnt(1)
	v_mul_f64 v[184:185], v[200:201], v[82:83]
	v_mul_f64 v[118:119], v[158:159], v[118:119]
	v_fmac_f64_e32 v[184:185], v[202:203], v[80:81]
	v_fma_f64 v[254:255], v[156:157], v[116:117], -v[118:119]
	s_waitcnt vmcnt(9) lgkmcnt(0)
	v_mul_f64 v[156:157], v[112:113], v[86:87]
	v_add_f64 v[0:1], v[0:1], v[184:185]
	ds_read_b128 v[116:119], v2 offset:1376
	v_fmac_f64_e32 v[156:157], v[114:115], v[84:85]
	v_add_f64 v[0:1], v[0:1], v[156:157]
	ds_read_b128 v[156:159], v2 offset:1392
	v_mul_f64 v[122:123], v[182:183], v[122:123]
	v_fma_f64 v[242:243], v[180:181], v[120:121], -v[122:123]
	ds_read_b128 v[120:123], v2 offset:1408
	v_accvgpr_write_b32 a103, v7
	v_mul_f64 v[126:127], v[162:163], v[126:127]
	v_accvgpr_write_b32 a102, v6
	v_accvgpr_write_b32 a101, v5
	;; [unrolled: 1-line block ×3, first 2 shown]
	v_fma_f64 v[4:5], v[160:161], v[124:125], -v[126:127]
	ds_read_b128 v[124:127], v2 offset:1424
	s_waitcnt vmcnt(8) lgkmcnt(3)
	v_mul_f64 v[184:185], v[116:117], v[154:155]
	v_fmac_f64_e32 v[184:185], v[118:119], v[152:153]
	s_waitcnt vmcnt(7) lgkmcnt(2)
	v_mul_f64 v[180:181], v[156:157], v[166:167]
	v_add_f64 v[0:1], v[0:1], v[184:185]
	v_fmac_f64_e32 v[180:181], v[158:159], v[164:165]
	s_waitcnt vmcnt(6) lgkmcnt(1)
	v_mul_f64 v[6:7], v[120:121], v[170:171]
	ds_read_b128 v[160:163], v2 offset:1440
	v_add_f64 v[0:1], v[0:1], v[180:181]
	v_fmac_f64_e32 v[6:7], v[122:123], v[168:169]
	v_add_f64 v[0:1], v[0:1], v[6:7]
	s_waitcnt vmcnt(5) lgkmcnt(1)
	v_mul_f64 v[6:7], v[124:125], v[178:179]
	v_fmac_f64_e32 v[6:7], v[126:127], v[176:177]
	v_add_f64 v[0:1], v[0:1], v[6:7]
	v_mul_f64 v[6:7], v[146:147], v[130:131]
	v_fma_f64 v[6:7], v[144:145], v[128:129], -v[6:7]
	ds_read_b128 v[128:131], v2 offset:1456
	s_waitcnt vmcnt(4) lgkmcnt(1)
	v_mul_f64 v[144:145], v[160:161], v[190:191]
	v_fmac_f64_e32 v[144:145], v[162:163], v[188:189]
	v_add_f64 v[180:181], v[0:1], v[144:145]
	v_mul_f64 v[0:1], v[174:175], v[134:135]
	v_fma_f64 v[0:1], v[172:173], v[132:133], -v[0:1]
	ds_read_b128 v[132:135], v2 offset:1472
	ds_read_b128 v[144:147], v2 offset:1488
	v_mul_f64 v[138:139], v[150:151], v[138:139]
	v_fma_f64 v[244:245], v[148:149], v[136:137], -v[138:139]
	ds_read_b128 v[136:139], v2 offset:1504
	s_waitcnt vmcnt(3) lgkmcnt(3)
	v_mul_f64 v[172:173], v[128:129], v[194:195]
	v_fmac_f64_e32 v[172:173], v[130:131], v[192:193]
	s_waitcnt vmcnt(2) lgkmcnt(2)
	v_mul_f64 v[148:149], v[132:133], v[94:95]
	v_add_f64 v[172:173], v[180:181], v[172:173]
	v_fmac_f64_e32 v[148:149], v[134:135], v[92:93]
	s_waitcnt vmcnt(1) lgkmcnt(1)
	v_mul_f64 v[150:151], v[144:145], v[90:91]
	v_add_f64 v[148:149], v[172:173], v[148:149]
	v_fmac_f64_e32 v[150:151], v[146:147], v[88:89]
	v_add_f64 v[148:149], v[148:149], v[150:151]
	ds_read_b128 v[172:175], v2 offset:1520
	scratch_load_dwordx4 v[208:211], off, off offset:784
	s_waitcnt vmcnt(1) lgkmcnt(1)
	v_mul_f64 v[150:151], v[136:137], v[98:99]
	v_fmac_f64_e32 v[150:151], v[138:139], v[96:97]
	v_add_f64 v[180:181], v[148:149], v[150:151]
	scratch_load_dwordx4 v[148:151], off, off offset:752
	ds_read_b128 v[184:187], v2 offset:1536
	v_accvgpr_write_b32 a105, v1
	v_accvgpr_write_b32 a104, v0
	s_waitcnt vmcnt(0) lgkmcnt(1)
	v_mul_f64 v[182:183], v[172:173], v[150:151]
	v_fmac_f64_e32 v[182:183], v[174:175], v[148:149]
	v_add_f64 v[204:205], v[180:181], v[182:183]
	scratch_load_dwordx4 v[180:183], off, off offset:768
	s_waitcnt vmcnt(0) lgkmcnt(0)
	v_mul_f64 v[206:207], v[184:185], v[182:183]
	v_fmac_f64_e32 v[206:207], v[186:187], v[180:181]
	v_add_f64 v[0:1], v[204:205], v[206:207]
	ds_read_b128 v[204:207], v2 offset:1552
	s_waitcnt lgkmcnt(0)
	v_mul_f64 v[2:3], v[204:205], v[210:211]
	v_fmac_f64_e32 v[2:3], v[206:207], v[208:209]
	v_add_f64 v[2:3], v[0:1], v[2:3]
	v_add_f64 v[0:1], v[240:241], 0
	;; [unrolled: 1-line block ×6, first 2 shown]
	scratch_load_dwordx4 v[216:219], off, off offset:112
	v_add_f64 v[0:1], v[0:1], v[250:251]
	v_add_f64 v[0:1], v[0:1], v[252:253]
	v_add_f64 v[0:1], v[0:1], v[254:255]
	v_add_f64 v[0:1], v[0:1], v[242:243]
	v_add_f64 v[0:1], v[0:1], v[4:5]
	v_add_f64 v[254:255], v[0:1], v[6:7]
	v_accvgpr_read_b32 v0, a104
	v_accvgpr_read_b32 v243, a103
	;; [unrolled: 1-line block ×4, first 2 shown]
	v_add_f64 v[0:1], v[254:255], v[0:1]
	v_accvgpr_read_b32 v241, a101
	v_accvgpr_read_b32 v240, a100
	v_mul_f64 v[4:5], v[46:47], v[242:243]
	v_add_f64 v[0:1], v[0:1], v[244:245]
	v_fma_f64 v[4:5], v[44:45], v[240:241], -v[4:5]
	v_add_f64 v[0:1], v[0:1], v[4:5]
	v_mul_f64 v[4:5], v[42:43], v[10:11]
	v_fma_f64 v[4:5], v[40:41], v[8:9], -v[4:5]
	v_add_f64 v[0:1], v[0:1], v[4:5]
	v_mul_f64 v[4:5], v[34:35], v[14:15]
	;; [unrolled: 3-line block ×28, first 2 shown]
	v_fma_f64 v[4:5], v[204:205], v[208:209], -v[4:5]
	v_add_f64 v[0:1], v[0:1], v[4:5]
	s_waitcnt vmcnt(0)
	v_add_f64 v[4:5], v[216:217], -v[0:1]
	v_accvgpr_read_b32 v0, a98
	v_add_f64 v[6:7], v[218:219], -v[2:3]
	v_cmp_lt_u32_e32 vcc, 5, v0
	scratch_store_dwordx4 off, v[4:7], off offset:112
	s_and_saveexec_b64 s[0:1], vcc
	s_cbranch_execz .LBB112_297
; %bb.296:
	scratch_load_dwordx4 v[2:5], off, s60
	v_mov_b32_e32 v6, 0
	v_mov_b32_e32 v7, v6
	;; [unrolled: 1-line block ×4, first 2 shown]
	v_accvgpr_read_b32 v0, a99
	scratch_store_dwordx4 off, v[6:9], off offset:96
	s_waitcnt vmcnt(1)
	ds_write_b128 v0, v[2:5]
.LBB112_297:
	s_or_b64 exec, exec, s[0:1]
	s_waitcnt lgkmcnt(0)
	; wave barrier
	scratch_load_dwordx4 v[96:99], off, off offset:112
	scratch_load_dwordx4 v[100:103], off, off offset:128
	;; [unrolled: 1-line block ×30, first 2 shown]
	v_mov_b32_e32 v2, 0
	ds_read_b128 v[136:139], v2 offset:880
	ds_read_b128 v[144:147], v2 offset:896
	;; [unrolled: 1-line block ×20, first 2 shown]
	s_waitcnt vmcnt(29) lgkmcnt(14)
	v_mul_f64 v[0:1], v[136:137], v[98:99]
	s_waitcnt vmcnt(28)
	v_mul_f64 v[72:73], v[144:145], v[102:103]
	v_fmac_f64_e32 v[0:1], v[138:139], v[96:97]
	s_waitcnt vmcnt(27)
	v_mul_f64 v[74:75], v[148:149], v[106:107]
	v_fmac_f64_e32 v[72:73], v[146:147], v[100:101]
	v_add_f64 v[0:1], v[0:1], 0
	s_waitcnt vmcnt(26)
	v_mul_f64 v[76:77], v[164:165], v[110:111]
	v_fmac_f64_e32 v[74:75], v[150:151], v[104:105]
	v_add_f64 v[0:1], v[0:1], v[72:73]
	;; [unrolled: 4-line block ×4, first 2 shown]
	s_waitcnt vmcnt(23) lgkmcnt(13)
	v_mul_f64 v[82:83], v[200:201], v[158:159]
	v_fmac_f64_e32 v[80:81], v[190:191], v[152:153]
	v_add_f64 v[0:1], v[0:1], v[78:79]
	s_waitcnt vmcnt(22) lgkmcnt(12)
	v_mul_f64 v[84:85], v[208:209], v[162:163]
	v_fmac_f64_e32 v[82:83], v[202:203], v[156:157]
	v_add_f64 v[0:1], v[0:1], v[80:81]
	;; [unrolled: 4-line block ×9, first 2 shown]
	s_waitcnt vmcnt(14) lgkmcnt(4)
	v_mul_f64 v[120:121], v[68:69], v[6:7]
	v_fmac_f64_e32 v[118:119], v[248:249], v[204:205]
	v_accvgpr_write_b32 a103, v7
	v_add_f64 v[0:1], v[0:1], v[116:117]
	v_fmac_f64_e32 v[120:121], v[70:71], v[4:5]
	v_accvgpr_write_b32 a102, v6
	v_accvgpr_write_b32 a101, v5
	v_accvgpr_write_b32 a100, v4
	v_add_f64 v[0:1], v[0:1], v[118:119]
	ds_read_b128 v[116:119], v2 offset:1152
	s_waitcnt vmcnt(13)
	v_mov_b64_e32 v[4:5], v[8:9]
	v_mov_b64_e32 v[6:7], v[10:11]
	s_waitcnt lgkmcnt(4)
	v_mul_f64 v[76:77], v[64:65], v[6:7]
	scratch_load_dwordx4 v[72:75], off, off offset:592
	v_add_f64 v[0:1], v[0:1], v[120:121]
	v_fmac_f64_e32 v[76:77], v[66:67], v[4:5]
	s_waitcnt vmcnt(13)
	v_mov_b64_e32 v[4:5], v[12:13]
	v_add_f64 v[0:1], v[0:1], v[76:77]
	v_mov_b64_e32 v[6:7], v[14:15]
	scratch_load_dwordx4 v[76:79], off, off offset:608
	ds_read_b128 v[120:123], v2 offset:1168
	s_waitcnt lgkmcnt(1)
	v_mul_f64 v[80:81], v[116:117], v[6:7]
	v_fmac_f64_e32 v[80:81], v[118:119], v[4:5]
	v_add_f64 v[0:1], v[0:1], v[80:81]
	scratch_load_dwordx4 v[80:83], off, off offset:624
	s_waitcnt vmcnt(14) lgkmcnt(0)
	v_mul_f64 v[84:85], v[120:121], v[236:237]
	v_fmac_f64_e32 v[84:85], v[122:123], v[234:235]
	s_waitcnt vmcnt(13)
	v_mul_f64 v[88:89], v[124:125], v[22:23]
	v_add_f64 v[0:1], v[0:1], v[84:85]
	v_fmac_f64_e32 v[88:89], v[126:127], v[20:21]
	scratch_load_dwordx4 v[84:87], off, off offset:640
	v_add_f64 v[0:1], v[0:1], v[88:89]
	s_waitcnt vmcnt(13)
	v_mul_f64 v[88:89], v[128:129], v[26:27]
	v_fmac_f64_e32 v[88:89], v[130:131], v[24:25]
	v_add_f64 v[0:1], v[0:1], v[88:89]
	scratch_load_dwordx4 v[88:91], off, off offset:656
	s_waitcnt vmcnt(13)
	v_mul_f64 v[92:93], v[132:133], v[30:31]
	v_fmac_f64_e32 v[92:93], v[134:135], v[28:29]
	v_add_f64 v[0:1], v[0:1], v[92:93]
	scratch_load_dwordx4 v[92:95], off, off offset:672
	v_mul_f64 v[98:99], v[138:139], v[98:99]
	v_fma_f64 v[240:241], v[136:137], v[96:97], -v[98:99]
	v_mul_f64 v[96:97], v[146:147], v[102:103]
	ds_read_b128 v[140:143], v2 offset:1232
	ds_read_b128 v[136:139], v2 offset:1248
	v_fma_f64 v[250:251], v[144:145], v[100:101], -v[96:97]
	scratch_load_dwordx4 v[100:103], off, off offset:688
	scratch_load_dwordx4 v[96:99], off, off offset:704
	s_waitcnt vmcnt(15) lgkmcnt(1)
	v_mul_f64 v[144:145], v[140:141], v[34:35]
	v_fmac_f64_e32 v[144:145], v[142:143], v[32:33]
	v_mul_f64 v[106:107], v[150:151], v[106:107]
	v_add_f64 v[0:1], v[0:1], v[144:145]
	s_waitcnt vmcnt(14) lgkmcnt(0)
	v_mul_f64 v[144:145], v[136:137], v[38:39]
	v_fma_f64 v[252:253], v[148:149], v[104:105], -v[106:107]
	v_mul_f64 v[104:105], v[166:167], v[110:111]
	v_fmac_f64_e32 v[144:145], v[138:139], v[36:37]
	v_fma_f64 v[254:255], v[164:165], v[108:109], -v[104:105]
	scratch_load_dwordx4 v[104:107], off, off offset:720
	v_add_f64 v[0:1], v[0:1], v[144:145]
	ds_read_b128 v[144:147], v2 offset:1264
	ds_read_b128 v[148:151], v2 offset:1280
	v_mul_f64 v[108:109], v[178:179], v[114:115]
	v_fma_f64 v[232:233], v[176:177], v[112:113], -v[108:109]
	scratch_load_dwordx4 v[108:111], off, off offset:736
	s_waitcnt vmcnt(15) lgkmcnt(1)
	v_mul_f64 v[112:113], v[144:145], v[42:43]
	v_fmac_f64_e32 v[112:113], v[146:147], v[40:41]
	v_add_f64 v[0:1], v[0:1], v[112:113]
	v_mul_f64 v[112:113], v[190:191], v[154:155]
	v_fma_f64 v[16:17], v[188:189], v[152:153], -v[112:113]
	scratch_load_dwordx4 v[112:115], off, off offset:752
	ds_read_b128 v[152:155], v2 offset:1296
	s_waitcnt vmcnt(15) lgkmcnt(1)
	v_mul_f64 v[6:7], v[148:149], v[46:47]
	v_fmac_f64_e32 v[6:7], v[150:151], v[44:45]
	v_accvgpr_write_b32 a111, v15
	v_add_f64 v[0:1], v[0:1], v[6:7]
	v_mul_f64 v[6:7], v[202:203], v[158:159]
	v_accvgpr_write_b32 a110, v14
	v_accvgpr_write_b32 a109, v13
	;; [unrolled: 1-line block ×3, first 2 shown]
	v_fma_f64 v[12:13], v[200:201], v[156:157], -v[6:7]
	ds_read_b128 v[156:159], v2 offset:1312
	s_waitcnt vmcnt(14) lgkmcnt(1)
	v_mul_f64 v[6:7], v[152:153], v[50:51]
	v_fmac_f64_e32 v[6:7], v[154:155], v[48:49]
	v_accvgpr_write_b32 a107, v11
	v_add_f64 v[0:1], v[0:1], v[6:7]
	v_mul_f64 v[6:7], v[210:211], v[162:163]
	v_accvgpr_write_b32 a106, v10
	v_accvgpr_write_b32 a105, v9
	;; [unrolled: 1-line block ×3, first 2 shown]
	v_fma_f64 v[10:11], v[208:209], v[160:161], -v[6:7]
	ds_read_b128 v[160:163], v2 offset:1328
	ds_read_b128 v[164:167], v2 offset:1344
	s_waitcnt vmcnt(13) lgkmcnt(2)
	v_mul_f64 v[6:7], v[156:157], v[54:55]
	v_fmac_f64_e32 v[6:7], v[158:159], v[52:53]
	v_add_f64 v[0:1], v[0:1], v[6:7]
	s_waitcnt vmcnt(12) lgkmcnt(1)
	v_mul_f64 v[6:7], v[160:161], v[62:63]
	v_fmac_f64_e32 v[6:7], v[162:163], v[60:61]
	v_add_f64 v[0:1], v[0:1], v[6:7]
	v_mul_f64 v[6:7], v[214:215], v[170:171]
	v_fma_f64 v[8:9], v[212:213], v[168:169], -v[6:7]
	s_waitcnt vmcnt(11) lgkmcnt(0)
	v_mul_f64 v[6:7], v[164:165], v[58:59]
	v_fmac_f64_e32 v[6:7], v[166:167], v[56:57]
	ds_read_b128 v[168:171], v2 offset:1360
	v_add_f64 v[0:1], v[0:1], v[6:7]
	v_mul_f64 v[6:7], v[218:219], v[174:175]
	v_fma_f64 v[14:15], v[216:217], v[172:173], -v[6:7]
	ds_read_b128 v[172:175], v2 offset:1376
	s_waitcnt vmcnt(10) lgkmcnt(1)
	v_mul_f64 v[6:7], v[168:169], v[74:75]
	ds_read_b128 v[176:179], v2 offset:1392
	v_fmac_f64_e32 v[6:7], v[170:171], v[72:73]
	v_add_f64 v[0:1], v[0:1], v[6:7]
	s_waitcnt vmcnt(9) lgkmcnt(1)
	v_mul_f64 v[6:7], v[172:173], v[78:79]
	v_fmac_f64_e32 v[6:7], v[174:175], v[76:77]
	v_add_f64 v[0:1], v[0:1], v[6:7]
	v_mul_f64 v[6:7], v[222:223], v[182:183]
	v_fma_f64 v[4:5], v[220:221], v[180:181], -v[6:7]
	ds_read_b128 v[180:183], v2 offset:1408
	s_waitcnt vmcnt(8) lgkmcnt(1)
	v_mul_f64 v[6:7], v[176:177], v[82:83]
	v_fmac_f64_e32 v[6:7], v[178:179], v[80:81]
	v_add_f64 v[0:1], v[0:1], v[6:7]
	v_mul_f64 v[6:7], v[226:227], v[186:187]
	v_fma_f64 v[6:7], v[224:225], v[184:185], -v[6:7]
	ds_read_b128 v[184:187], v2 offset:1424
	ds_read_b128 v[188:191], v2 offset:1440
	s_waitcnt vmcnt(7) lgkmcnt(2)
	v_mul_f64 v[18:19], v[180:181], v[86:87]
	v_fmac_f64_e32 v[18:19], v[182:183], v[84:85]
	v_add_f64 v[0:1], v[0:1], v[18:19]
	s_waitcnt vmcnt(6) lgkmcnt(1)
	v_mul_f64 v[18:19], v[184:185], v[90:91]
	v_fmac_f64_e32 v[18:19], v[186:187], v[88:89]
	v_add_f64 v[18:19], v[0:1], v[18:19]
	v_mul_f64 v[0:1], v[230:231], v[194:195]
	v_fma_f64 v[0:1], v[228:229], v[192:193], -v[0:1]
	ds_read_b128 v[192:195], v2 offset:1456
	s_waitcnt vmcnt(5) lgkmcnt(1)
	v_mul_f64 v[200:201], v[188:189], v[94:95]
	v_fmac_f64_e32 v[200:201], v[190:191], v[92:93]
	v_mul_f64 v[198:199], v[244:245], v[198:199]
	v_fma_f64 v[238:239], v[242:243], v[196:197], -v[198:199]
	ds_read_b128 v[196:199], v2 offset:1472
	v_add_f64 v[18:19], v[18:19], v[200:201]
	s_waitcnt vmcnt(4) lgkmcnt(1)
	v_mul_f64 v[200:201], v[192:193], v[102:103]
	v_fmac_f64_e32 v[200:201], v[194:195], v[100:101]
	v_add_f64 v[18:19], v[18:19], v[200:201]
	ds_read_b128 v[200:203], v2 offset:1488
	v_mul_f64 v[206:207], v[248:249], v[206:207]
	v_fma_f64 v[242:243], v[246:247], v[204:205], -v[206:207]
	ds_read_b128 v[204:207], v2 offset:1504
	s_waitcnt vmcnt(3) lgkmcnt(2)
	v_mul_f64 v[208:209], v[196:197], v[98:99]
	v_fmac_f64_e32 v[208:209], v[198:199], v[96:97]
	v_add_f64 v[18:19], v[18:19], v[208:209]
	s_waitcnt vmcnt(2) lgkmcnt(1)
	v_mul_f64 v[208:209], v[200:201], v[106:107]
	v_fmac_f64_e32 v[208:209], v[202:203], v[104:105]
	v_add_f64 v[18:19], v[18:19], v[208:209]
	;; [unrolled: 4-line block ×3, first 2 shown]
	ds_read_b128 v[208:211], v2 offset:1520
	ds_read_b128 v[216:219], v2 offset:1536
	;; [unrolled: 1-line block ×3, first 2 shown]
	s_waitcnt vmcnt(0) lgkmcnt(2)
	v_mul_f64 v[212:213], v[208:209], v[114:115]
	v_fmac_f64_e32 v[212:213], v[210:211], v[112:113]
	v_add_f64 v[18:19], v[18:19], v[212:213]
	scratch_load_dwordx4 v[212:215], off, off offset:768
	s_waitcnt vmcnt(0) lgkmcnt(1)
	v_mul_f64 v[220:221], v[216:217], v[214:215]
	v_fmac_f64_e32 v[220:221], v[218:219], v[212:213]
	v_add_f64 v[18:19], v[18:19], v[220:221]
	scratch_load_dwordx4 v[220:223], off, off offset:784
	;; [unrolled: 5-line block ×3, first 2 shown]
	v_add_f64 v[18:19], v[240:241], 0
	v_add_f64 v[18:19], v[18:19], v[250:251]
	;; [unrolled: 1-line block ×12, first 2 shown]
	v_accvgpr_read_b32 v6, a100
	v_accvgpr_read_b32 v8, a102
	;; [unrolled: 1-line block ×3, first 2 shown]
	v_add_f64 v[0:1], v[4:5], v[0:1]
	v_accvgpr_read_b32 v7, a101
	v_mul_f64 v[4:5], v[70:71], v[8:9]
	v_add_f64 v[0:1], v[0:1], v[238:239]
	v_fma_f64 v[4:5], v[68:69], v[6:7], -v[4:5]
	v_accvgpr_read_b32 v6, a104
	v_add_f64 v[0:1], v[0:1], v[242:243]
	v_accvgpr_read_b32 v8, a106
	v_accvgpr_read_b32 v9, a107
	v_add_f64 v[0:1], v[0:1], v[4:5]
	v_accvgpr_read_b32 v7, a105
	v_mul_f64 v[4:5], v[66:67], v[8:9]
	v_fma_f64 v[4:5], v[64:65], v[6:7], -v[4:5]
	v_accvgpr_read_b32 v6, a108
	v_accvgpr_read_b32 v8, a110
	;; [unrolled: 1-line block ×3, first 2 shown]
	v_add_f64 v[0:1], v[0:1], v[4:5]
	v_accvgpr_read_b32 v7, a109
	v_mul_f64 v[4:5], v[118:119], v[8:9]
	v_fma_f64 v[4:5], v[116:117], v[6:7], -v[4:5]
	v_add_f64 v[0:1], v[0:1], v[4:5]
	v_mul_f64 v[4:5], v[122:123], v[236:237]
	v_fma_f64 v[4:5], v[120:121], v[234:235], -v[4:5]
	v_add_f64 v[0:1], v[0:1], v[4:5]
	;; [unrolled: 3-line block ×26, first 2 shown]
	s_waitcnt vmcnt(0)
	v_add_f64 v[4:5], v[228:229], -v[0:1]
	v_accvgpr_read_b32 v0, a98
	v_add_f64 v[6:7], v[230:231], -v[246:247]
	v_cmp_lt_u32_e32 vcc, 4, v0
	scratch_store_dwordx4 off, v[4:7], off offset:96
	s_and_saveexec_b64 s[0:1], vcc
	s_cbranch_execz .LBB112_299
; %bb.298:
	scratch_load_dwordx4 v[6:9], off, s61
	v_mov_b32_e32 v3, v2
	v_mov_b32_e32 v4, v2
	;; [unrolled: 1-line block ×3, first 2 shown]
	v_accvgpr_read_b32 v0, a99
	scratch_store_dwordx4 off, v[2:5], off offset:80
	s_waitcnt vmcnt(1)
	ds_write_b128 v0, v[6:9]
.LBB112_299:
	s_or_b64 exec, exec, s[0:1]
	s_waitcnt lgkmcnt(0)
	; wave barrier
	scratch_load_dwordx4 v[72:75], off, off offset:96
	scratch_load_dwordx4 v[76:79], off, off offset:112
	;; [unrolled: 1-line block ×17, first 2 shown]
	ds_read_b128 v[176:179], v2 offset:864
	ds_read_b128 v[192:195], v2 offset:880
	;; [unrolled: 1-line block ×3, first 2 shown]
	scratch_load_dwordx4 v[20:23], off, off offset:368
	ds_read_b128 v[236:239], v2 offset:912
	ds_read_b128 v[232:235], v2 offset:928
	;; [unrolled: 1-line block ×5, first 2 shown]
	scratch_load_dwordx4 v[168:171], off, off offset:384
	ds_read_b128 v[224:227], v2 offset:992
	ds_read_b128 v[212:215], v2 offset:1008
	;; [unrolled: 1-line block ×3, first 2 shown]
	scratch_load_dwordx4 v[12:15], off, off offset:400
	ds_read_b128 v[216:219], v2 offset:1040
	ds_read_b128 v[204:207], v2 offset:1056
	;; [unrolled: 1-line block ×5, first 2 shown]
	scratch_load_dwordx4 v[28:31], off, off offset:416
	ds_read_b128 v[32:35], v2 offset:1120
	scratch_load_dwordx4 v[36:39], off, off offset:432
	scratch_load_dwordx4 v[40:43], off, off offset:448
	;; [unrolled: 1-line block ×9, first 2 shown]
	ds_read_b128 v[132:135], v2 offset:1136
	s_waitcnt lgkmcnt(2)
	v_accvgpr_write_b32 a107, v19
	v_accvgpr_write_b32 a106, v18
	;; [unrolled: 1-line block ×4, first 2 shown]
	ds_read_b128 v[172:175], v2 offset:1200
	s_waitcnt vmcnt(29)
	v_mul_f64 v[0:1], v[176:177], v[74:75]
	s_waitcnt vmcnt(28)
	v_mul_f64 v[136:137], v[192:193], v[78:79]
	v_fmac_f64_e32 v[0:1], v[178:179], v[72:73]
	s_waitcnt vmcnt(27)
	v_mul_f64 v[138:139], v[188:189], v[82:83]
	v_fmac_f64_e32 v[136:137], v[194:195], v[76:77]
	v_add_f64 v[0:1], v[0:1], 0
	s_waitcnt vmcnt(26)
	v_mul_f64 v[140:141], v[236:237], v[86:87]
	v_fmac_f64_e32 v[138:139], v[190:191], v[80:81]
	v_add_f64 v[0:1], v[0:1], v[136:137]
	;; [unrolled: 4-line block ×14, first 2 shown]
	v_fmac_f64_e32 v[164:165], v[18:19], v[4:5]
	v_add_f64 v[0:1], v[0:1], v[162:163]
	s_waitcnt vmcnt(13) lgkmcnt(2)
	v_mul_f64 v[140:141], v[32:33], v[26:27]
	scratch_load_dwordx4 v[136:139], off, off offset:576
	v_add_f64 v[0:1], v[0:1], v[164:165]
	v_fmac_f64_e32 v[140:141], v[34:35], v[24:25]
	v_add_f64 v[0:1], v[0:1], v[140:141]
	ds_read_b128 v[160:163], v2 offset:1152
	scratch_load_dwordx4 v[140:143], off, off offset:592
	ds_read_b128 v[164:167], v2 offset:1168
	s_waitcnt vmcnt(13)
	v_mov_b64_e32 v[16:17], v[168:169]
	v_mov_b64_e32 v[18:19], v[170:171]
	ds_read_b128 v[168:171], v2 offset:1184
	s_waitcnt lgkmcnt(4)
	v_mul_f64 v[144:145], v[132:133], v[22:23]
	v_fmac_f64_e32 v[144:145], v[134:135], v[20:21]
	s_waitcnt lgkmcnt(2)
	v_mul_f64 v[148:149], v[160:161], v[18:19]
	v_add_f64 v[0:1], v[0:1], v[144:145]
	v_fmac_f64_e32 v[148:149], v[162:163], v[16:17]
	s_waitcnt vmcnt(12) lgkmcnt(1)
	v_mul_f64 v[152:153], v[164:165], v[14:15]
	scratch_load_dwordx4 v[144:147], off, off offset:608
	v_add_f64 v[0:1], v[0:1], v[148:149]
	v_fmac_f64_e32 v[152:153], v[166:167], v[12:13]
	scratch_load_dwordx4 v[148:151], off, off offset:624
	v_add_f64 v[0:1], v[0:1], v[152:153]
	s_waitcnt vmcnt(13) lgkmcnt(0)
	v_mul_f64 v[152:153], v[168:169], v[30:31]
	v_fmac_f64_e32 v[152:153], v[170:171], v[28:29]
	v_add_f64 v[0:1], v[0:1], v[152:153]
	scratch_load_dwordx4 v[152:155], off, off offset:640
	s_waitcnt vmcnt(13)
	v_mul_f64 v[156:157], v[172:173], v[38:39]
	v_fmac_f64_e32 v[156:157], v[174:175], v[36:37]
	v_mul_f64 v[74:75], v[178:179], v[74:75]
	v_add_f64 v[0:1], v[0:1], v[156:157]
	scratch_load_dwordx4 v[156:159], off, off offset:656
	v_fma_f64 v[240:241], v[176:177], v[72:73], -v[74:75]
	v_mul_f64 v[72:73], v[194:195], v[78:79]
	ds_read_b128 v[180:183], v2 offset:1216
	ds_read_b128 v[176:179], v2 offset:1232
	v_fma_f64 v[246:247], v[192:193], v[76:77], -v[72:73]
	scratch_load_dwordx4 v[76:79], off, off offset:672
	scratch_load_dwordx4 v[72:75], off, off offset:688
	v_mul_f64 v[82:83], v[190:191], v[82:83]
	v_fma_f64 v[248:249], v[188:189], v[80:81], -v[82:83]
	v_mul_f64 v[80:81], v[238:239], v[86:87]
	v_fma_f64 v[236:237], v[236:237], v[84:85], -v[80:81]
	scratch_load_dwordx4 v[80:83], off, off offset:704
	ds_read_b128 v[188:191], v2 offset:1248
	v_mul_f64 v[84:85], v[234:235], v[90:91]
	s_waitcnt vmcnt(16) lgkmcnt(2)
	v_mul_f64 v[192:193], v[180:181], v[42:43]
	v_fma_f64 v[238:239], v[232:233], v[88:89], -v[84:85]
	scratch_load_dwordx4 v[84:87], off, off offset:720
	v_fmac_f64_e32 v[192:193], v[182:183], v[40:41]
	v_add_f64 v[0:1], v[0:1], v[192:193]
	s_waitcnt vmcnt(16) lgkmcnt(1)
	v_mul_f64 v[192:193], v[176:177], v[46:47]
	v_fmac_f64_e32 v[192:193], v[178:179], v[44:45]
	v_add_f64 v[0:1], v[0:1], v[192:193]
	ds_read_b128 v[192:195], v2 offset:1264
	s_waitcnt vmcnt(15) lgkmcnt(1)
	v_mul_f64 v[88:89], v[188:189], v[50:51]
	v_fmac_f64_e32 v[88:89], v[190:191], v[48:49]
	v_add_f64 v[0:1], v[0:1], v[88:89]
	v_mul_f64 v[88:89], v[230:231], v[94:95]
	v_fma_f64 v[250:251], v[228:229], v[92:93], -v[88:89]
	scratch_load_dwordx4 v[88:91], off, off offset:736
	scratch_load_dwordx4 v[232:235], off, off offset:784
	ds_read_b128 v[92:95], v2 offset:1280
	v_mul_f64 v[98:99], v[222:223], v[98:99]
	v_fma_f64 v[252:253], v[220:221], v[96:97], -v[98:99]
	ds_read_b128 v[96:99], v2 offset:1296
	v_mul_f64 v[102:103], v[210:211], v[102:103]
	s_waitcnt vmcnt(16) lgkmcnt(2)
	v_mul_f64 v[228:229], v[192:193], v[54:55]
	v_fma_f64 v[254:255], v[208:209], v[100:101], -v[102:103]
	ds_read_b128 v[100:103], v2 offset:1312
	ds_read_b128 v[208:211], v2 offset:1328
	v_fmac_f64_e32 v[228:229], v[194:195], v[52:53]
	s_waitcnt vmcnt(15) lgkmcnt(3)
	v_mul_f64 v[220:221], v[92:93], v[58:59]
	v_add_f64 v[0:1], v[0:1], v[228:229]
	v_fmac_f64_e32 v[220:221], v[94:95], v[56:57]
	v_mul_f64 v[106:107], v[226:227], v[106:107]
	v_add_f64 v[0:1], v[0:1], v[220:221]
	s_waitcnt vmcnt(14) lgkmcnt(2)
	v_mul_f64 v[220:221], v[96:97], v[62:63]
	v_fma_f64 v[242:243], v[224:225], v[104:105], -v[106:107]
	ds_read_b128 v[104:107], v2 offset:1344
	v_fmac_f64_e32 v[220:221], v[98:99], v[60:61]
	v_mul_f64 v[110:111], v[214:215], v[110:111]
	v_add_f64 v[0:1], v[0:1], v[220:221]
	s_waitcnt vmcnt(13) lgkmcnt(2)
	v_mul_f64 v[220:221], v[100:101], v[70:71]
	v_fma_f64 v[8:9], v[212:213], v[108:109], -v[110:111]
	ds_read_b128 v[108:111], v2 offset:1360
	v_fmac_f64_e32 v[220:221], v[102:103], v[68:69]
	v_accvgpr_write_b32 a103, v7
	v_add_f64 v[0:1], v[0:1], v[220:221]
	s_waitcnt vmcnt(12) lgkmcnt(2)
	v_mul_f64 v[220:221], v[208:209], v[66:67]
	v_accvgpr_write_b32 a102, v6
	v_accvgpr_write_b32 a101, v5
	;; [unrolled: 1-line block ×3, first 2 shown]
	v_fmac_f64_e32 v[220:221], v[210:211], v[64:65]
	s_waitcnt vmcnt(11) lgkmcnt(1)
	v_mul_f64 v[6:7], v[104:105], v[138:139]
	v_add_f64 v[0:1], v[0:1], v[220:221]
	v_fmac_f64_e32 v[6:7], v[106:107], v[136:137]
	v_add_f64 v[0:1], v[0:1], v[6:7]
	s_waitcnt vmcnt(10) lgkmcnt(0)
	v_mul_f64 v[6:7], v[108:109], v[142:143]
	v_fmac_f64_e32 v[6:7], v[110:111], v[140:141]
	ds_read_b128 v[212:215], v2 offset:1376
	v_add_f64 v[0:1], v[0:1], v[6:7]
	v_mul_f64 v[6:7], v[202:203], v[114:115]
	v_fma_f64 v[6:7], v[200:201], v[112:113], -v[6:7]
	ds_read_b128 v[112:115], v2 offset:1392
	v_mul_f64 v[118:119], v[218:219], v[118:119]
	v_fma_f64 v[4:5], v[216:217], v[116:117], -v[118:119]
	ds_read_b128 v[116:119], v2 offset:1408
	s_waitcnt vmcnt(9) lgkmcnt(2)
	v_mul_f64 v[200:201], v[212:213], v[146:147]
	v_fmac_f64_e32 v[200:201], v[214:215], v[144:145]
	s_waitcnt vmcnt(8) lgkmcnt(1)
	v_mul_f64 v[10:11], v[112:113], v[150:151]
	v_add_f64 v[0:1], v[0:1], v[200:201]
	v_fmac_f64_e32 v[10:11], v[114:115], v[148:149]
	v_add_f64 v[0:1], v[0:1], v[10:11]
	ds_read_b128 v[200:203], v2 offset:1424
	s_waitcnt vmcnt(7) lgkmcnt(1)
	v_mul_f64 v[10:11], v[116:117], v[154:155]
	v_fmac_f64_e32 v[10:11], v[118:119], v[152:153]
	v_add_f64 v[10:11], v[0:1], v[10:11]
	v_mul_f64 v[0:1], v[206:207], v[122:123]
	v_fma_f64 v[0:1], v[204:205], v[120:121], -v[0:1]
	ds_read_b128 v[120:123], v2 offset:1440
	v_mul_f64 v[126:127], v[198:199], v[126:127]
	v_fma_f64 v[124:125], v[196:197], v[124:125], -v[126:127]
	s_waitcnt vmcnt(6) lgkmcnt(1)
	v_mul_f64 v[204:205], v[200:201], v[158:159]
	v_accvgpr_write_b32 a108, v124
	v_fmac_f64_e32 v[204:205], v[202:203], v[156:157]
	v_accvgpr_write_b32 a109, v125
	ds_read_b128 v[124:127], v2 offset:1456
	s_waitcnt vmcnt(5) lgkmcnt(1)
	v_mul_f64 v[196:197], v[120:121], v[78:79]
	v_add_f64 v[10:11], v[10:11], v[204:205]
	v_fmac_f64_e32 v[196:197], v[122:123], v[76:77]
	v_add_f64 v[10:11], v[10:11], v[196:197]
	ds_read_b128 v[196:199], v2 offset:1472
	v_mul_f64 v[130:131], v[186:187], v[130:131]
	v_fma_f64 v[244:245], v[184:185], v[128:129], -v[130:131]
	ds_read_b128 v[128:131], v2 offset:1488
	s_waitcnt vmcnt(4) lgkmcnt(2)
	v_mul_f64 v[184:185], v[124:125], v[74:75]
	v_fmac_f64_e32 v[184:185], v[126:127], v[72:73]
	v_add_f64 v[10:11], v[10:11], v[184:185]
	s_waitcnt vmcnt(3) lgkmcnt(1)
	v_mul_f64 v[184:185], v[196:197], v[82:83]
	v_fmac_f64_e32 v[184:185], v[198:199], v[80:81]
	v_add_f64 v[10:11], v[10:11], v[184:185]
	s_waitcnt vmcnt(2) lgkmcnt(0)
	v_mul_f64 v[184:185], v[128:129], v[86:87]
	v_fmac_f64_e32 v[184:185], v[130:131], v[84:85]
	v_add_f64 v[10:11], v[10:11], v[184:185]
	ds_read_b128 v[184:187], v2 offset:1504
	ds_read_b128 v[216:219], v2 offset:1520
	;; [unrolled: 1-line block ×3, first 2 shown]
	s_waitcnt vmcnt(1) lgkmcnt(2)
	v_mul_f64 v[204:205], v[184:185], v[90:91]
	v_fmac_f64_e32 v[204:205], v[186:187], v[88:89]
	v_add_f64 v[10:11], v[10:11], v[204:205]
	scratch_load_dwordx4 v[204:207], off, off offset:752
	s_waitcnt vmcnt(0) lgkmcnt(1)
	v_mul_f64 v[220:221], v[216:217], v[206:207]
	v_fmac_f64_e32 v[220:221], v[218:219], v[204:205]
	v_add_f64 v[10:11], v[10:11], v[220:221]
	scratch_load_dwordx4 v[220:223], off, off offset:768
	s_waitcnt vmcnt(0) lgkmcnt(0)
	v_mul_f64 v[228:229], v[224:225], v[222:223]
	v_fmac_f64_e32 v[228:229], v[226:227], v[220:221]
	v_add_f64 v[10:11], v[10:11], v[228:229]
	ds_read_b128 v[228:231], v2 offset:1552
	s_waitcnt lgkmcnt(0)
	v_mul_f64 v[2:3], v[228:229], v[234:235]
	v_fmac_f64_e32 v[2:3], v[230:231], v[232:233]
	v_add_f64 v[2:3], v[10:11], v[2:3]
	v_add_f64 v[10:11], v[240:241], 0
	;; [unrolled: 1-line block ×6, first 2 shown]
	scratch_load_dwordx4 v[236:239], off, off offset:80
	v_add_f64 v[10:11], v[10:11], v[250:251]
	v_add_f64 v[10:11], v[10:11], v[252:253]
	v_add_f64 v[10:11], v[10:11], v[254:255]
	v_add_f64 v[10:11], v[10:11], v[242:243]
	v_add_f64 v[8:9], v[10:11], v[8:9]
	v_add_f64 v[6:7], v[8:9], v[6:7]
	v_add_f64 v[4:5], v[6:7], v[4:5]
	v_add_f64 v[254:255], v[4:5], v[0:1]
	v_accvgpr_read_b32 v0, a108
	v_accvgpr_read_b32 v6, a100
	;; [unrolled: 1-line block ×7, first 2 shown]
	v_add_f64 v[0:1], v[254:255], v[0:1]
	v_accvgpr_read_b32 v7, a101
	v_accvgpr_read_b32 v241, a105
	;; [unrolled: 1-line block ×3, first 2 shown]
	v_mul_f64 v[4:5], v[242:243], v[8:9]
	v_add_f64 v[0:1], v[0:1], v[244:245]
	v_fma_f64 v[4:5], v[240:241], v[6:7], -v[4:5]
	v_add_f64 v[0:1], v[0:1], v[4:5]
	v_mul_f64 v[4:5], v[34:35], v[26:27]
	v_fma_f64 v[4:5], v[32:33], v[24:25], -v[4:5]
	v_add_f64 v[0:1], v[0:1], v[4:5]
	v_mul_f64 v[4:5], v[134:135], v[22:23]
	v_fma_f64 v[4:5], v[132:133], v[20:21], -v[4:5]
	v_add_f64 v[0:1], v[0:1], v[4:5]
	v_mul_f64 v[4:5], v[162:163], v[18:19]
	v_fma_f64 v[4:5], v[160:161], v[16:17], -v[4:5]
	v_add_f64 v[0:1], v[0:1], v[4:5]
	v_mul_f64 v[4:5], v[166:167], v[14:15]
	v_fma_f64 v[4:5], v[164:165], v[12:13], -v[4:5]
	v_add_f64 v[0:1], v[0:1], v[4:5]
	v_mul_f64 v[4:5], v[170:171], v[30:31]
	v_fma_f64 v[4:5], v[168:169], v[28:29], -v[4:5]
	v_add_f64 v[0:1], v[0:1], v[4:5]
	v_mul_f64 v[4:5], v[174:175], v[38:39]
	v_fma_f64 v[4:5], v[172:173], v[36:37], -v[4:5]
	v_add_f64 v[0:1], v[0:1], v[4:5]
	v_mul_f64 v[4:5], v[182:183], v[42:43]
	v_fma_f64 v[4:5], v[180:181], v[40:41], -v[4:5]
	v_add_f64 v[0:1], v[0:1], v[4:5]
	v_mul_f64 v[4:5], v[178:179], v[46:47]
	v_fma_f64 v[4:5], v[176:177], v[44:45], -v[4:5]
	v_add_f64 v[0:1], v[0:1], v[4:5]
	v_mul_f64 v[4:5], v[190:191], v[50:51]
	v_fma_f64 v[4:5], v[188:189], v[48:49], -v[4:5]
	v_add_f64 v[0:1], v[0:1], v[4:5]
	v_mul_f64 v[4:5], v[194:195], v[54:55]
	v_fma_f64 v[4:5], v[192:193], v[52:53], -v[4:5]
	v_add_f64 v[0:1], v[0:1], v[4:5]
	v_mul_f64 v[4:5], v[94:95], v[58:59]
	v_fma_f64 v[4:5], v[92:93], v[56:57], -v[4:5]
	v_add_f64 v[0:1], v[0:1], v[4:5]
	v_mul_f64 v[4:5], v[98:99], v[62:63]
	v_fma_f64 v[4:5], v[96:97], v[60:61], -v[4:5]
	v_add_f64 v[0:1], v[0:1], v[4:5]
	v_mul_f64 v[4:5], v[102:103], v[70:71]
	v_fma_f64 v[4:5], v[100:101], v[68:69], -v[4:5]
	v_add_f64 v[0:1], v[0:1], v[4:5]
	v_mul_f64 v[4:5], v[210:211], v[66:67]
	v_fma_f64 v[4:5], v[208:209], v[64:65], -v[4:5]
	v_add_f64 v[0:1], v[0:1], v[4:5]
	v_mul_f64 v[4:5], v[106:107], v[138:139]
	v_fma_f64 v[4:5], v[104:105], v[136:137], -v[4:5]
	v_add_f64 v[0:1], v[0:1], v[4:5]
	v_mul_f64 v[4:5], v[110:111], v[142:143]
	v_fma_f64 v[4:5], v[108:109], v[140:141], -v[4:5]
	v_add_f64 v[0:1], v[0:1], v[4:5]
	v_mul_f64 v[4:5], v[214:215], v[146:147]
	v_fma_f64 v[4:5], v[212:213], v[144:145], -v[4:5]
	v_add_f64 v[0:1], v[0:1], v[4:5]
	v_mul_f64 v[4:5], v[114:115], v[150:151]
	v_fma_f64 v[4:5], v[112:113], v[148:149], -v[4:5]
	v_add_f64 v[0:1], v[0:1], v[4:5]
	v_mul_f64 v[4:5], v[118:119], v[154:155]
	v_fma_f64 v[4:5], v[116:117], v[152:153], -v[4:5]
	v_add_f64 v[0:1], v[0:1], v[4:5]
	v_mul_f64 v[4:5], v[202:203], v[158:159]
	v_fma_f64 v[4:5], v[200:201], v[156:157], -v[4:5]
	v_add_f64 v[0:1], v[0:1], v[4:5]
	v_mul_f64 v[4:5], v[122:123], v[78:79]
	v_fma_f64 v[4:5], v[120:121], v[76:77], -v[4:5]
	v_add_f64 v[0:1], v[0:1], v[4:5]
	v_mul_f64 v[4:5], v[126:127], v[74:75]
	v_fma_f64 v[4:5], v[124:125], v[72:73], -v[4:5]
	v_add_f64 v[0:1], v[0:1], v[4:5]
	v_mul_f64 v[4:5], v[198:199], v[82:83]
	v_fma_f64 v[4:5], v[196:197], v[80:81], -v[4:5]
	v_add_f64 v[0:1], v[0:1], v[4:5]
	v_mul_f64 v[4:5], v[130:131], v[86:87]
	v_fma_f64 v[4:5], v[128:129], v[84:85], -v[4:5]
	v_add_f64 v[0:1], v[0:1], v[4:5]
	v_mul_f64 v[4:5], v[186:187], v[90:91]
	v_fma_f64 v[4:5], v[184:185], v[88:89], -v[4:5]
	v_add_f64 v[0:1], v[0:1], v[4:5]
	v_mul_f64 v[4:5], v[218:219], v[206:207]
	v_fma_f64 v[4:5], v[216:217], v[204:205], -v[4:5]
	v_add_f64 v[0:1], v[0:1], v[4:5]
	v_mul_f64 v[4:5], v[226:227], v[222:223]
	v_fma_f64 v[4:5], v[224:225], v[220:221], -v[4:5]
	v_add_f64 v[0:1], v[0:1], v[4:5]
	v_mul_f64 v[4:5], v[230:231], v[234:235]
	v_fma_f64 v[4:5], v[228:229], v[232:233], -v[4:5]
	v_add_f64 v[0:1], v[0:1], v[4:5]
	s_waitcnt vmcnt(0)
	v_add_f64 v[4:5], v[236:237], -v[0:1]
	v_accvgpr_read_b32 v0, a98
	v_add_f64 v[6:7], v[238:239], -v[2:3]
	v_cmp_lt_u32_e32 vcc, 3, v0
	scratch_store_dwordx4 off, v[4:7], off offset:80
	s_and_saveexec_b64 s[0:1], vcc
	s_cbranch_execz .LBB112_301
; %bb.300:
	scratch_load_dwordx4 v[2:5], off, s62
	v_mov_b32_e32 v6, 0
	v_mov_b32_e32 v7, v6
	;; [unrolled: 1-line block ×4, first 2 shown]
	v_accvgpr_read_b32 v0, a99
	scratch_store_dwordx4 off, v[6:9], off offset:64
	s_waitcnt vmcnt(1)
	ds_write_b128 v0, v[2:5]
.LBB112_301:
	s_or_b64 exec, exec, s[0:1]
	s_waitcnt lgkmcnt(0)
	; wave barrier
	scratch_load_dwordx4 v[80:83], off, off offset:80
	scratch_load_dwordx4 v[84:87], off, off offset:96
	;; [unrolled: 1-line block ×29, first 2 shown]
	v_mov_b32_e32 v2, 0
	ds_read_b128 v[132:135], v2 offset:848
	ds_read_b128 v[136:139], v2 offset:864
	;; [unrolled: 1-line block ×22, first 2 shown]
	s_waitcnt vmcnt(28) lgkmcnt(14)
	v_mul_f64 v[0:1], v[132:133], v[82:83]
	s_waitcnt vmcnt(27)
	v_mul_f64 v[56:57], v[136:137], v[86:87]
	v_fmac_f64_e32 v[0:1], v[134:135], v[80:81]
	s_waitcnt vmcnt(26)
	v_mul_f64 v[58:59], v[140:141], v[90:91]
	v_fmac_f64_e32 v[56:57], v[138:139], v[84:85]
	v_add_f64 v[0:1], v[0:1], 0
	s_waitcnt vmcnt(25)
	v_mul_f64 v[60:61], v[148:149], v[94:95]
	v_fmac_f64_e32 v[58:59], v[142:143], v[88:89]
	v_add_f64 v[0:1], v[0:1], v[56:57]
	;; [unrolled: 4-line block ×6, first 2 shown]
	s_waitcnt vmcnt(20) lgkmcnt(13)
	v_mul_f64 v[70:71], v[204:205], v[154:155]
	v_fmac_f64_e32 v[68:69], v[198:199], v[144:145]
	v_add_f64 v[0:1], v[0:1], v[66:67]
	s_waitcnt vmcnt(19) lgkmcnt(12)
	v_mul_f64 v[72:73], v[208:209], v[158:159]
	v_fmac_f64_e32 v[70:71], v[206:207], v[152:153]
	v_add_f64 v[0:1], v[0:1], v[68:69]
	;; [unrolled: 4-line block ×8, first 2 shown]
	v_fmac_f64_e32 v[112:113], v[244:245], v[192:193]
	v_add_f64 v[0:1], v[0:1], v[110:111]
	s_waitcnt vmcnt(12) lgkmcnt(5)
	v_mul_f64 v[60:61], v[246:247], v[202:203]
	scratch_load_dwordx4 v[56:59], off, off offset:544
	ds_read_b128 v[108:111], v2 offset:1136
	v_add_f64 v[0:1], v[0:1], v[112:113]
	v_fmac_f64_e32 v[60:61], v[248:249], v[200:201]
	v_add_f64 v[0:1], v[0:1], v[60:61]
	s_waitcnt vmcnt(12) lgkmcnt(5)
	v_mul_f64 v[64:65], v[52:53], v[6:7]
	scratch_load_dwordx4 v[60:63], off, off offset:560
	v_accvgpr_write_b32 a103, v7
	v_fmac_f64_e32 v[64:65], v[54:55], v[4:5]
	v_accvgpr_write_b32 a102, v6
	v_accvgpr_write_b32 a101, v5
	v_accvgpr_write_b32 a100, v4
	ds_read_b128 v[112:115], v2 offset:1152
	s_waitcnt vmcnt(12)
	v_mov_b64_e32 v[4:5], v[8:9]
	v_mov_b64_e32 v[6:7], v[10:11]
	s_waitcnt lgkmcnt(1)
	v_mul_f64 v[68:69], v[108:109], v[6:7]
	v_fmac_f64_e32 v[68:69], v[110:111], v[4:5]
	s_waitcnt vmcnt(11)
	v_mov_b64_e32 v[4:5], v[12:13]
	v_add_f64 v[0:1], v[0:1], v[64:65]
	v_mov_b64_e32 v[6:7], v[14:15]
	scratch_load_dwordx4 v[64:67], off, off offset:576
	v_add_f64 v[0:1], v[0:1], v[68:69]
	s_waitcnt lgkmcnt(0)
	v_mul_f64 v[68:69], v[112:113], v[6:7]
	v_fmac_f64_e32 v[68:69], v[114:115], v[4:5]
	v_add_f64 v[0:1], v[0:1], v[68:69]
	scratch_load_dwordx4 v[68:71], off, off offset:592
	s_waitcnt vmcnt(12)
	v_mul_f64 v[76:77], v[116:117], v[236:237]
	scratch_load_dwordx4 v[72:75], off, off offset:608
	v_fmac_f64_e32 v[76:77], v[118:119], v[234:235]
	v_add_f64 v[0:1], v[0:1], v[76:77]
	s_waitcnt vmcnt(12)
	v_mul_f64 v[76:77], v[120:121], v[22:23]
	v_fmac_f64_e32 v[76:77], v[122:123], v[20:21]
	v_add_f64 v[0:1], v[0:1], v[76:77]
	scratch_load_dwordx4 v[76:79], off, off offset:624
	v_mul_f64 v[82:83], v[134:135], v[82:83]
	v_fma_f64 v[240:241], v[132:133], v[80:81], -v[82:83]
	scratch_load_dwordx4 v[80:83], off, off offset:640
	v_mul_f64 v[86:87], v[138:139], v[86:87]
	v_fma_f64 v[250:251], v[136:137], v[84:85], -v[86:87]
	scratch_load_dwordx4 v[84:87], off, off offset:656
	v_mul_f64 v[90:91], v[142:143], v[90:91]
	s_waitcnt vmcnt(14)
	v_mul_f64 v[132:133], v[124:125], v[26:27]
	v_fma_f64 v[252:253], v[140:141], v[88:89], -v[90:91]
	scratch_load_dwordx4 v[88:91], off, off offset:672
	v_fmac_f64_e32 v[132:133], v[126:127], v[24:25]
	s_waitcnt vmcnt(14)
	v_mul_f64 v[136:137], v[128:129], v[30:31]
	v_mul_f64 v[94:95], v[150:151], v[94:95]
	v_add_f64 v[0:1], v[0:1], v[132:133]
	v_fmac_f64_e32 v[136:137], v[130:131], v[28:29]
	v_fma_f64 v[254:255], v[148:149], v[92:93], -v[94:95]
	v_mul_f64 v[92:93], v[162:163], v[98:99]
	ds_read_b128 v[132:135], v2 offset:1232
	v_add_f64 v[0:1], v[0:1], v[136:137]
	ds_read_b128 v[136:139], v2 offset:1248
	v_fma_f64 v[232:233], v[160:161], v[96:97], -v[92:93]
	scratch_load_dwordx4 v[96:99], off, off offset:688
	scratch_load_dwordx4 v[92:95], off, off offset:704
	v_mul_f64 v[102:103], v[174:175], v[102:103]
	v_fma_f64 v[238:239], v[172:173], v[100:101], -v[102:103]
	scratch_load_dwordx4 v[100:103], off, off offset:720
	v_mul_f64 v[106:107], v[186:187], v[106:107]
	v_fma_f64 v[16:17], v[184:185], v[104:105], -v[106:107]
	scratch_load_dwordx4 v[104:107], off, off offset:736
	s_waitcnt vmcnt(17) lgkmcnt(1)
	v_mul_f64 v[140:141], v[132:133], v[34:35]
	v_fmac_f64_e32 v[140:141], v[134:135], v[32:33]
	v_add_f64 v[0:1], v[0:1], v[140:141]
	ds_read_b128 v[140:143], v2 offset:1264
	v_accvgpr_write_b32 a111, v15
	v_mul_f64 v[6:7], v[198:199], v[146:147]
	v_accvgpr_write_b32 a110, v14
	v_accvgpr_write_b32 a109, v13
	;; [unrolled: 1-line block ×3, first 2 shown]
	v_fma_f64 v[12:13], v[196:197], v[144:145], -v[6:7]
	ds_read_b128 v[144:147], v2 offset:1280
	s_waitcnt vmcnt(16) lgkmcnt(2)
	v_mul_f64 v[148:149], v[136:137], v[38:39]
	v_fmac_f64_e32 v[148:149], v[138:139], v[36:37]
	v_add_f64 v[0:1], v[0:1], v[148:149]
	s_waitcnt vmcnt(15) lgkmcnt(1)
	v_mul_f64 v[6:7], v[140:141], v[42:43]
	ds_read_b128 v[148:151], v2 offset:1296
	v_fmac_f64_e32 v[6:7], v[142:143], v[40:41]
	v_add_f64 v[0:1], v[0:1], v[6:7]
	s_waitcnt vmcnt(14) lgkmcnt(1)
	v_mul_f64 v[6:7], v[144:145], v[46:47]
	v_fmac_f64_e32 v[6:7], v[146:147], v[44:45]
	v_accvgpr_write_b32 a107, v11
	v_add_f64 v[0:1], v[0:1], v[6:7]
	v_mul_f64 v[6:7], v[206:207], v[154:155]
	v_accvgpr_write_b32 a106, v10
	v_accvgpr_write_b32 a105, v9
	;; [unrolled: 1-line block ×3, first 2 shown]
	v_fma_f64 v[10:11], v[204:205], v[152:153], -v[6:7]
	ds_read_b128 v[152:155], v2 offset:1312
	s_waitcnt vmcnt(13) lgkmcnt(1)
	v_mul_f64 v[6:7], v[148:149], v[50:51]
	v_fmac_f64_e32 v[6:7], v[150:151], v[48:49]
	v_add_f64 v[0:1], v[0:1], v[6:7]
	v_mul_f64 v[6:7], v[210:211], v[158:159]
	v_fma_f64 v[8:9], v[208:209], v[156:157], -v[6:7]
	ds_read_b128 v[156:159], v2 offset:1328
	ds_read_b128 v[160:163], v2 offset:1344
	s_waitcnt vmcnt(12) lgkmcnt(2)
	v_mul_f64 v[6:7], v[152:153], v[58:59]
	v_fmac_f64_e32 v[6:7], v[154:155], v[56:57]
	v_add_f64 v[0:1], v[0:1], v[6:7]
	s_waitcnt vmcnt(11) lgkmcnt(1)
	v_mul_f64 v[6:7], v[156:157], v[62:63]
	v_fmac_f64_e32 v[6:7], v[158:159], v[60:61]
	v_add_f64 v[0:1], v[0:1], v[6:7]
	v_mul_f64 v[6:7], v[214:215], v[166:167]
	v_fma_f64 v[14:15], v[212:213], v[164:165], -v[6:7]
	ds_read_b128 v[164:167], v2 offset:1360
	v_mul_f64 v[170:171], v[218:219], v[170:171]
	v_fma_f64 v[4:5], v[216:217], v[168:169], -v[170:171]
	ds_read_b128 v[168:171], v2 offset:1376
	s_waitcnt vmcnt(10) lgkmcnt(2)
	v_mul_f64 v[6:7], v[160:161], v[66:67]
	v_fmac_f64_e32 v[6:7], v[162:163], v[64:65]
	v_add_f64 v[0:1], v[0:1], v[6:7]
	s_waitcnt vmcnt(9) lgkmcnt(1)
	v_mul_f64 v[6:7], v[164:165], v[70:71]
	ds_read_b128 v[172:175], v2 offset:1392
	v_fmac_f64_e32 v[6:7], v[166:167], v[68:69]
	v_add_f64 v[0:1], v[0:1], v[6:7]
	s_waitcnt vmcnt(8) lgkmcnt(1)
	v_mul_f64 v[6:7], v[168:169], v[74:75]
	v_fmac_f64_e32 v[6:7], v[170:171], v[72:73]
	v_add_f64 v[0:1], v[0:1], v[6:7]
	v_mul_f64 v[6:7], v[222:223], v[178:179]
	v_fma_f64 v[18:19], v[220:221], v[176:177], -v[6:7]
	ds_read_b128 v[176:179], v2 offset:1408
	s_waitcnt vmcnt(7) lgkmcnt(1)
	v_mul_f64 v[6:7], v[172:173], v[78:79]
	v_fmac_f64_e32 v[6:7], v[174:175], v[76:77]
	v_add_f64 v[0:1], v[0:1], v[6:7]
	v_mul_f64 v[6:7], v[226:227], v[182:183]
	v_fma_f64 v[6:7], v[224:225], v[180:181], -v[6:7]
	ds_read_b128 v[180:183], v2 offset:1424
	s_waitcnt vmcnt(6) lgkmcnt(1)
	v_mul_f64 v[184:185], v[176:177], v[82:83]
	v_fmac_f64_e32 v[184:185], v[178:179], v[80:81]
	v_add_f64 v[0:1], v[0:1], v[184:185]
	ds_read_b128 v[184:187], v2 offset:1440
	s_waitcnt vmcnt(5) lgkmcnt(1)
	v_mul_f64 v[196:197], v[180:181], v[86:87]
	v_fmac_f64_e32 v[196:197], v[182:183], v[84:85]
	v_add_f64 v[196:197], v[0:1], v[196:197]
	v_mul_f64 v[0:1], v[230:231], v[190:191]
	v_fma_f64 v[0:1], v[228:229], v[188:189], -v[0:1]
	ds_read_b128 v[188:191], v2 offset:1456
	s_waitcnt vmcnt(4) lgkmcnt(1)
	v_mul_f64 v[198:199], v[184:185], v[90:91]
	v_fmac_f64_e32 v[198:199], v[186:187], v[88:89]
	v_mul_f64 v[194:195], v[244:245], v[194:195]
	v_fma_f64 v[244:245], v[242:243], v[192:193], -v[194:195]
	ds_read_b128 v[192:195], v2 offset:1472
	v_add_f64 v[196:197], v[196:197], v[198:199]
	s_waitcnt vmcnt(3) lgkmcnt(1)
	v_mul_f64 v[198:199], v[188:189], v[98:99]
	v_fmac_f64_e32 v[198:199], v[190:191], v[96:97]
	v_add_f64 v[204:205], v[196:197], v[198:199]
	ds_read_b128 v[196:199], v2 offset:1488
	v_mul_f64 v[202:203], v[248:249], v[202:203]
	v_fma_f64 v[242:243], v[246:247], v[200:201], -v[202:203]
	ds_read_b128 v[200:203], v2 offset:1504
	s_waitcnt vmcnt(2) lgkmcnt(2)
	v_mul_f64 v[206:207], v[192:193], v[94:95]
	v_fmac_f64_e32 v[206:207], v[194:195], v[92:93]
	v_add_f64 v[204:205], v[204:205], v[206:207]
	s_waitcnt vmcnt(1) lgkmcnt(1)
	v_mul_f64 v[206:207], v[196:197], v[102:103]
	v_fmac_f64_e32 v[206:207], v[198:199], v[100:101]
	v_add_f64 v[204:205], v[204:205], v[206:207]
	;; [unrolled: 4-line block ×3, first 2 shown]
	scratch_load_dwordx4 v[204:207], off, off offset:752
	ds_read_b128 v[208:211], v2 offset:1520
	ds_read_b128 v[216:219], v2 offset:1536
	;; [unrolled: 1-line block ×3, first 2 shown]
	s_waitcnt vmcnt(0) lgkmcnt(2)
	v_mul_f64 v[214:215], v[208:209], v[206:207]
	v_fmac_f64_e32 v[214:215], v[210:211], v[204:205]
	v_add_f64 v[220:221], v[212:213], v[214:215]
	scratch_load_dwordx4 v[212:215], off, off offset:768
	s_waitcnt vmcnt(0) lgkmcnt(1)
	v_mul_f64 v[222:223], v[216:217], v[214:215]
	v_fmac_f64_e32 v[222:223], v[218:219], v[212:213]
	v_add_f64 v[228:229], v[220:221], v[222:223]
	scratch_load_dwordx4 v[220:223], off, off offset:784
	s_waitcnt vmcnt(0) lgkmcnt(0)
	v_mul_f64 v[230:231], v[224:225], v[222:223]
	v_fmac_f64_e32 v[230:231], v[226:227], v[220:221]
	v_add_f64 v[246:247], v[228:229], v[230:231]
	v_add_f64 v[228:229], v[240:241], 0
	;; [unrolled: 1-line block ×8, first 2 shown]
	scratch_load_dwordx4 v[228:231], off, off offset:64
	v_add_f64 v[12:13], v[16:17], v[12:13]
	v_add_f64 v[10:11], v[12:13], v[10:11]
	;; [unrolled: 1-line block ×7, first 2 shown]
	v_accvgpr_read_b32 v6, a100
	v_accvgpr_read_b32 v8, a102
	v_accvgpr_read_b32 v9, a103
	v_add_f64 v[0:1], v[4:5], v[0:1]
	v_accvgpr_read_b32 v7, a101
	v_mul_f64 v[4:5], v[54:55], v[8:9]
	v_add_f64 v[0:1], v[0:1], v[244:245]
	v_fma_f64 v[4:5], v[52:53], v[6:7], -v[4:5]
	v_accvgpr_read_b32 v6, a104
	v_add_f64 v[0:1], v[0:1], v[242:243]
	v_accvgpr_read_b32 v8, a106
	v_accvgpr_read_b32 v9, a107
	v_add_f64 v[0:1], v[0:1], v[4:5]
	v_accvgpr_read_b32 v7, a105
	v_mul_f64 v[4:5], v[110:111], v[8:9]
	v_fma_f64 v[4:5], v[108:109], v[6:7], -v[4:5]
	v_accvgpr_read_b32 v6, a108
	v_accvgpr_read_b32 v8, a110
	;; [unrolled: 1-line block ×3, first 2 shown]
	v_add_f64 v[0:1], v[0:1], v[4:5]
	v_accvgpr_read_b32 v7, a109
	v_mul_f64 v[4:5], v[114:115], v[8:9]
	v_fma_f64 v[4:5], v[112:113], v[6:7], -v[4:5]
	v_add_f64 v[0:1], v[0:1], v[4:5]
	v_mul_f64 v[4:5], v[118:119], v[236:237]
	v_fma_f64 v[4:5], v[116:117], v[234:235], -v[4:5]
	v_add_f64 v[0:1], v[0:1], v[4:5]
	;; [unrolled: 3-line block ×26, first 2 shown]
	s_waitcnt vmcnt(0)
	v_add_f64 v[4:5], v[228:229], -v[0:1]
	v_accvgpr_read_b32 v0, a98
	v_add_f64 v[6:7], v[230:231], -v[246:247]
	v_cmp_lt_u32_e32 vcc, 2, v0
	scratch_store_dwordx4 off, v[4:7], off offset:64
	s_and_saveexec_b64 s[0:1], vcc
	s_cbranch_execz .LBB112_303
; %bb.302:
	scratch_load_dwordx4 v[6:9], off, s63
	v_mov_b32_e32 v3, v2
	v_mov_b32_e32 v4, v2
	v_mov_b32_e32 v5, v2
	v_accvgpr_read_b32 v0, a99
	scratch_store_dwordx4 off, v[2:5], off offset:48
	s_waitcnt vmcnt(1)
	ds_write_b128 v0, v[6:9]
.LBB112_303:
	s_or_b64 exec, exec, s[0:1]
	s_waitcnt lgkmcnt(0)
	; wave barrier
	scratch_load_dwordx4 v[80:83], off, off offset:64
	scratch_load_dwordx4 v[84:87], off, off offset:80
	;; [unrolled: 1-line block ×17, first 2 shown]
	ds_read_b128 v[136:139], v2 offset:832
	ds_read_b128 v[132:135], v2 offset:848
	scratch_load_dwordx4 v[4:7], off, off offset:336
	ds_read_b128 v[236:239], v2 offset:864
	ds_read_b128 v[228:231], v2 offset:880
	;; [unrolled: 1-line block ×5, first 2 shown]
	scratch_load_dwordx4 v[8:11], off, off offset:352
	ds_read_b128 v[232:235], v2 offset:944
	ds_read_b128 v[216:219], v2 offset:960
	;; [unrolled: 1-line block ×3, first 2 shown]
	scratch_load_dwordx4 v[12:15], off, off offset:368
	ds_read_b128 v[220:223], v2 offset:992
	ds_read_b128 v[172:175], v2 offset:1008
	;; [unrolled: 1-line block ×5, first 2 shown]
	scratch_load_dwordx4 v[16:19], off, off offset:384
	ds_read_b128 v[208:211], v2 offset:1072
	ds_read_b128 v[204:207], v2 offset:1088
	;; [unrolled: 1-line block ×3, first 2 shown]
	scratch_load_dwordx4 v[24:27], off, off offset:400
	scratch_load_dwordx4 v[28:31], off, off offset:416
	;; [unrolled: 1-line block ×8, first 2 shown]
	ds_read_b128 v[116:119], v2 offset:1152
	ds_read_b128 v[120:123], v2 offset:1168
	;; [unrolled: 1-line block ×4, first 2 shown]
	s_waitcnt vmcnt(28) lgkmcnt(14)
	v_mul_f64 v[0:1], v[136:137], v[82:83]
	s_waitcnt vmcnt(27)
	v_mul_f64 v[56:57], v[132:133], v[86:87]
	v_fmac_f64_e32 v[0:1], v[138:139], v[80:81]
	s_waitcnt vmcnt(26)
	v_mul_f64 v[58:59], v[236:237], v[90:91]
	v_fmac_f64_e32 v[56:57], v[134:135], v[84:85]
	v_add_f64 v[0:1], v[0:1], 0
	s_waitcnt vmcnt(25)
	v_mul_f64 v[60:61], v[228:229], v[94:95]
	v_fmac_f64_e32 v[58:59], v[238:239], v[88:89]
	v_add_f64 v[0:1], v[0:1], v[56:57]
	;; [unrolled: 4-line block ×6, first 2 shown]
	s_waitcnt vmcnt(20) lgkmcnt(13)
	v_mul_f64 v[70:71], v[216:217], v[154:155]
	v_fmac_f64_e32 v[68:69], v[234:235], v[144:145]
	v_add_f64 v[0:1], v[0:1], v[66:67]
	s_waitcnt vmcnt(19) lgkmcnt(12)
	v_mul_f64 v[72:73], v[160:161], v[158:159]
	v_fmac_f64_e32 v[70:71], v[218:219], v[152:153]
	v_add_f64 v[0:1], v[0:1], v[68:69]
	;; [unrolled: 4-line block ×7, first 2 shown]
	v_fmac_f64_e32 v[110:111], v[198:199], v[188:189]
	v_add_f64 v[0:1], v[0:1], v[108:109]
	s_waitcnt vmcnt(13) lgkmcnt(6)
	v_mul_f64 v[112:113], v[208:209], v[194:195]
	v_add_f64 v[0:1], v[0:1], v[110:111]
	scratch_load_dwordx4 v[56:59], off, off offset:528
	scratch_load_dwordx4 v[60:63], off, off offset:544
	ds_read_b128 v[108:111], v2 offset:1120
	s_waitcnt vmcnt(14) lgkmcnt(6)
	v_mul_f64 v[114:115], v[204:205], v[202:203]
	v_fmac_f64_e32 v[112:113], v[210:211], v[192:193]
	v_add_f64 v[0:1], v[0:1], v[112:113]
	v_fmac_f64_e32 v[114:115], v[206:207], v[200:201]
	s_waitcnt vmcnt(13) lgkmcnt(5)
	v_mul_f64 v[64:65], v[20:21], v[6:7]
	v_accvgpr_write_b32 a103, v7
	v_add_f64 v[0:1], v[0:1], v[114:115]
	v_fmac_f64_e32 v[64:65], v[22:23], v[4:5]
	v_accvgpr_write_b32 a102, v6
	v_accvgpr_write_b32 a101, v5
	;; [unrolled: 1-line block ×3, first 2 shown]
	ds_read_b128 v[112:115], v2 offset:1136
	s_waitcnt vmcnt(12)
	v_mov_b64_e32 v[4:5], v[8:9]
	v_mov_b64_e32 v[6:7], v[10:11]
	s_waitcnt lgkmcnt(1)
	v_mul_f64 v[68:69], v[108:109], v[6:7]
	v_fmac_f64_e32 v[68:69], v[110:111], v[4:5]
	s_waitcnt vmcnt(11)
	v_mov_b64_e32 v[4:5], v[12:13]
	v_add_f64 v[0:1], v[0:1], v[64:65]
	v_mov_b64_e32 v[6:7], v[14:15]
	v_add_f64 v[0:1], v[0:1], v[68:69]
	s_waitcnt lgkmcnt(0)
	v_mul_f64 v[68:69], v[112:113], v[6:7]
	scratch_load_dwordx4 v[64:67], off, off offset:560
	v_fmac_f64_e32 v[68:69], v[114:115], v[4:5]
	v_add_f64 v[0:1], v[0:1], v[68:69]
	scratch_load_dwordx4 v[68:71], off, off offset:576
	scratch_load_dwordx4 v[72:75], off, off offset:592
	s_waitcnt vmcnt(13)
	v_mul_f64 v[76:77], v[116:117], v[18:19]
	v_fmac_f64_e32 v[76:77], v[118:119], v[16:17]
	v_add_f64 v[0:1], v[0:1], v[76:77]
	s_waitcnt vmcnt(12)
	v_mul_f64 v[76:77], v[120:121], v[26:27]
	v_fmac_f64_e32 v[76:77], v[122:123], v[24:25]
	v_add_f64 v[0:1], v[0:1], v[76:77]
	scratch_load_dwordx4 v[76:79], off, off offset:608
	v_mul_f64 v[82:83], v[138:139], v[82:83]
	v_fma_f64 v[240:241], v[136:137], v[80:81], -v[82:83]
	scratch_load_dwordx4 v[80:83], off, off offset:624
	v_mul_f64 v[86:87], v[134:135], v[86:87]
	v_fma_f64 v[244:245], v[132:133], v[84:85], -v[86:87]
	scratch_load_dwordx4 v[84:87], off, off offset:640
	s_waitcnt vmcnt(14)
	v_mul_f64 v[136:137], v[124:125], v[30:31]
	v_mul_f64 v[90:91], v[238:239], v[90:91]
	v_fmac_f64_e32 v[136:137], v[126:127], v[28:29]
	v_fma_f64 v[236:237], v[236:237], v[88:89], -v[90:91]
	scratch_load_dwordx4 v[88:91], off, off offset:656
	v_add_f64 v[0:1], v[0:1], v[136:137]
	s_waitcnt vmcnt(14)
	v_mul_f64 v[136:137], v[128:129], v[34:35]
	v_mul_f64 v[94:95], v[230:231], v[94:95]
	v_fmac_f64_e32 v[136:137], v[130:131], v[32:33]
	v_fma_f64 v[238:239], v[228:229], v[92:93], -v[94:95]
	v_mul_f64 v[92:93], v[226:227], v[98:99]
	ds_read_b128 v[132:135], v2 offset:1216
	v_add_f64 v[0:1], v[0:1], v[136:137]
	ds_read_b128 v[136:139], v2 offset:1232
	v_fma_f64 v[246:247], v[224:225], v[96:97], -v[92:93]
	scratch_load_dwordx4 v[96:99], off, off offset:672
	scratch_load_dwordx4 v[92:95], off, off offset:688
	v_mul_f64 v[102:103], v[150:151], v[102:103]
	v_fma_f64 v[248:249], v[148:149], v[100:101], -v[102:103]
	scratch_load_dwordx4 v[100:103], off, off offset:704
	v_mul_f64 v[106:107], v[142:143], v[106:107]
	v_fma_f64 v[250:251], v[140:141], v[104:105], -v[106:107]
	v_mul_f64 v[104:105], v[234:235], v[146:147]
	v_fma_f64 v[252:253], v[232:233], v[144:145], -v[104:105]
	scratch_load_dwordx4 v[104:107], off, off offset:720
	ds_read_b128 v[140:143], v2 offset:1248
	ds_read_b128 v[144:147], v2 offset:1264
	s_waitcnt vmcnt(17) lgkmcnt(3)
	v_mul_f64 v[228:229], v[132:133], v[38:39]
	v_fmac_f64_e32 v[228:229], v[134:135], v[36:37]
	s_waitcnt vmcnt(16) lgkmcnt(2)
	v_mul_f64 v[224:225], v[136:137], v[42:43]
	v_add_f64 v[0:1], v[0:1], v[228:229]
	v_fmac_f64_e32 v[224:225], v[138:139], v[40:41]
	s_waitcnt vmcnt(15) lgkmcnt(1)
	v_mul_f64 v[148:149], v[140:141], v[46:47]
	v_add_f64 v[0:1], v[0:1], v[224:225]
	v_fmac_f64_e32 v[148:149], v[142:143], v[44:45]
	v_add_f64 v[0:1], v[0:1], v[148:149]
	ds_read_b128 v[148:151], v2 offset:1280
	v_mul_f64 v[154:155], v[218:219], v[154:155]
	v_fma_f64 v[242:243], v[216:217], v[152:153], -v[154:155]
	ds_read_b128 v[152:155], v2 offset:1296
	v_accvgpr_write_b32 a111, v15
	v_mul_f64 v[158:159], v[162:163], v[158:159]
	v_accvgpr_write_b32 a110, v14
	v_accvgpr_write_b32 a109, v13
	;; [unrolled: 1-line block ×3, first 2 shown]
	v_fma_f64 v[12:13], v[160:161], v[156:157], -v[158:159]
	ds_read_b128 v[156:159], v2 offset:1312
	ds_read_b128 v[160:163], v2 offset:1328
	s_waitcnt vmcnt(14) lgkmcnt(4)
	v_mul_f64 v[224:225], v[144:145], v[50:51]
	v_fmac_f64_e32 v[224:225], v[146:147], v[48:49]
	s_waitcnt vmcnt(13) lgkmcnt(3)
	v_mul_f64 v[216:217], v[148:149], v[54:55]
	v_add_f64 v[0:1], v[0:1], v[224:225]
	v_fmac_f64_e32 v[216:217], v[150:151], v[52:53]
	s_waitcnt vmcnt(12) lgkmcnt(2)
	v_mul_f64 v[6:7], v[152:153], v[58:59]
	v_add_f64 v[0:1], v[0:1], v[216:217]
	v_fmac_f64_e32 v[6:7], v[154:155], v[56:57]
	v_add_f64 v[0:1], v[0:1], v[6:7]
	s_waitcnt vmcnt(11) lgkmcnt(1)
	v_mul_f64 v[6:7], v[156:157], v[62:63]
	v_fmac_f64_e32 v[6:7], v[158:159], v[60:61]
	v_accvgpr_write_b32 a107, v11
	v_add_f64 v[0:1], v[0:1], v[6:7]
	v_mul_f64 v[6:7], v[222:223], v[166:167]
	v_accvgpr_write_b32 a106, v10
	v_accvgpr_write_b32 a105, v9
	v_accvgpr_write_b32 a104, v8
	v_fma_f64 v[8:9], v[220:221], v[164:165], -v[6:7]
	ds_read_b128 v[164:167], v2 offset:1344
	v_mul_f64 v[170:171], v[174:175], v[170:171]
	v_fma_f64 v[6:7], v[172:173], v[168:169], -v[170:171]
	ds_read_b128 v[168:171], v2 offset:1360
	s_waitcnt vmcnt(10) lgkmcnt(2)
	v_mul_f64 v[216:217], v[160:161], v[66:67]
	v_fmac_f64_e32 v[216:217], v[162:163], v[64:65]
	s_waitcnt vmcnt(9) lgkmcnt(1)
	v_mul_f64 v[10:11], v[164:165], v[70:71]
	v_add_f64 v[0:1], v[0:1], v[216:217]
	v_fmac_f64_e32 v[10:11], v[166:167], v[68:69]
	v_add_f64 v[0:1], v[0:1], v[10:11]
	s_waitcnt vmcnt(8) lgkmcnt(0)
	v_mul_f64 v[10:11], v[168:169], v[74:75]
	v_fmac_f64_e32 v[10:11], v[170:171], v[72:73]
	ds_read_b128 v[172:175], v2 offset:1376
	v_add_f64 v[0:1], v[0:1], v[10:11]
	v_mul_f64 v[10:11], v[214:215], v[178:179]
	v_fma_f64 v[10:11], v[212:213], v[176:177], -v[10:11]
	ds_read_b128 v[176:179], v2 offset:1392
	v_mul_f64 v[182:183], v[186:187], v[182:183]
	v_fma_f64 v[4:5], v[184:185], v[180:181], -v[182:183]
	ds_read_b128 v[180:183], v2 offset:1408
	ds_read_b128 v[184:187], v2 offset:1424
	s_waitcnt vmcnt(7) lgkmcnt(3)
	v_mul_f64 v[212:213], v[172:173], v[78:79]
	v_fmac_f64_e32 v[212:213], v[174:175], v[76:77]
	s_waitcnt vmcnt(6) lgkmcnt(2)
	v_mul_f64 v[14:15], v[176:177], v[82:83]
	v_add_f64 v[0:1], v[0:1], v[212:213]
	v_fmac_f64_e32 v[14:15], v[178:179], v[80:81]
	v_add_f64 v[0:1], v[0:1], v[14:15]
	s_waitcnt vmcnt(5) lgkmcnt(1)
	v_mul_f64 v[14:15], v[180:181], v[86:87]
	v_fmac_f64_e32 v[14:15], v[182:183], v[84:85]
	v_add_f64 v[14:15], v[0:1], v[14:15]
	v_mul_f64 v[0:1], v[198:199], v[190:191]
	v_fma_f64 v[0:1], v[196:197], v[188:189], -v[0:1]
	ds_read_b128 v[188:191], v2 offset:1440
	v_mul_f64 v[194:195], v[210:211], v[194:195]
	s_waitcnt vmcnt(4) lgkmcnt(1)
	v_mul_f64 v[196:197], v[184:185], v[90:91]
	v_fma_f64 v[192:193], v[208:209], v[192:193], -v[194:195]
	v_fmac_f64_e32 v[196:197], v[186:187], v[88:89]
	v_accvgpr_write_b32 a112, v192
	v_accvgpr_write_b32 a113, v193
	ds_read_b128 v[192:195], v2 offset:1456
	v_add_f64 v[14:15], v[14:15], v[196:197]
	s_waitcnt vmcnt(3) lgkmcnt(1)
	v_mul_f64 v[196:197], v[188:189], v[98:99]
	v_fmac_f64_e32 v[196:197], v[190:191], v[96:97]
	v_add_f64 v[14:15], v[14:15], v[196:197]
	ds_read_b128 v[196:199], v2 offset:1472
	v_mul_f64 v[202:203], v[206:207], v[202:203]
	v_fma_f64 v[254:255], v[204:205], v[200:201], -v[202:203]
	ds_read_b128 v[200:203], v2 offset:1488
	s_waitcnt vmcnt(2) lgkmcnt(2)
	v_mul_f64 v[204:205], v[192:193], v[94:95]
	v_fmac_f64_e32 v[204:205], v[194:195], v[92:93]
	v_add_f64 v[14:15], v[14:15], v[204:205]
	s_waitcnt vmcnt(1) lgkmcnt(1)
	v_mul_f64 v[204:205], v[196:197], v[102:103]
	v_fmac_f64_e32 v[204:205], v[198:199], v[100:101]
	v_add_f64 v[14:15], v[14:15], v[204:205]
	;; [unrolled: 4-line block ×3, first 2 shown]
	scratch_load_dwordx4 v[204:207], off, off offset:736
	scratch_load_dwordx4 v[232:235], off, off offset:784
	ds_read_b128 v[208:211], v2 offset:1504
	ds_read_b128 v[216:219], v2 offset:1520
	;; [unrolled: 1-line block ×3, first 2 shown]
	s_waitcnt vmcnt(1) lgkmcnt(2)
	v_mul_f64 v[212:213], v[208:209], v[206:207]
	v_fmac_f64_e32 v[212:213], v[210:211], v[204:205]
	v_add_f64 v[14:15], v[14:15], v[212:213]
	scratch_load_dwordx4 v[212:215], off, off offset:752
	s_waitcnt vmcnt(0) lgkmcnt(1)
	v_mul_f64 v[220:221], v[216:217], v[214:215]
	v_fmac_f64_e32 v[220:221], v[218:219], v[212:213]
	v_add_f64 v[14:15], v[14:15], v[220:221]
	scratch_load_dwordx4 v[220:223], off, off offset:768
	s_waitcnt vmcnt(0) lgkmcnt(0)
	v_mul_f64 v[228:229], v[224:225], v[222:223]
	v_fmac_f64_e32 v[228:229], v[226:227], v[220:221]
	v_add_f64 v[14:15], v[14:15], v[228:229]
	ds_read_b128 v[228:231], v2 offset:1552
	s_waitcnt lgkmcnt(0)
	v_mul_f64 v[2:3], v[228:229], v[234:235]
	v_fmac_f64_e32 v[2:3], v[230:231], v[232:233]
	v_add_f64 v[2:3], v[14:15], v[2:3]
	v_add_f64 v[14:15], v[240:241], 0
	;; [unrolled: 1-line block ×5, first 2 shown]
	scratch_load_dwordx4 v[236:239], off, off offset:48
	v_add_f64 v[14:15], v[14:15], v[246:247]
	v_add_f64 v[14:15], v[14:15], v[248:249]
	;; [unrolled: 1-line block ×10, first 2 shown]
	v_accvgpr_read_b32 v6, a100
	v_add_f64 v[244:245], v[4:5], v[0:1]
	v_accvgpr_read_b32 v0, a112
	v_accvgpr_read_b32 v8, a102
	;; [unrolled: 1-line block ×5, first 2 shown]
	v_mul_f64 v[4:5], v[22:23], v[8:9]
	v_add_f64 v[0:1], v[244:245], v[0:1]
	v_fma_f64 v[4:5], v[20:21], v[6:7], -v[4:5]
	v_accvgpr_read_b32 v6, a104
	v_add_f64 v[0:1], v[0:1], v[254:255]
	v_accvgpr_read_b32 v8, a106
	v_accvgpr_read_b32 v9, a107
	v_add_f64 v[0:1], v[0:1], v[4:5]
	v_accvgpr_read_b32 v7, a105
	v_mul_f64 v[4:5], v[110:111], v[8:9]
	v_fma_f64 v[4:5], v[108:109], v[6:7], -v[4:5]
	v_accvgpr_read_b32 v6, a108
	v_accvgpr_read_b32 v8, a110
	;; [unrolled: 1-line block ×3, first 2 shown]
	v_add_f64 v[0:1], v[0:1], v[4:5]
	v_accvgpr_read_b32 v7, a109
	v_mul_f64 v[4:5], v[114:115], v[8:9]
	v_fma_f64 v[4:5], v[112:113], v[6:7], -v[4:5]
	v_add_f64 v[0:1], v[0:1], v[4:5]
	v_mul_f64 v[4:5], v[118:119], v[18:19]
	v_fma_f64 v[4:5], v[116:117], v[16:17], -v[4:5]
	v_add_f64 v[0:1], v[0:1], v[4:5]
	;; [unrolled: 3-line block ×27, first 2 shown]
	s_waitcnt vmcnt(0)
	v_add_f64 v[4:5], v[236:237], -v[0:1]
	v_accvgpr_read_b32 v0, a98
	v_add_f64 v[6:7], v[238:239], -v[2:3]
	v_cmp_lt_u32_e32 vcc, 1, v0
	scratch_store_dwordx4 off, v[4:7], off offset:48
	s_and_saveexec_b64 s[0:1], vcc
	s_cbranch_execz .LBB112_305
; %bb.304:
	scratch_load_dwordx4 v[2:5], off, s64
	v_mov_b32_e32 v6, 0
	v_mov_b32_e32 v7, v6
	;; [unrolled: 1-line block ×4, first 2 shown]
	v_accvgpr_read_b32 v0, a99
	scratch_store_dwordx4 off, v[6:9], off offset:32
	s_waitcnt vmcnt(1)
	ds_write_b128 v0, v[2:5]
.LBB112_305:
	s_or_b64 exec, exec, s[0:1]
	s_waitcnt lgkmcnt(0)
	; wave barrier
	scratch_load_dwordx4 v[68:71], off, off offset:48
	scratch_load_dwordx4 v[72:75], off, off offset:64
	scratch_load_dwordx4 v[76:79], off, off offset:80
	scratch_load_dwordx4 v[80:83], off, off offset:96
	scratch_load_dwordx4 v[84:87], off, off offset:112
	scratch_load_dwordx4 v[88:91], off, off offset:128
	scratch_load_dwordx4 v[92:95], off, off offset:144
	scratch_load_dwordx4 v[96:99], off, off offset:160
	scratch_load_dwordx4 v[112:115], off, off offset:176
	scratch_load_dwordx4 v[144:147], off, off offset:192
	scratch_load_dwordx4 v[148:151], off, off offset:208
	scratch_load_dwordx4 v[152:155], off, off offset:224
	scratch_load_dwordx4 v[160:163], off, off offset:240
	scratch_load_dwordx4 v[164:167], off, off offset:256
	scratch_load_dwordx4 v[172:175], off, off offset:272
	scratch_load_dwordx4 v[176:179], off, off offset:288
	scratch_load_dwordx4 v[184:187], off, off offset:304
	scratch_load_dwordx4 v[188:191], off, off offset:320
	scratch_load_dwordx4 v[196:199], off, off offset:336
	scratch_load_dwordx4 v[4:7], off, off offset:352
	scratch_load_dwordx4 v[8:11], off, off offset:368
	scratch_load_dwordx4 v[12:15], off, off offset:384
	scratch_load_dwordx4 v[16:19], off, off offset:400
	scratch_load_dwordx4 v[234:237], off, off offset:416
	scratch_load_dwordx4 v[24:27], off, off offset:432
	scratch_load_dwordx4 v[28:31], off, off offset:448
	scratch_load_dwordx4 v[32:35], off, off offset:464
	scratch_load_dwordx4 v[36:39], off, off offset:480
	v_mov_b32_e32 v2, 0
	ds_read_b128 v[124:127], v2 offset:816
	ds_read_b128 v[128:131], v2 offset:832
	;; [unrolled: 1-line block ×23, first 2 shown]
	s_waitcnt vmcnt(27) lgkmcnt(14)
	v_mul_f64 v[0:1], v[124:125], v[70:71]
	s_waitcnt vmcnt(26)
	v_mul_f64 v[40:41], v[128:129], v[74:75]
	v_fmac_f64_e32 v[0:1], v[126:127], v[68:69]
	s_waitcnt vmcnt(25)
	v_mul_f64 v[42:43], v[132:133], v[78:79]
	v_fmac_f64_e32 v[40:41], v[130:131], v[72:73]
	v_add_f64 v[0:1], v[0:1], 0
	s_waitcnt vmcnt(24)
	v_mul_f64 v[44:45], v[136:137], v[82:83]
	v_fmac_f64_e32 v[42:43], v[134:135], v[76:77]
	v_add_f64 v[0:1], v[0:1], v[40:41]
	s_waitcnt vmcnt(23)
	v_mul_f64 v[46:47], v[140:141], v[86:87]
	v_fmac_f64_e32 v[44:45], v[138:139], v[80:81]
	v_add_f64 v[0:1], v[0:1], v[42:43]
	s_waitcnt vmcnt(22)
	v_mul_f64 v[48:49], v[156:157], v[90:91]
	v_fmac_f64_e32 v[46:47], v[142:143], v[84:85]
	v_add_f64 v[0:1], v[0:1], v[44:45]
	s_waitcnt vmcnt(21)
	v_mul_f64 v[50:51], v[168:169], v[94:95]
	v_fmac_f64_e32 v[48:49], v[158:159], v[88:89]
	v_add_f64 v[0:1], v[0:1], v[46:47]
	s_waitcnt vmcnt(20)
	v_mul_f64 v[52:53], v[180:181], v[98:99]
	v_fmac_f64_e32 v[50:51], v[170:171], v[92:93]
	v_add_f64 v[0:1], v[0:1], v[48:49]
	s_waitcnt vmcnt(19)
	v_mul_f64 v[54:55], v[192:193], v[114:115]
	v_fmac_f64_e32 v[52:53], v[182:183], v[96:97]
	v_add_f64 v[0:1], v[0:1], v[50:51]
	s_waitcnt vmcnt(18) lgkmcnt(13)
	v_mul_f64 v[56:57], v[200:201], v[146:147]
	v_fmac_f64_e32 v[54:55], v[194:195], v[112:113]
	v_add_f64 v[0:1], v[0:1], v[52:53]
	s_waitcnt vmcnt(17) lgkmcnt(12)
	v_mul_f64 v[58:59], v[204:205], v[150:151]
	v_fmac_f64_e32 v[56:57], v[202:203], v[144:145]
	v_add_f64 v[0:1], v[0:1], v[54:55]
	;; [unrolled: 4-line block ×7, first 2 shown]
	scratch_load_dwordx4 v[40:43], off, off offset:496
	scratch_load_dwordx4 v[44:47], off, off offset:512
	s_waitcnt vmcnt(13) lgkmcnt(6)
	v_mul_f64 v[102:103], v[228:229], v[186:187]
	v_fmac_f64_e32 v[100:101], v[226:227], v[176:177]
	v_add_f64 v[0:1], v[0:1], v[66:67]
	v_add_f64 v[0:1], v[0:1], v[100:101]
	v_fmac_f64_e32 v[102:103], v[230:231], v[184:185]
	v_add_f64 v[0:1], v[0:1], v[102:103]
	ds_read_b128 v[100:103], v2 offset:1120
	s_waitcnt vmcnt(12) lgkmcnt(6)
	v_mul_f64 v[48:49], v[242:243], v[190:191]
	v_fmac_f64_e32 v[48:49], v[244:245], v[188:189]
	v_add_f64 v[0:1], v[0:1], v[48:49]
	s_waitcnt vmcnt(11) lgkmcnt(5)
	v_mul_f64 v[48:49], v[246:247], v[198:199]
	v_fmac_f64_e32 v[48:49], v[248:249], v[196:197]
	v_add_f64 v[0:1], v[0:1], v[48:49]
	scratch_load_dwordx4 v[48:51], off, off offset:528
	scratch_load_dwordx4 v[52:55], off, off offset:544
	s_waitcnt vmcnt(12) lgkmcnt(0)
	v_mul_f64 v[56:57], v[100:101], v[6:7]
	v_accvgpr_write_b32 a103, v7
	v_fmac_f64_e32 v[56:57], v[102:103], v[4:5]
	v_accvgpr_write_b32 a102, v6
	v_accvgpr_write_b32 a101, v5
	;; [unrolled: 1-line block ×3, first 2 shown]
	s_waitcnt vmcnt(11)
	v_mov_b64_e32 v[4:5], v[8:9]
	v_mov_b64_e32 v[6:7], v[10:11]
	v_add_f64 v[0:1], v[0:1], v[56:57]
	v_mul_f64 v[56:57], v[104:105], v[6:7]
	v_fmac_f64_e32 v[56:57], v[106:107], v[4:5]
	v_add_f64 v[0:1], v[0:1], v[56:57]
	scratch_load_dwordx4 v[56:59], off, off offset:560
	s_waitcnt vmcnt(11)
	v_mov_b64_e32 v[4:5], v[12:13]
	v_mov_b64_e32 v[6:7], v[14:15]
	v_mul_f64 v[60:61], v[108:109], v[6:7]
	v_fmac_f64_e32 v[60:61], v[110:111], v[4:5]
	s_waitcnt vmcnt(10)
	v_mov_b64_e32 v[4:5], v[16:17]
	v_mov_b64_e32 v[6:7], v[18:19]
	v_add_f64 v[0:1], v[0:1], v[60:61]
	scratch_load_dwordx4 v[60:63], off, off offset:576
	v_mul_f64 v[64:65], v[116:117], v[6:7]
	v_fmac_f64_e32 v[64:65], v[118:119], v[4:5]
	v_add_f64 v[0:1], v[0:1], v[64:65]
	scratch_load_dwordx4 v[64:67], off, off offset:592
	v_mul_f64 v[70:71], v[126:127], v[70:71]
	v_fma_f64 v[240:241], v[124:125], v[68:69], -v[70:71]
	s_waitcnt vmcnt(11)
	v_mul_f64 v[124:125], v[120:121], v[236:237]
	scratch_load_dwordx4 v[68:71], off, off offset:608
	v_fmac_f64_e32 v[124:125], v[122:123], v[234:235]
	v_mul_f64 v[74:75], v[130:131], v[74:75]
	v_mul_f64 v[78:79], v[134:135], v[78:79]
	v_add_f64 v[0:1], v[0:1], v[124:125]
	v_fma_f64 v[250:251], v[128:129], v[72:73], -v[74:75]
	ds_read_b128 v[124:127], v2 offset:1200
	ds_read_b128 v[128:131], v2 offset:1216
	scratch_load_dwordx4 v[72:75], off, off offset:624
	v_fma_f64 v[252:253], v[132:133], v[76:77], -v[78:79]
	v_mul_f64 v[76:77], v[138:139], v[82:83]
	v_fma_f64 v[232:233], v[136:137], v[80:81], -v[76:77]
	scratch_load_dwordx4 v[76:79], off, off offset:640
	s_waitcnt vmcnt(13) lgkmcnt(1)
	v_mul_f64 v[132:133], v[124:125], v[26:27]
	v_fmac_f64_e32 v[132:133], v[126:127], v[24:25]
	v_add_f64 v[0:1], v[0:1], v[132:133]
	s_waitcnt vmcnt(12) lgkmcnt(0)
	v_mul_f64 v[132:133], v[128:129], v[30:31]
	scratch_load_dwordx4 v[80:83], off, off offset:656
	v_fmac_f64_e32 v[132:133], v[130:131], v[28:29]
	v_mul_f64 v[86:87], v[142:143], v[86:87]
	v_add_f64 v[0:1], v[0:1], v[132:133]
	v_fma_f64 v[238:239], v[140:141], v[84:85], -v[86:87]
	ds_read_b128 v[132:135], v2 offset:1232
	v_mul_f64 v[84:85], v[158:159], v[90:91]
	v_fma_f64 v[254:255], v[156:157], v[88:89], -v[84:85]
	scratch_load_dwordx4 v[88:91], off, off offset:672
	scratch_load_dwordx4 v[84:87], off, off offset:688
	v_accvgpr_write_b32 a115, v19
	s_waitcnt vmcnt(14) lgkmcnt(0)
	v_mul_f64 v[6:7], v[132:133], v[34:35]
	v_fmac_f64_e32 v[6:7], v[134:135], v[32:33]
	v_mul_f64 v[94:95], v[170:171], v[94:95]
	v_add_f64 v[0:1], v[0:1], v[6:7]
	v_mul_f64 v[6:7], v[182:183], v[98:99]
	v_accvgpr_write_b32 a114, v18
	v_accvgpr_write_b32 a113, v17
	;; [unrolled: 1-line block ×3, first 2 shown]
	v_fma_f64 v[20:21], v[168:169], v[92:93], -v[94:95]
	ds_read_b128 v[136:139], v2 offset:1248
	v_fma_f64 v[16:17], v[180:181], v[96:97], -v[6:7]
	scratch_load_dwordx4 v[96:99], off, off offset:704
	scratch_load_dwordx4 v[92:95], off, off offset:720
	v_accvgpr_write_b32 a111, v15
	v_mul_f64 v[6:7], v[194:195], v[114:115]
	v_accvgpr_write_b32 a110, v14
	v_accvgpr_write_b32 a109, v13
	;; [unrolled: 1-line block ×3, first 2 shown]
	v_fma_f64 v[12:13], v[192:193], v[112:113], -v[6:7]
	scratch_load_dwordx4 v[112:115], off, off offset:736
	ds_read_b128 v[140:143], v2 offset:1264
	s_waitcnt vmcnt(16) lgkmcnt(1)
	v_mul_f64 v[6:7], v[136:137], v[38:39]
	v_fmac_f64_e32 v[6:7], v[138:139], v[36:37]
	v_accvgpr_write_b32 a107, v11
	v_add_f64 v[0:1], v[0:1], v[6:7]
	v_mul_f64 v[6:7], v[202:203], v[146:147]
	v_accvgpr_write_b32 a106, v10
	v_accvgpr_write_b32 a105, v9
	;; [unrolled: 1-line block ×3, first 2 shown]
	v_fma_f64 v[10:11], v[200:201], v[144:145], -v[6:7]
	ds_read_b128 v[144:147], v2 offset:1280
	s_waitcnt vmcnt(15) lgkmcnt(1)
	v_mul_f64 v[6:7], v[140:141], v[42:43]
	v_fmac_f64_e32 v[6:7], v[142:143], v[40:41]
	v_add_f64 v[0:1], v[0:1], v[6:7]
	v_mul_f64 v[6:7], v[206:207], v[150:151]
	v_fma_f64 v[14:15], v[204:205], v[148:149], -v[6:7]
	ds_read_b128 v[148:151], v2 offset:1296
	v_mul_f64 v[154:155], v[210:211], v[154:155]
	v_fma_f64 v[8:9], v[208:209], v[152:153], -v[154:155]
	ds_read_b128 v[152:155], v2 offset:1312
	s_waitcnt vmcnt(14) lgkmcnt(2)
	v_mul_f64 v[6:7], v[144:145], v[46:47]
	v_fmac_f64_e32 v[6:7], v[146:147], v[44:45]
	v_add_f64 v[0:1], v[0:1], v[6:7]
	s_waitcnt vmcnt(13) lgkmcnt(1)
	v_mul_f64 v[6:7], v[148:149], v[50:51]
	ds_read_b128 v[156:159], v2 offset:1328
	v_fmac_f64_e32 v[6:7], v[150:151], v[48:49]
	v_add_f64 v[0:1], v[0:1], v[6:7]
	s_waitcnt vmcnt(12) lgkmcnt(1)
	v_mul_f64 v[6:7], v[152:153], v[54:55]
	v_fmac_f64_e32 v[6:7], v[154:155], v[52:53]
	v_add_f64 v[0:1], v[0:1], v[6:7]
	v_mul_f64 v[6:7], v[214:215], v[162:163]
	v_fma_f64 v[18:19], v[212:213], v[160:161], -v[6:7]
	ds_read_b128 v[160:163], v2 offset:1344
	s_waitcnt vmcnt(11) lgkmcnt(1)
	v_mul_f64 v[6:7], v[156:157], v[58:59]
	v_fmac_f64_e32 v[6:7], v[158:159], v[56:57]
	v_add_f64 v[0:1], v[0:1], v[6:7]
	v_mul_f64 v[6:7], v[218:219], v[166:167]
	v_fma_f64 v[4:5], v[216:217], v[164:165], -v[6:7]
	ds_read_b128 v[164:167], v2 offset:1360
	ds_read_b128 v[168:171], v2 offset:1376
	s_waitcnt vmcnt(10) lgkmcnt(2)
	v_mul_f64 v[6:7], v[160:161], v[62:63]
	v_fmac_f64_e32 v[6:7], v[162:163], v[60:61]
	v_add_f64 v[0:1], v[0:1], v[6:7]
	s_waitcnt vmcnt(9) lgkmcnt(1)
	v_mul_f64 v[6:7], v[164:165], v[66:67]
	v_fmac_f64_e32 v[6:7], v[166:167], v[64:65]
	v_add_f64 v[0:1], v[0:1], v[6:7]
	v_mul_f64 v[6:7], v[222:223], v[174:175]
	v_fma_f64 v[22:23], v[220:221], v[172:173], -v[6:7]
	ds_read_b128 v[172:175], v2 offset:1392
	v_mul_f64 v[6:7], v[226:227], v[178:179]
	v_fma_f64 v[6:7], v[224:225], v[176:177], -v[6:7]
	ds_read_b128 v[176:179], v2 offset:1408
	s_waitcnt vmcnt(8) lgkmcnt(2)
	v_mul_f64 v[180:181], v[168:169], v[70:71]
	v_fmac_f64_e32 v[180:181], v[170:171], v[68:69]
	v_add_f64 v[0:1], v[0:1], v[180:181]
	s_waitcnt vmcnt(7) lgkmcnt(1)
	v_mul_f64 v[180:181], v[172:173], v[74:75]
	v_fmac_f64_e32 v[180:181], v[174:175], v[72:73]
	s_waitcnt vmcnt(6) lgkmcnt(0)
	v_mul_f64 v[192:193], v[176:177], v[78:79]
	v_add_f64 v[0:1], v[0:1], v[180:181]
	v_fmac_f64_e32 v[192:193], v[178:179], v[76:77]
	ds_read_b128 v[180:183], v2 offset:1424
	v_add_f64 v[192:193], v[0:1], v[192:193]
	v_mul_f64 v[0:1], v[230:231], v[186:187]
	v_fma_f64 v[0:1], v[228:229], v[184:185], -v[0:1]
	ds_read_b128 v[184:187], v2 offset:1440
	s_waitcnt vmcnt(5) lgkmcnt(1)
	v_mul_f64 v[194:195], v[180:181], v[82:83]
	v_fmac_f64_e32 v[194:195], v[182:183], v[80:81]
	v_mul_f64 v[190:191], v[244:245], v[190:191]
	v_add_f64 v[192:193], v[192:193], v[194:195]
	v_fma_f64 v[244:245], v[242:243], v[188:189], -v[190:191]
	ds_read_b128 v[188:191], v2 offset:1456
	s_waitcnt vmcnt(4) lgkmcnt(1)
	v_mul_f64 v[194:195], v[184:185], v[90:91]
	v_fmac_f64_e32 v[194:195], v[186:187], v[88:89]
	v_add_f64 v[200:201], v[192:193], v[194:195]
	ds_read_b128 v[192:195], v2 offset:1472
	v_mul_f64 v[198:199], v[248:249], v[198:199]
	v_fma_f64 v[246:247], v[246:247], v[196:197], -v[198:199]
	ds_read_b128 v[196:199], v2 offset:1488
	ds_read_b128 v[208:211], v2 offset:1520
	s_waitcnt vmcnt(3) lgkmcnt(3)
	v_mul_f64 v[202:203], v[188:189], v[86:87]
	v_fmac_f64_e32 v[202:203], v[190:191], v[84:85]
	v_add_f64 v[200:201], v[200:201], v[202:203]
	s_waitcnt vmcnt(2) lgkmcnt(2)
	v_mul_f64 v[202:203], v[192:193], v[98:99]
	v_fmac_f64_e32 v[202:203], v[194:195], v[96:97]
	v_add_f64 v[200:201], v[200:201], v[202:203]
	;; [unrolled: 4-line block ×3, first 2 shown]
	ds_read_b128 v[200:203], v2 offset:1504
	ds_read_b128 v[216:219], v2 offset:1536
	;; [unrolled: 1-line block ×3, first 2 shown]
	s_waitcnt vmcnt(0) lgkmcnt(2)
	v_mul_f64 v[206:207], v[200:201], v[114:115]
	v_fmac_f64_e32 v[206:207], v[202:203], v[112:113]
	v_add_f64 v[212:213], v[204:205], v[206:207]
	scratch_load_dwordx4 v[204:207], off, off offset:752
	s_waitcnt vmcnt(0)
	v_mul_f64 v[214:215], v[208:209], v[206:207]
	v_fmac_f64_e32 v[214:215], v[210:211], v[204:205]
	v_add_f64 v[220:221], v[212:213], v[214:215]
	scratch_load_dwordx4 v[212:215], off, off offset:768
	s_waitcnt vmcnt(0) lgkmcnt(1)
	v_mul_f64 v[222:223], v[216:217], v[214:215]
	v_fmac_f64_e32 v[222:223], v[218:219], v[212:213]
	v_add_f64 v[228:229], v[220:221], v[222:223]
	scratch_load_dwordx4 v[220:223], off, off offset:784
	s_waitcnt vmcnt(0) lgkmcnt(0)
	v_mul_f64 v[230:231], v[224:225], v[222:223]
	v_fmac_f64_e32 v[230:231], v[226:227], v[220:221]
	v_add_f64 v[248:249], v[228:229], v[230:231]
	v_add_f64 v[228:229], v[240:241], 0
	;; [unrolled: 1-line block ×8, first 2 shown]
	scratch_load_dwordx4 v[228:231], off, off offset:32
	v_add_f64 v[16:17], v[20:21], v[16:17]
	v_add_f64 v[12:13], v[16:17], v[12:13]
	;; [unrolled: 1-line block ×9, first 2 shown]
	v_accvgpr_read_b32 v6, a100
	v_accvgpr_read_b32 v8, a102
	;; [unrolled: 1-line block ×3, first 2 shown]
	v_add_f64 v[0:1], v[4:5], v[0:1]
	v_accvgpr_read_b32 v7, a101
	v_mul_f64 v[4:5], v[102:103], v[8:9]
	v_add_f64 v[0:1], v[0:1], v[244:245]
	v_fma_f64 v[4:5], v[100:101], v[6:7], -v[4:5]
	v_accvgpr_read_b32 v6, a104
	v_add_f64 v[0:1], v[0:1], v[246:247]
	v_accvgpr_read_b32 v8, a106
	v_accvgpr_read_b32 v9, a107
	v_add_f64 v[0:1], v[0:1], v[4:5]
	v_accvgpr_read_b32 v7, a105
	v_mul_f64 v[4:5], v[106:107], v[8:9]
	v_fma_f64 v[4:5], v[104:105], v[6:7], -v[4:5]
	v_accvgpr_read_b32 v6, a108
	v_accvgpr_read_b32 v8, a110
	;; [unrolled: 1-line block ×3, first 2 shown]
	v_add_f64 v[0:1], v[0:1], v[4:5]
	v_accvgpr_read_b32 v7, a109
	v_mul_f64 v[4:5], v[110:111], v[8:9]
	v_fma_f64 v[4:5], v[108:109], v[6:7], -v[4:5]
	v_accvgpr_read_b32 v6, a112
	v_accvgpr_read_b32 v8, a114
	;; [unrolled: 1-line block ×3, first 2 shown]
	v_add_f64 v[0:1], v[0:1], v[4:5]
	v_accvgpr_read_b32 v7, a113
	v_mul_f64 v[4:5], v[118:119], v[8:9]
	v_fma_f64 v[4:5], v[116:117], v[6:7], -v[4:5]
	v_add_f64 v[0:1], v[0:1], v[4:5]
	v_mul_f64 v[4:5], v[122:123], v[236:237]
	v_fma_f64 v[4:5], v[120:121], v[234:235], -v[4:5]
	v_add_f64 v[0:1], v[0:1], v[4:5]
	;; [unrolled: 3-line block ×25, first 2 shown]
	s_waitcnt vmcnt(0)
	v_add_f64 v[4:5], v[228:229], -v[0:1]
	v_accvgpr_read_b32 v0, a98
	v_add_f64 v[6:7], v[230:231], -v[248:249]
	v_cmp_ne_u32_e32 vcc, 0, v0
	scratch_store_dwordx4 off, v[4:7], off offset:32
	s_and_saveexec_b64 s[0:1], vcc
	s_cbranch_execz .LBB112_307
; %bb.306:
	scratch_load_dwordx4 v[6:9], off, off offset:16
	v_mov_b32_e32 v3, v2
	v_mov_b32_e32 v4, v2
	;; [unrolled: 1-line block ×3, first 2 shown]
	v_accvgpr_read_b32 v0, a99
	scratch_store_dwordx4 off, v[2:5], off offset:16
	s_waitcnt vmcnt(1)
	ds_write_b128 v0, v[6:9]
.LBB112_307:
	s_or_b64 exec, exec, s[0:1]
	s_waitcnt lgkmcnt(0)
	; wave barrier
	scratch_load_dwordx4 v[40:43], off, off offset:32
	scratch_load_dwordx4 v[44:47], off, off offset:48
	;; [unrolled: 1-line block ×18, first 2 shown]
	ds_read_b128 v[164:167], v2 offset:800
	ds_read_b128 v[232:235], v2 offset:816
	;; [unrolled: 1-line block ×6, first 2 shown]
	scratch_load_dwordx4 v[152:155], off, off offset:320
	ds_read_b128 v[224:227], v2 offset:896
	ds_read_b128 v[212:215], v2 offset:912
	;; [unrolled: 1-line block ×3, first 2 shown]
	scratch_load_dwordx4 v[4:7], off, off offset:336
	ds_read_b128 v[228:231], v2 offset:944
	ds_read_b128 v[216:219], v2 offset:960
	;; [unrolled: 1-line block ×5, first 2 shown]
	scratch_load_dwordx4 v[8:11], off, off offset:352
	ds_read_b128 v[204:207], v2 offset:1024
	ds_read_b128 v[196:199], v2 offset:1040
	;; [unrolled: 1-line block ×3, first 2 shown]
	scratch_load_dwordx4 v[12:15], off, off offset:368
	ds_read_b128 v[200:203], v2 offset:1072
	scratch_load_dwordx4 v[16:19], off, off offset:384
	scratch_load_dwordx4 v[20:23], off, off offset:400
	;; [unrolled: 1-line block ×7, first 2 shown]
	ds_read_b128 v[242:245], v2 offset:1088
	ds_read_b128 v[156:159], v2 offset:1152
	;; [unrolled: 1-line block ×3, first 2 shown]
	s_and_b64 vcc, exec, s[10:11]
	ds_read_b128 v[148:151], v2 offset:1136
	s_waitcnt vmcnt(28) lgkmcnt(14)
	v_mul_f64 v[0:1], v[164:165], v[42:43]
	s_waitcnt vmcnt(27)
	v_mul_f64 v[100:101], v[232:233], v[46:47]
	v_fmac_f64_e32 v[0:1], v[166:167], v[40:41]
	s_waitcnt vmcnt(26)
	v_mul_f64 v[102:103], v[168:169], v[50:51]
	v_fmac_f64_e32 v[100:101], v[234:235], v[44:45]
	v_add_f64 v[0:1], v[0:1], 0
	s_waitcnt vmcnt(25)
	v_mul_f64 v[108:109], v[220:221], v[54:55]
	v_fmac_f64_e32 v[102:103], v[170:171], v[48:49]
	v_add_f64 v[0:1], v[0:1], v[100:101]
	;; [unrolled: 4-line block ×6, first 2 shown]
	s_waitcnt vmcnt(20) lgkmcnt(13)
	v_mul_f64 v[118:119], v[180:181], v[78:79]
	v_fmac_f64_e32 v[116:117], v[214:215], v[72:73]
	v_add_f64 v[0:1], v[0:1], v[114:115]
	s_waitcnt vmcnt(19) lgkmcnt(12)
	v_mul_f64 v[120:121], v[228:229], v[82:83]
	v_fmac_f64_e32 v[118:119], v[182:183], v[76:77]
	v_add_f64 v[0:1], v[0:1], v[116:117]
	;; [unrolled: 4-line block ×9, first 2 shown]
	scratch_load_dwordx4 v[100:103], off, off offset:496
	v_add_f64 v[0:1], v[0:1], v[144:145]
	v_fmac_f64_e32 v[146:147], v[194:195], v[132:133]
	s_waitcnt vmcnt(12) lgkmcnt(4)
	v_mul_f64 v[108:109], v[200:201], v[138:139]
	ds_read_b128 v[140:143], v2 offset:1104
	v_add_f64 v[0:1], v[0:1], v[146:147]
	v_fmac_f64_e32 v[108:109], v[202:203], v[136:137]
	v_add_f64 v[0:1], v[0:1], v[108:109]
	scratch_load_dwordx4 v[108:111], off, off offset:512
	ds_read_b128 v[144:147], v2 offset:1120
	s_waitcnt vmcnt(12) lgkmcnt(5)
	v_mul_f64 v[112:113], v[242:243], v[154:155]
	v_fmac_f64_e32 v[112:113], v[244:245], v[152:153]
	s_waitcnt vmcnt(11) lgkmcnt(1)
	v_mul_f64 v[116:117], v[140:141], v[6:7]
	v_add_f64 v[0:1], v[0:1], v[112:113]
	v_fmac_f64_e32 v[116:117], v[142:143], v[4:5]
	scratch_load_dwordx4 v[112:115], off, off offset:528
	v_add_f64 v[0:1], v[0:1], v[116:117]
	s_waitcnt vmcnt(11) lgkmcnt(0)
	v_mul_f64 v[116:117], v[144:145], v[10:11]
	v_fmac_f64_e32 v[116:117], v[146:147], v[8:9]
	v_add_f64 v[0:1], v[0:1], v[116:117]
	scratch_load_dwordx4 v[116:119], off, off offset:544
	scratch_load_dwordx4 v[120:123], off, off offset:560
	s_waitcnt vmcnt(12)
	v_mul_f64 v[128:129], v[148:149], v[14:15]
	v_fmac_f64_e32 v[128:129], v[150:151], v[12:13]
	v_add_f64 v[0:1], v[0:1], v[128:129]
	s_waitcnt vmcnt(11)
	v_mul_f64 v[128:129], v[156:157], v[18:19]
	v_fmac_f64_e32 v[128:129], v[158:159], v[16:17]
	v_add_f64 v[0:1], v[0:1], v[128:129]
	scratch_load_dwordx4 v[128:131], off, off offset:576
	v_mul_f64 v[42:43], v[166:167], v[42:43]
	v_fma_f64 v[240:241], v[164:165], v[40:41], -v[42:43]
	scratch_load_dwordx4 v[40:43], off, off offset:592
	v_mul_f64 v[46:47], v[234:235], v[46:47]
	v_fma_f64 v[232:233], v[232:233], v[44:45], -v[46:47]
	;; [unrolled: 3-line block ×3, first 2 shown]
	v_mul_f64 v[48:49], v[222:223], v[54:55]
	ds_read_b128 v[164:167], v2 offset:1184
	ds_read_b128 v[168:171], v2 offset:1200
	v_fma_f64 v[246:247], v[220:221], v[52:53], -v[48:49]
	scratch_load_dwordx4 v[48:51], off, off offset:624
	v_mul_f64 v[52:53], v[178:179], v[58:59]
	v_fma_f64 v[248:249], v[176:177], v[56:57], -v[52:53]
	scratch_load_dwordx4 v[56:59], off, off offset:640
	scratch_load_dwordx4 v[52:55], off, off offset:656
	ds_read_b128 v[176:179], v2 offset:1216
	s_waitcnt vmcnt(16)
	v_mul_f64 v[236:237], v[160:161], v[22:23]
	v_fmac_f64_e32 v[236:237], v[162:163], v[20:21]
	v_add_f64 v[0:1], v[0:1], v[236:237]
	s_waitcnt vmcnt(15) lgkmcnt(2)
	v_mul_f64 v[236:237], v[164:165], v[34:35]
	v_mul_f64 v[62:63], v[174:175], v[62:63]
	v_fmac_f64_e32 v[236:237], v[166:167], v[32:33]
	s_waitcnt vmcnt(14) lgkmcnt(1)
	v_mul_f64 v[220:221], v[168:169], v[38:39]
	v_fma_f64 v[250:251], v[172:173], v[60:61], -v[62:63]
	v_mul_f64 v[60:61], v[226:227], v[66:67]
	v_add_f64 v[0:1], v[0:1], v[236:237]
	v_fmac_f64_e32 v[220:221], v[170:171], v[36:37]
	ds_read_b128 v[172:175], v2 offset:1232
	v_fma_f64 v[252:253], v[224:225], v[64:65], -v[60:61]
	s_waitcnt vmcnt(13) lgkmcnt(1)
	v_mul_f64 v[64:65], v[176:177], v[30:31]
	v_add_f64 v[0:1], v[0:1], v[220:221]
	scratch_load_dwordx4 v[60:63], off, off offset:672
	v_fmac_f64_e32 v[64:65], v[178:179], v[28:29]
	v_add_f64 v[0:1], v[0:1], v[64:65]
	v_mul_f64 v[64:65], v[214:215], v[74:75]
	v_accvgpr_write_b32 a125, v23
	v_fma_f64 v[254:255], v[212:213], v[72:73], -v[64:65]
	scratch_load_dwordx4 v[64:67], off, off offset:688
	v_mul_f64 v[72:73], v[182:183], v[78:79]
	v_accvgpr_write_b32 a124, v22
	v_accvgpr_write_b32 a123, v21
	;; [unrolled: 1-line block ×3, first 2 shown]
	v_fma_f64 v[20:21], v[180:181], v[76:77], -v[72:73]
	ds_read_b128 v[180:183], v2 offset:1248
	scratch_load_dwordx4 v[72:75], off, off offset:704
	scratch_load_dwordx4 v[76:79], off, off offset:720
	v_accvgpr_write_b32 a109, v7
	v_accvgpr_write_b32 a108, v6
	;; [unrolled: 1-line block ×5, first 2 shown]
	s_waitcnt vmcnt(16) lgkmcnt(1)
	v_mul_f64 v[220:221], v[172:173], v[26:27]
	v_mul_f64 v[6:7], v[230:231], v[82:83]
	;; [unrolled: 1-line block ×3, first 2 shown]
	v_accvgpr_write_b32 a120, v18
	v_accvgpr_write_b32 a119, v17
	;; [unrolled: 1-line block ×3, first 2 shown]
	v_fmac_f64_e32 v[220:221], v[174:175], v[24:25]
	v_fma_f64 v[16:17], v[228:229], v[80:81], -v[6:7]
	ds_read_b128 v[80:83], v2 offset:1264
	s_waitcnt vmcnt(15) lgkmcnt(1)
	v_mul_f64 v[212:213], v[180:181], v[70:71]
	v_fma_f64 v[6:7], v[204:205], v[104:105], -v[106:107]
	scratch_load_dwordx4 v[204:207], off, off offset:736
	v_add_f64 v[0:1], v[0:1], v[220:221]
	v_fmac_f64_e32 v[212:213], v[182:183], v[68:69]
	v_add_f64 v[0:1], v[0:1], v[212:213]
	scratch_load_dwordx4 v[212:215], off, off offset:752
	scratch_load_dwordx4 v[220:223], off, off offset:768
	;; [unrolled: 1-line block ×3, first 2 shown]
	v_accvgpr_write_b32 a117, v15
	v_mul_f64 v[86:87], v[218:219], v[86:87]
	v_accvgpr_write_b32 a116, v14
	v_accvgpr_write_b32 a115, v13
	;; [unrolled: 1-line block ×3, first 2 shown]
	v_fma_f64 v[12:13], v[216:217], v[84:85], -v[86:87]
	ds_read_b128 v[84:87], v2 offset:1280
	v_accvgpr_write_b32 a113, v11
	v_accvgpr_write_b32 a112, v10
	;; [unrolled: 1-line block ×4, first 2 shown]
	s_waitcnt vmcnt(18) lgkmcnt(1)
	v_mul_f64 v[10:11], v[80:81], v[102:103]
	v_fmac_f64_e32 v[10:11], v[82:83], v[100:101]
	v_add_f64 v[0:1], v[0:1], v[10:11]
	v_mul_f64 v[10:11], v[186:187], v[90:91]
	v_fma_f64 v[10:11], v[184:185], v[88:89], -v[10:11]
	ds_read_b128 v[88:91], v2 offset:1296
	s_waitcnt vmcnt(17) lgkmcnt(1)
	v_mul_f64 v[184:185], v[84:85], v[110:111]
	v_fmac_f64_e32 v[184:185], v[86:87], v[108:109]
	v_add_f64 v[0:1], v[0:1], v[184:185]
	ds_read_b128 v[184:187], v2 offset:1312
	v_mul_f64 v[94:95], v[210:211], v[94:95]
	v_fma_f64 v[8:9], v[208:209], v[92:93], -v[94:95]
	s_waitcnt vmcnt(16) lgkmcnt(1)
	v_mul_f64 v[14:15], v[88:89], v[114:115]
	ds_read_b128 v[92:95], v2 offset:1328
	v_fmac_f64_e32 v[14:15], v[90:91], v[112:113]
	v_add_f64 v[0:1], v[0:1], v[14:15]
	s_waitcnt vmcnt(15) lgkmcnt(1)
	v_mul_f64 v[14:15], v[184:185], v[118:119]
	v_fmac_f64_e32 v[14:15], v[186:187], v[116:117]
	v_add_f64 v[0:1], v[0:1], v[14:15]
	v_mul_f64 v[14:15], v[190:191], v[98:99]
	v_fma_f64 v[14:15], v[188:189], v[96:97], -v[14:15]
	s_waitcnt vmcnt(14) lgkmcnt(0)
	v_mul_f64 v[188:189], v[92:93], v[122:123]
	ds_read_b128 v[96:99], v2 offset:1344
	v_fmac_f64_e32 v[188:189], v[94:95], v[120:121]
	v_add_f64 v[0:1], v[0:1], v[188:189]
	ds_read_b128 v[188:191], v2 offset:1360
	ds_read_b128 v[104:107], v2 offset:1376
	s_waitcnt vmcnt(13) lgkmcnt(2)
	v_mul_f64 v[208:209], v[96:97], v[130:131]
	v_fmac_f64_e32 v[208:209], v[98:99], v[128:129]
	v_add_f64 v[0:1], v[0:1], v[208:209]
	s_waitcnt vmcnt(12) lgkmcnt(1)
	v_mul_f64 v[18:19], v[188:189], v[42:43]
	v_fmac_f64_e32 v[18:19], v[190:191], v[40:41]
	v_add_f64 v[0:1], v[0:1], v[18:19]
	v_mul_f64 v[18:19], v[198:199], v[126:127]
	v_fma_f64 v[18:19], v[196:197], v[124:125], -v[18:19]
	ds_read_b128 v[124:127], v2 offset:1392
	s_waitcnt vmcnt(11) lgkmcnt(1)
	v_mul_f64 v[196:197], v[104:105], v[46:47]
	v_fmac_f64_e32 v[196:197], v[106:107], v[44:45]
	v_add_f64 v[0:1], v[0:1], v[196:197]
	ds_read_b128 v[196:199], v2 offset:1408
	v_mul_f64 v[134:135], v[194:195], v[134:135]
	v_fma_f64 v[4:5], v[192:193], v[132:133], -v[134:135]
	ds_read_b128 v[132:135], v2 offset:1424
	s_waitcnt vmcnt(10) lgkmcnt(2)
	v_mul_f64 v[22:23], v[124:125], v[50:51]
	v_fmac_f64_e32 v[22:23], v[126:127], v[48:49]
	v_add_f64 v[0:1], v[0:1], v[22:23]
	s_waitcnt vmcnt(9) lgkmcnt(1)
	v_mul_f64 v[22:23], v[196:197], v[58:59]
	v_fmac_f64_e32 v[22:23], v[198:199], v[56:57]
	ds_read_b128 v[192:195], v2 offset:1440
	v_add_f64 v[0:1], v[0:1], v[22:23]
	s_waitcnt vmcnt(8) lgkmcnt(1)
	v_mul_f64 v[22:23], v[132:133], v[54:55]
	v_mul_f64 v[138:139], v[202:203], v[138:139]
	v_fmac_f64_e32 v[22:23], v[134:135], v[52:53]
	v_fma_f64 v[238:239], v[200:201], v[136:137], -v[138:139]
	ds_read_b128 v[136:139], v2 offset:1456
	v_add_f64 v[0:1], v[0:1], v[22:23]
	v_mul_f64 v[22:23], v[244:245], v[154:155]
	v_fma_f64 v[242:243], v[242:243], v[152:153], -v[22:23]
	ds_read_b128 v[152:155], v2 offset:1472
	ds_read_b128 v[200:203], v2 offset:1488
	s_waitcnt vmcnt(7) lgkmcnt(3)
	v_mul_f64 v[22:23], v[192:193], v[62:63]
	v_fmac_f64_e32 v[22:23], v[194:195], v[60:61]
	v_add_f64 v[0:1], v[0:1], v[22:23]
	s_waitcnt vmcnt(6) lgkmcnt(2)
	v_mul_f64 v[22:23], v[136:137], v[66:67]
	v_fmac_f64_e32 v[22:23], v[138:139], v[64:65]
	ds_read_b128 v[208:211], v2 offset:1504
	ds_read_b128 v[216:219], v2 offset:1520
	v_add_f64 v[0:1], v[0:1], v[22:23]
	s_waitcnt vmcnt(5) lgkmcnt(3)
	v_mul_f64 v[22:23], v[152:153], v[74:75]
	v_fmac_f64_e32 v[22:23], v[154:155], v[72:73]
	v_add_f64 v[0:1], v[0:1], v[22:23]
	s_waitcnt vmcnt(4) lgkmcnt(2)
	v_mul_f64 v[22:23], v[200:201], v[78:79]
	v_fmac_f64_e32 v[22:23], v[202:203], v[76:77]
	ds_read_b128 v[224:227], v2 offset:1536
	v_add_f64 v[0:1], v[0:1], v[22:23]
	s_waitcnt vmcnt(3) lgkmcnt(2)
	v_mul_f64 v[22:23], v[208:209], v[206:207]
	v_fmac_f64_e32 v[22:23], v[210:211], v[204:205]
	v_add_f64 v[0:1], v[0:1], v[22:23]
	s_waitcnt vmcnt(2) lgkmcnt(1)
	v_mul_f64 v[22:23], v[216:217], v[214:215]
	v_fmac_f64_e32 v[22:23], v[218:219], v[212:213]
	;; [unrolled: 4-line block ×3, first 2 shown]
	v_add_f64 v[22:23], v[0:1], v[22:23]
	ds_read_b128 v[0:3], v2 offset:1552
	s_waitcnt vmcnt(0) lgkmcnt(0)
	v_mul_f64 v[236:237], v[0:1], v[230:231]
	v_fmac_f64_e32 v[236:237], v[2:3], v[228:229]
	v_add_f64 v[236:237], v[22:23], v[236:237]
	v_add_f64 v[22:23], v[240:241], 0
	;; [unrolled: 1-line block ×4, first 2 shown]
	scratch_load_dwordx4 v[232:235], off, off offset:16
	v_add_f64 v[22:23], v[22:23], v[246:247]
	v_add_f64 v[22:23], v[22:23], v[248:249]
	;; [unrolled: 1-line block ×12, first 2 shown]
	v_accvgpr_read_b32 v8, a106
	v_add_f64 v[6:7], v[6:7], v[18:19]
	v_accvgpr_read_b32 v10, a108
	v_accvgpr_read_b32 v11, a109
	v_add_f64 v[244:245], v[6:7], v[4:5]
	v_accvgpr_read_b32 v9, a107
	v_mul_f64 v[6:7], v[142:143], v[10:11]
	v_add_f64 v[4:5], v[244:245], v[238:239]
	v_fma_f64 v[6:7], v[140:141], v[8:9], -v[6:7]
	v_accvgpr_read_b32 v8, a110
	v_add_f64 v[4:5], v[4:5], v[242:243]
	v_accvgpr_read_b32 v10, a112
	v_accvgpr_read_b32 v11, a113
	v_add_f64 v[4:5], v[4:5], v[6:7]
	v_accvgpr_read_b32 v9, a111
	v_mul_f64 v[6:7], v[146:147], v[10:11]
	v_fma_f64 v[6:7], v[144:145], v[8:9], -v[6:7]
	v_accvgpr_read_b32 v8, a114
	v_accvgpr_read_b32 v10, a116
	v_accvgpr_read_b32 v11, a117
	v_add_f64 v[4:5], v[4:5], v[6:7]
	v_accvgpr_read_b32 v9, a115
	v_mul_f64 v[6:7], v[150:151], v[10:11]
	v_fma_f64 v[6:7], v[148:149], v[8:9], -v[6:7]
	v_accvgpr_read_b32 v8, a118
	;; [unrolled: 7-line block ×3, first 2 shown]
	v_accvgpr_read_b32 v10, a124
	v_accvgpr_read_b32 v11, a125
	v_add_f64 v[4:5], v[4:5], v[6:7]
	v_accvgpr_read_b32 v9, a123
	v_mul_f64 v[6:7], v[162:163], v[10:11]
	v_fma_f64 v[6:7], v[160:161], v[8:9], -v[6:7]
	v_add_f64 v[4:5], v[4:5], v[6:7]
	v_mul_f64 v[6:7], v[166:167], v[34:35]
	v_fma_f64 v[6:7], v[164:165], v[32:33], -v[6:7]
	v_add_f64 v[4:5], v[4:5], v[6:7]
	;; [unrolled: 3-line block ×23, first 2 shown]
	v_mul_f64 v[6:7], v[226:227], v[222:223]
	v_fma_f64 v[6:7], v[224:225], v[220:221], -v[6:7]
	v_mul_f64 v[2:3], v[2:3], v[230:231]
	v_add_f64 v[4:5], v[4:5], v[6:7]
	v_fma_f64 v[0:1], v[0:1], v[228:229], -v[2:3]
	v_add_f64 v[0:1], v[4:5], v[0:1]
	s_waitcnt vmcnt(0)
	v_add_f64 v[0:1], v[232:233], -v[0:1]
	v_add_f64 v[2:3], v[234:235], -v[236:237]
	scratch_store_dwordx4 off, v[0:3], off offset:16
	s_cbranch_vccz .LBB112_404
; %bb.308:
	s_nop 0
	v_mov_b32_e32 v0, 0
	global_load_dword v1, v0, s[8:9] offset:188
	s_waitcnt vmcnt(0)
	v_readfirstlane_b32 s0, v1
	s_add_i32 s0, s0, -1
	s_cmp_lg_u32 s0, 47
	s_cbranch_scc0 .LBB112_310
; %bb.309:
	s_lshl_b32 s0, s0, 4
	s_add_i32 s0, s0, 16
	scratch_load_dwordx4 v[2:5], off, s0
	scratch_load_dwordx4 v[6:9], off, s17
	s_waitcnt vmcnt(1)
	scratch_store_dwordx4 off, v[2:5], s17
	s_waitcnt vmcnt(1)
	scratch_store_dwordx4 off, v[6:9], s0
.LBB112_310:
	global_load_dword v0, v0, s[8:9] offset:184
	s_waitcnt vmcnt(0)
	v_readfirstlane_b32 s0, v0
	s_add_i32 s0, s0, -1
	s_cmp_eq_u32 s0, 46
	s_cbranch_scc1 .LBB112_312
; %bb.311:
	s_lshl_b32 s0, s0, 4
	s_add_i32 s0, s0, 16
	scratch_load_dwordx4 v[0:3], off, s0
	scratch_load_dwordx4 v[4:7], off, s18
	s_waitcnt vmcnt(1)
	scratch_store_dwordx4 off, v[0:3], s18
	s_waitcnt vmcnt(1)
	scratch_store_dwordx4 off, v[4:7], s0
.LBB112_312:
	v_mov_b32_e32 v0, 0
	global_load_dword v1, v0, s[8:9] offset:180
	s_waitcnt vmcnt(0)
	v_readfirstlane_b32 s0, v1
	s_add_i32 s0, s0, -1
	s_cmp_eq_u32 s0, 45
	s_cbranch_scc1 .LBB112_314
; %bb.313:
	s_lshl_b32 s0, s0, 4
	s_add_i32 s0, s0, 16
	scratch_load_dwordx4 v[2:5], off, s0
	scratch_load_dwordx4 v[6:9], off, s19
	s_waitcnt vmcnt(1)
	scratch_store_dwordx4 off, v[2:5], s19
	s_waitcnt vmcnt(1)
	scratch_store_dwordx4 off, v[6:9], s0
.LBB112_314:
	global_load_dword v0, v0, s[8:9] offset:176
	s_waitcnt vmcnt(0)
	v_readfirstlane_b32 s0, v0
	s_add_i32 s0, s0, -1
	s_cmp_eq_u32 s0, 44
	s_cbranch_scc1 .LBB112_316
; %bb.315:
	s_lshl_b32 s0, s0, 4
	s_add_i32 s0, s0, 16
	scratch_load_dwordx4 v[0:3], off, s0
	scratch_load_dwordx4 v[4:7], off, s20
	s_waitcnt vmcnt(1)
	scratch_store_dwordx4 off, v[0:3], s20
	s_waitcnt vmcnt(1)
	scratch_store_dwordx4 off, v[4:7], s0
.LBB112_316:
	v_mov_b32_e32 v0, 0
	global_load_dword v1, v0, s[8:9] offset:172
	s_waitcnt vmcnt(0)
	v_readfirstlane_b32 s0, v1
	s_add_i32 s0, s0, -1
	s_cmp_eq_u32 s0, 43
	s_cbranch_scc1 .LBB112_318
; %bb.317:
	s_lshl_b32 s0, s0, 4
	s_add_i32 s0, s0, 16
	scratch_load_dwordx4 v[2:5], off, s0
	scratch_load_dwordx4 v[6:9], off, s21
	s_waitcnt vmcnt(1)
	scratch_store_dwordx4 off, v[2:5], s21
	s_waitcnt vmcnt(1)
	scratch_store_dwordx4 off, v[6:9], s0
.LBB112_318:
	;; [unrolled: 33-line block ×23, first 2 shown]
	global_load_dword v0, v0, s[8:9]
	s_waitcnt vmcnt(0)
	v_readfirstlane_b32 s0, v0
	s_add_i32 s0, s0, -1
	s_cmp_eq_u32 s0, 0
	s_cbranch_scc1 .LBB112_404
; %bb.403:
	s_lshl_b32 s0, s0, 4
	s_add_i32 s0, s0, 16
	scratch_load_dwordx4 v[0:3], off, s0
	scratch_load_dwordx4 v[4:7], off, off offset:16
	s_waitcnt vmcnt(1)
	scratch_store_dwordx4 off, v[0:3], off offset:16
	s_waitcnt vmcnt(1)
	scratch_store_dwordx4 off, v[4:7], s0
.LBB112_404:
	scratch_load_dwordx4 v[0:3], off, off offset:16
	s_nop 0
	v_accvgpr_read_b32 v5, a1
	v_accvgpr_read_b32 v4, a0
	s_waitcnt vmcnt(0)
	flat_store_dwordx4 v[4:5], v[0:3]
	scratch_load_dwordx4 v[0:3], off, s64
	v_accvgpr_read_b32 v5, a3
	v_accvgpr_read_b32 v4, a2
	s_waitcnt vmcnt(0)
	flat_store_dwordx4 v[4:5], v[0:3]
	scratch_load_dwordx4 v[0:3], off, s63
	;; [unrolled: 5-line block ×48, first 2 shown]
	v_accvgpr_read_b32 v4, a96
	v_accvgpr_read_b32 v5, a97
	s_waitcnt vmcnt(0)
	flat_store_dwordx4 v[4:5], v[0:3]
	s_endpgm
	.section	.rodata,"a",@progbits
	.p2align	6, 0x0
	.amdhsa_kernel _ZN9rocsolver6v33100L18getri_kernel_smallILi49E19rocblas_complex_numIdEPKPS3_EEvT1_iilPiilS8_bb
		.amdhsa_group_segment_fixed_size 1576
		.amdhsa_private_segment_fixed_size 816
		.amdhsa_kernarg_size 60
		.amdhsa_user_sgpr_count 2
		.amdhsa_user_sgpr_dispatch_ptr 0
		.amdhsa_user_sgpr_queue_ptr 0
		.amdhsa_user_sgpr_kernarg_segment_ptr 1
		.amdhsa_user_sgpr_dispatch_id 0
		.amdhsa_user_sgpr_kernarg_preload_length 0
		.amdhsa_user_sgpr_kernarg_preload_offset 0
		.amdhsa_user_sgpr_private_segment_size 0
		.amdhsa_uses_dynamic_stack 0
		.amdhsa_enable_private_segment 1
		.amdhsa_system_sgpr_workgroup_id_x 1
		.amdhsa_system_sgpr_workgroup_id_y 0
		.amdhsa_system_sgpr_workgroup_id_z 0
		.amdhsa_system_sgpr_workgroup_info 0
		.amdhsa_system_vgpr_workitem_id 0
		.amdhsa_next_free_vgpr 382
		.amdhsa_next_free_sgpr 83
		.amdhsa_accum_offset 256
		.amdhsa_reserve_vcc 1
		.amdhsa_float_round_mode_32 0
		.amdhsa_float_round_mode_16_64 0
		.amdhsa_float_denorm_mode_32 3
		.amdhsa_float_denorm_mode_16_64 3
		.amdhsa_dx10_clamp 1
		.amdhsa_ieee_mode 1
		.amdhsa_fp16_overflow 0
		.amdhsa_tg_split 0
		.amdhsa_exception_fp_ieee_invalid_op 0
		.amdhsa_exception_fp_denorm_src 0
		.amdhsa_exception_fp_ieee_div_zero 0
		.amdhsa_exception_fp_ieee_overflow 0
		.amdhsa_exception_fp_ieee_underflow 0
		.amdhsa_exception_fp_ieee_inexact 0
		.amdhsa_exception_int_div_zero 0
	.end_amdhsa_kernel
	.section	.text._ZN9rocsolver6v33100L18getri_kernel_smallILi49E19rocblas_complex_numIdEPKPS3_EEvT1_iilPiilS8_bb,"axG",@progbits,_ZN9rocsolver6v33100L18getri_kernel_smallILi49E19rocblas_complex_numIdEPKPS3_EEvT1_iilPiilS8_bb,comdat
.Lfunc_end112:
	.size	_ZN9rocsolver6v33100L18getri_kernel_smallILi49E19rocblas_complex_numIdEPKPS3_EEvT1_iilPiilS8_bb, .Lfunc_end112-_ZN9rocsolver6v33100L18getri_kernel_smallILi49E19rocblas_complex_numIdEPKPS3_EEvT1_iilPiilS8_bb
                                        ; -- End function
	.set _ZN9rocsolver6v33100L18getri_kernel_smallILi49E19rocblas_complex_numIdEPKPS3_EEvT1_iilPiilS8_bb.num_vgpr, 256
	.set _ZN9rocsolver6v33100L18getri_kernel_smallILi49E19rocblas_complex_numIdEPKPS3_EEvT1_iilPiilS8_bb.num_agpr, 126
	.set _ZN9rocsolver6v33100L18getri_kernel_smallILi49E19rocblas_complex_numIdEPKPS3_EEvT1_iilPiilS8_bb.numbered_sgpr, 83
	.set _ZN9rocsolver6v33100L18getri_kernel_smallILi49E19rocblas_complex_numIdEPKPS3_EEvT1_iilPiilS8_bb.num_named_barrier, 0
	.set _ZN9rocsolver6v33100L18getri_kernel_smallILi49E19rocblas_complex_numIdEPKPS3_EEvT1_iilPiilS8_bb.private_seg_size, 816
	.set _ZN9rocsolver6v33100L18getri_kernel_smallILi49E19rocblas_complex_numIdEPKPS3_EEvT1_iilPiilS8_bb.uses_vcc, 1
	.set _ZN9rocsolver6v33100L18getri_kernel_smallILi49E19rocblas_complex_numIdEPKPS3_EEvT1_iilPiilS8_bb.uses_flat_scratch, 0
	.set _ZN9rocsolver6v33100L18getri_kernel_smallILi49E19rocblas_complex_numIdEPKPS3_EEvT1_iilPiilS8_bb.has_dyn_sized_stack, 0
	.set _ZN9rocsolver6v33100L18getri_kernel_smallILi49E19rocblas_complex_numIdEPKPS3_EEvT1_iilPiilS8_bb.has_recursion, 0
	.set _ZN9rocsolver6v33100L18getri_kernel_smallILi49E19rocblas_complex_numIdEPKPS3_EEvT1_iilPiilS8_bb.has_indirect_call, 0
	.section	.AMDGPU.csdata,"",@progbits
; Kernel info:
; codeLenInByte = 102032
; TotalNumSgprs: 89
; NumVgprs: 256
; NumAgprs: 126
; TotalNumVgprs: 382
; ScratchSize: 816
; MemoryBound: 0
; FloatMode: 240
; IeeeMode: 1
; LDSByteSize: 1576 bytes/workgroup (compile time only)
; SGPRBlocks: 11
; VGPRBlocks: 47
; NumSGPRsForWavesPerEU: 89
; NumVGPRsForWavesPerEU: 382
; AccumOffset: 256
; Occupancy: 1
; WaveLimiterHint : 1
; COMPUTE_PGM_RSRC2:SCRATCH_EN: 1
; COMPUTE_PGM_RSRC2:USER_SGPR: 2
; COMPUTE_PGM_RSRC2:TRAP_HANDLER: 0
; COMPUTE_PGM_RSRC2:TGID_X_EN: 1
; COMPUTE_PGM_RSRC2:TGID_Y_EN: 0
; COMPUTE_PGM_RSRC2:TGID_Z_EN: 0
; COMPUTE_PGM_RSRC2:TIDIG_COMP_CNT: 0
; COMPUTE_PGM_RSRC3_GFX90A:ACCUM_OFFSET: 63
; COMPUTE_PGM_RSRC3_GFX90A:TG_SPLIT: 0
	.section	.text._ZN9rocsolver6v33100L18getri_kernel_smallILi50E19rocblas_complex_numIdEPKPS3_EEvT1_iilPiilS8_bb,"axG",@progbits,_ZN9rocsolver6v33100L18getri_kernel_smallILi50E19rocblas_complex_numIdEPKPS3_EEvT1_iilPiilS8_bb,comdat
	.globl	_ZN9rocsolver6v33100L18getri_kernel_smallILi50E19rocblas_complex_numIdEPKPS3_EEvT1_iilPiilS8_bb ; -- Begin function _ZN9rocsolver6v33100L18getri_kernel_smallILi50E19rocblas_complex_numIdEPKPS3_EEvT1_iilPiilS8_bb
	.p2align	8
	.type	_ZN9rocsolver6v33100L18getri_kernel_smallILi50E19rocblas_complex_numIdEPKPS3_EEvT1_iilPiilS8_bb,@function
_ZN9rocsolver6v33100L18getri_kernel_smallILi50E19rocblas_complex_numIdEPKPS3_EEvT1_iilPiilS8_bb: ; @_ZN9rocsolver6v33100L18getri_kernel_smallILi50E19rocblas_complex_numIdEPKPS3_EEvT1_iilPiilS8_bb
; %bb.0:
	v_mov_b32_e32 v240, v0
	v_cmp_gt_u32_e32 vcc, 50, v240
	s_and_saveexec_b64 s[4:5], vcc
	s_cbranch_execz .LBB113_214
; %bb.1:
	s_load_dword s14, s[0:1], 0x38
	s_load_dwordx2 s[8:9], s[0:1], 0x0
	s_load_dwordx4 s[4:7], s[0:1], 0x28
	s_waitcnt lgkmcnt(0)
	s_bitcmp1_b32 s14, 8
	s_cselect_b64 s[10:11], -1, 0
	s_ashr_i32 s3, s2, 31
	s_lshl_b64 s[12:13], s[2:3], 3
	s_add_u32 s8, s8, s12
	s_addc_u32 s9, s9, s13
	s_load_dwordx2 s[12:13], s[8:9], 0x0
	s_bfe_u32 s8, s14, 0x10008
	s_cmp_eq_u32 s8, 0
                                        ; implicit-def: $sgpr8_sgpr9
	s_cbranch_scc1 .LBB113_3
; %bb.2:
	s_load_dword s8, s[0:1], 0x20
	s_load_dwordx2 s[14:15], s[0:1], 0x18
	s_mul_i32 s9, s4, s3
	s_mul_hi_u32 s16, s4, s2
	s_add_i32 s16, s16, s9
	s_mul_i32 s5, s5, s2
	s_add_i32 s5, s16, s5
	s_mul_i32 s4, s4, s2
	s_waitcnt lgkmcnt(0)
	s_ashr_i32 s9, s8, 31
	s_lshl_b64 s[4:5], s[4:5], 2
	s_add_u32 s14, s14, s4
	s_addc_u32 s15, s15, s5
	s_lshl_b64 s[4:5], s[8:9], 2
	s_add_u32 s8, s14, s4
	s_addc_u32 s9, s15, s5
.LBB113_3:
	s_load_dwordx2 s[4:5], s[0:1], 0x8
	s_load_dword s14, s[0:1], 0x38
	v_lshlrev_b32_e32 v14, 4, v240
	v_mov_b32_e32 v15, 0
	s_movk_i32 s15, 0x80
	s_waitcnt lgkmcnt(0)
	s_ashr_i32 s1, s4, 31
	s_mov_b32 s0, s4
	s_lshl_b64 s[0:1], s[0:1], 4
	s_add_u32 s0, s12, s0
	s_addc_u32 s1, s13, s1
	v_lshl_add_u64 v[0:1], s[0:1], 0, v[14:15]
	flat_load_dwordx4 v[2:5], v[0:1]
	s_mov_b32 s12, s5
	s_ashr_i32 s13, s5, 31
	v_accvgpr_write_b32 a0, v0
	v_accvgpr_write_b32 a1, v1
	v_lshl_add_u64 v[0:1], s[12:13], 4, v[0:1]
	s_add_i32 s4, s5, s5
	v_add_u32_e32 v6, s4, v240
	v_accvgpr_write_b32 a3, v1
	v_ashrrev_i32_e32 v7, 31, v6
	v_accvgpr_write_b32 a2, v0
	s_movk_i32 s4, 0x50
	s_movk_i32 s12, 0x60
	;; [unrolled: 1-line block ×41, first 2 shown]
	s_add_i32 s61, s4, 16
	s_add_i32 s60, s12, 16
	;; [unrolled: 1-line block ×28, first 2 shown]
	s_waitcnt vmcnt(0) lgkmcnt(0)
	scratch_store_dwordx4 off, v[2:5], off offset:16
	flat_load_dwordx4 v[2:5], v[0:1]
	v_lshl_add_u64 v[0:1], v[6:7], 4, s[0:1]
	v_add_u32_e32 v6, s5, v6
	v_accvgpr_write_b32 a5, v1
	v_ashrrev_i32_e32 v7, 31, v6
	v_accvgpr_write_b32 a4, v0
	s_add_i32 s29, s71, 16
	s_add_i32 s28, s72, 16
	;; [unrolled: 1-line block ×14, first 2 shown]
	s_mov_b32 s65, 32
	s_mov_b32 s64, 48
	;; [unrolled: 1-line block ×3, first 2 shown]
	s_movk_i32 s62, 0x50
	s_waitcnt vmcnt(0) lgkmcnt(0)
	scratch_store_dwordx4 off, v[2:5], off offset:32
	flat_load_dwordx4 v[2:5], v[0:1]
	v_lshl_add_u64 v[0:1], v[6:7], 4, s[0:1]
	v_add_u32_e32 v6, s5, v6
	v_accvgpr_write_b32 a7, v1
	v_ashrrev_i32_e32 v7, 31, v6
	v_accvgpr_write_b32 a6, v0
	s_waitcnt vmcnt(0) lgkmcnt(0)
	scratch_store_dwordx4 off, v[2:5], off offset:48
	flat_load_dwordx4 v[2:5], v[0:1]
	v_lshl_add_u64 v[0:1], v[6:7], 4, s[0:1]
	v_add_u32_e32 v6, s5, v6
	v_accvgpr_write_b32 a9, v1
	v_ashrrev_i32_e32 v7, 31, v6
	v_accvgpr_write_b32 a8, v0
	s_waitcnt vmcnt(0) lgkmcnt(0)
	scratch_store_dwordx4 off, v[2:5], off offset:64
	flat_load_dwordx4 v[2:5], v[0:1]
	v_lshl_add_u64 v[0:1], v[6:7], 4, s[0:1]
	v_add_u32_e32 v6, s5, v6
	v_accvgpr_write_b32 a11, v1
	v_ashrrev_i32_e32 v7, 31, v6
	v_accvgpr_write_b32 a10, v0
	s_waitcnt vmcnt(0) lgkmcnt(0)
	scratch_store_dwordx4 off, v[2:5], off offset:80
	flat_load_dwordx4 v[2:5], v[0:1]
	v_lshl_add_u64 v[0:1], v[6:7], 4, s[0:1]
	v_add_u32_e32 v6, s5, v6
	v_accvgpr_write_b32 a13, v1
	v_ashrrev_i32_e32 v7, 31, v6
	v_accvgpr_write_b32 a12, v0
	s_waitcnt vmcnt(0) lgkmcnt(0)
	scratch_store_dwordx4 off, v[2:5], off offset:96
	flat_load_dwordx4 v[2:5], v[0:1]
	v_lshl_add_u64 v[0:1], v[6:7], 4, s[0:1]
	v_add_u32_e32 v6, s5, v6
	v_accvgpr_write_b32 a15, v1
	v_ashrrev_i32_e32 v7, 31, v6
	v_accvgpr_write_b32 a14, v0
	s_waitcnt vmcnt(0) lgkmcnt(0)
	scratch_store_dwordx4 off, v[2:5], off offset:112
	flat_load_dwordx4 v[2:5], v[0:1]
	v_lshl_add_u64 v[0:1], v[6:7], 4, s[0:1]
	v_add_u32_e32 v6, s5, v6
	v_accvgpr_write_b32 a17, v1
	v_ashrrev_i32_e32 v7, 31, v6
	v_accvgpr_write_b32 a16, v0
	s_waitcnt vmcnt(0) lgkmcnt(0)
	scratch_store_dwordx4 off, v[2:5], off offset:128
	flat_load_dwordx4 v[2:5], v[0:1]
	v_lshl_add_u64 v[0:1], v[6:7], 4, s[0:1]
	v_add_u32_e32 v6, s5, v6
	v_accvgpr_write_b32 a19, v1
	v_ashrrev_i32_e32 v7, 31, v6
	v_accvgpr_write_b32 a18, v0
	s_waitcnt vmcnt(0) lgkmcnt(0)
	scratch_store_dwordx4 off, v[2:5], off offset:144
	flat_load_dwordx4 v[2:5], v[0:1]
	v_lshl_add_u64 v[0:1], v[6:7], 4, s[0:1]
	v_add_u32_e32 v6, s5, v6
	v_accvgpr_write_b32 a21, v1
	v_ashrrev_i32_e32 v7, 31, v6
	v_accvgpr_write_b32 a20, v0
	s_waitcnt vmcnt(0) lgkmcnt(0)
	scratch_store_dwordx4 off, v[2:5], off offset:160
	flat_load_dwordx4 v[2:5], v[0:1]
	v_lshl_add_u64 v[0:1], v[6:7], 4, s[0:1]
	v_add_u32_e32 v6, s5, v6
	v_accvgpr_write_b32 a23, v1
	v_ashrrev_i32_e32 v7, 31, v6
	v_accvgpr_write_b32 a22, v0
	s_waitcnt vmcnt(0) lgkmcnt(0)
	scratch_store_dwordx4 off, v[2:5], off offset:176
	flat_load_dwordx4 v[2:5], v[0:1]
	v_lshl_add_u64 v[0:1], v[6:7], 4, s[0:1]
	v_add_u32_e32 v6, s5, v6
	v_accvgpr_write_b32 a25, v1
	v_ashrrev_i32_e32 v7, 31, v6
	v_accvgpr_write_b32 a24, v0
	s_waitcnt vmcnt(0) lgkmcnt(0)
	scratch_store_dwordx4 off, v[2:5], off offset:192
	flat_load_dwordx4 v[2:5], v[0:1]
	v_lshl_add_u64 v[0:1], v[6:7], 4, s[0:1]
	v_add_u32_e32 v6, s5, v6
	v_accvgpr_write_b32 a27, v1
	v_ashrrev_i32_e32 v7, 31, v6
	v_accvgpr_write_b32 a26, v0
	s_waitcnt vmcnt(0) lgkmcnt(0)
	scratch_store_dwordx4 off, v[2:5], off offset:208
	flat_load_dwordx4 v[2:5], v[0:1]
	v_lshl_add_u64 v[0:1], v[6:7], 4, s[0:1]
	v_add_u32_e32 v6, s5, v6
	v_accvgpr_write_b32 a29, v1
	v_ashrrev_i32_e32 v7, 31, v6
	v_accvgpr_write_b32 a28, v0
	s_waitcnt vmcnt(0) lgkmcnt(0)
	scratch_store_dwordx4 off, v[2:5], off offset:224
	flat_load_dwordx4 v[2:5], v[0:1]
	v_lshl_add_u64 v[0:1], v[6:7], 4, s[0:1]
	v_add_u32_e32 v6, s5, v6
	v_accvgpr_write_b32 a31, v1
	v_ashrrev_i32_e32 v7, 31, v6
	v_accvgpr_write_b32 a30, v0
	s_waitcnt vmcnt(0) lgkmcnt(0)
	scratch_store_dwordx4 off, v[2:5], off offset:240
	flat_load_dwordx4 v[2:5], v[0:1]
	v_lshl_add_u64 v[0:1], v[6:7], 4, s[0:1]
	v_add_u32_e32 v6, s5, v6
	v_accvgpr_write_b32 a33, v1
	v_ashrrev_i32_e32 v7, 31, v6
	v_accvgpr_write_b32 a32, v0
	s_waitcnt vmcnt(0) lgkmcnt(0)
	scratch_store_dwordx4 off, v[2:5], off offset:256
	flat_load_dwordx4 v[2:5], v[0:1]
	v_lshl_add_u64 v[0:1], v[6:7], 4, s[0:1]
	v_add_u32_e32 v6, s5, v6
	v_accvgpr_write_b32 a35, v1
	v_ashrrev_i32_e32 v7, 31, v6
	v_accvgpr_write_b32 a34, v0
	s_waitcnt vmcnt(0) lgkmcnt(0)
	scratch_store_dwordx4 off, v[2:5], off offset:272
	flat_load_dwordx4 v[2:5], v[0:1]
	v_lshl_add_u64 v[0:1], v[6:7], 4, s[0:1]
	v_add_u32_e32 v6, s5, v6
	v_accvgpr_write_b32 a37, v1
	v_ashrrev_i32_e32 v7, 31, v6
	v_accvgpr_write_b32 a36, v0
	s_waitcnt vmcnt(0) lgkmcnt(0)
	scratch_store_dwordx4 off, v[2:5], off offset:288
	flat_load_dwordx4 v[2:5], v[0:1]
	v_lshl_add_u64 v[0:1], v[6:7], 4, s[0:1]
	v_add_u32_e32 v6, s5, v6
	v_accvgpr_write_b32 a39, v1
	v_ashrrev_i32_e32 v7, 31, v6
	v_accvgpr_write_b32 a38, v0
	s_waitcnt vmcnt(0) lgkmcnt(0)
	scratch_store_dwordx4 off, v[2:5], off offset:304
	flat_load_dwordx4 v[2:5], v[0:1]
	v_lshl_add_u64 v[0:1], v[6:7], 4, s[0:1]
	v_add_u32_e32 v6, s5, v6
	v_accvgpr_write_b32 a41, v1
	v_ashrrev_i32_e32 v7, 31, v6
	v_accvgpr_write_b32 a40, v0
	s_waitcnt vmcnt(0) lgkmcnt(0)
	scratch_store_dwordx4 off, v[2:5], off offset:320
	flat_load_dwordx4 v[2:5], v[0:1]
	v_lshl_add_u64 v[0:1], v[6:7], 4, s[0:1]
	v_add_u32_e32 v6, s5, v6
	v_accvgpr_write_b32 a43, v1
	v_ashrrev_i32_e32 v7, 31, v6
	v_accvgpr_write_b32 a42, v0
	s_waitcnt vmcnt(0) lgkmcnt(0)
	scratch_store_dwordx4 off, v[2:5], off offset:336
	flat_load_dwordx4 v[2:5], v[0:1]
	v_lshl_add_u64 v[0:1], v[6:7], 4, s[0:1]
	v_add_u32_e32 v6, s5, v6
	v_accvgpr_write_b32 a45, v1
	v_ashrrev_i32_e32 v7, 31, v6
	v_accvgpr_write_b32 a44, v0
	s_waitcnt vmcnt(0) lgkmcnt(0)
	scratch_store_dwordx4 off, v[2:5], off offset:352
	flat_load_dwordx4 v[2:5], v[0:1]
	v_lshl_add_u64 v[0:1], v[6:7], 4, s[0:1]
	v_add_u32_e32 v6, s5, v6
	v_accvgpr_write_b32 a47, v1
	v_ashrrev_i32_e32 v7, 31, v6
	v_accvgpr_write_b32 a46, v0
	s_waitcnt vmcnt(0) lgkmcnt(0)
	scratch_store_dwordx4 off, v[2:5], off offset:368
	flat_load_dwordx4 v[2:5], v[0:1]
	v_lshl_add_u64 v[0:1], v[6:7], 4, s[0:1]
	v_add_u32_e32 v6, s5, v6
	v_accvgpr_write_b32 a49, v1
	v_ashrrev_i32_e32 v7, 31, v6
	v_accvgpr_write_b32 a48, v0
	s_waitcnt vmcnt(0) lgkmcnt(0)
	scratch_store_dwordx4 off, v[2:5], off offset:384
	flat_load_dwordx4 v[2:5], v[0:1]
	v_lshl_add_u64 v[0:1], v[6:7], 4, s[0:1]
	v_add_u32_e32 v6, s5, v6
	v_accvgpr_write_b32 a51, v1
	v_ashrrev_i32_e32 v7, 31, v6
	v_accvgpr_write_b32 a50, v0
	s_waitcnt vmcnt(0) lgkmcnt(0)
	scratch_store_dwordx4 off, v[2:5], off offset:400
	flat_load_dwordx4 v[2:5], v[0:1]
	v_lshl_add_u64 v[0:1], v[6:7], 4, s[0:1]
	v_add_u32_e32 v6, s5, v6
	v_accvgpr_write_b32 a53, v1
	v_ashrrev_i32_e32 v7, 31, v6
	v_accvgpr_write_b32 a52, v0
	s_waitcnt vmcnt(0) lgkmcnt(0)
	scratch_store_dwordx4 off, v[2:5], off offset:416
	flat_load_dwordx4 v[2:5], v[0:1]
	v_lshl_add_u64 v[0:1], v[6:7], 4, s[0:1]
	v_add_u32_e32 v6, s5, v6
	v_accvgpr_write_b32 a55, v1
	v_ashrrev_i32_e32 v7, 31, v6
	v_accvgpr_write_b32 a54, v0
	s_waitcnt vmcnt(0) lgkmcnt(0)
	scratch_store_dwordx4 off, v[2:5], off offset:432
	flat_load_dwordx4 v[2:5], v[0:1]
	v_lshl_add_u64 v[0:1], v[6:7], 4, s[0:1]
	v_add_u32_e32 v6, s5, v6
	v_accvgpr_write_b32 a57, v1
	v_ashrrev_i32_e32 v7, 31, v6
	v_accvgpr_write_b32 a56, v0
	s_waitcnt vmcnt(0) lgkmcnt(0)
	scratch_store_dwordx4 off, v[2:5], off offset:448
	flat_load_dwordx4 v[2:5], v[0:1]
	v_lshl_add_u64 v[0:1], v[6:7], 4, s[0:1]
	v_add_u32_e32 v6, s5, v6
	v_accvgpr_write_b32 a59, v1
	v_ashrrev_i32_e32 v7, 31, v6
	v_accvgpr_write_b32 a58, v0
	s_waitcnt vmcnt(0) lgkmcnt(0)
	scratch_store_dwordx4 off, v[2:5], off offset:464
	flat_load_dwordx4 v[2:5], v[0:1]
	v_lshl_add_u64 v[0:1], v[6:7], 4, s[0:1]
	v_add_u32_e32 v6, s5, v6
	v_accvgpr_write_b32 a61, v1
	v_ashrrev_i32_e32 v7, 31, v6
	v_accvgpr_write_b32 a60, v0
	s_waitcnt vmcnt(0) lgkmcnt(0)
	scratch_store_dwordx4 off, v[2:5], off offset:480
	flat_load_dwordx4 v[2:5], v[0:1]
	v_lshl_add_u64 v[0:1], v[6:7], 4, s[0:1]
	v_add_u32_e32 v6, s5, v6
	v_accvgpr_write_b32 a63, v1
	v_ashrrev_i32_e32 v7, 31, v6
	v_accvgpr_write_b32 a62, v0
	s_waitcnt vmcnt(0) lgkmcnt(0)
	scratch_store_dwordx4 off, v[2:5], off offset:496
	flat_load_dwordx4 v[2:5], v[0:1]
	v_lshl_add_u64 v[0:1], v[6:7], 4, s[0:1]
	v_add_u32_e32 v6, s5, v6
	v_accvgpr_write_b32 a65, v1
	v_ashrrev_i32_e32 v7, 31, v6
	v_accvgpr_write_b32 a64, v0
	s_waitcnt vmcnt(0) lgkmcnt(0)
	scratch_store_dwordx4 off, v[2:5], off offset:512
	flat_load_dwordx4 v[2:5], v[0:1]
	v_lshl_add_u64 v[0:1], v[6:7], 4, s[0:1]
	v_add_u32_e32 v6, s5, v6
	v_accvgpr_write_b32 a67, v1
	v_ashrrev_i32_e32 v7, 31, v6
	v_accvgpr_write_b32 a66, v0
	s_waitcnt vmcnt(0) lgkmcnt(0)
	scratch_store_dwordx4 off, v[2:5], off offset:528
	flat_load_dwordx4 v[2:5], v[0:1]
	v_lshl_add_u64 v[0:1], v[6:7], 4, s[0:1]
	v_add_u32_e32 v6, s5, v6
	v_accvgpr_write_b32 a69, v1
	v_ashrrev_i32_e32 v7, 31, v6
	v_accvgpr_write_b32 a68, v0
	s_waitcnt vmcnt(0) lgkmcnt(0)
	scratch_store_dwordx4 off, v[2:5], off offset:544
	flat_load_dwordx4 v[2:5], v[0:1]
	v_lshl_add_u64 v[0:1], v[6:7], 4, s[0:1]
	v_add_u32_e32 v6, s5, v6
	v_accvgpr_write_b32 a71, v1
	v_ashrrev_i32_e32 v7, 31, v6
	v_accvgpr_write_b32 a70, v0
	s_waitcnt vmcnt(0) lgkmcnt(0)
	scratch_store_dwordx4 off, v[2:5], off offset:560
	flat_load_dwordx4 v[2:5], v[0:1]
	v_lshl_add_u64 v[0:1], v[6:7], 4, s[0:1]
	v_add_u32_e32 v6, s5, v6
	v_accvgpr_write_b32 a73, v1
	v_ashrrev_i32_e32 v7, 31, v6
	v_accvgpr_write_b32 a72, v0
	s_waitcnt vmcnt(0) lgkmcnt(0)
	scratch_store_dwordx4 off, v[2:5], off offset:576
	flat_load_dwordx4 v[2:5], v[0:1]
	v_lshl_add_u64 v[0:1], v[6:7], 4, s[0:1]
	v_add_u32_e32 v6, s5, v6
	v_accvgpr_write_b32 a75, v1
	v_ashrrev_i32_e32 v7, 31, v6
	v_accvgpr_write_b32 a74, v0
	s_waitcnt vmcnt(0) lgkmcnt(0)
	scratch_store_dwordx4 off, v[2:5], off offset:592
	flat_load_dwordx4 v[2:5], v[0:1]
	v_lshl_add_u64 v[0:1], v[6:7], 4, s[0:1]
	v_add_u32_e32 v6, s5, v6
	v_accvgpr_write_b32 a77, v1
	v_ashrrev_i32_e32 v7, 31, v6
	v_accvgpr_write_b32 a76, v0
	s_waitcnt vmcnt(0) lgkmcnt(0)
	scratch_store_dwordx4 off, v[2:5], off offset:608
	flat_load_dwordx4 v[2:5], v[0:1]
	v_lshl_add_u64 v[0:1], v[6:7], 4, s[0:1]
	v_add_u32_e32 v6, s5, v6
	v_accvgpr_write_b32 a79, v1
	v_ashrrev_i32_e32 v7, 31, v6
	v_accvgpr_write_b32 a78, v0
	s_waitcnt vmcnt(0) lgkmcnt(0)
	scratch_store_dwordx4 off, v[2:5], off offset:624
	flat_load_dwordx4 v[2:5], v[0:1]
	v_lshl_add_u64 v[0:1], v[6:7], 4, s[0:1]
	v_add_u32_e32 v6, s5, v6
	v_accvgpr_write_b32 a81, v1
	v_ashrrev_i32_e32 v7, 31, v6
	v_accvgpr_write_b32 a80, v0
	s_waitcnt vmcnt(0) lgkmcnt(0)
	scratch_store_dwordx4 off, v[2:5], off offset:640
	flat_load_dwordx4 v[2:5], v[0:1]
	v_lshl_add_u64 v[0:1], v[6:7], 4, s[0:1]
	v_add_u32_e32 v6, s5, v6
	v_accvgpr_write_b32 a83, v1
	v_ashrrev_i32_e32 v7, 31, v6
	v_accvgpr_write_b32 a82, v0
	s_waitcnt vmcnt(0) lgkmcnt(0)
	scratch_store_dwordx4 off, v[2:5], off offset:656
	flat_load_dwordx4 v[2:5], v[0:1]
	v_lshl_add_u64 v[0:1], v[6:7], 4, s[0:1]
	v_add_u32_e32 v6, s5, v6
	v_accvgpr_write_b32 a85, v1
	v_ashrrev_i32_e32 v7, 31, v6
	v_accvgpr_write_b32 a84, v0
	s_waitcnt vmcnt(0) lgkmcnt(0)
	scratch_store_dwordx4 off, v[2:5], off offset:672
	flat_load_dwordx4 v[2:5], v[0:1]
	v_lshl_add_u64 v[0:1], v[6:7], 4, s[0:1]
	v_add_u32_e32 v6, s5, v6
	v_accvgpr_write_b32 a87, v1
	v_ashrrev_i32_e32 v7, 31, v6
	v_accvgpr_write_b32 a86, v0
	s_waitcnt vmcnt(0) lgkmcnt(0)
	scratch_store_dwordx4 off, v[2:5], off offset:688
	flat_load_dwordx4 v[2:5], v[0:1]
	v_lshl_add_u64 v[0:1], v[6:7], 4, s[0:1]
	v_add_u32_e32 v6, s5, v6
	v_accvgpr_write_b32 a89, v1
	v_ashrrev_i32_e32 v7, 31, v6
	v_accvgpr_write_b32 a88, v0
	s_waitcnt vmcnt(0) lgkmcnt(0)
	scratch_store_dwordx4 off, v[2:5], off offset:704
	flat_load_dwordx4 v[2:5], v[0:1]
	v_lshl_add_u64 v[0:1], v[6:7], 4, s[0:1]
	v_add_u32_e32 v6, s5, v6
	v_accvgpr_write_b32 a91, v1
	v_ashrrev_i32_e32 v7, 31, v6
	v_accvgpr_write_b32 a90, v0
	s_waitcnt vmcnt(0) lgkmcnt(0)
	scratch_store_dwordx4 off, v[2:5], off offset:720
	flat_load_dwordx4 v[2:5], v[0:1]
	v_lshl_add_u64 v[0:1], v[6:7], 4, s[0:1]
	v_add_u32_e32 v6, s5, v6
	v_accvgpr_write_b32 a93, v1
	v_ashrrev_i32_e32 v7, 31, v6
	v_accvgpr_write_b32 a92, v0
	s_waitcnt vmcnt(0) lgkmcnt(0)
	scratch_store_dwordx4 off, v[2:5], off offset:736
	flat_load_dwordx4 v[2:5], v[0:1]
	v_lshl_add_u64 v[0:1], v[6:7], 4, s[0:1]
	v_add_u32_e32 v6, s5, v6
	v_accvgpr_write_b32 a95, v1
	v_ashrrev_i32_e32 v7, 31, v6
	v_accvgpr_write_b32 a94, v0
	s_waitcnt vmcnt(0) lgkmcnt(0)
	scratch_store_dwordx4 off, v[2:5], off offset:752
	flat_load_dwordx4 v[2:5], v[0:1]
	v_lshl_add_u64 v[0:1], v[6:7], 4, s[0:1]
	v_add_u32_e32 v6, s5, v6
	v_accvgpr_write_b32 a97, v1
	v_ashrrev_i32_e32 v7, 31, v6
	v_accvgpr_write_b32 a96, v0
	s_movk_i32 s5, 0x170
	s_add_i32 s43, s5, 16
	s_mov_b64 s[4:5], -1
	s_waitcnt vmcnt(0) lgkmcnt(0)
	scratch_store_dwordx4 off, v[2:5], off offset:768
	flat_load_dwordx4 v[2:5], v[0:1]
	v_lshl_add_u64 v[0:1], v[6:7], 4, s[0:1]
	s_movk_i32 s0, 0x150
	s_movk_i32 s1, 0x160
	v_accvgpr_write_b32 a99, v1
	s_add_i32 s45, s0, 16
	s_add_i32 s44, s1, 16
	v_accvgpr_write_b32 a98, v0
	s_bitcmp0_b32 s14, 0
	s_waitcnt vmcnt(0) lgkmcnt(0)
	scratch_store_dwordx4 off, v[2:5], off offset:784
	flat_load_dwordx4 v[2:5], v[0:1]
	s_waitcnt vmcnt(0) lgkmcnt(0)
	scratch_store_dwordx4 off, v[2:5], off offset:800
	s_cbranch_scc1 .LBB113_212
; %bb.4:
	v_cmp_eq_u32_e64 s[0:1], 0, v240
	s_and_saveexec_b64 s[4:5], s[0:1]
; %bb.5:
	v_mov_b32_e32 v0, 0
	ds_write_b32 v0, v0 offset:1600
; %bb.6:
	s_or_b64 exec, exec, s[4:5]
	s_waitcnt lgkmcnt(0)
	; wave barrier
	scratch_load_dwordx4 v[2:5], v14, off offset:16
	s_waitcnt vmcnt(0)
	v_cmp_eq_f64_e32 vcc, 0, v[2:3]
	v_cmp_eq_f64_e64 s[4:5], 0, v[4:5]
	s_and_b64 s[4:5], vcc, s[4:5]
	s_and_saveexec_b64 s[12:13], s[4:5]
	s_cbranch_execz .LBB113_10
; %bb.7:
	v_mov_b32_e32 v1, 0
	ds_read_b32 v0, v1 offset:1600
	v_add_u32_e32 v2, 1, v240
	s_waitcnt lgkmcnt(0)
	v_readfirstlane_b32 s4, v0
	s_cmp_eq_u32 s4, 0
	s_cselect_b64 s[14:15], -1, 0
	v_cmp_gt_i32_e32 vcc, s4, v2
	s_or_b64 s[14:15], s[14:15], vcc
	s_and_b64 exec, exec, s[14:15]
	s_cbranch_execz .LBB113_10
; %bb.8:
	s_mov_b64 s[14:15], 0
	v_mov_b32_e32 v3, s4
.LBB113_9:                              ; =>This Inner Loop Header: Depth=1
	ds_cmpst_rtn_b32 v3, v1, v3, v2 offset:1600
	s_waitcnt lgkmcnt(0)
	v_cmp_ne_u32_e32 vcc, 0, v3
	v_cmp_le_i32_e64 s[4:5], v3, v2
	s_and_b64 s[4:5], vcc, s[4:5]
	s_and_b64 s[4:5], exec, s[4:5]
	s_or_b64 s[14:15], s[4:5], s[14:15]
	s_andn2_b64 exec, exec, s[14:15]
	s_cbranch_execnz .LBB113_9
.LBB113_10:
	s_or_b64 exec, exec, s[12:13]
	v_mov_b32_e32 v2, 0
	; wave barrier
	ds_read_b32 v1, v2 offset:1600
	s_and_saveexec_b64 s[4:5], s[0:1]
	s_cbranch_execz .LBB113_12
; %bb.11:
	s_lshl_b64 s[12:13], s[2:3], 2
	s_add_u32 s12, s6, s12
	s_addc_u32 s13, s7, s13
	s_waitcnt lgkmcnt(0)
	global_store_dword v2, v1, s[12:13]
.LBB113_12:
	s_or_b64 exec, exec, s[4:5]
	s_waitcnt lgkmcnt(0)
	v_cmp_ne_u32_e32 vcc, 0, v1
	s_mov_b64 s[4:5], 0
	s_cbranch_vccnz .LBB113_212
; %bb.13:
	v_add_u32_e32 v15, 16, v14
	scratch_load_dwordx4 v[2:5], v15, off
                                        ; implicit-def: $vgpr6_vgpr7
                                        ; implicit-def: $vgpr10_vgpr11
	s_waitcnt vmcnt(0)
	v_cmp_ngt_f64_e64 s[4:5], |v[2:3]|, |v[4:5]|
	s_and_saveexec_b64 s[12:13], s[4:5]
	s_xor_b64 s[4:5], exec, s[12:13]
	s_cbranch_execz .LBB113_15
; %bb.14:
	v_div_scale_f64 v[6:7], s[12:13], v[4:5], v[4:5], v[2:3]
	v_rcp_f64_e32 v[8:9], v[6:7]
	v_div_scale_f64 v[10:11], vcc, v[2:3], v[4:5], v[2:3]
	v_fma_f64 v[12:13], -v[6:7], v[8:9], 1.0
	v_fmac_f64_e32 v[8:9], v[8:9], v[12:13]
	v_fma_f64 v[12:13], -v[6:7], v[8:9], 1.0
	v_fmac_f64_e32 v[8:9], v[8:9], v[12:13]
	v_mul_f64 v[12:13], v[10:11], v[8:9]
	v_fma_f64 v[6:7], -v[6:7], v[12:13], v[10:11]
	v_div_fmas_f64 v[6:7], v[6:7], v[8:9], v[12:13]
	v_div_fixup_f64 v[6:7], v[6:7], v[4:5], v[2:3]
	v_fmac_f64_e32 v[4:5], v[2:3], v[6:7]
	v_div_scale_f64 v[2:3], s[12:13], v[4:5], v[4:5], 1.0
	v_rcp_f64_e32 v[8:9], v[2:3]
	s_nop 0
	v_fma_f64 v[10:11], -v[2:3], v[8:9], 1.0
	v_fmac_f64_e32 v[8:9], v[8:9], v[10:11]
	v_fma_f64 v[10:11], -v[2:3], v[8:9], 1.0
	v_fmac_f64_e32 v[8:9], v[8:9], v[10:11]
	v_div_scale_f64 v[10:11], vcc, 1.0, v[4:5], 1.0
	v_mul_f64 v[12:13], v[10:11], v[8:9]
	v_fma_f64 v[2:3], -v[2:3], v[12:13], v[10:11]
	s_nop 1
	v_div_fmas_f64 v[2:3], v[2:3], v[8:9], v[12:13]
	v_div_fixup_f64 v[8:9], v[2:3], v[4:5], 1.0
	v_mul_f64 v[6:7], v[6:7], v[8:9]
	v_xor_b32_e32 v9, 0x80000000, v9
	v_xor_b32_e32 v11, 0x80000000, v7
	v_mov_b32_e32 v10, v6
                                        ; implicit-def: $vgpr2_vgpr3
.LBB113_15:
	s_andn2_saveexec_b64 s[4:5], s[4:5]
	s_cbranch_execz .LBB113_17
; %bb.16:
	v_div_scale_f64 v[6:7], s[12:13], v[2:3], v[2:3], v[4:5]
	v_rcp_f64_e32 v[8:9], v[6:7]
	v_div_scale_f64 v[10:11], vcc, v[4:5], v[2:3], v[4:5]
	v_fma_f64 v[12:13], -v[6:7], v[8:9], 1.0
	v_fmac_f64_e32 v[8:9], v[8:9], v[12:13]
	v_fma_f64 v[12:13], -v[6:7], v[8:9], 1.0
	v_fmac_f64_e32 v[8:9], v[8:9], v[12:13]
	v_mul_f64 v[12:13], v[10:11], v[8:9]
	v_fma_f64 v[6:7], -v[6:7], v[12:13], v[10:11]
	v_div_fmas_f64 v[6:7], v[6:7], v[8:9], v[12:13]
	v_div_fixup_f64 v[8:9], v[6:7], v[2:3], v[4:5]
	v_fmac_f64_e32 v[2:3], v[4:5], v[8:9]
	v_div_scale_f64 v[4:5], s[12:13], v[2:3], v[2:3], 1.0
	v_rcp_f64_e32 v[6:7], v[4:5]
	s_nop 0
	v_fma_f64 v[10:11], -v[4:5], v[6:7], 1.0
	v_fmac_f64_e32 v[6:7], v[6:7], v[10:11]
	v_fma_f64 v[10:11], -v[4:5], v[6:7], 1.0
	v_fmac_f64_e32 v[6:7], v[6:7], v[10:11]
	v_div_scale_f64 v[10:11], vcc, 1.0, v[2:3], 1.0
	v_mul_f64 v[12:13], v[10:11], v[6:7]
	v_fma_f64 v[4:5], -v[4:5], v[12:13], v[10:11]
	s_nop 1
	v_div_fmas_f64 v[4:5], v[4:5], v[6:7], v[12:13]
	v_div_fixup_f64 v[6:7], v[4:5], v[2:3], 1.0
	v_xor_b32_e32 v11, 0x80000000, v7
	v_mov_b32_e32 v10, v6
	v_mul_f64 v[8:9], v[8:9], -v[6:7]
.LBB113_17:
	s_or_b64 exec, exec, s[4:5]
	scratch_store_dwordx4 v15, v[6:9], off
	scratch_load_dwordx4 v[2:5], off, s65
	v_xor_b32_e32 v13, 0x80000000, v9
	v_mov_b32_e32 v12, v8
	v_add_u32_e32 v1, 0x320, v14
	ds_write_b128 v14, v[10:13]
	s_waitcnt vmcnt(0)
	ds_write_b128 v14, v[2:5] offset:800
	s_waitcnt lgkmcnt(0)
	; wave barrier
	s_and_saveexec_b64 s[4:5], s[0:1]
	s_cbranch_execz .LBB113_19
; %bb.18:
	scratch_load_dwordx4 v[2:5], v15, off
	ds_read_b128 v[6:9], v1
	v_mov_b32_e32 v0, 0
	ds_read_b128 v[10:13], v0 offset:16
	s_waitcnt vmcnt(0) lgkmcnt(1)
	v_mul_f64 v[16:17], v[8:9], v[4:5]
	v_mul_f64 v[4:5], v[6:7], v[4:5]
	v_fma_f64 v[6:7], v[6:7], v[2:3], -v[16:17]
	v_fmac_f64_e32 v[4:5], v[8:9], v[2:3]
	v_add_f64 v[2:3], v[6:7], 0
	v_add_f64 v[6:7], v[4:5], 0
	s_waitcnt lgkmcnt(0)
	v_mul_f64 v[8:9], v[6:7], v[12:13]
	v_mul_f64 v[4:5], v[2:3], v[12:13]
	v_fma_f64 v[2:3], v[2:3], v[10:11], -v[8:9]
	v_fmac_f64_e32 v[4:5], v[6:7], v[10:11]
	scratch_store_dwordx4 off, v[2:5], off offset:32
.LBB113_19:
	s_or_b64 exec, exec, s[4:5]
	; wave barrier
	scratch_load_dwordx4 v[2:5], off, s64
	v_cmp_gt_u32_e32 vcc, 2, v240
	s_waitcnt vmcnt(0)
	ds_write_b128 v1, v[2:5]
	s_waitcnt lgkmcnt(0)
	; wave barrier
	s_and_saveexec_b64 s[4:5], vcc
	s_cbranch_execz .LBB113_23
; %bb.20:
	scratch_load_dwordx4 v[2:5], v15, off
	ds_read_b128 v[6:9], v1
	s_waitcnt vmcnt(0) lgkmcnt(0)
	v_mul_f64 v[10:11], v[8:9], v[4:5]
	v_mul_f64 v[12:13], v[6:7], v[4:5]
	v_fma_f64 v[4:5], v[6:7], v[2:3], -v[10:11]
	v_fmac_f64_e32 v[12:13], v[8:9], v[2:3]
	v_add_f64 v[4:5], v[4:5], 0
	v_add_f64 v[2:3], v[12:13], 0
	s_and_saveexec_b64 s[12:13], s[0:1]
	s_cbranch_execz .LBB113_22
; %bb.21:
	scratch_load_dwordx4 v[6:9], off, off offset:32
	v_mov_b32_e32 v0, 0
	ds_read_b128 v[10:13], v0 offset:816
	s_waitcnt vmcnt(0) lgkmcnt(0)
	v_mul_f64 v[16:17], v[10:11], v[8:9]
	v_mul_f64 v[8:9], v[12:13], v[8:9]
	v_fmac_f64_e32 v[16:17], v[12:13], v[6:7]
	v_fma_f64 v[6:7], v[10:11], v[6:7], -v[8:9]
	v_add_f64 v[2:3], v[2:3], v[16:17]
	v_add_f64 v[4:5], v[4:5], v[6:7]
.LBB113_22:
	s_or_b64 exec, exec, s[12:13]
	v_mov_b32_e32 v0, 0
	ds_read_b128 v[6:9], v0 offset:32
	s_waitcnt lgkmcnt(0)
	v_mul_f64 v[12:13], v[2:3], v[8:9]
	v_mul_f64 v[10:11], v[4:5], v[8:9]
	v_fma_f64 v[8:9], v[4:5], v[6:7], -v[12:13]
	v_fmac_f64_e32 v[10:11], v[2:3], v[6:7]
	scratch_store_dwordx4 off, v[8:11], off offset:48
.LBB113_23:
	s_or_b64 exec, exec, s[4:5]
	; wave barrier
	scratch_load_dwordx4 v[2:5], off, s63
	v_cmp_gt_u32_e32 vcc, 3, v240
	v_add_u32_e32 v6, -1, v240
	s_waitcnt vmcnt(0)
	ds_write_b128 v1, v[2:5]
	s_waitcnt lgkmcnt(0)
	; wave barrier
	s_and_saveexec_b64 s[0:1], vcc
	s_cbranch_execz .LBB113_27
; %bb.24:
	v_add_u32_e32 v7, -1, v240
	v_add_u32_e32 v8, 0x320, v14
	v_add_u32_e32 v9, 16, v14
	v_mov_b64_e32 v[2:3], 0
	s_mov_b64 s[4:5], 0
	v_mov_b64_e32 v[4:5], 0
.LBB113_25:                             ; =>This Inner Loop Header: Depth=1
	scratch_load_dwordx4 v[10:13], v9, off
	ds_read_b128 v[16:19], v8
	v_add_u32_e32 v7, 1, v7
	v_cmp_lt_u32_e32 vcc, 1, v7
	v_add_u32_e32 v8, 16, v8
	v_add_u32_e32 v9, 16, v9
	s_or_b64 s[4:5], vcc, s[4:5]
	s_waitcnt vmcnt(0) lgkmcnt(0)
	v_mul_f64 v[20:21], v[18:19], v[12:13]
	v_mul_f64 v[12:13], v[16:17], v[12:13]
	v_fma_f64 v[16:17], v[16:17], v[10:11], -v[20:21]
	v_fmac_f64_e32 v[12:13], v[18:19], v[10:11]
	v_add_f64 v[4:5], v[4:5], v[16:17]
	v_add_f64 v[2:3], v[2:3], v[12:13]
	s_andn2_b64 exec, exec, s[4:5]
	s_cbranch_execnz .LBB113_25
; %bb.26:
	s_or_b64 exec, exec, s[4:5]
	v_mov_b32_e32 v0, 0
	ds_read_b128 v[8:11], v0 offset:48
	s_waitcnt lgkmcnt(0)
	v_mul_f64 v[16:17], v[2:3], v[10:11]
	v_mul_f64 v[12:13], v[4:5], v[10:11]
	v_fma_f64 v[10:11], v[4:5], v[8:9], -v[16:17]
	v_fmac_f64_e32 v[12:13], v[2:3], v[8:9]
	scratch_store_dwordx4 off, v[10:13], off offset:64
.LBB113_27:
	s_or_b64 exec, exec, s[0:1]
	; wave barrier
	scratch_load_dwordx4 v[2:5], off, s62
	v_cmp_gt_u32_e32 vcc, 4, v240
	s_waitcnt vmcnt(0)
	ds_write_b128 v1, v[2:5]
	s_waitcnt lgkmcnt(0)
	; wave barrier
	s_and_saveexec_b64 s[0:1], vcc
	s_cbranch_execz .LBB113_31
; %bb.28:
	v_add_u32_e32 v7, -1, v240
	v_add_u32_e32 v8, 0x320, v14
	v_add_u32_e32 v9, 16, v14
	v_mov_b64_e32 v[2:3], 0
	s_mov_b64 s[4:5], 0
	v_mov_b64_e32 v[4:5], 0
.LBB113_29:                             ; =>This Inner Loop Header: Depth=1
	scratch_load_dwordx4 v[10:13], v9, off
	ds_read_b128 v[16:19], v8
	v_add_u32_e32 v7, 1, v7
	v_cmp_lt_u32_e32 vcc, 2, v7
	v_add_u32_e32 v8, 16, v8
	v_add_u32_e32 v9, 16, v9
	s_or_b64 s[4:5], vcc, s[4:5]
	s_waitcnt vmcnt(0) lgkmcnt(0)
	v_mul_f64 v[20:21], v[18:19], v[12:13]
	v_mul_f64 v[12:13], v[16:17], v[12:13]
	v_fma_f64 v[16:17], v[16:17], v[10:11], -v[20:21]
	v_fmac_f64_e32 v[12:13], v[18:19], v[10:11]
	v_add_f64 v[4:5], v[4:5], v[16:17]
	v_add_f64 v[2:3], v[2:3], v[12:13]
	s_andn2_b64 exec, exec, s[4:5]
	s_cbranch_execnz .LBB113_29
; %bb.30:
	s_or_b64 exec, exec, s[4:5]
	v_mov_b32_e32 v0, 0
	ds_read_b128 v[8:11], v0 offset:64
	s_waitcnt lgkmcnt(0)
	v_mul_f64 v[16:17], v[2:3], v[10:11]
	v_mul_f64 v[12:13], v[4:5], v[10:11]
	v_fma_f64 v[10:11], v[4:5], v[8:9], -v[16:17]
	v_fmac_f64_e32 v[12:13], v[2:3], v[8:9]
	scratch_store_dwordx4 off, v[10:13], off offset:80
.LBB113_31:
	s_or_b64 exec, exec, s[0:1]
	; wave barrier
	scratch_load_dwordx4 v[2:5], off, s61
	v_cmp_gt_u32_e32 vcc, 5, v240
	;; [unrolled: 45-line block ×19, first 2 shown]
	s_waitcnt vmcnt(0)
	ds_write_b128 v1, v[2:5]
	s_waitcnt lgkmcnt(0)
	; wave barrier
	s_and_saveexec_b64 s[0:1], vcc
	s_cbranch_execz .LBB113_103
; %bb.100:
	v_add_u32_e32 v7, -1, v240
	v_add_u32_e32 v8, 0x320, v14
	v_add_u32_e32 v9, 16, v14
	v_mov_b64_e32 v[2:3], 0
	s_mov_b64 s[4:5], 0
	v_mov_b64_e32 v[4:5], 0
.LBB113_101:                            ; =>This Inner Loop Header: Depth=1
	scratch_load_dwordx4 v[10:13], v9, off
	ds_read_b128 v[16:19], v8
	v_add_u32_e32 v7, 1, v7
	v_cmp_lt_u32_e32 vcc, 20, v7
	v_add_u32_e32 v8, 16, v8
	v_add_u32_e32 v9, 16, v9
	s_or_b64 s[4:5], vcc, s[4:5]
	s_waitcnt vmcnt(0) lgkmcnt(0)
	v_mul_f64 v[20:21], v[18:19], v[12:13]
	v_mul_f64 v[12:13], v[16:17], v[12:13]
	v_fma_f64 v[16:17], v[16:17], v[10:11], -v[20:21]
	v_fmac_f64_e32 v[12:13], v[18:19], v[10:11]
	v_add_f64 v[4:5], v[4:5], v[16:17]
	v_add_f64 v[2:3], v[2:3], v[12:13]
	s_andn2_b64 exec, exec, s[4:5]
	s_cbranch_execnz .LBB113_101
; %bb.102:
	s_or_b64 exec, exec, s[4:5]
	v_mov_b32_e32 v0, 0
	ds_read_b128 v[8:11], v0 offset:352
	s_waitcnt lgkmcnt(0)
	v_mul_f64 v[16:17], v[2:3], v[10:11]
	v_mul_f64 v[12:13], v[4:5], v[10:11]
	v_fma_f64 v[10:11], v[4:5], v[8:9], -v[16:17]
	v_fmac_f64_e32 v[12:13], v[2:3], v[8:9]
	scratch_store_dwordx4 off, v[10:13], off offset:368
.LBB113_103:
	s_or_b64 exec, exec, s[0:1]
	; wave barrier
	scratch_load_dwordx4 v[2:5], off, s43
	v_cmp_gt_u32_e32 vcc, 23, v240
	s_waitcnt vmcnt(0)
	ds_write_b128 v1, v[2:5]
	s_waitcnt lgkmcnt(0)
	; wave barrier
	s_and_saveexec_b64 s[0:1], vcc
	s_cbranch_execz .LBB113_107
; %bb.104:
	v_add_u32_e32 v7, -1, v240
	v_add_u32_e32 v8, 0x320, v14
	v_add_u32_e32 v9, 16, v14
	v_mov_b64_e32 v[2:3], 0
	s_mov_b64 s[4:5], 0
	v_mov_b64_e32 v[4:5], 0
.LBB113_105:                            ; =>This Inner Loop Header: Depth=1
	scratch_load_dwordx4 v[10:13], v9, off
	ds_read_b128 v[16:19], v8
	v_add_u32_e32 v7, 1, v7
	v_cmp_lt_u32_e32 vcc, 21, v7
	v_add_u32_e32 v8, 16, v8
	v_add_u32_e32 v9, 16, v9
	s_or_b64 s[4:5], vcc, s[4:5]
	s_waitcnt vmcnt(0) lgkmcnt(0)
	v_mul_f64 v[20:21], v[18:19], v[12:13]
	v_mul_f64 v[12:13], v[16:17], v[12:13]
	v_fma_f64 v[16:17], v[16:17], v[10:11], -v[20:21]
	v_fmac_f64_e32 v[12:13], v[18:19], v[10:11]
	v_add_f64 v[4:5], v[4:5], v[16:17]
	v_add_f64 v[2:3], v[2:3], v[12:13]
	s_andn2_b64 exec, exec, s[4:5]
	s_cbranch_execnz .LBB113_105
; %bb.106:
	s_or_b64 exec, exec, s[4:5]
	v_mov_b32_e32 v0, 0
	ds_read_b128 v[8:11], v0 offset:368
	s_waitcnt lgkmcnt(0)
	v_mul_f64 v[16:17], v[2:3], v[10:11]
	v_mul_f64 v[12:13], v[4:5], v[10:11]
	v_fma_f64 v[10:11], v[4:5], v[8:9], -v[16:17]
	v_fmac_f64_e32 v[12:13], v[2:3], v[8:9]
	scratch_store_dwordx4 off, v[10:13], off offset:384
.LBB113_107:
	s_or_b64 exec, exec, s[0:1]
	; wave barrier
	scratch_load_dwordx4 v[2:5], off, s42
	v_cmp_gt_u32_e32 vcc, 24, v240
	;; [unrolled: 45-line block ×26, first 2 shown]
	s_waitcnt vmcnt(0)
	ds_write_b128 v1, v[2:5]
	s_waitcnt lgkmcnt(0)
	; wave barrier
	s_and_saveexec_b64 s[0:1], vcc
	s_cbranch_execz .LBB113_207
; %bb.204:
	v_add_u32_e32 v7, -1, v240
	v_add_u32_e32 v8, 0x320, v14
	v_add_u32_e32 v9, 16, v14
	v_mov_b64_e32 v[2:3], 0
	s_mov_b64 s[4:5], 0
	v_mov_b64_e32 v[4:5], 0
.LBB113_205:                            ; =>This Inner Loop Header: Depth=1
	scratch_load_dwordx4 v[10:13], v9, off
	ds_read_b128 v[16:19], v8
	v_add_u32_e32 v7, 1, v7
	v_cmp_lt_u32_e32 vcc, 46, v7
	v_add_u32_e32 v8, 16, v8
	v_add_u32_e32 v9, 16, v9
	s_or_b64 s[4:5], vcc, s[4:5]
	s_waitcnt vmcnt(0) lgkmcnt(0)
	v_mul_f64 v[20:21], v[18:19], v[12:13]
	v_mul_f64 v[12:13], v[16:17], v[12:13]
	v_fma_f64 v[16:17], v[16:17], v[10:11], -v[20:21]
	v_fmac_f64_e32 v[12:13], v[18:19], v[10:11]
	v_add_f64 v[4:5], v[4:5], v[16:17]
	v_add_f64 v[2:3], v[2:3], v[12:13]
	s_andn2_b64 exec, exec, s[4:5]
	s_cbranch_execnz .LBB113_205
; %bb.206:
	s_or_b64 exec, exec, s[4:5]
	v_mov_b32_e32 v0, 0
	ds_read_b128 v[8:11], v0 offset:768
	s_waitcnt lgkmcnt(0)
	v_mul_f64 v[16:17], v[2:3], v[10:11]
	v_mul_f64 v[12:13], v[4:5], v[10:11]
	v_fma_f64 v[10:11], v[4:5], v[8:9], -v[16:17]
	v_fmac_f64_e32 v[12:13], v[2:3], v[8:9]
	scratch_store_dwordx4 off, v[10:13], off offset:784
.LBB113_207:
	s_or_b64 exec, exec, s[0:1]
	; wave barrier
	scratch_load_dwordx4 v[2:5], off, s16
	v_cmp_ne_u32_e32 vcc, 49, v240
	s_waitcnt vmcnt(0)
	ds_write_b128 v1, v[2:5]
	s_waitcnt lgkmcnt(0)
	; wave barrier
	s_and_saveexec_b64 s[0:1], vcc
	s_cbranch_execz .LBB113_211
; %bb.208:
	v_add_u32_e32 v1, 0x320, v14
	v_add_u32_e32 v7, 16, v14
	v_mov_b64_e32 v[2:3], 0
	s_mov_b64 s[4:5], 0
	v_mov_b64_e32 v[4:5], 0
.LBB113_209:                            ; =>This Inner Loop Header: Depth=1
	scratch_load_dwordx4 v[8:11], v7, off
	ds_read_b128 v[12:15], v1
	v_add_u32_e32 v6, 1, v6
	v_cmp_lt_u32_e32 vcc, 47, v6
	v_add_u32_e32 v1, 16, v1
	v_add_u32_e32 v7, 16, v7
	s_or_b64 s[4:5], vcc, s[4:5]
	s_waitcnt vmcnt(0) lgkmcnt(0)
	v_mul_f64 v[16:17], v[14:15], v[10:11]
	v_mul_f64 v[10:11], v[12:13], v[10:11]
	v_fma_f64 v[12:13], v[12:13], v[8:9], -v[16:17]
	v_fmac_f64_e32 v[10:11], v[14:15], v[8:9]
	v_add_f64 v[4:5], v[4:5], v[12:13]
	v_add_f64 v[2:3], v[2:3], v[10:11]
	s_andn2_b64 exec, exec, s[4:5]
	s_cbranch_execnz .LBB113_209
; %bb.210:
	s_or_b64 exec, exec, s[4:5]
	v_mov_b32_e32 v0, 0
	ds_read_b128 v[6:9], v0 offset:784
	s_waitcnt lgkmcnt(0)
	v_mul_f64 v[12:13], v[2:3], v[8:9]
	v_mul_f64 v[10:11], v[4:5], v[8:9]
	v_fma_f64 v[8:9], v[4:5], v[6:7], -v[12:13]
	v_fmac_f64_e32 v[10:11], v[2:3], v[6:7]
	scratch_store_dwordx4 off, v[8:11], off offset:800
.LBB113_211:
	s_or_b64 exec, exec, s[0:1]
	s_mov_b64 s[4:5], -1
	; wave barrier
.LBB113_212:
	s_and_b64 vcc, exec, s[4:5]
	s_cbranch_vccz .LBB113_214
; %bb.213:
	s_lshl_b64 s[0:1], s[2:3], 2
	s_add_u32 s0, s6, s0
	s_addc_u32 s1, s7, s1
	v_mov_b32_e32 v0, 0
	global_load_dword v0, v0, s[0:1]
	s_waitcnt vmcnt(0)
	v_cmp_ne_u32_e32 vcc, 0, v0
	s_cbranch_vccz .LBB113_215
.LBB113_214:
	s_endpgm
.LBB113_215:
	v_mov_b32_e32 v0, 0x320
	v_lshl_add_u32 v0, v240, 4, v0
	v_accvgpr_write_b32 a101, v0
	v_cmp_eq_u32_e32 vcc, 49, v240
	s_and_saveexec_b64 s[0:1], vcc
	s_cbranch_execz .LBB113_217
; %bb.216:
	scratch_load_dwordx4 v[2:5], off, s17
	v_mov_b32_e32 v6, 0
	v_mov_b32_e32 v7, v6
	;; [unrolled: 1-line block ×4, first 2 shown]
	v_accvgpr_read_b32 v0, a101
	scratch_store_dwordx4 off, v[6:9], off offset:784
	s_waitcnt vmcnt(1)
	ds_write_b128 v0, v[2:5]
.LBB113_217:
	s_or_b64 exec, exec, s[0:1]
	s_waitcnt lgkmcnt(0)
	; wave barrier
	scratch_load_dwordx4 v[4:7], off, off offset:800
	scratch_load_dwordx4 v[8:11], off, off offset:784
	v_mov_b32_e32 v2, 0
	ds_read_b128 v[12:15], v2 offset:1584
	v_cmp_lt_u32_e32 vcc, 47, v240
	s_waitcnt vmcnt(1) lgkmcnt(0)
	v_mul_f64 v[16:17], v[12:13], v[6:7]
	v_mul_f64 v[6:7], v[14:15], v[6:7]
	v_fmac_f64_e32 v[16:17], v[14:15], v[4:5]
	v_fma_f64 v[4:5], v[12:13], v[4:5], -v[6:7]
	v_add_f64 v[6:7], v[16:17], 0
	v_add_f64 v[4:5], v[4:5], 0
	s_waitcnt vmcnt(0)
	v_add_f64 v[4:5], v[8:9], -v[4:5]
	v_add_f64 v[6:7], v[10:11], -v[6:7]
	scratch_store_dwordx4 off, v[4:7], off offset:784
	s_and_saveexec_b64 s[0:1], vcc
	s_cbranch_execz .LBB113_219
; %bb.218:
	scratch_load_dwordx4 v[6:9], off, s18
	v_mov_b32_e32 v3, v2
	v_mov_b32_e32 v4, v2
	;; [unrolled: 1-line block ×3, first 2 shown]
	v_accvgpr_read_b32 v0, a101
	scratch_store_dwordx4 off, v[2:5], off offset:768
	s_waitcnt vmcnt(1)
	ds_write_b128 v0, v[6:9]
.LBB113_219:
	s_or_b64 exec, exec, s[0:1]
	s_waitcnt lgkmcnt(0)
	; wave barrier
	scratch_load_dwordx4 v[4:7], off, off offset:784
	scratch_load_dwordx4 v[8:11], off, off offset:800
	;; [unrolled: 1-line block ×3, first 2 shown]
	ds_read_b128 v[16:19], v2 offset:1568
	ds_read_b128 v[20:23], v2 offset:1584
	v_cmp_lt_u32_e32 vcc, 46, v240
	s_waitcnt vmcnt(2) lgkmcnt(1)
	v_mul_f64 v[2:3], v[16:17], v[6:7]
	v_mul_f64 v[6:7], v[18:19], v[6:7]
	s_waitcnt vmcnt(1) lgkmcnt(0)
	v_mul_f64 v[24:25], v[20:21], v[10:11]
	v_mul_f64 v[10:11], v[22:23], v[10:11]
	v_fmac_f64_e32 v[2:3], v[18:19], v[4:5]
	v_fma_f64 v[4:5], v[16:17], v[4:5], -v[6:7]
	v_fmac_f64_e32 v[24:25], v[22:23], v[8:9]
	v_fma_f64 v[6:7], v[20:21], v[8:9], -v[10:11]
	v_add_f64 v[2:3], v[2:3], 0
	v_add_f64 v[4:5], v[4:5], 0
	;; [unrolled: 1-line block ×4, first 2 shown]
	s_waitcnt vmcnt(0)
	v_add_f64 v[2:3], v[12:13], -v[2:3]
	v_add_f64 v[4:5], v[14:15], -v[8:9]
	scratch_store_dwordx4 off, v[2:5], off offset:768
	s_and_saveexec_b64 s[0:1], vcc
	s_cbranch_execz .LBB113_221
; %bb.220:
	scratch_load_dwordx4 v[2:5], off, s19
	v_mov_b32_e32 v6, 0
	v_mov_b32_e32 v7, v6
	v_mov_b32_e32 v8, v6
	v_mov_b32_e32 v9, v6
	v_accvgpr_read_b32 v0, a101
	scratch_store_dwordx4 off, v[6:9], off offset:752
	s_waitcnt vmcnt(1)
	ds_write_b128 v0, v[2:5]
.LBB113_221:
	s_or_b64 exec, exec, s[0:1]
	s_waitcnt lgkmcnt(0)
	; wave barrier
	scratch_load_dwordx4 v[4:7], off, off offset:768
	scratch_load_dwordx4 v[8:11], off, off offset:784
	;; [unrolled: 1-line block ×4, first 2 shown]
	v_mov_b32_e32 v2, 0
	ds_read_b128 v[20:23], v2 offset:1552
	ds_read_b128 v[24:27], v2 offset:1568
	;; [unrolled: 1-line block ×3, first 2 shown]
	v_cmp_lt_u32_e32 vcc, 45, v240
	s_waitcnt vmcnt(3) lgkmcnt(2)
	v_mul_f64 v[32:33], v[20:21], v[6:7]
	v_mul_f64 v[6:7], v[22:23], v[6:7]
	s_waitcnt vmcnt(2) lgkmcnt(1)
	v_mul_f64 v[34:35], v[24:25], v[10:11]
	v_mul_f64 v[10:11], v[26:27], v[10:11]
	v_fmac_f64_e32 v[32:33], v[22:23], v[4:5]
	v_fma_f64 v[4:5], v[20:21], v[4:5], -v[6:7]
	s_waitcnt vmcnt(1) lgkmcnt(0)
	v_mul_f64 v[36:37], v[28:29], v[14:15]
	v_mul_f64 v[14:15], v[30:31], v[14:15]
	v_fmac_f64_e32 v[34:35], v[26:27], v[8:9]
	v_fma_f64 v[6:7], v[24:25], v[8:9], -v[10:11]
	v_add_f64 v[10:11], v[32:33], 0
	v_add_f64 v[4:5], v[4:5], 0
	v_fmac_f64_e32 v[36:37], v[30:31], v[12:13]
	v_fma_f64 v[8:9], v[28:29], v[12:13], -v[14:15]
	v_add_f64 v[10:11], v[10:11], v[34:35]
	v_add_f64 v[4:5], v[4:5], v[6:7]
	v_add_f64 v[6:7], v[10:11], v[36:37]
	v_add_f64 v[4:5], v[4:5], v[8:9]
	s_waitcnt vmcnt(0)
	v_add_f64 v[4:5], v[16:17], -v[4:5]
	v_add_f64 v[6:7], v[18:19], -v[6:7]
	scratch_store_dwordx4 off, v[4:7], off offset:752
	s_and_saveexec_b64 s[0:1], vcc
	s_cbranch_execz .LBB113_223
; %bb.222:
	scratch_load_dwordx4 v[6:9], off, s20
	v_mov_b32_e32 v3, v2
	v_mov_b32_e32 v4, v2
	;; [unrolled: 1-line block ×3, first 2 shown]
	v_accvgpr_read_b32 v0, a101
	scratch_store_dwordx4 off, v[2:5], off offset:736
	s_waitcnt vmcnt(1)
	ds_write_b128 v0, v[6:9]
.LBB113_223:
	s_or_b64 exec, exec, s[0:1]
	s_waitcnt lgkmcnt(0)
	; wave barrier
	scratch_load_dwordx4 v[4:7], off, off offset:752
	scratch_load_dwordx4 v[8:11], off, off offset:768
	;; [unrolled: 1-line block ×5, first 2 shown]
	ds_read_b128 v[24:27], v2 offset:1536
	ds_read_b128 v[28:31], v2 offset:1552
	;; [unrolled: 1-line block ×4, first 2 shown]
	v_cmp_lt_u32_e32 vcc, 44, v240
	s_waitcnt vmcnt(4) lgkmcnt(3)
	v_mul_f64 v[2:3], v[24:25], v[6:7]
	v_mul_f64 v[6:7], v[26:27], v[6:7]
	s_waitcnt vmcnt(3) lgkmcnt(2)
	v_mul_f64 v[40:41], v[28:29], v[10:11]
	v_mul_f64 v[10:11], v[30:31], v[10:11]
	v_fmac_f64_e32 v[2:3], v[26:27], v[4:5]
	v_fma_f64 v[4:5], v[24:25], v[4:5], -v[6:7]
	s_waitcnt vmcnt(2) lgkmcnt(1)
	v_mul_f64 v[42:43], v[32:33], v[14:15]
	v_mul_f64 v[14:15], v[34:35], v[14:15]
	v_fmac_f64_e32 v[40:41], v[30:31], v[8:9]
	v_fma_f64 v[6:7], v[28:29], v[8:9], -v[10:11]
	v_add_f64 v[2:3], v[2:3], 0
	v_add_f64 v[4:5], v[4:5], 0
	s_waitcnt vmcnt(1) lgkmcnt(0)
	v_mul_f64 v[44:45], v[36:37], v[18:19]
	v_mul_f64 v[18:19], v[38:39], v[18:19]
	v_fmac_f64_e32 v[42:43], v[34:35], v[12:13]
	v_fma_f64 v[8:9], v[32:33], v[12:13], -v[14:15]
	v_add_f64 v[2:3], v[2:3], v[40:41]
	v_add_f64 v[4:5], v[4:5], v[6:7]
	v_fmac_f64_e32 v[44:45], v[38:39], v[16:17]
	v_fma_f64 v[10:11], v[36:37], v[16:17], -v[18:19]
	v_add_f64 v[2:3], v[2:3], v[42:43]
	v_add_f64 v[4:5], v[4:5], v[8:9]
	;; [unrolled: 1-line block ×4, first 2 shown]
	s_waitcnt vmcnt(0)
	v_add_f64 v[2:3], v[20:21], -v[2:3]
	v_add_f64 v[4:5], v[22:23], -v[6:7]
	scratch_store_dwordx4 off, v[2:5], off offset:736
	s_and_saveexec_b64 s[0:1], vcc
	s_cbranch_execz .LBB113_225
; %bb.224:
	scratch_load_dwordx4 v[2:5], off, s21
	v_mov_b32_e32 v6, 0
	v_mov_b32_e32 v7, v6
	;; [unrolled: 1-line block ×4, first 2 shown]
	v_accvgpr_read_b32 v0, a101
	scratch_store_dwordx4 off, v[6:9], off offset:720
	s_waitcnt vmcnt(1)
	ds_write_b128 v0, v[2:5]
.LBB113_225:
	s_or_b64 exec, exec, s[0:1]
	s_waitcnt lgkmcnt(0)
	; wave barrier
	scratch_load_dwordx4 v[4:7], off, off offset:736
	scratch_load_dwordx4 v[8:11], off, off offset:752
	;; [unrolled: 1-line block ×6, first 2 shown]
	v_mov_b32_e32 v2, 0
	ds_read_b128 v[28:31], v2 offset:1520
	ds_read_b128 v[32:35], v2 offset:1536
	ds_read_b128 v[36:39], v2 offset:1552
	ds_read_b128 v[40:43], v2 offset:1568
	ds_read_b128 v[44:47], v2 offset:1584
	v_cmp_lt_u32_e32 vcc, 43, v240
	s_waitcnt vmcnt(5) lgkmcnt(4)
	v_mul_f64 v[48:49], v[28:29], v[6:7]
	v_mul_f64 v[6:7], v[30:31], v[6:7]
	s_waitcnt vmcnt(4) lgkmcnt(3)
	v_mul_f64 v[50:51], v[32:33], v[10:11]
	s_waitcnt vmcnt(3) lgkmcnt(2)
	v_mul_f64 v[52:53], v[36:37], v[14:15]
	v_mul_f64 v[10:11], v[34:35], v[10:11]
	;; [unrolled: 1-line block ×3, first 2 shown]
	v_fmac_f64_e32 v[48:49], v[30:31], v[4:5]
	v_fma_f64 v[4:5], v[28:29], v[4:5], -v[6:7]
	v_fmac_f64_e32 v[50:51], v[34:35], v[8:9]
	v_fma_f64 v[6:7], v[32:33], v[8:9], -v[10:11]
	v_fma_f64 v[8:9], v[36:37], v[12:13], -v[14:15]
	v_add_f64 v[14:15], v[48:49], 0
	v_add_f64 v[4:5], v[4:5], 0
	s_waitcnt vmcnt(2) lgkmcnt(1)
	v_mul_f64 v[54:55], v[40:41], v[18:19]
	v_mul_f64 v[18:19], v[42:43], v[18:19]
	v_fmac_f64_e32 v[52:53], v[38:39], v[12:13]
	v_add_f64 v[14:15], v[14:15], v[50:51]
	v_add_f64 v[4:5], v[4:5], v[6:7]
	s_waitcnt vmcnt(1) lgkmcnt(0)
	v_mul_f64 v[56:57], v[44:45], v[22:23]
	v_mul_f64 v[22:23], v[46:47], v[22:23]
	v_fmac_f64_e32 v[54:55], v[42:43], v[16:17]
	v_fma_f64 v[10:11], v[40:41], v[16:17], -v[18:19]
	v_add_f64 v[6:7], v[14:15], v[52:53]
	v_add_f64 v[4:5], v[4:5], v[8:9]
	v_fmac_f64_e32 v[56:57], v[46:47], v[20:21]
	v_fma_f64 v[12:13], v[44:45], v[20:21], -v[22:23]
	v_add_f64 v[6:7], v[6:7], v[54:55]
	v_add_f64 v[4:5], v[4:5], v[10:11]
	v_add_f64 v[6:7], v[6:7], v[56:57]
	v_add_f64 v[4:5], v[4:5], v[12:13]
	s_waitcnt vmcnt(0)
	v_add_f64 v[4:5], v[24:25], -v[4:5]
	v_add_f64 v[6:7], v[26:27], -v[6:7]
	scratch_store_dwordx4 off, v[4:7], off offset:720
	s_and_saveexec_b64 s[0:1], vcc
	s_cbranch_execz .LBB113_227
; %bb.226:
	scratch_load_dwordx4 v[6:9], off, s22
	v_mov_b32_e32 v3, v2
	v_mov_b32_e32 v4, v2
	;; [unrolled: 1-line block ×3, first 2 shown]
	v_accvgpr_read_b32 v0, a101
	scratch_store_dwordx4 off, v[2:5], off offset:704
	s_waitcnt vmcnt(1)
	ds_write_b128 v0, v[6:9]
.LBB113_227:
	s_or_b64 exec, exec, s[0:1]
	s_waitcnt lgkmcnt(0)
	; wave barrier
	scratch_load_dwordx4 v[4:7], off, off offset:720
	scratch_load_dwordx4 v[8:11], off, off offset:736
	scratch_load_dwordx4 v[12:15], off, off offset:752
	scratch_load_dwordx4 v[16:19], off, off offset:768
	scratch_load_dwordx4 v[20:23], off, off offset:784
	scratch_load_dwordx4 v[24:27], off, off offset:800
	scratch_load_dwordx4 v[28:31], off, off offset:704
	ds_read_b128 v[32:35], v2 offset:1504
	ds_read_b128 v[36:39], v2 offset:1520
	;; [unrolled: 1-line block ×6, first 2 shown]
	v_cmp_lt_u32_e32 vcc, 42, v240
	s_waitcnt vmcnt(6) lgkmcnt(5)
	v_mul_f64 v[2:3], v[32:33], v[6:7]
	v_mul_f64 v[6:7], v[34:35], v[6:7]
	s_waitcnt vmcnt(5) lgkmcnt(4)
	v_mul_f64 v[56:57], v[36:37], v[10:11]
	v_mul_f64 v[10:11], v[38:39], v[10:11]
	v_fmac_f64_e32 v[2:3], v[34:35], v[4:5]
	v_fma_f64 v[4:5], v[32:33], v[4:5], -v[6:7]
	s_waitcnt vmcnt(4) lgkmcnt(3)
	v_mul_f64 v[58:59], v[40:41], v[14:15]
	v_mul_f64 v[14:15], v[42:43], v[14:15]
	v_fmac_f64_e32 v[56:57], v[38:39], v[8:9]
	v_fma_f64 v[6:7], v[36:37], v[8:9], -v[10:11]
	v_add_f64 v[2:3], v[2:3], 0
	v_add_f64 v[4:5], v[4:5], 0
	s_waitcnt vmcnt(3) lgkmcnt(2)
	v_mul_f64 v[60:61], v[44:45], v[18:19]
	v_mul_f64 v[18:19], v[46:47], v[18:19]
	v_fmac_f64_e32 v[58:59], v[42:43], v[12:13]
	v_fma_f64 v[8:9], v[40:41], v[12:13], -v[14:15]
	v_add_f64 v[2:3], v[2:3], v[56:57]
	v_add_f64 v[4:5], v[4:5], v[6:7]
	;; [unrolled: 7-line block ×4, first 2 shown]
	v_fmac_f64_e32 v[64:65], v[54:55], v[24:25]
	v_fma_f64 v[14:15], v[52:53], v[24:25], -v[26:27]
	v_add_f64 v[2:3], v[2:3], v[62:63]
	v_add_f64 v[4:5], v[4:5], v[12:13]
	;; [unrolled: 1-line block ×4, first 2 shown]
	s_waitcnt vmcnt(0)
	v_add_f64 v[2:3], v[28:29], -v[2:3]
	v_add_f64 v[4:5], v[30:31], -v[6:7]
	scratch_store_dwordx4 off, v[2:5], off offset:704
	s_and_saveexec_b64 s[0:1], vcc
	s_cbranch_execz .LBB113_229
; %bb.228:
	scratch_load_dwordx4 v[2:5], off, s23
	v_mov_b32_e32 v6, 0
	v_mov_b32_e32 v7, v6
	;; [unrolled: 1-line block ×4, first 2 shown]
	v_accvgpr_read_b32 v0, a101
	scratch_store_dwordx4 off, v[6:9], off offset:688
	s_waitcnt vmcnt(1)
	ds_write_b128 v0, v[2:5]
.LBB113_229:
	s_or_b64 exec, exec, s[0:1]
	v_mov_b32_e32 v2, 0
	s_waitcnt lgkmcnt(0)
	; wave barrier
	ds_read_b128 v[4:7], v2 offset:1488
	ds_read_b128 v[8:11], v2 offset:1504
	;; [unrolled: 1-line block ×4, first 2 shown]
	scratch_load_dwordx4 v[20:23], off, off offset:704
	scratch_load_dwordx4 v[40:43], off, off offset:768
	v_cmp_lt_u32_e32 vcc, 41, v240
	scratch_load_dwordx4 v[48:51], off, off offset:784
	scratch_load_dwordx4 v[56:59], off, off offset:800
	s_waitcnt vmcnt(3) lgkmcnt(3)
	v_mul_f64 v[24:25], v[4:5], v[22:23]
	v_fmac_f64_e32 v[24:25], v[6:7], v[20:21]
	v_add_f64 v[28:29], v[24:25], 0
	scratch_load_dwordx4 v[24:27], off, off offset:720
	v_mul_f64 v[6:7], v[6:7], v[22:23]
	v_fma_f64 v[4:5], v[4:5], v[20:21], -v[6:7]
	v_add_f64 v[4:5], v[4:5], 0
	s_waitcnt vmcnt(0) lgkmcnt(2)
	v_mul_f64 v[30:31], v[8:9], v[26:27]
	v_fmac_f64_e32 v[30:31], v[10:11], v[24:25]
	v_add_f64 v[32:33], v[28:29], v[30:31]
	scratch_load_dwordx4 v[28:31], off, off offset:736
	v_mul_f64 v[6:7], v[10:11], v[26:27]
	v_fma_f64 v[6:7], v[8:9], v[24:25], -v[6:7]
	v_add_f64 v[4:5], v[4:5], v[6:7]
	;; [unrolled: 8-line block ×3, first 2 shown]
	s_waitcnt vmcnt(0) lgkmcnt(0)
	v_mul_f64 v[38:39], v[16:17], v[34:35]
	v_fmac_f64_e32 v[38:39], v[18:19], v[32:33]
	v_add_f64 v[44:45], v[36:37], v[38:39]
	ds_read_b128 v[36:39], v2 offset:1552
	v_mul_f64 v[6:7], v[18:19], v[34:35]
	v_fma_f64 v[6:7], v[16:17], v[32:33], -v[6:7]
	v_add_f64 v[4:5], v[4:5], v[6:7]
	s_waitcnt lgkmcnt(0)
	v_mul_f64 v[46:47], v[36:37], v[42:43]
	v_fmac_f64_e32 v[46:47], v[38:39], v[40:41]
	v_add_f64 v[52:53], v[44:45], v[46:47]
	ds_read_b128 v[44:47], v2 offset:1568
	v_mul_f64 v[6:7], v[38:39], v[42:43]
	v_fma_f64 v[6:7], v[36:37], v[40:41], -v[6:7]
	v_add_f64 v[4:5], v[4:5], v[6:7]
	s_waitcnt lgkmcnt(0)
	;; [unrolled: 8-line block ×3, first 2 shown]
	v_mul_f64 v[6:7], v[54:55], v[58:59]
	v_fma_f64 v[6:7], v[52:53], v[56:57], -v[6:7]
	v_add_f64 v[8:9], v[4:5], v[6:7]
	scratch_load_dwordx4 v[4:7], off, off offset:688
	v_mul_f64 v[62:63], v[52:53], v[58:59]
	v_fmac_f64_e32 v[62:63], v[54:55], v[56:57]
	v_add_f64 v[60:61], v[60:61], v[62:63]
	s_waitcnt vmcnt(0)
	v_add_f64 v[4:5], v[4:5], -v[8:9]
	v_add_f64 v[6:7], v[6:7], -v[60:61]
	scratch_store_dwordx4 off, v[4:7], off offset:688
	s_and_saveexec_b64 s[0:1], vcc
	s_cbranch_execz .LBB113_231
; %bb.230:
	scratch_load_dwordx4 v[6:9], off, s24
	v_mov_b32_e32 v3, v2
	v_mov_b32_e32 v4, v2
	;; [unrolled: 1-line block ×3, first 2 shown]
	v_accvgpr_read_b32 v0, a101
	scratch_store_dwordx4 off, v[2:5], off offset:672
	s_waitcnt vmcnt(1)
	ds_write_b128 v0, v[6:9]
.LBB113_231:
	s_or_b64 exec, exec, s[0:1]
	s_waitcnt lgkmcnt(0)
	; wave barrier
	scratch_load_dwordx4 v[4:7], off, off offset:688
	scratch_load_dwordx4 v[8:11], off, off offset:704
	;; [unrolled: 1-line block ×9, first 2 shown]
	ds_read_b128 v[40:43], v2 offset:1472
	ds_read_b128 v[44:47], v2 offset:1488
	;; [unrolled: 1-line block ×8, first 2 shown]
	v_cmp_lt_u32_e32 vcc, 40, v240
	s_waitcnt vmcnt(8) lgkmcnt(7)
	v_mul_f64 v[2:3], v[40:41], v[6:7]
	v_mul_f64 v[6:7], v[42:43], v[6:7]
	s_waitcnt vmcnt(7) lgkmcnt(6)
	v_mul_f64 v[72:73], v[44:45], v[10:11]
	v_mul_f64 v[10:11], v[46:47], v[10:11]
	v_fmac_f64_e32 v[2:3], v[42:43], v[4:5]
	v_fma_f64 v[4:5], v[40:41], v[4:5], -v[6:7]
	s_waitcnt vmcnt(6) lgkmcnt(5)
	v_mul_f64 v[74:75], v[48:49], v[14:15]
	v_mul_f64 v[14:15], v[50:51], v[14:15]
	v_fmac_f64_e32 v[72:73], v[46:47], v[8:9]
	v_fma_f64 v[6:7], v[44:45], v[8:9], -v[10:11]
	v_add_f64 v[2:3], v[2:3], 0
	v_add_f64 v[4:5], v[4:5], 0
	s_waitcnt vmcnt(5) lgkmcnt(4)
	v_mul_f64 v[76:77], v[52:53], v[18:19]
	v_mul_f64 v[18:19], v[54:55], v[18:19]
	v_fmac_f64_e32 v[74:75], v[50:51], v[12:13]
	v_fma_f64 v[8:9], v[48:49], v[12:13], -v[14:15]
	v_add_f64 v[2:3], v[2:3], v[72:73]
	v_add_f64 v[4:5], v[4:5], v[6:7]
	;; [unrolled: 7-line block ×6, first 2 shown]
	v_fmac_f64_e32 v[84:85], v[70:71], v[32:33]
	v_fma_f64 v[18:19], v[68:69], v[32:33], -v[34:35]
	v_add_f64 v[2:3], v[2:3], v[82:83]
	v_add_f64 v[4:5], v[4:5], v[16:17]
	;; [unrolled: 1-line block ×4, first 2 shown]
	s_waitcnt vmcnt(0)
	v_add_f64 v[2:3], v[36:37], -v[2:3]
	v_add_f64 v[4:5], v[38:39], -v[6:7]
	scratch_store_dwordx4 off, v[2:5], off offset:672
	s_and_saveexec_b64 s[0:1], vcc
	s_cbranch_execz .LBB113_233
; %bb.232:
	scratch_load_dwordx4 v[2:5], off, s25
	v_mov_b32_e32 v6, 0
	v_mov_b32_e32 v7, v6
	;; [unrolled: 1-line block ×4, first 2 shown]
	v_accvgpr_read_b32 v0, a101
	scratch_store_dwordx4 off, v[6:9], off offset:656
	s_waitcnt vmcnt(1)
	ds_write_b128 v0, v[2:5]
.LBB113_233:
	s_or_b64 exec, exec, s[0:1]
	s_waitcnt lgkmcnt(0)
	; wave barrier
	scratch_load_dwordx4 v[4:7], off, off offset:672
	scratch_load_dwordx4 v[8:11], off, off offset:688
	;; [unrolled: 1-line block ×10, first 2 shown]
	v_mov_b32_e32 v2, 0
	ds_read_b128 v[44:47], v2 offset:1456
	ds_read_b128 v[48:51], v2 offset:1472
	;; [unrolled: 1-line block ×9, first 2 shown]
	v_cmp_lt_u32_e32 vcc, 39, v240
	s_waitcnt vmcnt(9) lgkmcnt(8)
	v_mul_f64 v[80:81], v[44:45], v[6:7]
	v_mul_f64 v[6:7], v[46:47], v[6:7]
	s_waitcnt vmcnt(8) lgkmcnt(7)
	v_mul_f64 v[82:83], v[48:49], v[10:11]
	s_waitcnt vmcnt(7) lgkmcnt(6)
	;; [unrolled: 2-line block ×3, first 2 shown]
	v_mul_f64 v[88:89], v[60:61], v[22:23]
	v_mul_f64 v[10:11], v[50:51], v[10:11]
	;; [unrolled: 1-line block ×4, first 2 shown]
	v_fmac_f64_e32 v[80:81], v[46:47], v[4:5]
	v_fma_f64 v[4:5], v[44:45], v[4:5], -v[6:7]
	v_fmac_f64_e32 v[82:83], v[50:51], v[8:9]
	v_fmac_f64_e32 v[84:85], v[54:55], v[12:13]
	v_fma_f64 v[6:7], v[48:49], v[8:9], -v[10:11]
	v_fma_f64 v[8:9], v[52:53], v[12:13], -v[14:15]
	;; [unrolled: 1-line block ×3, first 2 shown]
	v_add_f64 v[22:23], v[80:81], 0
	v_add_f64 v[4:5], v[4:5], 0
	v_mul_f64 v[86:87], v[56:57], v[18:19]
	v_mul_f64 v[18:19], v[58:59], v[18:19]
	v_add_f64 v[22:23], v[22:23], v[82:83]
	v_add_f64 v[4:5], v[4:5], v[6:7]
	v_fmac_f64_e32 v[86:87], v[58:59], v[16:17]
	v_fma_f64 v[10:11], v[56:57], v[16:17], -v[18:19]
	v_add_f64 v[6:7], v[22:23], v[84:85]
	v_add_f64 v[4:5], v[4:5], v[8:9]
	s_waitcnt vmcnt(4) lgkmcnt(3)
	v_mul_f64 v[90:91], v[64:65], v[26:27]
	v_mul_f64 v[26:27], v[66:67], v[26:27]
	v_fmac_f64_e32 v[88:89], v[62:63], v[20:21]
	v_add_f64 v[6:7], v[6:7], v[86:87]
	v_add_f64 v[4:5], v[4:5], v[10:11]
	s_waitcnt vmcnt(3) lgkmcnt(2)
	v_mul_f64 v[92:93], v[68:69], v[30:31]
	v_mul_f64 v[30:31], v[70:71], v[30:31]
	v_fmac_f64_e32 v[90:91], v[66:67], v[24:25]
	v_fma_f64 v[14:15], v[64:65], v[24:25], -v[26:27]
	v_add_f64 v[6:7], v[6:7], v[88:89]
	v_add_f64 v[4:5], v[4:5], v[12:13]
	s_waitcnt vmcnt(2) lgkmcnt(1)
	v_mul_f64 v[94:95], v[72:73], v[34:35]
	v_mul_f64 v[34:35], v[74:75], v[34:35]
	v_fmac_f64_e32 v[92:93], v[70:71], v[28:29]
	v_fma_f64 v[16:17], v[68:69], v[28:29], -v[30:31]
	;; [unrolled: 7-line block ×3, first 2 shown]
	v_add_f64 v[6:7], v[6:7], v[92:93]
	v_add_f64 v[4:5], v[4:5], v[16:17]
	v_fmac_f64_e32 v[96:97], v[78:79], v[36:37]
	v_fma_f64 v[20:21], v[76:77], v[36:37], -v[38:39]
	v_add_f64 v[6:7], v[6:7], v[94:95]
	v_add_f64 v[4:5], v[4:5], v[18:19]
	;; [unrolled: 1-line block ×4, first 2 shown]
	s_waitcnt vmcnt(0)
	v_add_f64 v[4:5], v[40:41], -v[4:5]
	v_add_f64 v[6:7], v[42:43], -v[6:7]
	scratch_store_dwordx4 off, v[4:7], off offset:656
	s_and_saveexec_b64 s[0:1], vcc
	s_cbranch_execz .LBB113_235
; %bb.234:
	scratch_load_dwordx4 v[6:9], off, s26
	v_mov_b32_e32 v3, v2
	v_mov_b32_e32 v4, v2
	;; [unrolled: 1-line block ×3, first 2 shown]
	v_accvgpr_read_b32 v0, a101
	scratch_store_dwordx4 off, v[2:5], off offset:640
	s_waitcnt vmcnt(1)
	ds_write_b128 v0, v[6:9]
.LBB113_235:
	s_or_b64 exec, exec, s[0:1]
	s_waitcnt lgkmcnt(0)
	; wave barrier
	scratch_load_dwordx4 v[4:7], off, off offset:656
	scratch_load_dwordx4 v[8:11], off, off offset:672
	;; [unrolled: 1-line block ×11, first 2 shown]
	ds_read_b128 v[48:51], v2 offset:1440
	ds_read_b128 v[52:55], v2 offset:1456
	;; [unrolled: 1-line block ×10, first 2 shown]
	v_cmp_lt_u32_e32 vcc, 38, v240
	s_waitcnt vmcnt(10) lgkmcnt(9)
	v_mul_f64 v[2:3], v[48:49], v[6:7]
	v_mul_f64 v[6:7], v[50:51], v[6:7]
	s_waitcnt vmcnt(9) lgkmcnt(8)
	v_mul_f64 v[88:89], v[52:53], v[10:11]
	v_mul_f64 v[10:11], v[54:55], v[10:11]
	v_fmac_f64_e32 v[2:3], v[50:51], v[4:5]
	v_fma_f64 v[4:5], v[48:49], v[4:5], -v[6:7]
	s_waitcnt vmcnt(8) lgkmcnt(7)
	v_mul_f64 v[90:91], v[56:57], v[14:15]
	v_mul_f64 v[14:15], v[58:59], v[14:15]
	v_fmac_f64_e32 v[88:89], v[54:55], v[8:9]
	v_fma_f64 v[6:7], v[52:53], v[8:9], -v[10:11]
	v_add_f64 v[2:3], v[2:3], 0
	v_add_f64 v[4:5], v[4:5], 0
	s_waitcnt vmcnt(7) lgkmcnt(6)
	v_mul_f64 v[92:93], v[60:61], v[18:19]
	v_mul_f64 v[18:19], v[62:63], v[18:19]
	v_fmac_f64_e32 v[90:91], v[58:59], v[12:13]
	v_fma_f64 v[8:9], v[56:57], v[12:13], -v[14:15]
	v_add_f64 v[2:3], v[2:3], v[88:89]
	v_add_f64 v[4:5], v[4:5], v[6:7]
	;; [unrolled: 7-line block ×8, first 2 shown]
	v_fmac_f64_e32 v[104:105], v[86:87], v[40:41]
	v_fma_f64 v[22:23], v[84:85], v[40:41], -v[42:43]
	v_add_f64 v[2:3], v[2:3], v[102:103]
	v_add_f64 v[4:5], v[4:5], v[20:21]
	;; [unrolled: 1-line block ×4, first 2 shown]
	s_waitcnt vmcnt(0)
	v_add_f64 v[2:3], v[44:45], -v[2:3]
	v_add_f64 v[4:5], v[46:47], -v[6:7]
	scratch_store_dwordx4 off, v[2:5], off offset:640
	s_and_saveexec_b64 s[0:1], vcc
	s_cbranch_execz .LBB113_237
; %bb.236:
	scratch_load_dwordx4 v[2:5], off, s27
	v_mov_b32_e32 v6, 0
	v_mov_b32_e32 v7, v6
	;; [unrolled: 1-line block ×4, first 2 shown]
	v_accvgpr_read_b32 v0, a101
	scratch_store_dwordx4 off, v[6:9], off offset:624
	s_waitcnt vmcnt(1)
	ds_write_b128 v0, v[2:5]
.LBB113_237:
	s_or_b64 exec, exec, s[0:1]
	s_waitcnt lgkmcnt(0)
	; wave barrier
	scratch_load_dwordx4 v[4:7], off, off offset:640
	scratch_load_dwordx4 v[8:11], off, off offset:656
	;; [unrolled: 1-line block ×12, first 2 shown]
	v_mov_b32_e32 v2, 0
	ds_read_b128 v[52:55], v2 offset:1424
	ds_read_b128 v[56:59], v2 offset:1440
	;; [unrolled: 1-line block ×11, first 2 shown]
	v_cmp_lt_u32_e32 vcc, 37, v240
	s_waitcnt vmcnt(11) lgkmcnt(10)
	v_mul_f64 v[96:97], v[52:53], v[6:7]
	v_mul_f64 v[6:7], v[54:55], v[6:7]
	s_waitcnt vmcnt(10) lgkmcnt(9)
	v_mul_f64 v[98:99], v[56:57], v[10:11]
	s_waitcnt vmcnt(9) lgkmcnt(8)
	v_mul_f64 v[100:101], v[60:61], v[14:15]
	v_mul_f64 v[10:11], v[58:59], v[10:11]
	s_waitcnt vmcnt(6) lgkmcnt(5)
	v_mul_f64 v[106:107], v[72:73], v[26:27]
	v_mul_f64 v[14:15], v[62:63], v[14:15]
	;; [unrolled: 1-line block ×3, first 2 shown]
	v_fmac_f64_e32 v[96:97], v[54:55], v[4:5]
	v_fma_f64 v[4:5], v[52:53], v[4:5], -v[6:7]
	v_fmac_f64_e32 v[98:99], v[58:59], v[8:9]
	v_fma_f64 v[6:7], v[56:57], v[8:9], -v[10:11]
	v_fma_f64 v[8:9], v[60:61], v[12:13], -v[14:15]
	;; [unrolled: 1-line block ×3, first 2 shown]
	v_add_f64 v[26:27], v[96:97], 0
	v_add_f64 v[4:5], v[4:5], 0
	v_mul_f64 v[102:103], v[64:65], v[18:19]
	v_mul_f64 v[18:19], v[66:67], v[18:19]
	v_fmac_f64_e32 v[100:101], v[62:63], v[12:13]
	v_add_f64 v[26:27], v[26:27], v[98:99]
	v_add_f64 v[4:5], v[4:5], v[6:7]
	v_mul_f64 v[104:105], v[68:69], v[22:23]
	v_mul_f64 v[22:23], v[70:71], v[22:23]
	v_fmac_f64_e32 v[102:103], v[66:67], v[16:17]
	v_fma_f64 v[10:11], v[64:65], v[16:17], -v[18:19]
	v_add_f64 v[6:7], v[26:27], v[100:101]
	v_add_f64 v[4:5], v[4:5], v[8:9]
	v_fmac_f64_e32 v[104:105], v[70:71], v[20:21]
	v_fma_f64 v[12:13], v[68:69], v[20:21], -v[22:23]
	v_add_f64 v[6:7], v[6:7], v[102:103]
	v_add_f64 v[4:5], v[4:5], v[10:11]
	s_waitcnt vmcnt(5) lgkmcnt(4)
	v_mul_f64 v[108:109], v[76:77], v[30:31]
	v_mul_f64 v[30:31], v[78:79], v[30:31]
	v_fmac_f64_e32 v[106:107], v[74:75], v[24:25]
	v_add_f64 v[6:7], v[6:7], v[104:105]
	v_add_f64 v[4:5], v[4:5], v[12:13]
	s_waitcnt vmcnt(4) lgkmcnt(3)
	v_mul_f64 v[110:111], v[80:81], v[34:35]
	v_mul_f64 v[34:35], v[82:83], v[34:35]
	v_fmac_f64_e32 v[108:109], v[78:79], v[28:29]
	v_fma_f64 v[16:17], v[76:77], v[28:29], -v[30:31]
	v_add_f64 v[6:7], v[6:7], v[106:107]
	v_add_f64 v[4:5], v[4:5], v[14:15]
	s_waitcnt vmcnt(3) lgkmcnt(2)
	v_mul_f64 v[112:113], v[84:85], v[38:39]
	v_mul_f64 v[38:39], v[86:87], v[38:39]
	v_fmac_f64_e32 v[110:111], v[82:83], v[32:33]
	v_fma_f64 v[18:19], v[80:81], v[32:33], -v[34:35]
	;; [unrolled: 7-line block ×4, first 2 shown]
	v_add_f64 v[6:7], v[6:7], v[112:113]
	v_add_f64 v[4:5], v[4:5], v[20:21]
	v_fmac_f64_e32 v[116:117], v[94:95], v[44:45]
	v_fma_f64 v[24:25], v[92:93], v[44:45], -v[46:47]
	v_add_f64 v[6:7], v[6:7], v[114:115]
	v_add_f64 v[4:5], v[4:5], v[22:23]
	;; [unrolled: 1-line block ×4, first 2 shown]
	s_waitcnt vmcnt(0)
	v_add_f64 v[4:5], v[48:49], -v[4:5]
	v_add_f64 v[6:7], v[50:51], -v[6:7]
	scratch_store_dwordx4 off, v[4:7], off offset:624
	s_and_saveexec_b64 s[0:1], vcc
	s_cbranch_execz .LBB113_239
; %bb.238:
	scratch_load_dwordx4 v[6:9], off, s28
	v_mov_b32_e32 v3, v2
	v_mov_b32_e32 v4, v2
	;; [unrolled: 1-line block ×3, first 2 shown]
	v_accvgpr_read_b32 v0, a101
	scratch_store_dwordx4 off, v[2:5], off offset:608
	s_waitcnt vmcnt(1)
	ds_write_b128 v0, v[6:9]
.LBB113_239:
	s_or_b64 exec, exec, s[0:1]
	s_waitcnt lgkmcnt(0)
	; wave barrier
	scratch_load_dwordx4 v[4:7], off, off offset:624
	scratch_load_dwordx4 v[8:11], off, off offset:640
	;; [unrolled: 1-line block ×12, first 2 shown]
	ds_read_b128 v[52:55], v2 offset:1408
	ds_read_b128 v[56:59], v2 offset:1424
	;; [unrolled: 1-line block ×4, first 2 shown]
	scratch_load_dwordx4 v[68:71], off, off offset:608
	ds_read_b128 v[72:75], v2 offset:1472
	ds_read_b128 v[76:79], v2 offset:1488
	;; [unrolled: 1-line block ×8, first 2 shown]
	v_cmp_lt_u32_e32 vcc, 36, v240
	s_waitcnt vmcnt(12) lgkmcnt(11)
	v_mul_f64 v[2:3], v[52:53], v[6:7]
	s_waitcnt vmcnt(11) lgkmcnt(10)
	v_mul_f64 v[104:105], v[56:57], v[10:11]
	v_fmac_f64_e32 v[2:3], v[54:55], v[4:5]
	s_waitcnt vmcnt(10) lgkmcnt(9)
	v_mul_f64 v[106:107], v[60:61], v[14:15]
	v_mul_f64 v[6:7], v[54:55], v[6:7]
	v_fmac_f64_e32 v[104:105], v[58:59], v[8:9]
	v_add_f64 v[2:3], v[2:3], 0
	s_waitcnt vmcnt(9) lgkmcnt(8)
	v_mul_f64 v[108:109], v[64:65], v[18:19]
	v_mul_f64 v[10:11], v[58:59], v[10:11]
	v_fmac_f64_e32 v[106:107], v[62:63], v[12:13]
	v_fma_f64 v[4:5], v[52:53], v[4:5], -v[6:7]
	v_add_f64 v[2:3], v[2:3], v[104:105]
	s_waitcnt vmcnt(8) lgkmcnt(7)
	v_mul_f64 v[110:111], v[72:73], v[22:23]
	v_mul_f64 v[14:15], v[62:63], v[14:15]
	v_fmac_f64_e32 v[108:109], v[66:67], v[16:17]
	v_fma_f64 v[6:7], v[56:57], v[8:9], -v[10:11]
	v_add_f64 v[4:5], v[4:5], 0
	v_add_f64 v[2:3], v[2:3], v[106:107]
	s_waitcnt vmcnt(7) lgkmcnt(6)
	v_mul_f64 v[112:113], v[76:77], v[26:27]
	v_mul_f64 v[18:19], v[66:67], v[18:19]
	v_fmac_f64_e32 v[110:111], v[74:75], v[20:21]
	v_fma_f64 v[8:9], v[60:61], v[12:13], -v[14:15]
	v_add_f64 v[4:5], v[4:5], v[6:7]
	;; [unrolled: 7-line block ×8, first 2 shown]
	v_add_f64 v[2:3], v[2:3], v[120:121]
	v_mul_f64 v[46:47], v[98:99], v[46:47]
	v_fmac_f64_e32 v[124:125], v[102:103], v[48:49]
	v_fma_f64 v[22:23], v[92:93], v[40:41], -v[42:43]
	v_add_f64 v[4:5], v[4:5], v[20:21]
	v_add_f64 v[2:3], v[2:3], v[122:123]
	;; [unrolled: 1-line block ×4, first 2 shown]
	v_fma_f64 v[2:3], v[96:97], v[44:45], -v[46:47]
	v_add_f64 v[2:3], v[4:5], v[2:3]
	v_mul_f64 v[4:5], v[102:103], v[50:51]
	v_fma_f64 v[4:5], v[100:101], v[48:49], -v[4:5]
	v_add_f64 v[2:3], v[2:3], v[4:5]
	s_waitcnt vmcnt(0)
	v_add_f64 v[2:3], v[68:69], -v[2:3]
	v_add_f64 v[4:5], v[70:71], -v[6:7]
	scratch_store_dwordx4 off, v[2:5], off offset:608
	s_and_saveexec_b64 s[0:1], vcc
	s_cbranch_execz .LBB113_241
; %bb.240:
	scratch_load_dwordx4 v[2:5], off, s29
	v_mov_b32_e32 v6, 0
	v_mov_b32_e32 v7, v6
	;; [unrolled: 1-line block ×4, first 2 shown]
	v_accvgpr_read_b32 v0, a101
	scratch_store_dwordx4 off, v[6:9], off offset:592
	s_waitcnt vmcnt(1)
	ds_write_b128 v0, v[2:5]
.LBB113_241:
	s_or_b64 exec, exec, s[0:1]
	s_waitcnt lgkmcnt(0)
	; wave barrier
	scratch_load_dwordx4 v[4:7], off, off offset:608
	scratch_load_dwordx4 v[8:11], off, off offset:624
	;; [unrolled: 1-line block ×14, first 2 shown]
	v_mov_b32_e32 v2, 0
	ds_read_b128 v[60:63], v2 offset:1392
	ds_read_b128 v[64:67], v2 offset:1408
	;; [unrolled: 1-line block ×13, first 2 shown]
	v_cmp_lt_u32_e32 vcc, 35, v240
	s_waitcnt vmcnt(13) lgkmcnt(12)
	v_mul_f64 v[112:113], v[60:61], v[6:7]
	v_mul_f64 v[6:7], v[62:63], v[6:7]
	s_waitcnt vmcnt(12) lgkmcnt(11)
	v_mul_f64 v[114:115], v[64:65], v[10:11]
	v_mul_f64 v[10:11], v[66:67], v[10:11]
	v_fmac_f64_e32 v[112:113], v[62:63], v[4:5]
	v_fma_f64 v[4:5], v[60:61], v[4:5], -v[6:7]
	s_waitcnt vmcnt(11) lgkmcnt(10)
	v_mul_f64 v[116:117], v[68:69], v[14:15]
	v_mul_f64 v[14:15], v[70:71], v[14:15]
	v_fma_f64 v[6:7], v[64:65], v[8:9], -v[10:11]
	v_add_f64 v[4:5], v[4:5], 0
	s_waitcnt vmcnt(10) lgkmcnt(9)
	v_mul_f64 v[118:119], v[72:73], v[18:19]
	v_mul_f64 v[18:19], v[74:75], v[18:19]
	v_fmac_f64_e32 v[114:115], v[66:67], v[8:9]
	v_fma_f64 v[8:9], v[68:69], v[12:13], -v[14:15]
	v_add_f64 v[4:5], v[4:5], v[6:7]
	s_waitcnt vmcnt(9) lgkmcnt(8)
	v_mul_f64 v[120:121], v[76:77], v[22:23]
	v_mul_f64 v[22:23], v[78:79], v[22:23]
	v_fma_f64 v[10:11], v[72:73], v[16:17], -v[18:19]
	v_add_f64 v[4:5], v[4:5], v[8:9]
	s_waitcnt vmcnt(8) lgkmcnt(7)
	v_mul_f64 v[122:123], v[80:81], v[26:27]
	v_mul_f64 v[26:27], v[82:83], v[26:27]
	v_fmac_f64_e32 v[116:117], v[70:71], v[12:13]
	v_fma_f64 v[12:13], v[76:77], v[20:21], -v[22:23]
	v_add_f64 v[22:23], v[112:113], 0
	v_add_f64 v[4:5], v[4:5], v[10:11]
	s_waitcnt vmcnt(7) lgkmcnt(6)
	v_mul_f64 v[124:125], v[84:85], v[30:31]
	v_mul_f64 v[30:31], v[86:87], v[30:31]
	v_fma_f64 v[14:15], v[80:81], v[24:25], -v[26:27]
	v_add_f64 v[22:23], v[22:23], v[114:115]
	v_add_f64 v[4:5], v[4:5], v[12:13]
	s_waitcnt vmcnt(6) lgkmcnt(5)
	v_mul_f64 v[126:127], v[88:89], v[34:35]
	v_mul_f64 v[34:35], v[90:91], v[34:35]
	v_fmac_f64_e32 v[118:119], v[74:75], v[16:17]
	v_fma_f64 v[16:17], v[84:85], v[28:29], -v[30:31]
	v_add_f64 v[6:7], v[22:23], v[116:117]
	v_add_f64 v[4:5], v[4:5], v[14:15]
	s_waitcnt vmcnt(5) lgkmcnt(4)
	v_mul_f64 v[128:129], v[92:93], v[38:39]
	v_mul_f64 v[38:39], v[94:95], v[38:39]
	v_fmac_f64_e32 v[120:121], v[78:79], v[20:21]
	v_fma_f64 v[18:19], v[88:89], v[32:33], -v[34:35]
	v_add_f64 v[6:7], v[6:7], v[118:119]
	v_add_f64 v[4:5], v[4:5], v[16:17]
	v_fmac_f64_e32 v[122:123], v[82:83], v[24:25]
	v_fma_f64 v[20:21], v[92:93], v[36:37], -v[38:39]
	v_add_f64 v[6:7], v[6:7], v[120:121]
	v_add_f64 v[4:5], v[4:5], v[18:19]
	s_waitcnt vmcnt(4) lgkmcnt(3)
	v_mul_f64 v[8:9], v[98:99], v[42:43]
	v_fmac_f64_e32 v[124:125], v[86:87], v[28:29]
	v_add_f64 v[6:7], v[6:7], v[122:123]
	v_add_f64 v[4:5], v[4:5], v[20:21]
	v_fma_f64 v[8:9], v[96:97], v[40:41], -v[8:9]
	v_fmac_f64_e32 v[126:127], v[90:91], v[32:33]
	v_add_f64 v[6:7], v[6:7], v[124:125]
	v_add_f64 v[4:5], v[4:5], v[8:9]
	s_waitcnt vmcnt(3) lgkmcnt(2)
	v_mul_f64 v[8:9], v[102:103], v[46:47]
	v_mul_f64 v[130:131], v[96:97], v[42:43]
	v_fmac_f64_e32 v[128:129], v[94:95], v[36:37]
	v_add_f64 v[6:7], v[6:7], v[126:127]
	v_fma_f64 v[8:9], v[100:101], v[44:45], -v[8:9]
	v_mul_f64 v[132:133], v[100:101], v[46:47]
	v_fmac_f64_e32 v[130:131], v[98:99], v[40:41]
	v_add_f64 v[6:7], v[6:7], v[128:129]
	v_add_f64 v[4:5], v[4:5], v[8:9]
	s_waitcnt vmcnt(2) lgkmcnt(1)
	v_mul_f64 v[8:9], v[106:107], v[50:51]
	v_mul_f64 v[134:135], v[104:105], v[50:51]
	v_fmac_f64_e32 v[132:133], v[102:103], v[44:45]
	v_add_f64 v[6:7], v[6:7], v[130:131]
	v_fma_f64 v[8:9], v[104:105], v[48:49], -v[8:9]
	s_waitcnt vmcnt(1) lgkmcnt(0)
	v_mul_f64 v[136:137], v[108:109], v[54:55]
	v_fmac_f64_e32 v[134:135], v[106:107], v[48:49]
	v_add_f64 v[6:7], v[6:7], v[132:133]
	v_add_f64 v[4:5], v[4:5], v[8:9]
	v_mul_f64 v[8:9], v[110:111], v[54:55]
	v_fmac_f64_e32 v[136:137], v[110:111], v[52:53]
	v_add_f64 v[6:7], v[6:7], v[134:135]
	v_fma_f64 v[8:9], v[108:109], v[52:53], -v[8:9]
	v_add_f64 v[6:7], v[6:7], v[136:137]
	v_add_f64 v[4:5], v[4:5], v[8:9]
	s_waitcnt vmcnt(0)
	v_add_f64 v[4:5], v[56:57], -v[4:5]
	v_add_f64 v[6:7], v[58:59], -v[6:7]
	scratch_store_dwordx4 off, v[4:7], off offset:592
	s_and_saveexec_b64 s[0:1], vcc
	s_cbranch_execz .LBB113_243
; %bb.242:
	scratch_load_dwordx4 v[6:9], off, s30
	v_mov_b32_e32 v3, v2
	v_mov_b32_e32 v4, v2
	;; [unrolled: 1-line block ×3, first 2 shown]
	v_accvgpr_read_b32 v0, a101
	scratch_store_dwordx4 off, v[2:5], off offset:576
	s_waitcnt vmcnt(1)
	ds_write_b128 v0, v[6:9]
.LBB113_243:
	s_or_b64 exec, exec, s[0:1]
	s_waitcnt lgkmcnt(0)
	; wave barrier
	scratch_load_dwordx4 v[4:7], off, off offset:592
	scratch_load_dwordx4 v[8:11], off, off offset:608
	;; [unrolled: 1-line block ×14, first 2 shown]
	ds_read_b128 v[60:63], v2 offset:1376
	ds_read_b128 v[64:67], v2 offset:1392
	;; [unrolled: 1-line block ×14, first 2 shown]
	scratch_load_dwordx4 v[116:119], off, off offset:576
	v_cmp_lt_u32_e32 vcc, 34, v240
	s_waitcnt vmcnt(14) lgkmcnt(13)
	v_mul_f64 v[2:3], v[60:61], v[6:7]
	s_waitcnt vmcnt(13) lgkmcnt(12)
	v_mul_f64 v[120:121], v[64:65], v[10:11]
	v_fmac_f64_e32 v[2:3], v[62:63], v[4:5]
	s_waitcnt vmcnt(12) lgkmcnt(11)
	v_mul_f64 v[122:123], v[68:69], v[14:15]
	v_fmac_f64_e32 v[120:121], v[66:67], v[8:9]
	v_add_f64 v[2:3], v[2:3], 0
	s_waitcnt vmcnt(11) lgkmcnt(10)
	v_mul_f64 v[124:125], v[72:73], v[18:19]
	v_fmac_f64_e32 v[122:123], v[70:71], v[12:13]
	v_add_f64 v[2:3], v[2:3], v[120:121]
	;; [unrolled: 4-line block ×4, first 2 shown]
	s_waitcnt vmcnt(8) lgkmcnt(7)
	v_mul_f64 v[130:131], v[84:85], v[30:31]
	v_mul_f64 v[6:7], v[62:63], v[6:7]
	v_fmac_f64_e32 v[128:129], v[82:83], v[24:25]
	v_add_f64 v[2:3], v[2:3], v[126:127]
	s_waitcnt vmcnt(7) lgkmcnt(6)
	v_mul_f64 v[132:133], v[88:89], v[34:35]
	v_mul_f64 v[10:11], v[66:67], v[10:11]
	v_fmac_f64_e32 v[130:131], v[86:87], v[28:29]
	v_fma_f64 v[4:5], v[60:61], v[4:5], -v[6:7]
	v_add_f64 v[2:3], v[2:3], v[128:129]
	s_waitcnt vmcnt(6) lgkmcnt(5)
	v_mul_f64 v[134:135], v[92:93], v[38:39]
	v_mul_f64 v[14:15], v[70:71], v[14:15]
	v_fmac_f64_e32 v[132:133], v[90:91], v[32:33]
	v_fma_f64 v[6:7], v[64:65], v[8:9], -v[10:11]
	v_add_f64 v[4:5], v[4:5], 0
	v_add_f64 v[2:3], v[2:3], v[130:131]
	s_waitcnt vmcnt(5) lgkmcnt(4)
	v_mul_f64 v[136:137], v[96:97], v[42:43]
	v_mul_f64 v[18:19], v[74:75], v[18:19]
	v_fmac_f64_e32 v[134:135], v[94:95], v[36:37]
	v_fma_f64 v[8:9], v[68:69], v[12:13], -v[14:15]
	v_add_f64 v[4:5], v[4:5], v[6:7]
	;; [unrolled: 7-line block ×6, first 2 shown]
	v_add_f64 v[2:3], v[2:3], v[140:141]
	v_fmac_f64_e32 v[144:145], v[114:115], v[56:57]
	v_fma_f64 v[18:19], v[88:89], v[32:33], -v[34:35]
	v_add_f64 v[4:5], v[4:5], v[16:17]
	v_add_f64 v[2:3], v[2:3], v[142:143]
	;; [unrolled: 1-line block ×4, first 2 shown]
	v_mul_f64 v[4:5], v[94:95], v[38:39]
	v_fma_f64 v[4:5], v[92:93], v[36:37], -v[4:5]
	v_add_f64 v[2:3], v[2:3], v[4:5]
	v_mul_f64 v[4:5], v[98:99], v[42:43]
	v_fma_f64 v[4:5], v[96:97], v[40:41], -v[4:5]
	v_add_f64 v[2:3], v[2:3], v[4:5]
	;; [unrolled: 3-line block ×6, first 2 shown]
	s_waitcnt vmcnt(0)
	v_add_f64 v[2:3], v[116:117], -v[2:3]
	v_add_f64 v[4:5], v[118:119], -v[6:7]
	scratch_store_dwordx4 off, v[2:5], off offset:576
	s_and_saveexec_b64 s[0:1], vcc
	s_cbranch_execz .LBB113_245
; %bb.244:
	scratch_load_dwordx4 v[2:5], off, s31
	v_mov_b32_e32 v6, 0
	v_mov_b32_e32 v7, v6
	v_mov_b32_e32 v8, v6
	v_mov_b32_e32 v9, v6
	v_accvgpr_read_b32 v0, a101
	scratch_store_dwordx4 off, v[6:9], off offset:560
	s_waitcnt vmcnt(1)
	ds_write_b128 v0, v[2:5]
.LBB113_245:
	s_or_b64 exec, exec, s[0:1]
	v_mov_b32_e32 v2, 0
	s_waitcnt lgkmcnt(0)
	; wave barrier
	ds_read_b128 v[16:19], v2 offset:1360
	ds_read_b128 v[12:15], v2 offset:1376
	;; [unrolled: 1-line block ×4, first 2 shown]
	scratch_load_dwordx4 v[20:23], off, off offset:576
	scratch_load_dwordx4 v[40:43], off, off offset:640
	;; [unrolled: 1-line block ×9, first 2 shown]
	v_cmp_lt_u32_e32 vcc, 33, v240
	scratch_load_dwordx4 v[50:53], off, off offset:656
	scratch_load_dwordx4 v[58:61], off, off offset:672
	;; [unrolled: 1-line block ×3, first 2 shown]
	s_waitcnt vmcnt(11) lgkmcnt(3)
	v_mul_f64 v[24:25], v[16:17], v[22:23]
	v_fmac_f64_e32 v[24:25], v[18:19], v[20:21]
	v_add_f64 v[28:29], v[24:25], 0
	scratch_load_dwordx4 v[24:27], off, off offset:592
	v_mul_f64 v[18:19], v[18:19], v[22:23]
	v_fma_f64 v[16:17], v[16:17], v[20:21], -v[18:19]
	v_add_f64 v[16:17], v[16:17], 0
	s_waitcnt vmcnt(0) lgkmcnt(2)
	v_mul_f64 v[30:31], v[12:13], v[26:27]
	v_fmac_f64_e32 v[30:31], v[14:15], v[24:25]
	v_add_f64 v[32:33], v[28:29], v[30:31]
	scratch_load_dwordx4 v[28:31], off, off offset:608
	v_mul_f64 v[14:15], v[14:15], v[26:27]
	v_fma_f64 v[12:13], v[12:13], v[24:25], -v[14:15]
	v_add_f64 v[12:13], v[16:17], v[12:13]
	;; [unrolled: 8-line block ×3, first 2 shown]
	s_waitcnt vmcnt(0) lgkmcnt(0)
	v_mul_f64 v[38:39], v[4:5], v[34:35]
	v_fmac_f64_e32 v[38:39], v[6:7], v[32:33]
	v_add_f64 v[44:45], v[36:37], v[38:39]
	ds_read_b128 v[36:39], v2 offset:1424
	v_mul_f64 v[6:7], v[6:7], v[34:35]
	v_fma_f64 v[4:5], v[4:5], v[32:33], -v[6:7]
	v_add_f64 v[4:5], v[8:9], v[4:5]
	s_waitcnt lgkmcnt(0)
	v_mul_f64 v[46:47], v[36:37], v[42:43]
	v_fmac_f64_e32 v[46:47], v[38:39], v[40:41]
	v_add_f64 v[48:49], v[44:45], v[46:47]
	ds_read_b128 v[44:47], v2 offset:1440
	v_mul_f64 v[6:7], v[38:39], v[42:43]
	v_fma_f64 v[6:7], v[36:37], v[40:41], -v[6:7]
	v_add_f64 v[4:5], v[4:5], v[6:7]
	s_waitcnt lgkmcnt(0)
	;; [unrolled: 8-line block ×11, first 2 shown]
	v_mul_f64 v[6:7], v[120:121], v[124:125]
	v_fma_f64 v[6:7], v[118:119], v[122:123], -v[6:7]
	v_add_f64 v[8:9], v[4:5], v[6:7]
	scratch_load_dwordx4 v[4:7], off, off offset:560
	v_mul_f64 v[126:127], v[118:119], v[124:125]
	v_fmac_f64_e32 v[126:127], v[120:121], v[122:123]
	v_add_f64 v[48:49], v[48:49], v[126:127]
	s_waitcnt vmcnt(0)
	v_add_f64 v[4:5], v[4:5], -v[8:9]
	v_add_f64 v[6:7], v[6:7], -v[48:49]
	scratch_store_dwordx4 off, v[4:7], off offset:560
	s_and_saveexec_b64 s[0:1], vcc
	s_cbranch_execz .LBB113_247
; %bb.246:
	scratch_load_dwordx4 v[6:9], off, s33
	v_mov_b32_e32 v3, v2
	v_mov_b32_e32 v4, v2
	;; [unrolled: 1-line block ×3, first 2 shown]
	v_accvgpr_read_b32 v0, a101
	scratch_store_dwordx4 off, v[2:5], off offset:544
	s_waitcnt vmcnt(1)
	ds_write_b128 v0, v[6:9]
.LBB113_247:
	s_or_b64 exec, exec, s[0:1]
	s_waitcnt lgkmcnt(0)
	; wave barrier
	ds_read_b128 v[16:19], v2 offset:1344
	ds_read_b128 v[12:15], v2 offset:1360
	;; [unrolled: 1-line block ×4, first 2 shown]
	scratch_load_dwordx4 v[20:23], off, off offset:560
	scratch_load_dwordx4 v[40:43], off, off offset:624
	;; [unrolled: 1-line block ×10, first 2 shown]
	v_cmp_lt_u32_e32 vcc, 32, v240
	scratch_load_dwordx4 v[48:51], off, off offset:640
	scratch_load_dwordx4 v[56:59], off, off offset:656
	;; [unrolled: 1-line block ×3, first 2 shown]
	s_waitcnt vmcnt(12) lgkmcnt(3)
	v_mul_f64 v[24:25], v[16:17], v[22:23]
	v_fmac_f64_e32 v[24:25], v[18:19], v[20:21]
	v_add_f64 v[28:29], v[24:25], 0
	scratch_load_dwordx4 v[24:27], off, off offset:576
	s_waitcnt vmcnt(0) lgkmcnt(2)
	v_mul_f64 v[30:31], v[12:13], v[26:27]
	v_fmac_f64_e32 v[30:31], v[14:15], v[24:25]
	v_add_f64 v[32:33], v[28:29], v[30:31]
	scratch_load_dwordx4 v[28:31], off, off offset:592
	v_mul_f64 v[14:15], v[14:15], v[26:27]
	v_fma_f64 v[12:13], v[12:13], v[24:25], -v[14:15]
	s_waitcnt vmcnt(0) lgkmcnt(1)
	v_mul_f64 v[34:35], v[8:9], v[30:31]
	v_fmac_f64_e32 v[34:35], v[10:11], v[28:29]
	v_add_f64 v[36:37], v[32:33], v[34:35]
	scratch_load_dwordx4 v[32:35], off, off offset:608
	v_mul_f64 v[10:11], v[10:11], v[30:31]
	v_fma_f64 v[8:9], v[8:9], v[28:29], -v[10:11]
	s_waitcnt vmcnt(0) lgkmcnt(0)
	v_mul_f64 v[38:39], v[4:5], v[34:35]
	v_fmac_f64_e32 v[38:39], v[6:7], v[32:33]
	v_add_f64 v[44:45], v[36:37], v[38:39]
	ds_read_b128 v[36:39], v2 offset:1408
	v_mul_f64 v[6:7], v[6:7], v[34:35]
	v_fma_f64 v[4:5], v[4:5], v[32:33], -v[6:7]
	s_waitcnt lgkmcnt(0)
	v_mul_f64 v[46:47], v[36:37], v[42:43]
	v_fmac_f64_e32 v[46:47], v[38:39], v[40:41]
	v_add_f64 v[52:53], v[44:45], v[46:47]
	ds_read_b128 v[44:47], v2 offset:1424
	s_waitcnt lgkmcnt(0)
	v_mul_f64 v[54:55], v[44:45], v[50:51]
	v_fmac_f64_e32 v[54:55], v[46:47], v[48:49]
	v_add_f64 v[60:61], v[52:53], v[54:55]
	ds_read_b128 v[52:55], v2 offset:1440
	;; [unrolled: 5-line block ×11, first 2 shown]
	s_waitcnt lgkmcnt(0)
	v_mul_f64 v[2:3], v[126:127], v[132:133]
	v_fmac_f64_e32 v[2:3], v[128:129], v[130:131]
	v_add_f64 v[64:65], v[64:65], v[2:3]
	v_mul_f64 v[2:3], v[18:19], v[22:23]
	v_fma_f64 v[2:3], v[16:17], v[20:21], -v[2:3]
	v_add_f64 v[2:3], v[2:3], 0
	v_add_f64 v[2:3], v[2:3], v[12:13]
	;; [unrolled: 1-line block ×4, first 2 shown]
	v_mul_f64 v[4:5], v[38:39], v[42:43]
	v_fma_f64 v[4:5], v[36:37], v[40:41], -v[4:5]
	v_add_f64 v[2:3], v[2:3], v[4:5]
	v_mul_f64 v[4:5], v[46:47], v[50:51]
	v_fma_f64 v[4:5], v[44:45], v[48:49], -v[4:5]
	v_add_f64 v[2:3], v[2:3], v[4:5]
	;; [unrolled: 3-line block ×12, first 2 shown]
	scratch_load_dwordx4 v[2:5], off, off offset:544
	s_waitcnt vmcnt(0)
	v_add_f64 v[2:3], v[2:3], -v[6:7]
	v_add_f64 v[4:5], v[4:5], -v[64:65]
	scratch_store_dwordx4 off, v[2:5], off offset:544
	s_and_saveexec_b64 s[0:1], vcc
	s_cbranch_execz .LBB113_249
; %bb.248:
	scratch_load_dwordx4 v[2:5], off, s34
	v_mov_b32_e32 v6, 0
	v_mov_b32_e32 v7, v6
	;; [unrolled: 1-line block ×4, first 2 shown]
	v_accvgpr_read_b32 v0, a101
	scratch_store_dwordx4 off, v[6:9], off offset:528
	s_waitcnt vmcnt(1)
	ds_write_b128 v0, v[2:5]
.LBB113_249:
	s_or_b64 exec, exec, s[0:1]
	v_mov_b32_e32 v2, 0
	s_waitcnt lgkmcnt(0)
	; wave barrier
	ds_read_b128 v[16:19], v2 offset:1328
	ds_read_b128 v[12:15], v2 offset:1344
	;; [unrolled: 1-line block ×4, first 2 shown]
	scratch_load_dwordx4 v[20:23], off, off offset:544
	scratch_load_dwordx4 v[40:43], off, off offset:608
	;; [unrolled: 1-line block ×11, first 2 shown]
	v_cmp_lt_u32_e32 vcc, 31, v240
	scratch_load_dwordx4 v[48:51], off, off offset:624
	scratch_load_dwordx4 v[56:59], off, off offset:640
	;; [unrolled: 1-line block ×3, first 2 shown]
	s_waitcnt vmcnt(13) lgkmcnt(3)
	v_mul_f64 v[24:25], v[16:17], v[22:23]
	v_fmac_f64_e32 v[24:25], v[18:19], v[20:21]
	v_add_f64 v[28:29], v[24:25], 0
	scratch_load_dwordx4 v[24:27], off, off offset:560
	v_mul_f64 v[18:19], v[18:19], v[22:23]
	v_fma_f64 v[16:17], v[16:17], v[20:21], -v[18:19]
	v_add_f64 v[16:17], v[16:17], 0
	s_waitcnt vmcnt(0) lgkmcnt(2)
	v_mul_f64 v[30:31], v[12:13], v[26:27]
	v_fmac_f64_e32 v[30:31], v[14:15], v[24:25]
	v_add_f64 v[32:33], v[28:29], v[30:31]
	scratch_load_dwordx4 v[28:31], off, off offset:576
	v_mul_f64 v[14:15], v[14:15], v[26:27]
	v_fma_f64 v[12:13], v[12:13], v[24:25], -v[14:15]
	v_add_f64 v[12:13], v[16:17], v[12:13]
	;; [unrolled: 8-line block ×3, first 2 shown]
	s_waitcnt vmcnt(0) lgkmcnt(0)
	v_mul_f64 v[38:39], v[4:5], v[34:35]
	v_fmac_f64_e32 v[38:39], v[6:7], v[32:33]
	v_add_f64 v[44:45], v[36:37], v[38:39]
	ds_read_b128 v[36:39], v2 offset:1392
	v_mul_f64 v[6:7], v[6:7], v[34:35]
	v_fma_f64 v[4:5], v[4:5], v[32:33], -v[6:7]
	v_add_f64 v[4:5], v[8:9], v[4:5]
	s_waitcnt lgkmcnt(0)
	v_mul_f64 v[46:47], v[36:37], v[42:43]
	v_fmac_f64_e32 v[46:47], v[38:39], v[40:41]
	v_add_f64 v[52:53], v[44:45], v[46:47]
	ds_read_b128 v[44:47], v2 offset:1408
	v_mul_f64 v[6:7], v[38:39], v[42:43]
	v_fma_f64 v[6:7], v[36:37], v[40:41], -v[6:7]
	v_add_f64 v[4:5], v[4:5], v[6:7]
	s_waitcnt lgkmcnt(0)
	;; [unrolled: 8-line block ×13, first 2 shown]
	v_mul_f64 v[6:7], v[136:137], v[140:141]
	v_fma_f64 v[6:7], v[134:135], v[138:139], -v[6:7]
	v_add_f64 v[8:9], v[4:5], v[6:7]
	scratch_load_dwordx4 v[4:7], off, off offset:528
	v_mul_f64 v[142:143], v[134:135], v[140:141]
	v_fmac_f64_e32 v[142:143], v[136:137], v[138:139]
	v_add_f64 v[72:73], v[72:73], v[142:143]
	s_waitcnt vmcnt(0)
	v_add_f64 v[4:5], v[4:5], -v[8:9]
	v_add_f64 v[6:7], v[6:7], -v[72:73]
	scratch_store_dwordx4 off, v[4:7], off offset:528
	s_and_saveexec_b64 s[0:1], vcc
	s_cbranch_execz .LBB113_251
; %bb.250:
	scratch_load_dwordx4 v[6:9], off, s35
	v_mov_b32_e32 v3, v2
	v_mov_b32_e32 v4, v2
	;; [unrolled: 1-line block ×3, first 2 shown]
	v_accvgpr_read_b32 v0, a101
	scratch_store_dwordx4 off, v[2:5], off offset:512
	s_waitcnt vmcnt(1)
	ds_write_b128 v0, v[6:9]
.LBB113_251:
	s_or_b64 exec, exec, s[0:1]
	s_waitcnt lgkmcnt(0)
	; wave barrier
	ds_read_b128 v[16:19], v2 offset:1312
	ds_read_b128 v[12:15], v2 offset:1328
	;; [unrolled: 1-line block ×4, first 2 shown]
	scratch_load_dwordx4 v[20:23], off, off offset:528
	scratch_load_dwordx4 v[40:43], off, off offset:592
	;; [unrolled: 1-line block ×12, first 2 shown]
	v_cmp_lt_u32_e32 vcc, 30, v240
	scratch_load_dwordx4 v[48:51], off, off offset:608
	scratch_load_dwordx4 v[56:59], off, off offset:624
	;; [unrolled: 1-line block ×3, first 2 shown]
	s_waitcnt vmcnt(14) lgkmcnt(3)
	v_mul_f64 v[24:25], v[16:17], v[22:23]
	v_fmac_f64_e32 v[24:25], v[18:19], v[20:21]
	v_add_f64 v[28:29], v[24:25], 0
	scratch_load_dwordx4 v[24:27], off, off offset:544
	s_waitcnt vmcnt(0) lgkmcnt(2)
	v_mul_f64 v[30:31], v[12:13], v[26:27]
	v_fmac_f64_e32 v[30:31], v[14:15], v[24:25]
	v_add_f64 v[32:33], v[28:29], v[30:31]
	scratch_load_dwordx4 v[28:31], off, off offset:560
	v_mul_f64 v[14:15], v[14:15], v[26:27]
	v_fma_f64 v[12:13], v[12:13], v[24:25], -v[14:15]
	s_waitcnt vmcnt(0) lgkmcnt(1)
	v_mul_f64 v[34:35], v[8:9], v[30:31]
	v_fmac_f64_e32 v[34:35], v[10:11], v[28:29]
	v_add_f64 v[36:37], v[32:33], v[34:35]
	scratch_load_dwordx4 v[32:35], off, off offset:576
	v_mul_f64 v[10:11], v[10:11], v[30:31]
	v_fma_f64 v[8:9], v[8:9], v[28:29], -v[10:11]
	s_waitcnt vmcnt(0) lgkmcnt(0)
	v_mul_f64 v[38:39], v[4:5], v[34:35]
	v_fmac_f64_e32 v[38:39], v[6:7], v[32:33]
	v_add_f64 v[44:45], v[36:37], v[38:39]
	ds_read_b128 v[36:39], v2 offset:1376
	v_mul_f64 v[6:7], v[6:7], v[34:35]
	v_fma_f64 v[4:5], v[4:5], v[32:33], -v[6:7]
	s_waitcnt lgkmcnt(0)
	v_mul_f64 v[46:47], v[36:37], v[42:43]
	v_fmac_f64_e32 v[46:47], v[38:39], v[40:41]
	v_add_f64 v[52:53], v[44:45], v[46:47]
	ds_read_b128 v[44:47], v2 offset:1392
	s_waitcnt lgkmcnt(0)
	v_mul_f64 v[54:55], v[44:45], v[50:51]
	v_fmac_f64_e32 v[54:55], v[46:47], v[48:49]
	v_add_f64 v[60:61], v[52:53], v[54:55]
	ds_read_b128 v[52:55], v2 offset:1408
	;; [unrolled: 5-line block ×13, first 2 shown]
	s_waitcnt lgkmcnt(0)
	v_mul_f64 v[2:3], v[142:143], v[148:149]
	v_fmac_f64_e32 v[2:3], v[144:145], v[146:147]
	v_add_f64 v[80:81], v[80:81], v[2:3]
	v_mul_f64 v[2:3], v[18:19], v[22:23]
	v_fma_f64 v[2:3], v[16:17], v[20:21], -v[2:3]
	v_add_f64 v[2:3], v[2:3], 0
	v_add_f64 v[2:3], v[2:3], v[12:13]
	;; [unrolled: 1-line block ×4, first 2 shown]
	v_mul_f64 v[4:5], v[38:39], v[42:43]
	v_fma_f64 v[4:5], v[36:37], v[40:41], -v[4:5]
	v_add_f64 v[2:3], v[2:3], v[4:5]
	v_mul_f64 v[4:5], v[46:47], v[50:51]
	v_fma_f64 v[4:5], v[44:45], v[48:49], -v[4:5]
	v_add_f64 v[2:3], v[2:3], v[4:5]
	;; [unrolled: 3-line block ×14, first 2 shown]
	scratch_load_dwordx4 v[2:5], off, off offset:512
	s_waitcnt vmcnt(0)
	v_add_f64 v[2:3], v[2:3], -v[6:7]
	v_add_f64 v[4:5], v[4:5], -v[80:81]
	scratch_store_dwordx4 off, v[2:5], off offset:512
	s_and_saveexec_b64 s[0:1], vcc
	s_cbranch_execz .LBB113_253
; %bb.252:
	scratch_load_dwordx4 v[2:5], off, s36
	v_mov_b32_e32 v6, 0
	v_mov_b32_e32 v7, v6
	;; [unrolled: 1-line block ×4, first 2 shown]
	v_accvgpr_read_b32 v0, a101
	scratch_store_dwordx4 off, v[6:9], off offset:496
	s_waitcnt vmcnt(1)
	ds_write_b128 v0, v[2:5]
.LBB113_253:
	s_or_b64 exec, exec, s[0:1]
	v_mov_b32_e32 v2, 0
	s_waitcnt lgkmcnt(0)
	; wave barrier
	ds_read_b128 v[16:19], v2 offset:1296
	ds_read_b128 v[12:15], v2 offset:1312
	;; [unrolled: 1-line block ×4, first 2 shown]
	scratch_load_dwordx4 v[20:23], off, off offset:512
	scratch_load_dwordx4 v[40:43], off, off offset:576
	;; [unrolled: 1-line block ×13, first 2 shown]
	v_cmp_lt_u32_e32 vcc, 29, v240
	scratch_load_dwordx4 v[48:51], off, off offset:592
	scratch_load_dwordx4 v[56:59], off, off offset:608
	;; [unrolled: 1-line block ×3, first 2 shown]
	s_waitcnt vmcnt(15) lgkmcnt(3)
	v_mul_f64 v[24:25], v[16:17], v[22:23]
	v_fmac_f64_e32 v[24:25], v[18:19], v[20:21]
	v_add_f64 v[28:29], v[24:25], 0
	scratch_load_dwordx4 v[24:27], off, off offset:528
	v_mul_f64 v[18:19], v[18:19], v[22:23]
	v_fma_f64 v[16:17], v[16:17], v[20:21], -v[18:19]
	v_add_f64 v[16:17], v[16:17], 0
	s_waitcnt vmcnt(0) lgkmcnt(2)
	v_mul_f64 v[30:31], v[12:13], v[26:27]
	v_fmac_f64_e32 v[30:31], v[14:15], v[24:25]
	v_add_f64 v[32:33], v[28:29], v[30:31]
	scratch_load_dwordx4 v[28:31], off, off offset:544
	v_mul_f64 v[14:15], v[14:15], v[26:27]
	v_fma_f64 v[12:13], v[12:13], v[24:25], -v[14:15]
	v_add_f64 v[12:13], v[16:17], v[12:13]
	;; [unrolled: 8-line block ×3, first 2 shown]
	s_waitcnt vmcnt(0) lgkmcnt(0)
	v_mul_f64 v[38:39], v[4:5], v[34:35]
	v_fmac_f64_e32 v[38:39], v[6:7], v[32:33]
	v_add_f64 v[44:45], v[36:37], v[38:39]
	ds_read_b128 v[36:39], v2 offset:1360
	v_mul_f64 v[6:7], v[6:7], v[34:35]
	v_fma_f64 v[4:5], v[4:5], v[32:33], -v[6:7]
	v_add_f64 v[4:5], v[8:9], v[4:5]
	s_waitcnt lgkmcnt(0)
	v_mul_f64 v[46:47], v[36:37], v[42:43]
	v_fmac_f64_e32 v[46:47], v[38:39], v[40:41]
	v_add_f64 v[52:53], v[44:45], v[46:47]
	ds_read_b128 v[44:47], v2 offset:1376
	v_mul_f64 v[6:7], v[38:39], v[42:43]
	v_fma_f64 v[6:7], v[36:37], v[40:41], -v[6:7]
	v_add_f64 v[4:5], v[4:5], v[6:7]
	s_waitcnt lgkmcnt(0)
	;; [unrolled: 8-line block ×15, first 2 shown]
	v_mul_f64 v[6:7], v[152:153], v[156:157]
	v_fma_f64 v[6:7], v[150:151], v[154:155], -v[6:7]
	v_add_f64 v[8:9], v[4:5], v[6:7]
	scratch_load_dwordx4 v[4:7], off, off offset:496
	v_mul_f64 v[158:159], v[150:151], v[156:157]
	v_fmac_f64_e32 v[158:159], v[152:153], v[154:155]
	v_add_f64 v[88:89], v[88:89], v[158:159]
	s_waitcnt vmcnt(0)
	v_add_f64 v[4:5], v[4:5], -v[8:9]
	v_add_f64 v[6:7], v[6:7], -v[88:89]
	scratch_store_dwordx4 off, v[4:7], off offset:496
	s_and_saveexec_b64 s[0:1], vcc
	s_cbranch_execz .LBB113_255
; %bb.254:
	scratch_load_dwordx4 v[6:9], off, s37
	v_mov_b32_e32 v3, v2
	v_mov_b32_e32 v4, v2
	;; [unrolled: 1-line block ×3, first 2 shown]
	v_accvgpr_read_b32 v0, a101
	scratch_store_dwordx4 off, v[2:5], off offset:480
	s_waitcnt vmcnt(1)
	ds_write_b128 v0, v[6:9]
.LBB113_255:
	s_or_b64 exec, exec, s[0:1]
	s_waitcnt lgkmcnt(0)
	; wave barrier
	ds_read_b128 v[16:19], v2 offset:1280
	ds_read_b128 v[12:15], v2 offset:1296
	;; [unrolled: 1-line block ×4, first 2 shown]
	scratch_load_dwordx4 v[20:23], off, off offset:496
	scratch_load_dwordx4 v[40:43], off, off offset:560
	;; [unrolled: 1-line block ×14, first 2 shown]
	v_cmp_lt_u32_e32 vcc, 28, v240
	scratch_load_dwordx4 v[48:51], off, off offset:576
	scratch_load_dwordx4 v[56:59], off, off offset:592
	;; [unrolled: 1-line block ×3, first 2 shown]
	s_waitcnt vmcnt(16) lgkmcnt(3)
	v_mul_f64 v[24:25], v[16:17], v[22:23]
	v_fmac_f64_e32 v[24:25], v[18:19], v[20:21]
	v_add_f64 v[28:29], v[24:25], 0
	scratch_load_dwordx4 v[24:27], off, off offset:512
	s_waitcnt vmcnt(0) lgkmcnt(2)
	v_mul_f64 v[30:31], v[12:13], v[26:27]
	v_fmac_f64_e32 v[30:31], v[14:15], v[24:25]
	v_add_f64 v[32:33], v[28:29], v[30:31]
	scratch_load_dwordx4 v[28:31], off, off offset:528
	v_mul_f64 v[14:15], v[14:15], v[26:27]
	v_fma_f64 v[12:13], v[12:13], v[24:25], -v[14:15]
	s_waitcnt vmcnt(0) lgkmcnt(1)
	v_mul_f64 v[34:35], v[8:9], v[30:31]
	v_fmac_f64_e32 v[34:35], v[10:11], v[28:29]
	v_add_f64 v[36:37], v[32:33], v[34:35]
	scratch_load_dwordx4 v[32:35], off, off offset:544
	v_mul_f64 v[10:11], v[10:11], v[30:31]
	v_fma_f64 v[8:9], v[8:9], v[28:29], -v[10:11]
	s_waitcnt vmcnt(0) lgkmcnt(0)
	v_mul_f64 v[38:39], v[4:5], v[34:35]
	v_fmac_f64_e32 v[38:39], v[6:7], v[32:33]
	v_add_f64 v[44:45], v[36:37], v[38:39]
	ds_read_b128 v[36:39], v2 offset:1344
	v_mul_f64 v[6:7], v[6:7], v[34:35]
	v_fma_f64 v[4:5], v[4:5], v[32:33], -v[6:7]
	s_waitcnt lgkmcnt(0)
	v_mul_f64 v[46:47], v[36:37], v[42:43]
	v_fmac_f64_e32 v[46:47], v[38:39], v[40:41]
	v_add_f64 v[52:53], v[44:45], v[46:47]
	ds_read_b128 v[44:47], v2 offset:1360
	s_waitcnt lgkmcnt(0)
	v_mul_f64 v[54:55], v[44:45], v[50:51]
	v_fmac_f64_e32 v[54:55], v[46:47], v[48:49]
	v_add_f64 v[60:61], v[52:53], v[54:55]
	ds_read_b128 v[52:55], v2 offset:1376
	;; [unrolled: 5-line block ×15, first 2 shown]
	s_waitcnt lgkmcnt(0)
	v_mul_f64 v[2:3], v[158:159], v[164:165]
	v_fmac_f64_e32 v[2:3], v[160:161], v[162:163]
	v_add_f64 v[96:97], v[96:97], v[2:3]
	v_mul_f64 v[2:3], v[18:19], v[22:23]
	v_fma_f64 v[2:3], v[16:17], v[20:21], -v[2:3]
	v_add_f64 v[2:3], v[2:3], 0
	v_add_f64 v[2:3], v[2:3], v[12:13]
	;; [unrolled: 1-line block ×4, first 2 shown]
	v_mul_f64 v[4:5], v[38:39], v[42:43]
	v_fma_f64 v[4:5], v[36:37], v[40:41], -v[4:5]
	v_add_f64 v[2:3], v[2:3], v[4:5]
	v_mul_f64 v[4:5], v[46:47], v[50:51]
	v_fma_f64 v[4:5], v[44:45], v[48:49], -v[4:5]
	v_add_f64 v[2:3], v[2:3], v[4:5]
	;; [unrolled: 3-line block ×16, first 2 shown]
	scratch_load_dwordx4 v[2:5], off, off offset:480
	s_waitcnt vmcnt(0)
	v_add_f64 v[2:3], v[2:3], -v[6:7]
	v_add_f64 v[4:5], v[4:5], -v[96:97]
	scratch_store_dwordx4 off, v[2:5], off offset:480
	s_and_saveexec_b64 s[0:1], vcc
	s_cbranch_execz .LBB113_257
; %bb.256:
	scratch_load_dwordx4 v[2:5], off, s38
	v_mov_b32_e32 v6, 0
	v_mov_b32_e32 v7, v6
	;; [unrolled: 1-line block ×4, first 2 shown]
	v_accvgpr_read_b32 v0, a101
	scratch_store_dwordx4 off, v[6:9], off offset:464
	s_waitcnt vmcnt(1)
	ds_write_b128 v0, v[2:5]
.LBB113_257:
	s_or_b64 exec, exec, s[0:1]
	v_mov_b32_e32 v2, 0
	s_waitcnt lgkmcnt(0)
	; wave barrier
	ds_read_b128 v[16:19], v2 offset:1264
	ds_read_b128 v[12:15], v2 offset:1280
	;; [unrolled: 1-line block ×4, first 2 shown]
	scratch_load_dwordx4 v[20:23], off, off offset:480
	scratch_load_dwordx4 v[40:43], off, off offset:544
	;; [unrolled: 1-line block ×15, first 2 shown]
	v_cmp_lt_u32_e32 vcc, 27, v240
	scratch_load_dwordx4 v[48:51], off, off offset:560
	scratch_load_dwordx4 v[56:59], off, off offset:576
	;; [unrolled: 1-line block ×3, first 2 shown]
	s_waitcnt vmcnt(17) lgkmcnt(3)
	v_mul_f64 v[24:25], v[16:17], v[22:23]
	v_fmac_f64_e32 v[24:25], v[18:19], v[20:21]
	v_add_f64 v[28:29], v[24:25], 0
	scratch_load_dwordx4 v[24:27], off, off offset:496
	v_mul_f64 v[18:19], v[18:19], v[22:23]
	v_fma_f64 v[16:17], v[16:17], v[20:21], -v[18:19]
	v_add_f64 v[16:17], v[16:17], 0
	s_waitcnt vmcnt(0) lgkmcnt(2)
	v_mul_f64 v[30:31], v[12:13], v[26:27]
	v_fmac_f64_e32 v[30:31], v[14:15], v[24:25]
	v_add_f64 v[32:33], v[28:29], v[30:31]
	scratch_load_dwordx4 v[28:31], off, off offset:512
	v_mul_f64 v[14:15], v[14:15], v[26:27]
	v_fma_f64 v[12:13], v[12:13], v[24:25], -v[14:15]
	v_add_f64 v[12:13], v[16:17], v[12:13]
	s_waitcnt vmcnt(0) lgkmcnt(1)
	v_mul_f64 v[34:35], v[8:9], v[30:31]
	v_fmac_f64_e32 v[34:35], v[10:11], v[28:29]
	v_add_f64 v[36:37], v[32:33], v[34:35]
	scratch_load_dwordx4 v[32:35], off, off offset:528
	v_mul_f64 v[10:11], v[10:11], v[30:31]
	v_fma_f64 v[8:9], v[8:9], v[28:29], -v[10:11]
	v_add_f64 v[8:9], v[12:13], v[8:9]
	s_waitcnt vmcnt(0) lgkmcnt(0)
	v_mul_f64 v[38:39], v[4:5], v[34:35]
	v_fmac_f64_e32 v[38:39], v[6:7], v[32:33]
	v_add_f64 v[44:45], v[36:37], v[38:39]
	ds_read_b128 v[36:39], v2 offset:1328
	v_mul_f64 v[6:7], v[6:7], v[34:35]
	v_fma_f64 v[4:5], v[4:5], v[32:33], -v[6:7]
	v_add_f64 v[4:5], v[8:9], v[4:5]
	s_waitcnt lgkmcnt(0)
	v_mul_f64 v[46:47], v[36:37], v[42:43]
	v_fmac_f64_e32 v[46:47], v[38:39], v[40:41]
	v_add_f64 v[52:53], v[44:45], v[46:47]
	ds_read_b128 v[44:47], v2 offset:1344
	v_mul_f64 v[6:7], v[38:39], v[42:43]
	v_fma_f64 v[6:7], v[36:37], v[40:41], -v[6:7]
	v_add_f64 v[4:5], v[4:5], v[6:7]
	s_waitcnt lgkmcnt(0)
	;; [unrolled: 8-line block ×17, first 2 shown]
	v_mul_f64 v[6:7], v[168:169], v[172:173]
	v_fma_f64 v[6:7], v[166:167], v[170:171], -v[6:7]
	v_add_f64 v[8:9], v[4:5], v[6:7]
	scratch_load_dwordx4 v[4:7], off, off offset:464
	v_mul_f64 v[174:175], v[166:167], v[172:173]
	v_fmac_f64_e32 v[174:175], v[168:169], v[170:171]
	v_add_f64 v[104:105], v[104:105], v[174:175]
	s_waitcnt vmcnt(0)
	v_add_f64 v[4:5], v[4:5], -v[8:9]
	v_add_f64 v[6:7], v[6:7], -v[104:105]
	scratch_store_dwordx4 off, v[4:7], off offset:464
	s_and_saveexec_b64 s[0:1], vcc
	s_cbranch_execz .LBB113_259
; %bb.258:
	scratch_load_dwordx4 v[6:9], off, s39
	v_mov_b32_e32 v3, v2
	v_mov_b32_e32 v4, v2
	;; [unrolled: 1-line block ×3, first 2 shown]
	v_accvgpr_read_b32 v0, a101
	scratch_store_dwordx4 off, v[2:5], off offset:448
	s_waitcnt vmcnt(1)
	ds_write_b128 v0, v[6:9]
.LBB113_259:
	s_or_b64 exec, exec, s[0:1]
	s_waitcnt lgkmcnt(0)
	; wave barrier
	ds_read_b128 v[16:19], v2 offset:1248
	ds_read_b128 v[12:15], v2 offset:1264
	;; [unrolled: 1-line block ×4, first 2 shown]
	scratch_load_dwordx4 v[20:23], off, off offset:464
	scratch_load_dwordx4 v[40:43], off, off offset:528
	;; [unrolled: 1-line block ×16, first 2 shown]
	v_cmp_lt_u32_e32 vcc, 26, v240
	scratch_load_dwordx4 v[48:51], off, off offset:544
	scratch_load_dwordx4 v[56:59], off, off offset:560
	;; [unrolled: 1-line block ×3, first 2 shown]
	s_waitcnt vmcnt(18) lgkmcnt(3)
	v_mul_f64 v[24:25], v[16:17], v[22:23]
	v_fmac_f64_e32 v[24:25], v[18:19], v[20:21]
	v_add_f64 v[28:29], v[24:25], 0
	scratch_load_dwordx4 v[24:27], off, off offset:480
	s_waitcnt vmcnt(0) lgkmcnt(2)
	v_mul_f64 v[30:31], v[12:13], v[26:27]
	v_fmac_f64_e32 v[30:31], v[14:15], v[24:25]
	v_add_f64 v[32:33], v[28:29], v[30:31]
	scratch_load_dwordx4 v[28:31], off, off offset:496
	v_mul_f64 v[14:15], v[14:15], v[26:27]
	v_fma_f64 v[12:13], v[12:13], v[24:25], -v[14:15]
	s_waitcnt vmcnt(0) lgkmcnt(1)
	v_mul_f64 v[34:35], v[8:9], v[30:31]
	v_fmac_f64_e32 v[34:35], v[10:11], v[28:29]
	v_add_f64 v[36:37], v[32:33], v[34:35]
	scratch_load_dwordx4 v[32:35], off, off offset:512
	v_mul_f64 v[10:11], v[10:11], v[30:31]
	v_fma_f64 v[8:9], v[8:9], v[28:29], -v[10:11]
	s_waitcnt vmcnt(0) lgkmcnt(0)
	v_mul_f64 v[38:39], v[4:5], v[34:35]
	v_fmac_f64_e32 v[38:39], v[6:7], v[32:33]
	v_add_f64 v[44:45], v[36:37], v[38:39]
	ds_read_b128 v[36:39], v2 offset:1312
	v_mul_f64 v[6:7], v[6:7], v[34:35]
	v_fma_f64 v[4:5], v[4:5], v[32:33], -v[6:7]
	s_waitcnt lgkmcnt(0)
	v_mul_f64 v[46:47], v[36:37], v[42:43]
	v_fmac_f64_e32 v[46:47], v[38:39], v[40:41]
	v_add_f64 v[52:53], v[44:45], v[46:47]
	ds_read_b128 v[44:47], v2 offset:1328
	s_waitcnt lgkmcnt(0)
	v_mul_f64 v[54:55], v[44:45], v[50:51]
	v_fmac_f64_e32 v[54:55], v[46:47], v[48:49]
	v_add_f64 v[60:61], v[52:53], v[54:55]
	ds_read_b128 v[52:55], v2 offset:1344
	;; [unrolled: 5-line block ×17, first 2 shown]
	s_waitcnt lgkmcnt(0)
	v_mul_f64 v[2:3], v[174:175], v[180:181]
	v_fmac_f64_e32 v[2:3], v[176:177], v[178:179]
	v_add_f64 v[120:121], v[120:121], v[2:3]
	v_mul_f64 v[2:3], v[18:19], v[22:23]
	v_fma_f64 v[2:3], v[16:17], v[20:21], -v[2:3]
	v_add_f64 v[2:3], v[2:3], 0
	v_add_f64 v[2:3], v[2:3], v[12:13]
	;; [unrolled: 1-line block ×4, first 2 shown]
	v_mul_f64 v[4:5], v[38:39], v[42:43]
	v_fma_f64 v[4:5], v[36:37], v[40:41], -v[4:5]
	v_add_f64 v[2:3], v[2:3], v[4:5]
	v_mul_f64 v[4:5], v[46:47], v[50:51]
	v_fma_f64 v[4:5], v[44:45], v[48:49], -v[4:5]
	v_add_f64 v[2:3], v[2:3], v[4:5]
	;; [unrolled: 3-line block ×18, first 2 shown]
	scratch_load_dwordx4 v[2:5], off, off offset:448
	s_waitcnt vmcnt(0)
	v_add_f64 v[2:3], v[2:3], -v[6:7]
	v_add_f64 v[4:5], v[4:5], -v[120:121]
	scratch_store_dwordx4 off, v[2:5], off offset:448
	s_and_saveexec_b64 s[0:1], vcc
	s_cbranch_execz .LBB113_261
; %bb.260:
	scratch_load_dwordx4 v[2:5], off, s40
	v_mov_b32_e32 v6, 0
	v_mov_b32_e32 v7, v6
	;; [unrolled: 1-line block ×4, first 2 shown]
	v_accvgpr_read_b32 v0, a101
	scratch_store_dwordx4 off, v[6:9], off offset:432
	s_waitcnt vmcnt(1)
	ds_write_b128 v0, v[2:5]
.LBB113_261:
	s_or_b64 exec, exec, s[0:1]
	v_mov_b32_e32 v2, 0
	s_waitcnt lgkmcnt(0)
	; wave barrier
	ds_read_b128 v[16:19], v2 offset:1232
	ds_read_b128 v[12:15], v2 offset:1248
	;; [unrolled: 1-line block ×4, first 2 shown]
	scratch_load_dwordx4 v[20:23], off, off offset:448
	scratch_load_dwordx4 v[40:43], off, off offset:512
	;; [unrolled: 1-line block ×17, first 2 shown]
	v_cmp_lt_u32_e32 vcc, 25, v240
	scratch_load_dwordx4 v[48:51], off, off offset:528
	scratch_load_dwordx4 v[56:59], off, off offset:544
	;; [unrolled: 1-line block ×3, first 2 shown]
	s_waitcnt vmcnt(19) lgkmcnt(3)
	v_mul_f64 v[24:25], v[16:17], v[22:23]
	v_fmac_f64_e32 v[24:25], v[18:19], v[20:21]
	v_add_f64 v[28:29], v[24:25], 0
	scratch_load_dwordx4 v[24:27], off, off offset:464
	v_mul_f64 v[18:19], v[18:19], v[22:23]
	v_fma_f64 v[16:17], v[16:17], v[20:21], -v[18:19]
	v_add_f64 v[16:17], v[16:17], 0
	s_waitcnt vmcnt(0) lgkmcnt(2)
	v_mul_f64 v[30:31], v[12:13], v[26:27]
	v_fmac_f64_e32 v[30:31], v[14:15], v[24:25]
	v_add_f64 v[32:33], v[28:29], v[30:31]
	scratch_load_dwordx4 v[28:31], off, off offset:480
	v_mul_f64 v[14:15], v[14:15], v[26:27]
	v_fma_f64 v[12:13], v[12:13], v[24:25], -v[14:15]
	v_add_f64 v[12:13], v[16:17], v[12:13]
	;; [unrolled: 8-line block ×3, first 2 shown]
	s_waitcnt vmcnt(0) lgkmcnt(0)
	v_mul_f64 v[38:39], v[4:5], v[34:35]
	v_fmac_f64_e32 v[38:39], v[6:7], v[32:33]
	v_add_f64 v[44:45], v[36:37], v[38:39]
	ds_read_b128 v[36:39], v2 offset:1296
	v_mul_f64 v[6:7], v[6:7], v[34:35]
	v_fma_f64 v[4:5], v[4:5], v[32:33], -v[6:7]
	v_add_f64 v[4:5], v[8:9], v[4:5]
	s_waitcnt lgkmcnt(0)
	v_mul_f64 v[46:47], v[36:37], v[42:43]
	v_fmac_f64_e32 v[46:47], v[38:39], v[40:41]
	v_add_f64 v[52:53], v[44:45], v[46:47]
	ds_read_b128 v[44:47], v2 offset:1312
	v_mul_f64 v[6:7], v[38:39], v[42:43]
	v_fma_f64 v[6:7], v[36:37], v[40:41], -v[6:7]
	v_add_f64 v[4:5], v[4:5], v[6:7]
	s_waitcnt lgkmcnt(0)
	v_mul_f64 v[54:55], v[44:45], v[50:51]
	v_fmac_f64_e32 v[54:55], v[46:47], v[48:49]
	v_add_f64 v[60:61], v[52:53], v[54:55]
	ds_read_b128 v[52:55], v2 offset:1328
	v_mul_f64 v[6:7], v[46:47], v[50:51]
	v_fma_f64 v[6:7], v[44:45], v[48:49], -v[6:7]
	v_add_f64 v[4:5], v[4:5], v[6:7]
	s_waitcnt lgkmcnt(0)
	v_mul_f64 v[62:63], v[52:53], v[58:59]
	v_fmac_f64_e32 v[62:63], v[54:55], v[56:57]
	v_add_f64 v[68:69], v[60:61], v[62:63]
	ds_read_b128 v[60:63], v2 offset:1344
	v_mul_f64 v[6:7], v[54:55], v[58:59]
	v_fma_f64 v[6:7], v[52:53], v[56:57], -v[6:7]
	v_add_f64 v[4:5], v[4:5], v[6:7]
	s_waitcnt lgkmcnt(0)
	v_mul_f64 v[70:71], v[60:61], v[66:67]
	v_fmac_f64_e32 v[70:71], v[62:63], v[64:65]
	v_add_f64 v[76:77], v[68:69], v[70:71]
	ds_read_b128 v[68:71], v2 offset:1360
	v_mul_f64 v[6:7], v[62:63], v[66:67]
	v_fma_f64 v[6:7], v[60:61], v[64:65], -v[6:7]
	v_add_f64 v[4:5], v[4:5], v[6:7]
	s_waitcnt lgkmcnt(0)
	v_mul_f64 v[78:79], v[68:69], v[74:75]
	v_fmac_f64_e32 v[78:79], v[70:71], v[72:73]
	v_add_f64 v[84:85], v[76:77], v[78:79]
	ds_read_b128 v[76:79], v2 offset:1376
	v_mul_f64 v[6:7], v[70:71], v[74:75]
	v_fma_f64 v[6:7], v[68:69], v[72:73], -v[6:7]
	v_add_f64 v[4:5], v[4:5], v[6:7]
	s_waitcnt lgkmcnt(0)
	v_mul_f64 v[86:87], v[76:77], v[82:83]
	v_fmac_f64_e32 v[86:87], v[78:79], v[80:81]
	v_add_f64 v[92:93], v[84:85], v[86:87]
	ds_read_b128 v[84:87], v2 offset:1392
	v_mul_f64 v[6:7], v[78:79], v[82:83]
	v_fma_f64 v[6:7], v[76:77], v[80:81], -v[6:7]
	v_add_f64 v[4:5], v[4:5], v[6:7]
	s_waitcnt lgkmcnt(0)
	v_mul_f64 v[94:95], v[84:85], v[90:91]
	v_fmac_f64_e32 v[94:95], v[86:87], v[88:89]
	v_add_f64 v[100:101], v[92:93], v[94:95]
	ds_read_b128 v[92:95], v2 offset:1408
	v_mul_f64 v[6:7], v[86:87], v[90:91]
	v_fma_f64 v[6:7], v[84:85], v[88:89], -v[6:7]
	v_add_f64 v[4:5], v[4:5], v[6:7]
	s_waitcnt lgkmcnt(0)
	v_mul_f64 v[102:103], v[92:93], v[98:99]
	v_fmac_f64_e32 v[102:103], v[94:95], v[96:97]
	v_add_f64 v[108:109], v[100:101], v[102:103]
	ds_read_b128 v[100:103], v2 offset:1424
	v_mul_f64 v[6:7], v[94:95], v[98:99]
	v_fma_f64 v[6:7], v[92:93], v[96:97], -v[6:7]
	v_add_f64 v[4:5], v[4:5], v[6:7]
	s_waitcnt lgkmcnt(0)
	v_mul_f64 v[110:111], v[100:101], v[106:107]
	v_fmac_f64_e32 v[110:111], v[102:103], v[104:105]
	v_add_f64 v[116:117], v[108:109], v[110:111]
	ds_read_b128 v[108:111], v2 offset:1440
	v_mul_f64 v[6:7], v[102:103], v[106:107]
	v_fma_f64 v[6:7], v[100:101], v[104:105], -v[6:7]
	v_add_f64 v[4:5], v[4:5], v[6:7]
	s_waitcnt lgkmcnt(0)
	v_mul_f64 v[118:119], v[108:109], v[114:115]
	v_fmac_f64_e32 v[118:119], v[110:111], v[112:113]
	v_add_f64 v[124:125], v[116:117], v[118:119]
	ds_read_b128 v[116:119], v2 offset:1456
	v_mul_f64 v[6:7], v[110:111], v[114:115]
	v_fma_f64 v[6:7], v[108:109], v[112:113], -v[6:7]
	v_add_f64 v[4:5], v[4:5], v[6:7]
	s_waitcnt lgkmcnt(0)
	v_mul_f64 v[126:127], v[116:117], v[122:123]
	v_fmac_f64_e32 v[126:127], v[118:119], v[120:121]
	v_add_f64 v[128:129], v[124:125], v[126:127]
	ds_read_b128 v[124:127], v2 offset:1472
	v_mul_f64 v[6:7], v[118:119], v[122:123]
	v_fma_f64 v[6:7], v[116:117], v[120:121], -v[6:7]
	v_add_f64 v[4:5], v[4:5], v[6:7]
	s_waitcnt lgkmcnt(0)
	v_mul_f64 v[134:135], v[124:125], v[132:133]
	v_fmac_f64_e32 v[134:135], v[126:127], v[130:131]
	v_add_f64 v[128:129], v[128:129], v[134:135]
	ds_read_b128 v[134:137], v2 offset:1488
	v_mul_f64 v[6:7], v[126:127], v[132:133]
	v_fma_f64 v[6:7], v[124:125], v[130:131], -v[6:7]
	v_add_f64 v[4:5], v[4:5], v[6:7]
	s_waitcnt lgkmcnt(0)
	v_mul_f64 v[142:143], v[134:135], v[140:141]
	v_fmac_f64_e32 v[142:143], v[136:137], v[138:139]
	v_add_f64 v[128:129], v[128:129], v[142:143]
	ds_read_b128 v[142:145], v2 offset:1504
	v_mul_f64 v[6:7], v[136:137], v[140:141]
	v_fma_f64 v[6:7], v[134:135], v[138:139], -v[6:7]
	v_add_f64 v[4:5], v[4:5], v[6:7]
	s_waitcnt lgkmcnt(0)
	v_mul_f64 v[150:151], v[142:143], v[148:149]
	v_fmac_f64_e32 v[150:151], v[144:145], v[146:147]
	v_add_f64 v[128:129], v[128:129], v[150:151]
	ds_read_b128 v[150:153], v2 offset:1520
	v_mul_f64 v[6:7], v[144:145], v[148:149]
	v_fma_f64 v[6:7], v[142:143], v[146:147], -v[6:7]
	v_add_f64 v[4:5], v[4:5], v[6:7]
	s_waitcnt lgkmcnt(0)
	v_mul_f64 v[158:159], v[150:151], v[156:157]
	v_fmac_f64_e32 v[158:159], v[152:153], v[154:155]
	v_add_f64 v[128:129], v[128:129], v[158:159]
	ds_read_b128 v[158:161], v2 offset:1536
	v_mul_f64 v[6:7], v[152:153], v[156:157]
	v_fma_f64 v[6:7], v[150:151], v[154:155], -v[6:7]
	v_add_f64 v[4:5], v[4:5], v[6:7]
	s_waitcnt lgkmcnt(0)
	v_mul_f64 v[166:167], v[158:159], v[164:165]
	v_fmac_f64_e32 v[166:167], v[160:161], v[162:163]
	v_add_f64 v[128:129], v[128:129], v[166:167]
	ds_read_b128 v[166:169], v2 offset:1552
	v_mul_f64 v[6:7], v[160:161], v[164:165]
	v_fma_f64 v[6:7], v[158:159], v[162:163], -v[6:7]
	v_add_f64 v[4:5], v[4:5], v[6:7]
	s_waitcnt lgkmcnt(0)
	v_mul_f64 v[174:175], v[166:167], v[172:173]
	v_fmac_f64_e32 v[174:175], v[168:169], v[170:171]
	v_add_f64 v[128:129], v[128:129], v[174:175]
	ds_read_b128 v[174:177], v2 offset:1568
	v_mul_f64 v[6:7], v[168:169], v[172:173]
	v_fma_f64 v[6:7], v[166:167], v[170:171], -v[6:7]
	v_add_f64 v[4:5], v[4:5], v[6:7]
	s_waitcnt lgkmcnt(0)
	v_mul_f64 v[182:183], v[174:175], v[180:181]
	v_fmac_f64_e32 v[182:183], v[176:177], v[178:179]
	v_add_f64 v[128:129], v[128:129], v[182:183]
	ds_read_b128 v[182:185], v2 offset:1584
	v_mul_f64 v[6:7], v[176:177], v[180:181]
	v_fma_f64 v[6:7], v[174:175], v[178:179], -v[6:7]
	v_add_f64 v[4:5], v[4:5], v[6:7]
	s_waitcnt lgkmcnt(0)
	v_mul_f64 v[6:7], v[184:185], v[188:189]
	v_fma_f64 v[6:7], v[182:183], v[186:187], -v[6:7]
	v_add_f64 v[8:9], v[4:5], v[6:7]
	scratch_load_dwordx4 v[4:7], off, off offset:432
	v_mul_f64 v[190:191], v[182:183], v[188:189]
	v_fmac_f64_e32 v[190:191], v[184:185], v[186:187]
	v_add_f64 v[128:129], v[128:129], v[190:191]
	s_waitcnt vmcnt(0)
	v_add_f64 v[4:5], v[4:5], -v[8:9]
	v_add_f64 v[6:7], v[6:7], -v[128:129]
	scratch_store_dwordx4 off, v[4:7], off offset:432
	s_and_saveexec_b64 s[0:1], vcc
	s_cbranch_execz .LBB113_263
; %bb.262:
	scratch_load_dwordx4 v[6:9], off, s41
	v_mov_b32_e32 v3, v2
	v_mov_b32_e32 v4, v2
	;; [unrolled: 1-line block ×3, first 2 shown]
	v_accvgpr_read_b32 v0, a101
	scratch_store_dwordx4 off, v[2:5], off offset:416
	s_waitcnt vmcnt(1)
	ds_write_b128 v0, v[6:9]
.LBB113_263:
	s_or_b64 exec, exec, s[0:1]
	s_waitcnt lgkmcnt(0)
	; wave barrier
	ds_read_b128 v[16:19], v2 offset:1216
	ds_read_b128 v[12:15], v2 offset:1232
	;; [unrolled: 1-line block ×4, first 2 shown]
	scratch_load_dwordx4 v[20:23], off, off offset:432
	scratch_load_dwordx4 v[40:43], off, off offset:496
	scratch_load_dwordx4 v[72:75], off, off offset:560
	scratch_load_dwordx4 v[80:83], off, off offset:576
	scratch_load_dwordx4 v[88:91], off, off offset:592
	scratch_load_dwordx4 v[96:99], off, off offset:608
	scratch_load_dwordx4 v[104:107], off, off offset:624
	scratch_load_dwordx4 v[112:115], off, off offset:640
	scratch_load_dwordx4 v[120:123], off, off offset:656
	scratch_load_dwordx4 v[128:131], off, off offset:672
	scratch_load_dwordx4 v[136:139], off, off offset:688
	scratch_load_dwordx4 v[144:147], off, off offset:704
	scratch_load_dwordx4 v[154:157], off, off offset:720
	scratch_load_dwordx4 v[162:165], off, off offset:736
	scratch_load_dwordx4 v[170:173], off, off offset:752
	scratch_load_dwordx4 v[178:181], off, off offset:768
	scratch_load_dwordx4 v[186:189], off, off offset:784
	scratch_load_dwordx4 v[194:197], off, off offset:800
	v_cmp_lt_u32_e32 vcc, 24, v240
	scratch_load_dwordx4 v[48:51], off, off offset:512
	scratch_load_dwordx4 v[56:59], off, off offset:528
	;; [unrolled: 1-line block ×3, first 2 shown]
	s_waitcnt vmcnt(20) lgkmcnt(3)
	v_mul_f64 v[24:25], v[16:17], v[22:23]
	v_fmac_f64_e32 v[24:25], v[18:19], v[20:21]
	v_add_f64 v[28:29], v[24:25], 0
	scratch_load_dwordx4 v[24:27], off, off offset:448
	s_waitcnt vmcnt(0) lgkmcnt(2)
	v_mul_f64 v[30:31], v[12:13], v[26:27]
	v_fmac_f64_e32 v[30:31], v[14:15], v[24:25]
	v_add_f64 v[32:33], v[28:29], v[30:31]
	scratch_load_dwordx4 v[28:31], off, off offset:464
	v_mul_f64 v[14:15], v[14:15], v[26:27]
	v_fma_f64 v[12:13], v[12:13], v[24:25], -v[14:15]
	s_waitcnt vmcnt(0) lgkmcnt(1)
	v_mul_f64 v[34:35], v[8:9], v[30:31]
	v_fmac_f64_e32 v[34:35], v[10:11], v[28:29]
	v_add_f64 v[36:37], v[32:33], v[34:35]
	scratch_load_dwordx4 v[32:35], off, off offset:480
	v_mul_f64 v[10:11], v[10:11], v[30:31]
	v_fma_f64 v[8:9], v[8:9], v[28:29], -v[10:11]
	s_waitcnt vmcnt(0) lgkmcnt(0)
	v_mul_f64 v[38:39], v[4:5], v[34:35]
	v_fmac_f64_e32 v[38:39], v[6:7], v[32:33]
	v_add_f64 v[44:45], v[36:37], v[38:39]
	ds_read_b128 v[36:39], v2 offset:1280
	v_mul_f64 v[6:7], v[6:7], v[34:35]
	v_fma_f64 v[4:5], v[4:5], v[32:33], -v[6:7]
	s_waitcnt lgkmcnt(0)
	v_mul_f64 v[46:47], v[36:37], v[42:43]
	v_fmac_f64_e32 v[46:47], v[38:39], v[40:41]
	v_add_f64 v[52:53], v[44:45], v[46:47]
	ds_read_b128 v[44:47], v2 offset:1296
	s_waitcnt lgkmcnt(0)
	v_mul_f64 v[54:55], v[44:45], v[50:51]
	v_fmac_f64_e32 v[54:55], v[46:47], v[48:49]
	v_add_f64 v[60:61], v[52:53], v[54:55]
	ds_read_b128 v[52:55], v2 offset:1312
	;; [unrolled: 5-line block ×19, first 2 shown]
	s_waitcnt lgkmcnt(0)
	v_mul_f64 v[2:3], v[190:191], v[196:197]
	v_fmac_f64_e32 v[2:3], v[192:193], v[194:195]
	v_add_f64 v[148:149], v[148:149], v[2:3]
	v_mul_f64 v[2:3], v[18:19], v[22:23]
	v_fma_f64 v[2:3], v[16:17], v[20:21], -v[2:3]
	v_add_f64 v[2:3], v[2:3], 0
	v_add_f64 v[2:3], v[2:3], v[12:13]
	;; [unrolled: 1-line block ×4, first 2 shown]
	v_mul_f64 v[4:5], v[38:39], v[42:43]
	v_fma_f64 v[4:5], v[36:37], v[40:41], -v[4:5]
	v_add_f64 v[2:3], v[2:3], v[4:5]
	v_mul_f64 v[4:5], v[46:47], v[50:51]
	v_fma_f64 v[4:5], v[44:45], v[48:49], -v[4:5]
	v_add_f64 v[2:3], v[2:3], v[4:5]
	;; [unrolled: 3-line block ×20, first 2 shown]
	scratch_load_dwordx4 v[2:5], off, off offset:416
	s_waitcnt vmcnt(0)
	v_add_f64 v[2:3], v[2:3], -v[6:7]
	v_add_f64 v[4:5], v[4:5], -v[148:149]
	scratch_store_dwordx4 off, v[2:5], off offset:416
	s_and_saveexec_b64 s[0:1], vcc
	s_cbranch_execz .LBB113_265
; %bb.264:
	scratch_load_dwordx4 v[2:5], off, s42
	v_mov_b32_e32 v6, 0
	v_mov_b32_e32 v7, v6
	;; [unrolled: 1-line block ×4, first 2 shown]
	v_accvgpr_read_b32 v0, a101
	scratch_store_dwordx4 off, v[6:9], off offset:400
	s_waitcnt vmcnt(1)
	ds_write_b128 v0, v[2:5]
.LBB113_265:
	s_or_b64 exec, exec, s[0:1]
	v_mov_b32_e32 v2, 0
	s_waitcnt lgkmcnt(0)
	; wave barrier
	ds_read_b128 v[16:19], v2 offset:1200
	ds_read_b128 v[12:15], v2 offset:1216
	ds_read_b128 v[8:11], v2 offset:1232
	ds_read_b128 v[4:7], v2 offset:1248
	scratch_load_dwordx4 v[20:23], off, off offset:416
	scratch_load_dwordx4 v[40:43], off, off offset:480
	;; [unrolled: 1-line block ×19, first 2 shown]
	v_cmp_lt_u32_e32 vcc, 23, v240
	scratch_load_dwordx4 v[48:51], off, off offset:496
	scratch_load_dwordx4 v[56:59], off, off offset:512
	;; [unrolled: 1-line block ×3, first 2 shown]
	s_waitcnt vmcnt(21) lgkmcnt(3)
	v_mul_f64 v[24:25], v[16:17], v[22:23]
	v_fmac_f64_e32 v[24:25], v[18:19], v[20:21]
	v_add_f64 v[28:29], v[24:25], 0
	scratch_load_dwordx4 v[24:27], off, off offset:432
	v_mul_f64 v[18:19], v[18:19], v[22:23]
	v_fma_f64 v[16:17], v[16:17], v[20:21], -v[18:19]
	v_add_f64 v[16:17], v[16:17], 0
	s_waitcnt vmcnt(0) lgkmcnt(2)
	v_mul_f64 v[30:31], v[12:13], v[26:27]
	v_fmac_f64_e32 v[30:31], v[14:15], v[24:25]
	v_add_f64 v[32:33], v[28:29], v[30:31]
	scratch_load_dwordx4 v[28:31], off, off offset:448
	v_mul_f64 v[14:15], v[14:15], v[26:27]
	v_fma_f64 v[12:13], v[12:13], v[24:25], -v[14:15]
	v_add_f64 v[12:13], v[16:17], v[12:13]
	;; [unrolled: 8-line block ×3, first 2 shown]
	s_waitcnt vmcnt(0) lgkmcnt(0)
	v_mul_f64 v[38:39], v[4:5], v[34:35]
	v_fmac_f64_e32 v[38:39], v[6:7], v[32:33]
	v_add_f64 v[44:45], v[36:37], v[38:39]
	ds_read_b128 v[36:39], v2 offset:1264
	v_mul_f64 v[6:7], v[6:7], v[34:35]
	v_fma_f64 v[4:5], v[4:5], v[32:33], -v[6:7]
	v_add_f64 v[4:5], v[8:9], v[4:5]
	s_waitcnt lgkmcnt(0)
	v_mul_f64 v[46:47], v[36:37], v[42:43]
	v_fmac_f64_e32 v[46:47], v[38:39], v[40:41]
	v_add_f64 v[52:53], v[44:45], v[46:47]
	ds_read_b128 v[44:47], v2 offset:1280
	v_mul_f64 v[6:7], v[38:39], v[42:43]
	v_fma_f64 v[6:7], v[36:37], v[40:41], -v[6:7]
	v_add_f64 v[4:5], v[4:5], v[6:7]
	s_waitcnt lgkmcnt(0)
	;; [unrolled: 8-line block ×21, first 2 shown]
	v_mul_f64 v[6:7], v[200:201], v[204:205]
	v_fma_f64 v[6:7], v[198:199], v[202:203], -v[6:7]
	v_add_f64 v[8:9], v[4:5], v[6:7]
	scratch_load_dwordx4 v[4:7], off, off offset:400
	v_mul_f64 v[206:207], v[198:199], v[204:205]
	v_fmac_f64_e32 v[206:207], v[200:201], v[202:203]
	v_add_f64 v[144:145], v[144:145], v[206:207]
	s_waitcnt vmcnt(0)
	v_add_f64 v[4:5], v[4:5], -v[8:9]
	v_add_f64 v[6:7], v[6:7], -v[144:145]
	scratch_store_dwordx4 off, v[4:7], off offset:400
	s_and_saveexec_b64 s[0:1], vcc
	s_cbranch_execz .LBB113_267
; %bb.266:
	scratch_load_dwordx4 v[6:9], off, s43
	v_mov_b32_e32 v3, v2
	v_mov_b32_e32 v4, v2
	;; [unrolled: 1-line block ×3, first 2 shown]
	v_accvgpr_read_b32 v0, a101
	scratch_store_dwordx4 off, v[2:5], off offset:384
	s_waitcnt vmcnt(1)
	ds_write_b128 v0, v[6:9]
.LBB113_267:
	s_or_b64 exec, exec, s[0:1]
	s_waitcnt lgkmcnt(0)
	; wave barrier
	ds_read_b128 v[16:19], v2 offset:1184
	ds_read_b128 v[12:15], v2 offset:1200
	ds_read_b128 v[8:11], v2 offset:1216
	ds_read_b128 v[4:7], v2 offset:1232
	scratch_load_dwordx4 v[20:23], off, off offset:400
	scratch_load_dwordx4 v[40:43], off, off offset:464
	;; [unrolled: 1-line block ×20, first 2 shown]
	v_cmp_lt_u32_e32 vcc, 22, v240
	scratch_load_dwordx4 v[48:51], off, off offset:480
	scratch_load_dwordx4 v[56:59], off, off offset:496
	scratch_load_dwordx4 v[64:67], off, off offset:512
	s_waitcnt vmcnt(22) lgkmcnt(3)
	v_mul_f64 v[24:25], v[16:17], v[22:23]
	v_fmac_f64_e32 v[24:25], v[18:19], v[20:21]
	v_add_f64 v[28:29], v[24:25], 0
	scratch_load_dwordx4 v[24:27], off, off offset:416
	s_waitcnt vmcnt(0) lgkmcnt(2)
	v_mul_f64 v[30:31], v[12:13], v[26:27]
	v_fmac_f64_e32 v[30:31], v[14:15], v[24:25]
	v_add_f64 v[32:33], v[28:29], v[30:31]
	scratch_load_dwordx4 v[28:31], off, off offset:432
	v_mul_f64 v[14:15], v[14:15], v[26:27]
	v_fma_f64 v[12:13], v[12:13], v[24:25], -v[14:15]
	s_waitcnt vmcnt(0) lgkmcnt(1)
	v_mul_f64 v[34:35], v[8:9], v[30:31]
	v_fmac_f64_e32 v[34:35], v[10:11], v[28:29]
	v_add_f64 v[36:37], v[32:33], v[34:35]
	scratch_load_dwordx4 v[32:35], off, off offset:448
	v_mul_f64 v[10:11], v[10:11], v[30:31]
	v_fma_f64 v[8:9], v[8:9], v[28:29], -v[10:11]
	s_waitcnt vmcnt(0) lgkmcnt(0)
	v_mul_f64 v[38:39], v[4:5], v[34:35]
	v_fmac_f64_e32 v[38:39], v[6:7], v[32:33]
	v_add_f64 v[44:45], v[36:37], v[38:39]
	ds_read_b128 v[36:39], v2 offset:1248
	v_mul_f64 v[6:7], v[6:7], v[34:35]
	v_fma_f64 v[4:5], v[4:5], v[32:33], -v[6:7]
	s_waitcnt lgkmcnt(0)
	v_mul_f64 v[46:47], v[36:37], v[42:43]
	v_fmac_f64_e32 v[46:47], v[38:39], v[40:41]
	v_add_f64 v[52:53], v[44:45], v[46:47]
	ds_read_b128 v[44:47], v2 offset:1264
	s_waitcnt lgkmcnt(0)
	v_mul_f64 v[54:55], v[44:45], v[50:51]
	v_fmac_f64_e32 v[54:55], v[46:47], v[48:49]
	v_add_f64 v[60:61], v[52:53], v[54:55]
	ds_read_b128 v[52:55], v2 offset:1280
	;; [unrolled: 5-line block ×21, first 2 shown]
	s_waitcnt lgkmcnt(0)
	v_mul_f64 v[2:3], v[206:207], v[212:213]
	v_fmac_f64_e32 v[2:3], v[208:209], v[210:211]
	v_add_f64 v[168:169], v[168:169], v[2:3]
	v_mul_f64 v[2:3], v[18:19], v[22:23]
	v_fma_f64 v[2:3], v[16:17], v[20:21], -v[2:3]
	v_add_f64 v[2:3], v[2:3], 0
	v_add_f64 v[2:3], v[2:3], v[12:13]
	;; [unrolled: 1-line block ×4, first 2 shown]
	v_mul_f64 v[4:5], v[38:39], v[42:43]
	v_fma_f64 v[4:5], v[36:37], v[40:41], -v[4:5]
	v_add_f64 v[2:3], v[2:3], v[4:5]
	v_mul_f64 v[4:5], v[46:47], v[50:51]
	v_fma_f64 v[4:5], v[44:45], v[48:49], -v[4:5]
	v_add_f64 v[2:3], v[2:3], v[4:5]
	;; [unrolled: 3-line block ×22, first 2 shown]
	scratch_load_dwordx4 v[2:5], off, off offset:384
	s_waitcnt vmcnt(0)
	v_add_f64 v[2:3], v[2:3], -v[6:7]
	v_add_f64 v[4:5], v[4:5], -v[168:169]
	scratch_store_dwordx4 off, v[2:5], off offset:384
	s_and_saveexec_b64 s[0:1], vcc
	s_cbranch_execz .LBB113_269
; %bb.268:
	scratch_load_dwordx4 v[2:5], off, s44
	v_mov_b32_e32 v6, 0
	v_mov_b32_e32 v7, v6
	;; [unrolled: 1-line block ×4, first 2 shown]
	v_accvgpr_read_b32 v0, a101
	scratch_store_dwordx4 off, v[6:9], off offset:368
	s_waitcnt vmcnt(1)
	ds_write_b128 v0, v[2:5]
.LBB113_269:
	s_or_b64 exec, exec, s[0:1]
	v_mov_b32_e32 v2, 0
	s_waitcnt lgkmcnt(0)
	; wave barrier
	ds_read_b128 v[16:19], v2 offset:1168
	ds_read_b128 v[12:15], v2 offset:1184
	ds_read_b128 v[8:11], v2 offset:1200
	ds_read_b128 v[4:7], v2 offset:1216
	scratch_load_dwordx4 v[20:23], off, off offset:384
	scratch_load_dwordx4 v[40:43], off, off offset:448
	;; [unrolled: 1-line block ×21, first 2 shown]
	v_cmp_lt_u32_e32 vcc, 21, v240
	scratch_load_dwordx4 v[48:51], off, off offset:464
	scratch_load_dwordx4 v[56:59], off, off offset:480
	;; [unrolled: 1-line block ×3, first 2 shown]
	s_waitcnt vmcnt(23) lgkmcnt(3)
	v_mul_f64 v[24:25], v[16:17], v[22:23]
	v_fmac_f64_e32 v[24:25], v[18:19], v[20:21]
	v_add_f64 v[28:29], v[24:25], 0
	scratch_load_dwordx4 v[24:27], off, off offset:400
	v_mul_f64 v[18:19], v[18:19], v[22:23]
	v_fma_f64 v[16:17], v[16:17], v[20:21], -v[18:19]
	v_add_f64 v[16:17], v[16:17], 0
	s_waitcnt vmcnt(0) lgkmcnt(2)
	v_mul_f64 v[30:31], v[12:13], v[26:27]
	v_fmac_f64_e32 v[30:31], v[14:15], v[24:25]
	v_add_f64 v[32:33], v[28:29], v[30:31]
	scratch_load_dwordx4 v[28:31], off, off offset:416
	v_mul_f64 v[14:15], v[14:15], v[26:27]
	v_fma_f64 v[12:13], v[12:13], v[24:25], -v[14:15]
	v_add_f64 v[12:13], v[16:17], v[12:13]
	;; [unrolled: 8-line block ×3, first 2 shown]
	s_waitcnt vmcnt(0) lgkmcnt(0)
	v_mul_f64 v[38:39], v[4:5], v[34:35]
	v_fmac_f64_e32 v[38:39], v[6:7], v[32:33]
	v_add_f64 v[44:45], v[36:37], v[38:39]
	ds_read_b128 v[36:39], v2 offset:1232
	v_mul_f64 v[6:7], v[6:7], v[34:35]
	v_fma_f64 v[4:5], v[4:5], v[32:33], -v[6:7]
	v_add_f64 v[4:5], v[8:9], v[4:5]
	s_waitcnt lgkmcnt(0)
	v_mul_f64 v[46:47], v[36:37], v[42:43]
	v_fmac_f64_e32 v[46:47], v[38:39], v[40:41]
	v_add_f64 v[52:53], v[44:45], v[46:47]
	ds_read_b128 v[44:47], v2 offset:1248
	v_mul_f64 v[6:7], v[38:39], v[42:43]
	v_fma_f64 v[6:7], v[36:37], v[40:41], -v[6:7]
	v_add_f64 v[4:5], v[4:5], v[6:7]
	s_waitcnt lgkmcnt(0)
	;; [unrolled: 8-line block ×23, first 2 shown]
	v_mul_f64 v[6:7], v[216:217], v[220:221]
	v_fma_f64 v[6:7], v[214:215], v[218:219], -v[6:7]
	v_add_f64 v[8:9], v[4:5], v[6:7]
	scratch_load_dwordx4 v[4:7], off, off offset:368
	v_mul_f64 v[222:223], v[214:215], v[220:221]
	v_fmac_f64_e32 v[222:223], v[216:217], v[218:219]
	v_add_f64 v[160:161], v[160:161], v[222:223]
	s_waitcnt vmcnt(0)
	v_add_f64 v[4:5], v[4:5], -v[8:9]
	v_add_f64 v[6:7], v[6:7], -v[160:161]
	scratch_store_dwordx4 off, v[4:7], off offset:368
	s_and_saveexec_b64 s[0:1], vcc
	s_cbranch_execz .LBB113_271
; %bb.270:
	scratch_load_dwordx4 v[6:9], off, s45
	v_mov_b32_e32 v3, v2
	v_mov_b32_e32 v4, v2
	;; [unrolled: 1-line block ×3, first 2 shown]
	v_accvgpr_read_b32 v0, a101
	scratch_store_dwordx4 off, v[2:5], off offset:352
	s_waitcnt vmcnt(1)
	ds_write_b128 v0, v[6:9]
.LBB113_271:
	s_or_b64 exec, exec, s[0:1]
	s_waitcnt lgkmcnt(0)
	; wave barrier
	ds_read_b128 v[16:19], v2 offset:1152
	ds_read_b128 v[12:15], v2 offset:1168
	;; [unrolled: 1-line block ×4, first 2 shown]
	scratch_load_dwordx4 v[20:23], off, off offset:368
	scratch_load_dwordx4 v[40:43], off, off offset:432
	scratch_load_dwordx4 v[72:75], off, off offset:496
	scratch_load_dwordx4 v[80:83], off, off offset:512
	scratch_load_dwordx4 v[88:91], off, off offset:528
	scratch_load_dwordx4 v[96:99], off, off offset:544
	scratch_load_dwordx4 v[104:107], off, off offset:560
	scratch_load_dwordx4 v[112:115], off, off offset:576
	scratch_load_dwordx4 v[120:123], off, off offset:592
	scratch_load_dwordx4 v[128:131], off, off offset:608
	scratch_load_dwordx4 v[136:139], off, off offset:624
	scratch_load_dwordx4 v[144:147], off, off offset:640
	scratch_load_dwordx4 v[152:155], off, off offset:656
	scratch_load_dwordx4 v[160:163], off, off offset:672
	scratch_load_dwordx4 v[168:171], off, off offset:688
	scratch_load_dwordx4 v[178:181], off, off offset:704
	scratch_load_dwordx4 v[186:189], off, off offset:720
	scratch_load_dwordx4 v[194:197], off, off offset:736
	scratch_load_dwordx4 v[202:205], off, off offset:752
	scratch_load_dwordx4 v[210:213], off, off offset:768
	scratch_load_dwordx4 v[218:221], off, off offset:784
	scratch_load_dwordx4 v[226:229], off, off offset:800
	v_cmp_lt_u32_e32 vcc, 20, v240
	scratch_load_dwordx4 v[48:51], off, off offset:448
	scratch_load_dwordx4 v[56:59], off, off offset:464
	;; [unrolled: 1-line block ×3, first 2 shown]
	s_waitcnt vmcnt(24) lgkmcnt(3)
	v_mul_f64 v[24:25], v[16:17], v[22:23]
	v_fmac_f64_e32 v[24:25], v[18:19], v[20:21]
	v_add_f64 v[28:29], v[24:25], 0
	scratch_load_dwordx4 v[24:27], off, off offset:384
	s_waitcnt vmcnt(0) lgkmcnt(2)
	v_mul_f64 v[30:31], v[12:13], v[26:27]
	v_fmac_f64_e32 v[30:31], v[14:15], v[24:25]
	v_add_f64 v[32:33], v[28:29], v[30:31]
	scratch_load_dwordx4 v[28:31], off, off offset:400
	v_mul_f64 v[14:15], v[14:15], v[26:27]
	v_fma_f64 v[12:13], v[12:13], v[24:25], -v[14:15]
	s_waitcnt vmcnt(0) lgkmcnt(1)
	v_mul_f64 v[34:35], v[8:9], v[30:31]
	v_fmac_f64_e32 v[34:35], v[10:11], v[28:29]
	v_add_f64 v[36:37], v[32:33], v[34:35]
	scratch_load_dwordx4 v[32:35], off, off offset:416
	v_mul_f64 v[10:11], v[10:11], v[30:31]
	v_fma_f64 v[8:9], v[8:9], v[28:29], -v[10:11]
	s_waitcnt vmcnt(0) lgkmcnt(0)
	v_mul_f64 v[38:39], v[4:5], v[34:35]
	v_fmac_f64_e32 v[38:39], v[6:7], v[32:33]
	v_add_f64 v[44:45], v[36:37], v[38:39]
	ds_read_b128 v[36:39], v2 offset:1216
	v_mul_f64 v[6:7], v[6:7], v[34:35]
	v_fma_f64 v[4:5], v[4:5], v[32:33], -v[6:7]
	s_waitcnt lgkmcnt(0)
	v_mul_f64 v[46:47], v[36:37], v[42:43]
	v_fmac_f64_e32 v[46:47], v[38:39], v[40:41]
	v_add_f64 v[52:53], v[44:45], v[46:47]
	ds_read_b128 v[44:47], v2 offset:1232
	s_waitcnt lgkmcnt(0)
	v_mul_f64 v[54:55], v[44:45], v[50:51]
	v_fmac_f64_e32 v[54:55], v[46:47], v[48:49]
	v_add_f64 v[60:61], v[52:53], v[54:55]
	ds_read_b128 v[52:55], v2 offset:1248
	;; [unrolled: 5-line block ×23, first 2 shown]
	s_waitcnt lgkmcnt(0)
	v_mul_f64 v[2:3], v[222:223], v[228:229]
	v_fmac_f64_e32 v[2:3], v[224:225], v[226:227]
	v_add_f64 v[176:177], v[176:177], v[2:3]
	v_mul_f64 v[2:3], v[18:19], v[22:23]
	v_fma_f64 v[2:3], v[16:17], v[20:21], -v[2:3]
	v_add_f64 v[2:3], v[2:3], 0
	v_add_f64 v[2:3], v[2:3], v[12:13]
	;; [unrolled: 1-line block ×4, first 2 shown]
	v_mul_f64 v[4:5], v[38:39], v[42:43]
	v_fma_f64 v[4:5], v[36:37], v[40:41], -v[4:5]
	v_add_f64 v[2:3], v[2:3], v[4:5]
	v_mul_f64 v[4:5], v[46:47], v[50:51]
	v_fma_f64 v[4:5], v[44:45], v[48:49], -v[4:5]
	v_add_f64 v[2:3], v[2:3], v[4:5]
	;; [unrolled: 3-line block ×24, first 2 shown]
	scratch_load_dwordx4 v[2:5], off, off offset:352
	s_waitcnt vmcnt(0)
	v_add_f64 v[2:3], v[2:3], -v[6:7]
	v_add_f64 v[4:5], v[4:5], -v[176:177]
	scratch_store_dwordx4 off, v[2:5], off offset:352
	s_and_saveexec_b64 s[0:1], vcc
	s_cbranch_execz .LBB113_273
; %bb.272:
	scratch_load_dwordx4 v[2:5], off, s46
	v_mov_b32_e32 v6, 0
	v_mov_b32_e32 v7, v6
	;; [unrolled: 1-line block ×4, first 2 shown]
	v_accvgpr_read_b32 v0, a101
	scratch_store_dwordx4 off, v[6:9], off offset:336
	s_waitcnt vmcnt(1)
	ds_write_b128 v0, v[2:5]
.LBB113_273:
	s_or_b64 exec, exec, s[0:1]
	v_mov_b32_e32 v2, 0
	s_waitcnt lgkmcnt(0)
	; wave barrier
	ds_read_b128 v[16:19], v2 offset:1136
	ds_read_b128 v[12:15], v2 offset:1152
	;; [unrolled: 1-line block ×4, first 2 shown]
	scratch_load_dwordx4 v[20:23], off, off offset:352
	scratch_load_dwordx4 v[40:43], off, off offset:416
	;; [unrolled: 1-line block ×23, first 2 shown]
	v_cmp_lt_u32_e32 vcc, 19, v240
	scratch_load_dwordx4 v[48:51], off, off offset:432
	scratch_load_dwordx4 v[56:59], off, off offset:448
	;; [unrolled: 1-line block ×3, first 2 shown]
	s_waitcnt vmcnt(25) lgkmcnt(3)
	v_mul_f64 v[24:25], v[16:17], v[22:23]
	v_fmac_f64_e32 v[24:25], v[18:19], v[20:21]
	v_add_f64 v[28:29], v[24:25], 0
	scratch_load_dwordx4 v[24:27], off, off offset:368
	v_mul_f64 v[18:19], v[18:19], v[22:23]
	v_fma_f64 v[16:17], v[16:17], v[20:21], -v[18:19]
	v_add_f64 v[16:17], v[16:17], 0
	s_waitcnt vmcnt(0) lgkmcnt(2)
	v_mul_f64 v[30:31], v[12:13], v[26:27]
	v_fmac_f64_e32 v[30:31], v[14:15], v[24:25]
	v_add_f64 v[32:33], v[28:29], v[30:31]
	scratch_load_dwordx4 v[28:31], off, off offset:384
	v_mul_f64 v[14:15], v[14:15], v[26:27]
	v_fma_f64 v[12:13], v[12:13], v[24:25], -v[14:15]
	v_add_f64 v[12:13], v[16:17], v[12:13]
	;; [unrolled: 8-line block ×3, first 2 shown]
	s_waitcnt vmcnt(0) lgkmcnt(0)
	v_mul_f64 v[38:39], v[4:5], v[34:35]
	v_fmac_f64_e32 v[38:39], v[6:7], v[32:33]
	v_add_f64 v[44:45], v[36:37], v[38:39]
	ds_read_b128 v[36:39], v2 offset:1200
	v_mul_f64 v[6:7], v[6:7], v[34:35]
	v_fma_f64 v[4:5], v[4:5], v[32:33], -v[6:7]
	v_add_f64 v[4:5], v[8:9], v[4:5]
	s_waitcnt lgkmcnt(0)
	v_mul_f64 v[46:47], v[36:37], v[42:43]
	v_fmac_f64_e32 v[46:47], v[38:39], v[40:41]
	v_add_f64 v[52:53], v[44:45], v[46:47]
	ds_read_b128 v[44:47], v2 offset:1216
	v_mul_f64 v[6:7], v[38:39], v[42:43]
	v_fma_f64 v[6:7], v[36:37], v[40:41], -v[6:7]
	v_add_f64 v[4:5], v[4:5], v[6:7]
	s_waitcnt lgkmcnt(0)
	;; [unrolled: 8-line block ×25, first 2 shown]
	v_mul_f64 v[6:7], v[232:233], v[236:237]
	v_fma_f64 v[6:7], v[230:231], v[234:235], -v[6:7]
	v_add_f64 v[8:9], v[4:5], v[6:7]
	scratch_load_dwordx4 v[4:7], off, off offset:336
	v_mul_f64 v[238:239], v[230:231], v[236:237]
	v_fmac_f64_e32 v[238:239], v[232:233], v[234:235]
	v_add_f64 v[176:177], v[176:177], v[238:239]
	s_waitcnt vmcnt(0)
	v_add_f64 v[4:5], v[4:5], -v[8:9]
	v_add_f64 v[6:7], v[6:7], -v[176:177]
	scratch_store_dwordx4 off, v[4:7], off offset:336
	s_and_saveexec_b64 s[0:1], vcc
	s_cbranch_execz .LBB113_275
; %bb.274:
	scratch_load_dwordx4 v[6:9], off, s47
	v_mov_b32_e32 v3, v2
	v_mov_b32_e32 v4, v2
	v_mov_b32_e32 v5, v2
	v_accvgpr_read_b32 v0, a101
	scratch_store_dwordx4 off, v[2:5], off offset:320
	s_waitcnt vmcnt(1)
	ds_write_b128 v0, v[6:9]
.LBB113_275:
	s_or_b64 exec, exec, s[0:1]
	s_waitcnt lgkmcnt(0)
	; wave barrier
	ds_read_b128 v[16:19], v2 offset:1120
	ds_read_b128 v[12:15], v2 offset:1136
	;; [unrolled: 1-line block ×4, first 2 shown]
	scratch_load_dwordx4 v[20:23], off, off offset:336
	scratch_load_dwordx4 v[40:43], off, off offset:400
	scratch_load_dwordx4 v[72:75], off, off offset:464
	scratch_load_dwordx4 v[80:83], off, off offset:480
	scratch_load_dwordx4 v[88:91], off, off offset:496
	scratch_load_dwordx4 v[96:99], off, off offset:512
	scratch_load_dwordx4 v[104:107], off, off offset:528
	scratch_load_dwordx4 v[112:115], off, off offset:544
	scratch_load_dwordx4 v[120:123], off, off offset:560
	scratch_load_dwordx4 v[128:131], off, off offset:576
	scratch_load_dwordx4 v[136:139], off, off offset:592
	scratch_load_dwordx4 v[144:147], off, off offset:608
	scratch_load_dwordx4 v[152:155], off, off offset:624
	scratch_load_dwordx4 v[160:163], off, off offset:640
	scratch_load_dwordx4 v[168:171], off, off offset:656
	scratch_load_dwordx4 v[176:179], off, off offset:672
	scratch_load_dwordx4 v[186:189], off, off offset:688
	scratch_load_dwordx4 v[194:197], off, off offset:704
	scratch_load_dwordx4 v[202:205], off, off offset:720
	scratch_load_dwordx4 v[210:213], off, off offset:736
	scratch_load_dwordx4 v[218:221], off, off offset:752
	scratch_load_dwordx4 v[226:229], off, off offset:768
	scratch_load_dwordx4 v[234:237], off, off offset:784
	scratch_load_dwordx4 v[246:249], off, off offset:800
	v_cmp_lt_u32_e32 vcc, 18, v240
	scratch_load_dwordx4 v[48:51], off, off offset:416
	scratch_load_dwordx4 v[56:59], off, off offset:432
	;; [unrolled: 1-line block ×3, first 2 shown]
	ds_read_b128 v[242:245], v2 offset:1584
	s_waitcnt vmcnt(26) lgkmcnt(4)
	v_mul_f64 v[24:25], v[16:17], v[22:23]
	v_fmac_f64_e32 v[24:25], v[18:19], v[20:21]
	v_add_f64 v[28:29], v[24:25], 0
	scratch_load_dwordx4 v[24:27], off, off offset:352
	s_waitcnt vmcnt(0) lgkmcnt(3)
	v_mul_f64 v[30:31], v[12:13], v[26:27]
	v_fmac_f64_e32 v[30:31], v[14:15], v[24:25]
	v_add_f64 v[32:33], v[28:29], v[30:31]
	scratch_load_dwordx4 v[28:31], off, off offset:368
	v_mul_f64 v[14:15], v[14:15], v[26:27]
	v_fma_f64 v[12:13], v[12:13], v[24:25], -v[14:15]
	s_waitcnt vmcnt(0) lgkmcnt(2)
	v_mul_f64 v[34:35], v[8:9], v[30:31]
	v_fmac_f64_e32 v[34:35], v[10:11], v[28:29]
	v_add_f64 v[36:37], v[32:33], v[34:35]
	scratch_load_dwordx4 v[32:35], off, off offset:384
	v_mul_f64 v[10:11], v[10:11], v[30:31]
	v_fma_f64 v[8:9], v[8:9], v[28:29], -v[10:11]
	s_waitcnt vmcnt(0) lgkmcnt(1)
	v_mul_f64 v[38:39], v[4:5], v[34:35]
	v_fmac_f64_e32 v[38:39], v[6:7], v[32:33]
	v_add_f64 v[44:45], v[36:37], v[38:39]
	ds_read_b128 v[36:39], v2 offset:1184
	v_mul_f64 v[6:7], v[6:7], v[34:35]
	v_fma_f64 v[4:5], v[4:5], v[32:33], -v[6:7]
	s_waitcnt lgkmcnt(0)
	v_mul_f64 v[46:47], v[36:37], v[42:43]
	v_fmac_f64_e32 v[46:47], v[38:39], v[40:41]
	v_add_f64 v[52:53], v[44:45], v[46:47]
	ds_read_b128 v[44:47], v2 offset:1200
	s_waitcnt lgkmcnt(0)
	v_mul_f64 v[54:55], v[44:45], v[50:51]
	v_fmac_f64_e32 v[54:55], v[46:47], v[48:49]
	v_add_f64 v[60:61], v[52:53], v[54:55]
	ds_read_b128 v[52:55], v2 offset:1216
	;; [unrolled: 5-line block ×24, first 2 shown]
	v_mul_f64 v[2:3], v[242:243], v[248:249]
	v_fmac_f64_e32 v[2:3], v[244:245], v[246:247]
	s_waitcnt lgkmcnt(0)
	v_mul_f64 v[238:239], v[230:231], v[236:237]
	v_fmac_f64_e32 v[238:239], v[232:233], v[234:235]
	v_add_f64 v[184:185], v[184:185], v[238:239]
	v_add_f64 v[184:185], v[184:185], v[2:3]
	v_mul_f64 v[2:3], v[18:19], v[22:23]
	v_fma_f64 v[2:3], v[16:17], v[20:21], -v[2:3]
	v_add_f64 v[2:3], v[2:3], 0
	v_add_f64 v[2:3], v[2:3], v[12:13]
	;; [unrolled: 1-line block ×4, first 2 shown]
	v_mul_f64 v[4:5], v[38:39], v[42:43]
	v_fma_f64 v[4:5], v[36:37], v[40:41], -v[4:5]
	v_add_f64 v[2:3], v[2:3], v[4:5]
	v_mul_f64 v[4:5], v[46:47], v[50:51]
	v_fma_f64 v[4:5], v[44:45], v[48:49], -v[4:5]
	v_add_f64 v[2:3], v[2:3], v[4:5]
	;; [unrolled: 3-line block ×26, first 2 shown]
	scratch_load_dwordx4 v[2:5], off, off offset:320
	s_waitcnt vmcnt(0)
	v_add_f64 v[2:3], v[2:3], -v[6:7]
	v_add_f64 v[4:5], v[4:5], -v[184:185]
	scratch_store_dwordx4 off, v[2:5], off offset:320
	s_and_saveexec_b64 s[0:1], vcc
	s_cbranch_execz .LBB113_277
; %bb.276:
	scratch_load_dwordx4 v[2:5], off, s48
	v_mov_b32_e32 v6, 0
	v_mov_b32_e32 v7, v6
	;; [unrolled: 1-line block ×4, first 2 shown]
	v_accvgpr_read_b32 v0, a101
	scratch_store_dwordx4 off, v[6:9], off offset:304
	s_waitcnt vmcnt(1)
	ds_write_b128 v0, v[2:5]
.LBB113_277:
	s_or_b64 exec, exec, s[0:1]
	s_waitcnt lgkmcnt(0)
	; wave barrier
	scratch_load_dwordx4 v[16:19], off, off offset:320
	scratch_load_dwordx4 v[12:15], off, off offset:336
	;; [unrolled: 1-line block ×32, first 2 shown]
	v_mov_b32_e32 v2, 0
	ds_read_b128 v[132:135], v2 offset:1104
	ds_read_b128 v[136:139], v2 offset:1120
	;; [unrolled: 1-line block ×17, first 2 shown]
	v_cmp_lt_u32_e32 vcc, 17, v240
	s_waitcnt vmcnt(31) lgkmcnt(14)
	v_mul_f64 v[200:201], v[132:133], v[18:19]
	s_waitcnt vmcnt(30)
	v_mul_f64 v[202:203], v[136:137], v[14:15]
	v_fmac_f64_e32 v[200:201], v[134:135], v[16:17]
	s_waitcnt vmcnt(29)
	v_mul_f64 v[204:205], v[140:141], v[10:11]
	v_fmac_f64_e32 v[202:203], v[138:139], v[12:13]
	v_add_f64 v[200:201], v[200:201], 0
	s_waitcnt vmcnt(28) lgkmcnt(13)
	v_mul_f64 v[206:207], v[144:145], v[6:7]
	v_fmac_f64_e32 v[204:205], v[142:143], v[8:9]
	v_add_f64 v[200:201], v[200:201], v[202:203]
	s_waitcnt vmcnt(27) lgkmcnt(12)
	;; [unrolled: 4-line block ×12, first 2 shown]
	v_mul_f64 v[228:229], v[188:189], v[62:63]
	v_fmac_f64_e32 v[226:227], v[186:187], v[56:57]
	v_add_f64 v[200:201], v[200:201], v[224:225]
	v_fmac_f64_e32 v[228:229], v[190:191], v[60:61]
	v_add_f64 v[200:201], v[200:201], v[226:227]
	s_waitcnt vmcnt(16) lgkmcnt(1)
	v_mul_f64 v[202:203], v[192:193], v[66:67]
	v_add_f64 v[200:201], v[200:201], v[228:229]
	v_fmac_f64_e32 v[202:203], v[194:195], v[64:65]
	s_waitcnt vmcnt(15) lgkmcnt(0)
	v_mul_f64 v[206:207], v[196:197], v[70:71]
	v_add_f64 v[204:205], v[200:201], v[202:203]
	ds_read_b128 v[200:203], v2 offset:1376
	v_fmac_f64_e32 v[206:207], v[198:199], v[68:69]
	v_add_f64 v[208:209], v[204:205], v[206:207]
	ds_read_b128 v[204:207], v2 offset:1392
	v_mul_f64 v[18:19], v[134:135], v[18:19]
	s_waitcnt vmcnt(14) lgkmcnt(1)
	v_mul_f64 v[210:211], v[200:201], v[74:75]
	v_fmac_f64_e32 v[210:211], v[202:203], v[72:73]
	v_add_f64 v[212:213], v[208:209], v[210:211]
	s_waitcnt vmcnt(13) lgkmcnt(0)
	v_mul_f64 v[214:215], v[204:205], v[78:79]
	ds_read_b128 v[208:211], v2 offset:1408
	v_fmac_f64_e32 v[214:215], v[206:207], v[76:77]
	v_add_f64 v[216:217], v[212:213], v[214:215]
	ds_read_b128 v[212:215], v2 offset:1424
	v_fma_f64 v[244:245], v[132:133], v[16:17], -v[18:19]
	s_waitcnt vmcnt(12) lgkmcnt(1)
	v_mul_f64 v[218:219], v[208:209], v[82:83]
	v_fmac_f64_e32 v[218:219], v[210:211], v[80:81]
	v_add_f64 v[220:221], v[216:217], v[218:219]
	s_waitcnt vmcnt(11) lgkmcnt(0)
	v_mul_f64 v[222:223], v[212:213], v[86:87]
	ds_read_b128 v[216:219], v2 offset:1440
	v_fmac_f64_e32 v[222:223], v[214:215], v[84:85]
	v_add_f64 v[224:225], v[220:221], v[222:223]
	ds_read_b128 v[220:223], v2 offset:1456
	ds_read_b128 v[16:19], v2 offset:1536
	s_waitcnt vmcnt(10) lgkmcnt(2)
	v_mul_f64 v[226:227], v[216:217], v[90:91]
	v_fmac_f64_e32 v[226:227], v[218:219], v[88:89]
	v_add_f64 v[228:229], v[224:225], v[226:227]
	s_waitcnt vmcnt(9) lgkmcnt(1)
	v_mul_f64 v[230:231], v[220:221], v[94:95]
	ds_read_b128 v[224:227], v2 offset:1472
	v_fmac_f64_e32 v[230:231], v[222:223], v[92:93]
	v_add_f64 v[232:233], v[228:229], v[230:231]
	ds_read_b128 v[228:231], v2 offset:1488
	v_mul_f64 v[14:15], v[138:139], v[14:15]
	s_waitcnt vmcnt(8) lgkmcnt(1)
	v_mul_f64 v[234:235], v[224:225], v[98:99]
	v_fmac_f64_e32 v[234:235], v[226:227], v[96:97]
	v_add_f64 v[236:237], v[232:233], v[234:235]
	s_waitcnt vmcnt(7) lgkmcnt(0)
	v_mul_f64 v[238:239], v[228:229], v[102:103]
	ds_read_b128 v[232:235], v2 offset:1504
	v_fmac_f64_e32 v[238:239], v[230:231], v[100:101]
	v_add_f64 v[242:243], v[236:237], v[238:239]
	ds_read_b128 v[236:239], v2 offset:1520
	v_fma_f64 v[136:137], v[136:137], v[12:13], -v[14:15]
	s_waitcnt vmcnt(6) lgkmcnt(1)
	v_mul_f64 v[132:133], v[232:233], v[106:107]
	v_fmac_f64_e32 v[132:133], v[234:235], v[104:105]
	v_add_f64 v[132:133], v[242:243], v[132:133]
	s_waitcnt vmcnt(5) lgkmcnt(0)
	v_mul_f64 v[134:135], v[236:237], v[110:111]
	v_fmac_f64_e32 v[134:135], v[238:239], v[108:109]
	v_add_f64 v[132:133], v[132:133], v[134:135]
	ds_read_b128 v[12:15], v2 offset:1552
	s_waitcnt vmcnt(4)
	v_mul_f64 v[134:135], v[16:17], v[114:115]
	v_fmac_f64_e32 v[134:135], v[18:19], v[112:113]
	v_add_f64 v[138:139], v[132:133], v[134:135]
	ds_read_b128 v[132:135], v2 offset:1568
	v_mul_f64 v[10:11], v[142:143], v[10:11]
	v_fma_f64 v[140:141], v[140:141], v[8:9], -v[10:11]
	ds_read_b128 v[8:11], v2 offset:1584
	s_waitcnt vmcnt(3) lgkmcnt(2)
	v_mul_f64 v[142:143], v[12:13], v[118:119]
	v_fmac_f64_e32 v[142:143], v[14:15], v[116:117]
	v_add_f64 v[138:139], v[138:139], v[142:143]
	s_waitcnt vmcnt(2) lgkmcnt(1)
	v_mul_f64 v[142:143], v[132:133], v[122:123]
	v_fmac_f64_e32 v[142:143], v[134:135], v[120:121]
	v_add_f64 v[138:139], v[138:139], v[142:143]
	;; [unrolled: 4-line block ×3, first 2 shown]
	v_add_f64 v[142:143], v[244:245], 0
	v_add_f64 v[136:137], v[142:143], v[136:137]
	v_mul_f64 v[6:7], v[146:147], v[6:7]
	v_add_f64 v[136:137], v[136:137], v[140:141]
	v_fma_f64 v[4:5], v[144:145], v[4:5], -v[6:7]
	v_mul_f64 v[6:7], v[150:151], v[22:23]
	v_add_f64 v[4:5], v[136:137], v[4:5]
	v_fma_f64 v[6:7], v[148:149], v[20:21], -v[6:7]
	v_add_f64 v[4:5], v[4:5], v[6:7]
	v_mul_f64 v[6:7], v[154:155], v[26:27]
	v_fma_f64 v[6:7], v[152:153], v[24:25], -v[6:7]
	v_add_f64 v[4:5], v[4:5], v[6:7]
	v_mul_f64 v[6:7], v[158:159], v[30:31]
	;; [unrolled: 3-line block ×26, first 2 shown]
	v_fma_f64 v[6:7], v[8:9], v[124:125], -v[6:7]
	v_add_f64 v[4:5], v[4:5], v[6:7]
	s_waitcnt vmcnt(0)
	v_add_f64 v[4:5], v[128:129], -v[4:5]
	v_add_f64 v[6:7], v[130:131], -v[138:139]
	scratch_store_dwordx4 off, v[4:7], off offset:304
	s_and_saveexec_b64 s[0:1], vcc
	s_cbranch_execz .LBB113_279
; %bb.278:
	scratch_load_dwordx4 v[6:9], off, s49
	v_mov_b32_e32 v3, v2
	v_mov_b32_e32 v4, v2
	;; [unrolled: 1-line block ×3, first 2 shown]
	v_accvgpr_read_b32 v0, a101
	scratch_store_dwordx4 off, v[2:5], off offset:288
	s_waitcnt vmcnt(1)
	ds_write_b128 v0, v[6:9]
.LBB113_279:
	s_or_b64 exec, exec, s[0:1]
	s_waitcnt lgkmcnt(0)
	; wave barrier
	scratch_load_dwordx4 v[140:143], off, off offset:304
	scratch_load_dwordx4 v[148:151], off, off offset:320
	;; [unrolled: 1-line block ×16, first 2 shown]
	ds_read_b128 v[188:191], v2 offset:1088
	ds_read_b128 v[184:187], v2 offset:1104
	scratch_load_dwordx4 v[56:59], off, off offset:560
	ds_read_b128 v[192:195], v2 offset:1120
	ds_read_b128 v[68:71], v2 offset:1136
	scratch_load_dwordx4 v[60:63], off, off offset:576
	ds_read_b128 v[88:91], v2 offset:1152
	ds_read_b128 v[84:87], v2 offset:1168
	;; [unrolled: 1-line block ×4, first 2 shown]
	scratch_load_dwordx4 v[64:67], off, off offset:592
	ds_read_b128 v[100:103], v2 offset:1216
	ds_read_b128 v[96:99], v2 offset:1232
	scratch_load_dwordx4 v[72:75], off, off offset:608
	ds_read_b128 v[116:119], v2 offset:1248
	ds_read_b128 v[112:115], v2 offset:1264
	ds_read_b128 v[108:111], v2 offset:1280
	ds_read_b128 v[104:107], v2 offset:1296
	scratch_load_dwordx4 v[92:95], off, off offset:624
	ds_read_b128 v[132:135], v2 offset:1312
	ds_read_b128 v[128:131], v2 offset:1328
	ds_read_b128 v[124:127], v2 offset:1344
	scratch_load_dwordx4 v[120:123], off, off offset:640
	scratch_load_dwordx4 v[136:139], off, off offset:656
	;; [unrolled: 1-line block ×11, first 2 shown]
	v_cmp_lt_u32_e32 vcc, 16, v240
	s_waitcnt vmcnt(31) lgkmcnt(14)
	v_mul_f64 v[200:201], v[188:189], v[142:143]
	s_waitcnt vmcnt(30)
	v_mul_f64 v[202:203], v[184:185], v[150:151]
	v_fmac_f64_e32 v[200:201], v[190:191], v[140:141]
	s_waitcnt vmcnt(29)
	v_mul_f64 v[204:205], v[192:193], v[154:155]
	v_fmac_f64_e32 v[202:203], v[186:187], v[148:149]
	v_add_f64 v[200:201], v[200:201], 0
	s_waitcnt vmcnt(28) lgkmcnt(13)
	v_mul_f64 v[206:207], v[68:69], v[6:7]
	v_fmac_f64_e32 v[204:205], v[194:195], v[152:153]
	v_add_f64 v[200:201], v[200:201], v[202:203]
	s_waitcnt vmcnt(27) lgkmcnt(12)
	;; [unrolled: 4-line block ×13, first 2 shown]
	v_mul_f64 v[230:231], v[128:129], v[54:55]
	v_fmac_f64_e32 v[228:229], v[134:135], v[48:49]
	v_add_f64 v[200:201], v[200:201], v[226:227]
	v_add_f64 v[200:201], v[200:201], v[228:229]
	v_fmac_f64_e32 v[230:231], v[130:131], v[52:53]
	v_add_f64 v[204:205], v[200:201], v[230:231]
	ds_read_b128 v[200:203], v2 offset:1360
	s_waitcnt vmcnt(15) lgkmcnt(1)
	v_mul_f64 v[206:207], v[124:125], v[58:59]
	v_fmac_f64_e32 v[206:207], v[126:127], v[56:57]
	v_add_f64 v[208:209], v[204:205], v[206:207]
	ds_read_b128 v[204:207], v2 offset:1376
	s_waitcnt vmcnt(14) lgkmcnt(1)
	v_mul_f64 v[210:211], v[200:201], v[62:63]
	;; [unrolled: 5-line block ×10, first 2 shown]
	v_fmac_f64_e32 v[244:245], v[234:235], v[160:161]
	v_mul_f64 v[142:143], v[190:191], v[142:143]
	v_add_f64 v[244:245], v[242:243], v[244:245]
	v_fma_f64 v[242:243], v[188:189], v[140:141], -v[142:143]
	ds_read_b128 v[140:143], v2 offset:1520
	s_waitcnt vmcnt(5) lgkmcnt(1)
	v_mul_f64 v[188:189], v[236:237], v[166:167]
	v_fmac_f64_e32 v[188:189], v[238:239], v[164:165]
	v_mul_f64 v[150:151], v[186:187], v[150:151]
	v_add_f64 v[188:189], v[244:245], v[188:189]
	v_fma_f64 v[244:245], v[184:185], v[148:149], -v[150:151]
	ds_read_b128 v[148:151], v2 offset:1536
	s_waitcnt vmcnt(4) lgkmcnt(1)
	v_mul_f64 v[184:185], v[140:141], v[170:171]
	v_fmac_f64_e32 v[184:185], v[142:143], v[168:169]
	v_add_f64 v[188:189], v[188:189], v[184:185]
	ds_read_b128 v[184:187], v2 offset:1552
	v_mul_f64 v[154:155], v[194:195], v[154:155]
	s_waitcnt vmcnt(3) lgkmcnt(1)
	v_mul_f64 v[190:191], v[148:149], v[174:175]
	v_fma_f64 v[248:249], v[192:193], v[152:153], -v[154:155]
	ds_read_b128 v[152:155], v2 offset:1568
	v_fmac_f64_e32 v[190:191], v[150:151], v[172:173]
	v_add_f64 v[246:247], v[188:189], v[190:191]
	ds_read_b128 v[188:191], v2 offset:1584
	s_waitcnt vmcnt(2) lgkmcnt(2)
	v_mul_f64 v[192:193], v[184:185], v[178:179]
	v_fmac_f64_e32 v[192:193], v[186:187], v[176:177]
	v_add_f64 v[2:3], v[246:247], v[192:193]
	s_waitcnt vmcnt(1) lgkmcnt(1)
	v_mul_f64 v[192:193], v[152:153], v[182:183]
	v_fmac_f64_e32 v[192:193], v[154:155], v[180:181]
	v_add_f64 v[2:3], v[2:3], v[192:193]
	s_waitcnt vmcnt(0) lgkmcnt(0)
	v_mul_f64 v[192:193], v[188:189], v[198:199]
	v_fmac_f64_e32 v[192:193], v[190:191], v[196:197]
	v_add_f64 v[2:3], v[2:3], v[192:193]
	scratch_load_dwordx4 v[192:195], off, off offset:288
	v_add_f64 v[242:243], v[242:243], 0
	v_add_f64 v[242:243], v[242:243], v[244:245]
	v_mul_f64 v[6:7], v[70:71], v[6:7]
	v_add_f64 v[242:243], v[242:243], v[248:249]
	v_fma_f64 v[4:5], v[68:69], v[4:5], -v[6:7]
	v_mul_f64 v[6:7], v[90:91], v[10:11]
	v_add_f64 v[4:5], v[242:243], v[4:5]
	v_fma_f64 v[6:7], v[88:89], v[8:9], -v[6:7]
	v_add_f64 v[4:5], v[4:5], v[6:7]
	v_mul_f64 v[6:7], v[86:87], v[14:15]
	v_fma_f64 v[6:7], v[84:85], v[12:13], -v[6:7]
	v_add_f64 v[4:5], v[4:5], v[6:7]
	v_mul_f64 v[6:7], v[82:83], v[18:19]
	;; [unrolled: 3-line block ×27, first 2 shown]
	v_fma_f64 v[6:7], v[188:189], v[196:197], -v[6:7]
	v_add_f64 v[4:5], v[4:5], v[6:7]
	s_waitcnt vmcnt(0)
	v_add_f64 v[4:5], v[192:193], -v[4:5]
	v_add_f64 v[6:7], v[194:195], -v[2:3]
	scratch_store_dwordx4 off, v[4:7], off offset:288
	s_and_saveexec_b64 s[0:1], vcc
	s_cbranch_execz .LBB113_281
; %bb.280:
	scratch_load_dwordx4 v[2:5], off, s50
	v_mov_b32_e32 v6, 0
	v_mov_b32_e32 v7, v6
	;; [unrolled: 1-line block ×4, first 2 shown]
	v_accvgpr_read_b32 v0, a101
	scratch_store_dwordx4 off, v[6:9], off offset:272
	s_waitcnt vmcnt(1)
	ds_write_b128 v0, v[2:5]
.LBB113_281:
	s_or_b64 exec, exec, s[0:1]
	s_waitcnt lgkmcnt(0)
	; wave barrier
	scratch_load_dwordx4 v[108:111], off, off offset:288
	scratch_load_dwordx4 v[116:119], off, off offset:304
	;; [unrolled: 1-line block ×33, first 2 shown]
	v_mov_b32_e32 v2, 0
	ds_read_b128 v[220:223], v2 offset:1072
	ds_read_b128 v[224:227], v2 offset:1088
	;; [unrolled: 1-line block ×16, first 2 shown]
	v_cmp_lt_u32_e32 vcc, 15, v240
	s_waitcnt vmcnt(32) lgkmcnt(14)
	v_mul_f64 v[180:181], v[220:221], v[110:111]
	s_waitcnt vmcnt(31)
	v_mul_f64 v[182:183], v[224:225], v[118:119]
	v_fmac_f64_e32 v[180:181], v[222:223], v[108:109]
	s_waitcnt vmcnt(30) lgkmcnt(13)
	v_mul_f64 v[184:185], v[234:235], v[122:123]
	v_fmac_f64_e32 v[182:183], v[226:227], v[116:117]
	v_add_f64 v[180:181], v[180:181], 0
	s_waitcnt vmcnt(29) lgkmcnt(12)
	v_mul_f64 v[186:187], v[242:243], v[126:127]
	v_fmac_f64_e32 v[184:185], v[236:237], v[120:121]
	v_add_f64 v[180:181], v[180:181], v[182:183]
	;; [unrolled: 4-line block ×13, first 2 shown]
	v_fmac_f64_e32 v[208:209], v[142:143], v[40:41]
	v_add_f64 v[180:181], v[180:181], v[206:207]
	v_add_f64 v[184:185], v[180:181], v[208:209]
	ds_read_b128 v[180:183], v2 offset:1328
	s_waitcnt vmcnt(17) lgkmcnt(1)
	v_mul_f64 v[186:187], v[136:137], v[46:47]
	v_fmac_f64_e32 v[186:187], v[138:139], v[44:45]
	v_add_f64 v[188:189], v[184:185], v[186:187]
	ds_read_b128 v[184:187], v2 offset:1344
	s_waitcnt vmcnt(16) lgkmcnt(1)
	v_mul_f64 v[190:191], v[180:181], v[50:51]
	v_fmac_f64_e32 v[190:191], v[182:183], v[48:49]
	;; [unrolled: 5-line block ×10, first 2 shown]
	v_mul_f64 v[110:111], v[222:223], v[110:111]
	v_add_f64 v[228:229], v[228:229], v[230:231]
	v_fma_f64 v[230:231], v[220:221], v[108:109], -v[110:111]
	ds_read_b128 v[108:111], v2 offset:1488
	s_waitcnt vmcnt(7) lgkmcnt(1)
	v_mul_f64 v[220:221], v[216:217], v[86:87]
	v_mul_f64 v[118:119], v[226:227], v[118:119]
	v_fmac_f64_e32 v[220:221], v[218:219], v[84:85]
	v_fma_f64 v[232:233], v[224:225], v[116:117], -v[118:119]
	ds_read_b128 v[116:119], v2 offset:1504
	s_waitcnt vmcnt(6) lgkmcnt(1)
	v_mul_f64 v[222:223], v[108:109], v[90:91]
	v_add_f64 v[220:221], v[228:229], v[220:221]
	v_fmac_f64_e32 v[222:223], v[110:111], v[88:89]
	v_add_f64 v[224:225], v[220:221], v[222:223]
	ds_read_b128 v[220:223], v2 offset:1520
	v_mul_f64 v[122:123], v[236:237], v[122:123]
	v_fma_f64 v[234:235], v[234:235], v[120:121], -v[122:123]
	ds_read_b128 v[120:123], v2 offset:1536
	s_waitcnt vmcnt(5) lgkmcnt(2)
	v_mul_f64 v[226:227], v[116:117], v[94:95]
	v_fmac_f64_e32 v[226:227], v[118:119], v[92:93]
	v_mul_f64 v[126:127], v[244:245], v[126:127]
	v_add_f64 v[224:225], v[224:225], v[226:227]
	s_waitcnt vmcnt(4) lgkmcnt(1)
	v_mul_f64 v[226:227], v[220:221], v[98:99]
	v_fma_f64 v[236:237], v[242:243], v[124:125], -v[126:127]
	ds_read_b128 v[124:127], v2 offset:1552
	v_fmac_f64_e32 v[226:227], v[222:223], v[96:97]
	v_add_f64 v[228:229], v[224:225], v[226:227]
	s_waitcnt vmcnt(3) lgkmcnt(1)
	v_mul_f64 v[238:239], v[120:121], v[102:103]
	ds_read_b128 v[224:227], v2 offset:1568
	v_fmac_f64_e32 v[238:239], v[122:123], v[100:101]
	v_mul_f64 v[130:131], v[248:249], v[130:131]
	v_add_f64 v[228:229], v[228:229], v[238:239]
	v_fma_f64 v[238:239], v[246:247], v[128:129], -v[130:131]
	ds_read_b128 v[128:131], v2 offset:1584
	s_waitcnt vmcnt(2) lgkmcnt(2)
	v_mul_f64 v[242:243], v[124:125], v[106:107]
	v_fmac_f64_e32 v[242:243], v[126:127], v[104:105]
	v_add_f64 v[228:229], v[228:229], v[242:243]
	s_waitcnt vmcnt(1) lgkmcnt(1)
	v_mul_f64 v[242:243], v[224:225], v[114:115]
	v_fmac_f64_e32 v[242:243], v[226:227], v[112:113]
	v_add_f64 v[228:229], v[228:229], v[242:243]
	s_waitcnt vmcnt(0) lgkmcnt(0)
	v_mul_f64 v[242:243], v[128:129], v[134:135]
	v_fmac_f64_e32 v[242:243], v[130:131], v[132:133]
	v_add_f64 v[228:229], v[228:229], v[242:243]
	scratch_load_dwordx4 v[242:245], off, off offset:272
	v_add_f64 v[230:231], v[230:231], 0
	v_add_f64 v[230:231], v[230:231], v[232:233]
	;; [unrolled: 1-line block ×4, first 2 shown]
	v_mul_f64 v[6:7], v[178:179], v[6:7]
	v_add_f64 v[230:231], v[230:231], v[238:239]
	v_fma_f64 v[4:5], v[176:177], v[4:5], -v[6:7]
	v_mul_f64 v[6:7], v[174:175], v[10:11]
	v_add_f64 v[4:5], v[230:231], v[4:5]
	v_fma_f64 v[6:7], v[172:173], v[8:9], -v[6:7]
	v_add_f64 v[4:5], v[4:5], v[6:7]
	v_mul_f64 v[6:7], v[170:171], v[14:15]
	v_fma_f64 v[6:7], v[168:169], v[12:13], -v[6:7]
	v_add_f64 v[4:5], v[4:5], v[6:7]
	v_mul_f64 v[6:7], v[166:167], v[18:19]
	v_fma_f64 v[6:7], v[164:165], v[16:17], -v[6:7]
	v_add_f64 v[4:5], v[4:5], v[6:7]
	v_mul_f64 v[6:7], v[162:163], v[22:23]
	v_fma_f64 v[6:7], v[160:161], v[20:21], -v[6:7]
	v_add_f64 v[4:5], v[4:5], v[6:7]
	v_mul_f64 v[6:7], v[158:159], v[26:27]
	v_fma_f64 v[6:7], v[156:157], v[24:25], -v[6:7]
	v_add_f64 v[4:5], v[4:5], v[6:7]
	v_mul_f64 v[6:7], v[154:155], v[30:31]
	v_fma_f64 v[6:7], v[152:153], v[28:29], -v[6:7]
	v_add_f64 v[4:5], v[4:5], v[6:7]
	v_mul_f64 v[6:7], v[150:151], v[34:35]
	v_fma_f64 v[6:7], v[148:149], v[32:33], -v[6:7]
	v_add_f64 v[4:5], v[4:5], v[6:7]
	v_mul_f64 v[6:7], v[146:147], v[38:39]
	v_fma_f64 v[6:7], v[144:145], v[36:37], -v[6:7]
	v_add_f64 v[4:5], v[4:5], v[6:7]
	v_mul_f64 v[6:7], v[142:143], v[42:43]
	v_fma_f64 v[6:7], v[140:141], v[40:41], -v[6:7]
	v_add_f64 v[4:5], v[4:5], v[6:7]
	v_mul_f64 v[6:7], v[138:139], v[46:47]
	v_fma_f64 v[6:7], v[136:137], v[44:45], -v[6:7]
	v_add_f64 v[4:5], v[4:5], v[6:7]
	v_mul_f64 v[6:7], v[182:183], v[50:51]
	v_fma_f64 v[6:7], v[180:181], v[48:49], -v[6:7]
	v_add_f64 v[4:5], v[4:5], v[6:7]
	v_mul_f64 v[6:7], v[186:187], v[54:55]
	v_fma_f64 v[6:7], v[184:185], v[52:53], -v[6:7]
	v_add_f64 v[4:5], v[4:5], v[6:7]
	v_mul_f64 v[6:7], v[190:191], v[58:59]
	v_fma_f64 v[6:7], v[188:189], v[56:57], -v[6:7]
	v_add_f64 v[4:5], v[4:5], v[6:7]
	v_mul_f64 v[6:7], v[194:195], v[62:63]
	v_fma_f64 v[6:7], v[192:193], v[60:61], -v[6:7]
	v_add_f64 v[4:5], v[4:5], v[6:7]
	v_mul_f64 v[6:7], v[198:199], v[66:67]
	v_fma_f64 v[6:7], v[196:197], v[64:65], -v[6:7]
	v_add_f64 v[4:5], v[4:5], v[6:7]
	v_mul_f64 v[6:7], v[202:203], v[70:71]
	v_fma_f64 v[6:7], v[200:201], v[68:69], -v[6:7]
	v_add_f64 v[4:5], v[4:5], v[6:7]
	v_mul_f64 v[6:7], v[206:207], v[74:75]
	v_fma_f64 v[6:7], v[204:205], v[72:73], -v[6:7]
	v_add_f64 v[4:5], v[4:5], v[6:7]
	v_mul_f64 v[6:7], v[210:211], v[78:79]
	v_fma_f64 v[6:7], v[208:209], v[76:77], -v[6:7]
	v_add_f64 v[4:5], v[4:5], v[6:7]
	v_mul_f64 v[6:7], v[214:215], v[82:83]
	v_fma_f64 v[6:7], v[212:213], v[80:81], -v[6:7]
	v_add_f64 v[4:5], v[4:5], v[6:7]
	v_mul_f64 v[6:7], v[218:219], v[86:87]
	v_fma_f64 v[6:7], v[216:217], v[84:85], -v[6:7]
	v_add_f64 v[4:5], v[4:5], v[6:7]
	v_mul_f64 v[6:7], v[110:111], v[90:91]
	v_fma_f64 v[6:7], v[108:109], v[88:89], -v[6:7]
	v_add_f64 v[4:5], v[4:5], v[6:7]
	v_mul_f64 v[6:7], v[118:119], v[94:95]
	v_fma_f64 v[6:7], v[116:117], v[92:93], -v[6:7]
	v_add_f64 v[4:5], v[4:5], v[6:7]
	v_mul_f64 v[6:7], v[222:223], v[98:99]
	v_fma_f64 v[6:7], v[220:221], v[96:97], -v[6:7]
	v_add_f64 v[4:5], v[4:5], v[6:7]
	v_mul_f64 v[6:7], v[122:123], v[102:103]
	v_fma_f64 v[6:7], v[120:121], v[100:101], -v[6:7]
	v_add_f64 v[4:5], v[4:5], v[6:7]
	v_mul_f64 v[6:7], v[126:127], v[106:107]
	v_fma_f64 v[6:7], v[124:125], v[104:105], -v[6:7]
	v_add_f64 v[4:5], v[4:5], v[6:7]
	v_mul_f64 v[6:7], v[226:227], v[114:115]
	v_fma_f64 v[6:7], v[224:225], v[112:113], -v[6:7]
	v_add_f64 v[4:5], v[4:5], v[6:7]
	v_mul_f64 v[6:7], v[130:131], v[134:135]
	v_fma_f64 v[6:7], v[128:129], v[132:133], -v[6:7]
	v_add_f64 v[4:5], v[4:5], v[6:7]
	s_waitcnt vmcnt(0)
	v_add_f64 v[4:5], v[242:243], -v[4:5]
	v_add_f64 v[6:7], v[244:245], -v[228:229]
	scratch_store_dwordx4 off, v[4:7], off offset:272
	s_and_saveexec_b64 s[0:1], vcc
	s_cbranch_execz .LBB113_283
; %bb.282:
	scratch_load_dwordx4 v[6:9], off, s51
	v_mov_b32_e32 v3, v2
	v_mov_b32_e32 v4, v2
	;; [unrolled: 1-line block ×3, first 2 shown]
	v_accvgpr_read_b32 v0, a101
	scratch_store_dwordx4 off, v[2:5], off offset:256
	s_waitcnt vmcnt(1)
	ds_write_b128 v0, v[6:9]
.LBB113_283:
	s_or_b64 exec, exec, s[0:1]
	s_waitcnt lgkmcnt(0)
	; wave barrier
	scratch_load_dwordx4 v[144:147], off, off offset:272
	scratch_load_dwordx4 v[152:155], off, off offset:288
	;; [unrolled: 1-line block ×16, first 2 shown]
	ds_read_b128 v[196:199], v2 offset:1056
	ds_read_b128 v[188:191], v2 offset:1072
	ds_read_b128 v[180:183], v2 offset:1088
	scratch_load_dwordx4 v[48:51], off, off offset:528
	ds_read_b128 v[192:195], v2 offset:1104
	ds_read_b128 v[184:187], v2 offset:1120
	ds_read_b128 v[64:67], v2 offset:1136
	scratch_load_dwordx4 v[52:55], off, off offset:544
	;; [unrolled: 4-line block ×5, first 2 shown]
	ds_read_b128 v[116:119], v2 offset:1296
	ds_read_b128 v[112:115], v2 offset:1312
	scratch_load_dwordx4 v[108:111], off, off offset:608
	scratch_load_dwordx4 v[120:123], off, off offset:624
	scratch_load_dwordx4 v[124:127], off, off offset:640
	scratch_load_dwordx4 v[128:131], off, off offset:656
	scratch_load_dwordx4 v[132:135], off, off offset:672
	scratch_load_dwordx4 v[136:139], off, off offset:688
	scratch_load_dwordx4 v[140:143], off, off offset:704
	scratch_load_dwordx4 v[148:151], off, off offset:720
	scratch_load_dwordx4 v[164:167], off, off offset:736
	scratch_load_dwordx4 v[172:175], off, off offset:752
	scratch_load_dwordx4 v[176:179], off, off offset:768
	scratch_load_dwordx4 v[200:203], off, off offset:784
	v_cmp_lt_u32_e32 vcc, 14, v240
	s_waitcnt vmcnt(32) lgkmcnt(14)
	v_mul_f64 v[204:205], v[196:197], v[146:147]
	s_waitcnt vmcnt(31)
	v_mul_f64 v[206:207], v[188:189], v[154:155]
	v_fmac_f64_e32 v[204:205], v[198:199], v[144:145]
	s_waitcnt vmcnt(30)
	v_mul_f64 v[208:209], v[180:181], v[158:159]
	v_fmac_f64_e32 v[206:207], v[190:191], v[152:153]
	v_add_f64 v[204:205], v[204:205], 0
	s_waitcnt vmcnt(29) lgkmcnt(13)
	v_mul_f64 v[210:211], v[192:193], v[162:163]
	v_fmac_f64_e32 v[208:209], v[182:183], v[156:157]
	v_add_f64 v[204:205], v[204:205], v[206:207]
	s_waitcnt vmcnt(28) lgkmcnt(12)
	;; [unrolled: 4-line block ×12, first 2 shown]
	v_mul_f64 v[232:233], v[96:97], v[42:43]
	v_fmac_f64_e32 v[230:231], v[102:103], v[36:37]
	v_add_f64 v[204:205], v[204:205], v[228:229]
	v_fmac_f64_e32 v[232:233], v[98:99], v[40:41]
	v_add_f64 v[204:205], v[204:205], v[230:231]
	s_waitcnt vmcnt(17) lgkmcnt(1)
	v_mul_f64 v[206:207], v[116:117], v[46:47]
	v_add_f64 v[204:205], v[204:205], v[232:233]
	v_fmac_f64_e32 v[206:207], v[118:119], v[44:45]
	s_waitcnt vmcnt(16) lgkmcnt(0)
	v_mul_f64 v[210:211], v[112:113], v[50:51]
	v_add_f64 v[208:209], v[204:205], v[206:207]
	ds_read_b128 v[204:207], v2 offset:1328
	v_fmac_f64_e32 v[210:211], v[114:115], v[48:49]
	v_add_f64 v[212:213], v[208:209], v[210:211]
	ds_read_b128 v[208:211], v2 offset:1344
	v_mul_f64 v[146:147], v[198:199], v[146:147]
	s_waitcnt vmcnt(15) lgkmcnt(1)
	v_mul_f64 v[214:215], v[204:205], v[54:55]
	v_fmac_f64_e32 v[214:215], v[206:207], v[52:53]
	v_add_f64 v[216:217], v[212:213], v[214:215]
	s_waitcnt vmcnt(14) lgkmcnt(0)
	v_mul_f64 v[218:219], v[208:209], v[58:59]
	ds_read_b128 v[212:215], v2 offset:1360
	v_fmac_f64_e32 v[218:219], v[210:211], v[56:57]
	v_add_f64 v[220:221], v[216:217], v[218:219]
	ds_read_b128 v[216:219], v2 offset:1376
	v_mul_f64 v[154:155], v[190:191], v[154:155]
	s_waitcnt vmcnt(13) lgkmcnt(1)
	v_mul_f64 v[222:223], v[212:213], v[62:63]
	v_fmac_f64_e32 v[222:223], v[214:215], v[60:61]
	v_add_f64 v[224:225], v[220:221], v[222:223]
	s_waitcnt vmcnt(12) lgkmcnt(0)
	v_mul_f64 v[226:227], v[216:217], v[94:95]
	ds_read_b128 v[220:223], v2 offset:1392
	v_fmac_f64_e32 v[226:227], v[218:219], v[92:93]
	v_add_f64 v[228:229], v[224:225], v[226:227]
	ds_read_b128 v[224:227], v2 offset:1408
	v_fma_f64 v[246:247], v[188:189], v[152:153], -v[154:155]
	s_waitcnt vmcnt(11) lgkmcnt(1)
	v_mul_f64 v[230:231], v[220:221], v[110:111]
	v_fmac_f64_e32 v[230:231], v[222:223], v[108:109]
	v_add_f64 v[232:233], v[228:229], v[230:231]
	s_waitcnt vmcnt(10) lgkmcnt(0)
	v_mul_f64 v[234:235], v[224:225], v[122:123]
	ds_read_b128 v[228:231], v2 offset:1424
	v_fmac_f64_e32 v[234:235], v[226:227], v[120:121]
	v_add_f64 v[236:237], v[232:233], v[234:235]
	ds_read_b128 v[232:235], v2 offset:1440
	ds_read_b128 v[152:155], v2 offset:1488
	s_waitcnt vmcnt(9) lgkmcnt(2)
	v_mul_f64 v[238:239], v[228:229], v[126:127]
	v_fmac_f64_e32 v[238:239], v[230:231], v[124:125]
	v_add_f64 v[242:243], v[236:237], v[238:239]
	s_waitcnt vmcnt(8) lgkmcnt(1)
	v_mul_f64 v[244:245], v[232:233], v[130:131]
	ds_read_b128 v[236:239], v2 offset:1456
	v_fmac_f64_e32 v[244:245], v[234:235], v[128:129]
	v_add_f64 v[242:243], v[242:243], v[244:245]
	v_fma_f64 v[244:245], v[196:197], v[144:145], -v[146:147]
	ds_read_b128 v[144:147], v2 offset:1472
	s_waitcnt vmcnt(7) lgkmcnt(1)
	v_mul_f64 v[196:197], v[236:237], v[134:135]
	v_fmac_f64_e32 v[196:197], v[238:239], v[132:133]
	v_add_f64 v[188:189], v[242:243], v[196:197]
	v_mul_f64 v[158:159], v[182:183], v[158:159]
	s_waitcnt vmcnt(6) lgkmcnt(0)
	v_mul_f64 v[190:191], v[144:145], v[138:139]
	v_fmac_f64_e32 v[190:191], v[146:147], v[136:137]
	v_add_f64 v[196:197], v[188:189], v[190:191]
	ds_read_b128 v[188:191], v2 offset:1504
	v_fma_f64 v[242:243], v[180:181], v[156:157], -v[158:159]
	ds_read_b128 v[156:159], v2 offset:1520
	s_waitcnt vmcnt(5)
	v_mul_f64 v[198:199], v[152:153], v[142:143]
	v_fmac_f64_e32 v[198:199], v[154:155], v[140:141]
	s_waitcnt vmcnt(4) lgkmcnt(1)
	v_mul_f64 v[180:181], v[188:189], v[150:151]
	v_add_f64 v[196:197], v[196:197], v[198:199]
	v_fmac_f64_e32 v[180:181], v[190:191], v[148:149]
	v_mul_f64 v[162:163], v[194:195], v[162:163]
	v_add_f64 v[198:199], v[196:197], v[180:181]
	v_fma_f64 v[196:197], v[192:193], v[160:161], -v[162:163]
	ds_read_b128 v[160:163], v2 offset:1536
	s_waitcnt vmcnt(3) lgkmcnt(1)
	v_mul_f64 v[192:193], v[156:157], v[166:167]
	ds_read_b128 v[180:183], v2 offset:1552
	v_fmac_f64_e32 v[192:193], v[158:159], v[164:165]
	v_mul_f64 v[170:171], v[186:187], v[170:171]
	v_add_f64 v[192:193], v[198:199], v[192:193]
	v_fma_f64 v[198:199], v[184:185], v[168:169], -v[170:171]
	ds_read_b128 v[168:171], v2 offset:1568
	s_waitcnt vmcnt(2) lgkmcnt(2)
	v_mul_f64 v[184:185], v[160:161], v[174:175]
	v_fmac_f64_e32 v[184:185], v[162:163], v[172:173]
	s_waitcnt vmcnt(1) lgkmcnt(1)
	v_mul_f64 v[186:187], v[180:181], v[178:179]
	v_add_f64 v[184:185], v[192:193], v[184:185]
	v_fmac_f64_e32 v[186:187], v[182:183], v[176:177]
	v_add_f64 v[184:185], v[184:185], v[186:187]
	s_waitcnt vmcnt(0) lgkmcnt(0)
	v_mul_f64 v[186:187], v[168:169], v[202:203]
	v_fmac_f64_e32 v[186:187], v[170:171], v[200:201]
	v_add_f64 v[248:249], v[184:185], v[186:187]
	scratch_load_dwordx4 v[184:187], off, off offset:800
	v_add_f64 v[244:245], v[244:245], 0
	v_add_f64 v[244:245], v[244:245], v[246:247]
	;; [unrolled: 1-line block ×3, first 2 shown]
	scratch_load_dwordx4 v[244:247], off, off offset:256
	v_add_f64 v[196:197], v[242:243], v[196:197]
	v_mul_f64 v[6:7], v[66:67], v[6:7]
	v_add_f64 v[196:197], v[196:197], v[198:199]
	v_fma_f64 v[4:5], v[64:65], v[4:5], -v[6:7]
	v_mul_f64 v[6:7], v[78:79], v[10:11]
	v_add_f64 v[4:5], v[196:197], v[4:5]
	v_fma_f64 v[6:7], v[76:77], v[8:9], -v[6:7]
	v_add_f64 v[4:5], v[4:5], v[6:7]
	v_mul_f64 v[6:7], v[74:75], v[14:15]
	v_fma_f64 v[6:7], v[72:73], v[12:13], -v[6:7]
	v_add_f64 v[4:5], v[4:5], v[6:7]
	v_mul_f64 v[6:7], v[70:71], v[18:19]
	;; [unrolled: 3-line block ×24, first 2 shown]
	ds_read_b128 v[192:195], v2 offset:1584
	v_fma_f64 v[6:7], v[160:161], v[172:173], -v[6:7]
	v_add_f64 v[4:5], v[4:5], v[6:7]
	v_mul_f64 v[6:7], v[182:183], v[178:179]
	v_fma_f64 v[6:7], v[180:181], v[176:177], -v[6:7]
	v_add_f64 v[4:5], v[4:5], v[6:7]
	v_mul_f64 v[6:7], v[170:171], v[202:203]
	v_fma_f64 v[6:7], v[168:169], v[200:201], -v[6:7]
	s_waitcnt vmcnt(1) lgkmcnt(0)
	v_mul_f64 v[2:3], v[192:193], v[186:187]
	v_add_f64 v[4:5], v[4:5], v[6:7]
	v_mul_f64 v[6:7], v[194:195], v[186:187]
	v_fmac_f64_e32 v[2:3], v[194:195], v[184:185]
	v_fma_f64 v[6:7], v[192:193], v[184:185], -v[6:7]
	v_add_f64 v[2:3], v[248:249], v[2:3]
	v_add_f64 v[4:5], v[4:5], v[6:7]
	s_waitcnt vmcnt(0)
	v_add_f64 v[4:5], v[244:245], -v[4:5]
	v_add_f64 v[6:7], v[246:247], -v[2:3]
	scratch_store_dwordx4 off, v[4:7], off offset:256
	s_and_saveexec_b64 s[0:1], vcc
	s_cbranch_execz .LBB113_285
; %bb.284:
	scratch_load_dwordx4 v[2:5], off, s52
	v_mov_b32_e32 v6, 0
	v_mov_b32_e32 v7, v6
	;; [unrolled: 1-line block ×4, first 2 shown]
	v_accvgpr_read_b32 v0, a101
	scratch_store_dwordx4 off, v[6:9], off offset:240
	s_waitcnt vmcnt(1)
	ds_write_b128 v0, v[2:5]
.LBB113_285:
	s_or_b64 exec, exec, s[0:1]
	s_waitcnt lgkmcnt(0)
	; wave barrier
	scratch_load_dwordx4 v[184:187], off, off offset:256
	scratch_load_dwordx4 v[188:191], off, off offset:272
	;; [unrolled: 1-line block ×32, first 2 shown]
	v_mov_b32_e32 v2, 0
	ds_read_b128 v[192:195], v2 offset:1040
	ds_read_b128 v[204:207], v2 offset:1056
	;; [unrolled: 1-line block ×16, first 2 shown]
	v_cmp_lt_u32_e32 vcc, 13, v240
	s_waitcnt vmcnt(31) lgkmcnt(14)
	v_mul_f64 v[104:105], v[192:193], v[186:187]
	s_waitcnt vmcnt(30)
	v_mul_f64 v[106:107], v[204:205], v[190:191]
	v_fmac_f64_e32 v[104:105], v[194:195], v[184:185]
	s_waitcnt vmcnt(29) lgkmcnt(13)
	v_mul_f64 v[112:113], v[216:217], v[198:199]
	v_fmac_f64_e32 v[106:107], v[206:207], v[188:189]
	v_add_f64 v[104:105], v[104:105], 0
	s_waitcnt vmcnt(28) lgkmcnt(12)
	v_mul_f64 v[114:115], v[224:225], v[202:203]
	v_fmac_f64_e32 v[112:113], v[218:219], v[196:197]
	v_add_f64 v[104:105], v[104:105], v[106:107]
	;; [unrolled: 4-line block ×10, first 2 shown]
	ds_read_b128 v[152:155], v2 offset:1296
	ds_read_b128 v[156:159], v2 offset:1312
	s_waitcnt vmcnt(19) lgkmcnt(5)
	v_mul_f64 v[164:165], v[124:125], v[26:27]
	v_fmac_f64_e32 v[162:163], v[134:135], v[20:21]
	v_add_f64 v[104:105], v[104:105], v[160:161]
	s_waitcnt vmcnt(18) lgkmcnt(4)
	v_mul_f64 v[166:167], v[120:121], v[30:31]
	v_fmac_f64_e32 v[164:165], v[126:127], v[24:25]
	v_add_f64 v[104:105], v[104:105], v[162:163]
	;; [unrolled: 4-line block ×4, first 2 shown]
	v_add_f64 v[112:113], v[104:105], v[168:169]
	v_fmac_f64_e32 v[170:171], v[110:111], v[36:37]
	scratch_load_dwordx4 v[104:107], off, off offset:768
	s_waitcnt vmcnt(16) lgkmcnt(1)
	v_mul_f64 v[114:115], v[152:153], v[42:43]
	v_add_f64 v[112:113], v[112:113], v[170:171]
	v_fmac_f64_e32 v[114:115], v[154:155], v[40:41]
	v_add_f64 v[128:129], v[112:113], v[114:115]
	scratch_load_dwordx4 v[112:115], off, off offset:784
	s_waitcnt vmcnt(16) lgkmcnt(0)
	v_mul_f64 v[130:131], v[156:157], v[46:47]
	v_fmac_f64_e32 v[130:131], v[158:159], v[44:45]
	v_add_f64 v[168:169], v[128:129], v[130:131]
	scratch_load_dwordx4 v[128:131], off, off offset:800
	ds_read_b128 v[160:163], v2 offset:1328
	ds_read_b128 v[164:167], v2 offset:1344
	v_mul_f64 v[186:187], v[194:195], v[186:187]
	v_fma_f64 v[250:251], v[192:193], v[184:185], -v[186:187]
	ds_read_b128 v[184:187], v2 offset:1424
	s_waitcnt vmcnt(16) lgkmcnt(2)
	v_mul_f64 v[170:171], v[160:161], v[50:51]
	v_fmac_f64_e32 v[170:171], v[162:163], v[48:49]
	s_waitcnt vmcnt(15) lgkmcnt(1)
	v_mul_f64 v[174:175], v[164:165], v[54:55]
	v_add_f64 v[172:173], v[168:169], v[170:171]
	ds_read_b128 v[168:171], v2 offset:1360
	v_fmac_f64_e32 v[174:175], v[166:167], v[52:53]
	v_add_f64 v[176:177], v[172:173], v[174:175]
	ds_read_b128 v[172:175], v2 offset:1376
	v_mul_f64 v[190:191], v[206:207], v[190:191]
	s_waitcnt vmcnt(14) lgkmcnt(1)
	v_mul_f64 v[178:179], v[168:169], v[58:59]
	v_fmac_f64_e32 v[178:179], v[170:171], v[56:57]
	v_add_f64 v[180:181], v[176:177], v[178:179]
	s_waitcnt vmcnt(13) lgkmcnt(0)
	v_mul_f64 v[182:183], v[172:173], v[62:63]
	ds_read_b128 v[176:179], v2 offset:1392
	v_fmac_f64_e32 v[182:183], v[174:175], v[60:61]
	v_add_f64 v[232:233], v[180:181], v[182:183]
	ds_read_b128 v[180:183], v2 offset:1408
	v_fma_f64 v[252:253], v[204:205], v[188:189], -v[190:191]
	s_waitcnt vmcnt(12) lgkmcnt(1)
	v_mul_f64 v[234:235], v[176:177], v[66:67]
	v_fmac_f64_e32 v[234:235], v[178:179], v[64:65]
	v_add_f64 v[232:233], v[232:233], v[234:235]
	s_waitcnt vmcnt(11) lgkmcnt(0)
	v_mul_f64 v[192:193], v[180:181], v[70:71]
	v_fmac_f64_e32 v[192:193], v[182:183], v[68:69]
	ds_read_b128 v[188:191], v2 offset:1440
	s_waitcnt vmcnt(10)
	v_mul_f64 v[194:195], v[184:185], v[74:75]
	v_add_f64 v[192:193], v[232:233], v[192:193]
	v_fmac_f64_e32 v[194:195], v[186:187], v[72:73]
	v_add_f64 v[204:205], v[192:193], v[194:195]
	ds_read_b128 v[192:195], v2 offset:1456
	v_mul_f64 v[198:199], v[218:219], v[198:199]
	v_fma_f64 v[254:255], v[216:217], v[196:197], -v[198:199]
	ds_read_b128 v[196:199], v2 offset:1472
	s_waitcnt vmcnt(9) lgkmcnt(2)
	v_mul_f64 v[206:207], v[188:189], v[78:79]
	v_fmac_f64_e32 v[206:207], v[190:191], v[76:77]
	v_add_f64 v[204:205], v[204:205], v[206:207]
	s_waitcnt vmcnt(8) lgkmcnt(1)
	v_mul_f64 v[206:207], v[192:193], v[82:83]
	v_fmac_f64_e32 v[206:207], v[194:195], v[80:81]
	v_mul_f64 v[202:203], v[226:227], v[202:203]
	v_add_f64 v[204:205], v[204:205], v[206:207]
	v_fma_f64 v[234:235], v[224:225], v[200:201], -v[202:203]
	ds_read_b128 v[200:203], v2 offset:1488
	s_waitcnt vmcnt(7) lgkmcnt(1)
	v_mul_f64 v[206:207], v[196:197], v[86:87]
	v_fmac_f64_e32 v[206:207], v[198:199], v[84:85]
	v_add_f64 v[216:217], v[204:205], v[206:207]
	ds_read_b128 v[204:207], v2 offset:1504
	v_mul_f64 v[210:211], v[230:231], v[210:211]
	v_fma_f64 v[236:237], v[228:229], v[208:209], -v[210:211]
	ds_read_b128 v[208:211], v2 offset:1520
	s_waitcnt vmcnt(6) lgkmcnt(2)
	v_mul_f64 v[218:219], v[200:201], v[90:91]
	v_fmac_f64_e32 v[218:219], v[202:203], v[88:89]
	v_add_f64 v[216:217], v[216:217], v[218:219]
	s_waitcnt vmcnt(5) lgkmcnt(1)
	v_mul_f64 v[218:219], v[204:205], v[94:95]
	v_fmac_f64_e32 v[218:219], v[206:207], v[92:93]
	v_mul_f64 v[214:215], v[244:245], v[214:215]
	v_fma_f64 v[238:239], v[242:243], v[212:213], -v[214:215]
	ds_read_b128 v[212:215], v2 offset:1536
	v_add_f64 v[216:217], v[216:217], v[218:219]
	s_waitcnt vmcnt(4) lgkmcnt(1)
	v_mul_f64 v[218:219], v[208:209], v[102:103]
	v_fmac_f64_e32 v[218:219], v[210:211], v[100:101]
	v_add_f64 v[224:225], v[216:217], v[218:219]
	ds_read_b128 v[216:219], v2 offset:1552
	v_mul_f64 v[222:223], v[248:249], v[222:223]
	v_fma_f64 v[242:243], v[246:247], v[220:221], -v[222:223]
	ds_read_b128 v[220:223], v2 offset:1568
	s_waitcnt vmcnt(3) lgkmcnt(2)
	v_mul_f64 v[226:227], v[212:213], v[98:99]
	v_fmac_f64_e32 v[226:227], v[214:215], v[96:97]
	v_add_f64 v[224:225], v[224:225], v[226:227]
	s_waitcnt vmcnt(2) lgkmcnt(1)
	v_mul_f64 v[226:227], v[216:217], v[106:107]
	v_fmac_f64_e32 v[226:227], v[218:219], v[104:105]
	v_add_f64 v[224:225], v[224:225], v[226:227]
	;; [unrolled: 4-line block ×3, first 2 shown]
	ds_read_b128 v[224:227], v2 offset:1584
	v_mul_f64 v[6:7], v[150:151], v[6:7]
	v_fma_f64 v[4:5], v[148:149], v[4:5], -v[6:7]
	v_mul_f64 v[6:7], v[146:147], v[10:11]
	v_fma_f64 v[6:7], v[144:145], v[8:9], -v[6:7]
	s_waitcnt vmcnt(0) lgkmcnt(0)
	v_mul_f64 v[230:231], v[224:225], v[130:131]
	v_fmac_f64_e32 v[230:231], v[226:227], v[128:129]
	v_add_f64 v[232:233], v[228:229], v[230:231]
	v_add_f64 v[228:229], v[250:251], 0
	;; [unrolled: 1-line block ×4, first 2 shown]
	scratch_load_dwordx4 v[228:231], off, off offset:240
	v_add_f64 v[234:235], v[244:245], v[234:235]
	v_add_f64 v[234:235], v[234:235], v[236:237]
	;; [unrolled: 1-line block ×6, first 2 shown]
	v_mul_f64 v[6:7], v[142:143], v[14:15]
	v_fma_f64 v[6:7], v[140:141], v[12:13], -v[6:7]
	v_add_f64 v[4:5], v[4:5], v[6:7]
	v_mul_f64 v[6:7], v[138:139], v[18:19]
	v_fma_f64 v[6:7], v[136:137], v[16:17], -v[6:7]
	v_add_f64 v[4:5], v[4:5], v[6:7]
	;; [unrolled: 3-line block ×26, first 2 shown]
	s_waitcnt vmcnt(0)
	v_add_f64 v[4:5], v[228:229], -v[4:5]
	v_add_f64 v[6:7], v[230:231], -v[232:233]
	scratch_store_dwordx4 off, v[4:7], off offset:240
	s_and_saveexec_b64 s[0:1], vcc
	s_cbranch_execz .LBB113_287
; %bb.286:
	scratch_load_dwordx4 v[6:9], off, s53
	v_mov_b32_e32 v3, v2
	v_mov_b32_e32 v4, v2
	;; [unrolled: 1-line block ×3, first 2 shown]
	v_accvgpr_read_b32 v0, a101
	scratch_store_dwordx4 off, v[2:5], off offset:224
	s_waitcnt vmcnt(1)
	ds_write_b128 v0, v[6:9]
.LBB113_287:
	s_or_b64 exec, exec, s[0:1]
	s_waitcnt lgkmcnt(0)
	; wave barrier
	scratch_load_dwordx4 v[140:143], off, off offset:240
	scratch_load_dwordx4 v[144:147], off, off offset:256
	;; [unrolled: 1-line block ×16, first 2 shown]
	ds_read_b128 v[208:211], v2 offset:1024
	ds_read_b128 v[200:203], v2 offset:1040
	;; [unrolled: 1-line block ×3, first 2 shown]
	scratch_load_dwordx4 v[40:43], off, off offset:496
	ds_read_b128 v[204:207], v2 offset:1072
	ds_read_b128 v[192:195], v2 offset:1088
	;; [unrolled: 1-line block ×3, first 2 shown]
	scratch_load_dwordx4 v[44:47], off, off offset:512
	ds_read_b128 v[196:199], v2 offset:1120
	ds_read_b128 v[64:67], v2 offset:1136
	;; [unrolled: 1-line block ×4, first 2 shown]
	scratch_load_dwordx4 v[48:51], off, off offset:528
	ds_read_b128 v[72:75], v2 offset:1184
	ds_read_b128 v[68:71], v2 offset:1200
	scratch_load_dwordx4 v[56:59], off, off offset:544
	ds_read_b128 v[92:95], v2 offset:1216
	ds_read_b128 v[88:91], v2 offset:1232
	;; [unrolled: 1-line block ×4, first 2 shown]
	scratch_load_dwordx4 v[76:79], off, off offset:560
	scratch_load_dwordx4 v[96:99], off, off offset:576
	;; [unrolled: 1-line block ×12, first 2 shown]
	ds_read_b128 v[168:171], v2 offset:1280
	v_accvgpr_write_b32 a100, v240
	v_cmp_lt_u32_e32 vcc, 12, v240
	s_waitcnt vmcnt(31) lgkmcnt(14)
	v_mul_f64 v[172:173], v[208:209], v[142:143]
	s_waitcnt vmcnt(30)
	v_mul_f64 v[174:175], v[200:201], v[146:147]
	v_fmac_f64_e32 v[172:173], v[210:211], v[140:141]
	s_waitcnt vmcnt(29)
	v_mul_f64 v[176:177], v[188:189], v[150:151]
	v_fmac_f64_e32 v[174:175], v[202:203], v[144:145]
	v_add_f64 v[172:173], v[172:173], 0
	s_waitcnt vmcnt(28) lgkmcnt(13)
	v_mul_f64 v[178:179], v[204:205], v[154:155]
	v_fmac_f64_e32 v[176:177], v[190:191], v[148:149]
	v_add_f64 v[172:173], v[172:173], v[174:175]
	s_waitcnt vmcnt(27) lgkmcnt(12)
	;; [unrolled: 4-line block ×10, first 2 shown]
	v_mul_f64 v[224:225], v[92:93], v[26:27]
	v_fmac_f64_e32 v[222:223], v[70:71], v[20:21]
	v_add_f64 v[172:173], v[172:173], v[220:221]
	ds_read_b128 v[212:215], v2 offset:1296
	s_waitcnt vmcnt(18) lgkmcnt(4)
	v_mul_f64 v[226:227], v[88:89], v[30:31]
	v_fmac_f64_e32 v[224:225], v[94:95], v[24:25]
	v_add_f64 v[172:173], v[172:173], v[222:223]
	ds_read_b128 v[216:219], v2 offset:1312
	ds_read_b128 v[220:223], v2 offset:1328
	s_waitcnt vmcnt(17) lgkmcnt(5)
	v_mul_f64 v[228:229], v[84:85], v[34:35]
	v_fmac_f64_e32 v[226:227], v[90:91], v[28:29]
	v_add_f64 v[172:173], v[172:173], v[224:225]
	s_waitcnt vmcnt(16) lgkmcnt(4)
	v_mul_f64 v[230:231], v[80:81], v[38:39]
	v_fmac_f64_e32 v[228:229], v[86:87], v[32:33]
	v_add_f64 v[172:173], v[172:173], v[226:227]
	v_add_f64 v[176:177], v[172:173], v[228:229]
	v_fmac_f64_e32 v[230:231], v[82:83], v[36:37]
	s_waitcnt vmcnt(15) lgkmcnt(3)
	v_mul_f64 v[178:179], v[168:169], v[42:43]
	v_add_f64 v[176:177], v[176:177], v[230:231]
	v_fmac_f64_e32 v[178:179], v[170:171], v[40:41]
	s_waitcnt vmcnt(14) lgkmcnt(2)
	v_mul_f64 v[182:183], v[212:213], v[46:47]
	;; [unrolled: 4-line block ×3, first 2 shown]
	v_add_f64 v[224:225], v[180:181], v[182:183]
	v_fmac_f64_e32 v[226:227], v[218:219], v[48:49]
	v_add_f64 v[228:229], v[224:225], v[226:227]
	ds_read_b128 v[224:227], v2 offset:1344
	s_waitcnt vmcnt(12) lgkmcnt(1)
	v_mul_f64 v[230:231], v[220:221], v[58:59]
	v_fmac_f64_e32 v[230:231], v[222:223], v[56:57]
	v_add_f64 v[232:233], v[228:229], v[230:231]
	ds_read_b128 v[228:231], v2 offset:1360
	s_waitcnt vmcnt(11) lgkmcnt(1)
	v_mul_f64 v[234:235], v[224:225], v[78:79]
	;; [unrolled: 5-line block ×4, first 2 shown]
	v_fmac_f64_e32 v[244:245], v[234:235], v[100:101]
	v_mul_f64 v[142:143], v[210:211], v[142:143]
	v_add_f64 v[242:243], v[242:243], v[244:245]
	v_fma_f64 v[244:245], v[208:209], v[140:141], -v[142:143]
	ds_read_b128 v[140:143], v2 offset:1408
	s_waitcnt vmcnt(8) lgkmcnt(1)
	v_mul_f64 v[208:209], v[236:237], v[106:107]
	v_fmac_f64_e32 v[208:209], v[238:239], v[104:105]
	v_mul_f64 v[146:147], v[202:203], v[146:147]
	v_add_f64 v[208:209], v[242:243], v[208:209]
	v_fma_f64 v[242:243], v[200:201], v[144:145], -v[146:147]
	ds_read_b128 v[144:147], v2 offset:1424
	s_waitcnt vmcnt(7) lgkmcnt(1)
	v_mul_f64 v[200:201], v[140:141], v[110:111]
	scratch_load_dwordx4 v[172:175], off, off offset:752
	v_fmac_f64_e32 v[200:201], v[142:143], v[108:109]
	v_add_f64 v[208:209], v[208:209], v[200:201]
	ds_read_b128 v[200:203], v2 offset:1440
	v_mul_f64 v[150:151], v[190:191], v[150:151]
	scratch_load_dwordx4 v[176:179], off, off offset:768
	scratch_load_dwordx4 v[180:183], off, off offset:784
	v_fma_f64 v[246:247], v[188:189], v[148:149], -v[150:151]
	ds_read_b128 v[148:151], v2 offset:1456
	s_waitcnt vmcnt(9) lgkmcnt(2)
	v_mul_f64 v[210:211], v[144:145], v[114:115]
	v_fmac_f64_e32 v[210:211], v[146:147], v[112:113]
	s_waitcnt vmcnt(8) lgkmcnt(1)
	v_mul_f64 v[188:189], v[200:201], v[118:119]
	v_add_f64 v[208:209], v[208:209], v[210:211]
	v_fmac_f64_e32 v[188:189], v[202:203], v[116:117]
	v_mul_f64 v[154:155], v[206:207], v[154:155]
	s_waitcnt vmcnt(7) lgkmcnt(0)
	v_mul_f64 v[190:191], v[148:149], v[122:123]
	v_add_f64 v[188:189], v[208:209], v[188:189]
	v_fma_f64 v[248:249], v[204:205], v[152:153], -v[154:155]
	ds_read_b128 v[152:155], v2 offset:1472
	v_fmac_f64_e32 v[190:191], v[150:151], v[120:121]
	v_add_f64 v[204:205], v[188:189], v[190:191]
	ds_read_b128 v[188:191], v2 offset:1488
	v_mul_f64 v[158:159], v[194:195], v[158:159]
	s_waitcnt vmcnt(6) lgkmcnt(1)
	v_mul_f64 v[206:207], v[152:153], v[126:127]
	v_fmac_f64_e32 v[206:207], v[154:155], v[124:125]
	v_fma_f64 v[250:251], v[192:193], v[156:157], -v[158:159]
	s_waitcnt vmcnt(5) lgkmcnt(0)
	v_mul_f64 v[192:193], v[188:189], v[130:131]
	v_add_f64 v[204:205], v[204:205], v[206:207]
	v_fmac_f64_e32 v[192:193], v[190:191], v[128:129]
	v_mul_f64 v[162:163], v[186:187], v[162:163]
	v_fma_f64 v[208:209], v[184:185], v[160:161], -v[162:163]
	v_add_f64 v[184:185], v[204:205], v[192:193]
	scratch_load_dwordx4 v[204:207], off, off offset:800
	v_add_f64 v[244:245], v[244:245], 0
	v_add_f64 v[242:243], v[244:245], v[242:243]
	;; [unrolled: 1-line block ×3, first 2 shown]
	scratch_load_dwordx4 v[244:247], off, off offset:224
	v_add_f64 v[242:243], v[242:243], v[248:249]
	v_mul_f64 v[166:167], v[198:199], v[166:167]
	v_add_f64 v[242:243], v[242:243], v[250:251]
	v_fma_f64 v[210:211], v[196:197], v[164:165], -v[166:167]
	v_add_f64 v[208:209], v[242:243], v[208:209]
	v_mul_f64 v[6:7], v[66:67], v[6:7]
	v_add_f64 v[208:209], v[208:209], v[210:211]
	v_fma_f64 v[4:5], v[64:65], v[4:5], -v[6:7]
	v_mul_f64 v[6:7], v[62:63], v[10:11]
	v_add_f64 v[4:5], v[208:209], v[4:5]
	v_fma_f64 v[6:7], v[60:61], v[8:9], -v[6:7]
	v_add_f64 v[4:5], v[4:5], v[6:7]
	v_mul_f64 v[6:7], v[54:55], v[14:15]
	v_fma_f64 v[6:7], v[52:53], v[12:13], -v[6:7]
	v_add_f64 v[4:5], v[4:5], v[6:7]
	v_mul_f64 v[6:7], v[74:75], v[18:19]
	;; [unrolled: 3-line block ×12, first 2 shown]
	v_fma_f64 v[6:7], v[224:225], v[76:77], -v[6:7]
	ds_read_b128 v[156:159], v2 offset:1504
	ds_read_b128 v[160:163], v2 offset:1520
	v_add_f64 v[4:5], v[4:5], v[6:7]
	v_mul_f64 v[6:7], v[230:231], v[98:99]
	v_fma_f64 v[6:7], v[228:229], v[96:97], -v[6:7]
	v_add_f64 v[4:5], v[4:5], v[6:7]
	v_mul_f64 v[6:7], v[234:235], v[102:103]
	v_fma_f64 v[6:7], v[232:233], v[100:101], -v[6:7]
	v_add_f64 v[4:5], v[4:5], v[6:7]
	v_mul_f64 v[6:7], v[238:239], v[106:107]
	s_waitcnt vmcnt(6) lgkmcnt(1)
	v_mul_f64 v[186:187], v[156:157], v[138:139]
	v_fma_f64 v[6:7], v[236:237], v[104:105], -v[6:7]
	v_fmac_f64_e32 v[186:187], v[158:159], v[136:137]
	v_add_f64 v[4:5], v[4:5], v[6:7]
	v_mul_f64 v[6:7], v[142:143], v[110:111]
	v_add_f64 v[192:193], v[184:185], v[186:187]
	ds_read_b128 v[184:187], v2 offset:1536
	ds_read_b128 v[164:167], v2 offset:1552
	v_fma_f64 v[6:7], v[140:141], v[108:109], -v[6:7]
	v_add_f64 v[4:5], v[4:5], v[6:7]
	v_mul_f64 v[6:7], v[146:147], v[114:115]
	v_fma_f64 v[6:7], v[144:145], v[112:113], -v[6:7]
	s_waitcnt vmcnt(5) lgkmcnt(2)
	v_mul_f64 v[194:195], v[160:161], v[134:135]
	v_add_f64 v[4:5], v[4:5], v[6:7]
	v_mul_f64 v[6:7], v[202:203], v[118:119]
	v_fmac_f64_e32 v[194:195], v[162:163], v[132:133]
	v_fma_f64 v[6:7], v[200:201], v[116:117], -v[6:7]
	v_add_f64 v[192:193], v[192:193], v[194:195]
	s_waitcnt vmcnt(4) lgkmcnt(1)
	v_mul_f64 v[194:195], v[184:185], v[174:175]
	v_add_f64 v[4:5], v[4:5], v[6:7]
	v_mul_f64 v[6:7], v[150:151], v[122:123]
	v_fmac_f64_e32 v[194:195], v[186:187], v[172:173]
	v_fma_f64 v[6:7], v[148:149], v[120:121], -v[6:7]
	v_add_f64 v[192:193], v[192:193], v[194:195]
	;; [unrolled: 7-line block ×3, first 2 shown]
	ds_read_b128 v[192:195], v2 offset:1568
	v_add_f64 v[4:5], v[4:5], v[6:7]
	v_mul_f64 v[6:7], v[190:191], v[130:131]
	v_fma_f64 v[6:7], v[188:189], v[128:129], -v[6:7]
	v_add_f64 v[4:5], v[4:5], v[6:7]
	v_mul_f64 v[6:7], v[158:159], v[138:139]
	v_fma_f64 v[6:7], v[156:157], v[136:137], -v[6:7]
	v_add_f64 v[4:5], v[4:5], v[6:7]
	v_mul_f64 v[6:7], v[162:163], v[134:135]
	s_waitcnt vmcnt(2) lgkmcnt(0)
	v_mul_f64 v[198:199], v[192:193], v[182:183]
	v_fma_f64 v[6:7], v[160:161], v[132:133], -v[6:7]
	v_fmac_f64_e32 v[198:199], v[194:195], v[180:181]
	v_add_f64 v[4:5], v[4:5], v[6:7]
	v_mul_f64 v[6:7], v[186:187], v[174:175]
	v_add_f64 v[252:253], v[196:197], v[198:199]
	ds_read_b128 v[196:199], v2 offset:1584
	v_fma_f64 v[6:7], v[184:185], v[172:173], -v[6:7]
	v_add_f64 v[4:5], v[4:5], v[6:7]
	v_mul_f64 v[6:7], v[166:167], v[178:179]
	v_fma_f64 v[6:7], v[164:165], v[176:177], -v[6:7]
	v_add_f64 v[4:5], v[4:5], v[6:7]
	v_mul_f64 v[6:7], v[194:195], v[182:183]
	v_fma_f64 v[6:7], v[192:193], v[180:181], -v[6:7]
	s_waitcnt vmcnt(1) lgkmcnt(0)
	v_mul_f64 v[2:3], v[196:197], v[206:207]
	v_add_f64 v[4:5], v[4:5], v[6:7]
	v_mul_f64 v[6:7], v[198:199], v[206:207]
	v_fmac_f64_e32 v[2:3], v[198:199], v[204:205]
	v_fma_f64 v[6:7], v[196:197], v[204:205], -v[6:7]
	v_add_f64 v[2:3], v[252:253], v[2:3]
	v_add_f64 v[4:5], v[4:5], v[6:7]
	s_waitcnt vmcnt(0)
	v_add_f64 v[4:5], v[244:245], -v[4:5]
	v_add_f64 v[6:7], v[246:247], -v[2:3]
	scratch_store_dwordx4 off, v[4:7], off offset:224
	s_and_saveexec_b64 s[0:1], vcc
	s_cbranch_execz .LBB113_289
; %bb.288:
	scratch_load_dwordx4 v[2:5], off, s54
	v_mov_b32_e32 v6, 0
	v_mov_b32_e32 v7, v6
	;; [unrolled: 1-line block ×4, first 2 shown]
	v_accvgpr_read_b32 v0, a101
	scratch_store_dwordx4 off, v[6:9], off offset:208
	s_waitcnt vmcnt(1)
	ds_write_b128 v0, v[2:5]
.LBB113_289:
	s_or_b64 exec, exec, s[0:1]
	s_waitcnt lgkmcnt(0)
	; wave barrier
	scratch_load_dwordx4 v[168:171], off, off offset:224
	scratch_load_dwordx4 v[172:175], off, off offset:240
	;; [unrolled: 1-line block ×32, first 2 shown]
	v_mov_b32_e32 v2, 0
	ds_read_b128 v[176:179], v2 offset:1008
	ds_read_b128 v[188:191], v2 offset:1024
	ds_read_b128 v[200:203], v2 offset:1040
	ds_read_b128 v[212:215], v2 offset:1056
	ds_read_b128 v[220:223], v2 offset:1072
	ds_read_b128 v[224:227], v2 offset:1088
	ds_read_b128 v[228:231], v2 offset:1104
	ds_read_b128 v[242:245], v2 offset:1120
	ds_read_b128 v[246:249], v2 offset:1136
	ds_read_b128 v[140:143], v2 offset:1152
	ds_read_b128 v[136:139], v2 offset:1168
	ds_read_b128 v[128:131], v2 offset:1184
	ds_read_b128 v[124:127], v2 offset:1200
	ds_read_b128 v[116:119], v2 offset:1216
	ds_read_b128 v[112:115], v2 offset:1232
	ds_read_b128 v[100:103], v2 offset:1248
	ds_read_b128 v[96:99], v2 offset:1264
	v_accvgpr_read_b32 v0, a100
	v_cmp_lt_u32_e32 vcc, 11, v0
	s_waitcnt vmcnt(31) lgkmcnt(14)
	v_mul_f64 v[104:105], v[176:177], v[170:171]
	s_waitcnt vmcnt(30)
	v_mul_f64 v[106:107], v[188:189], v[174:175]
	v_fmac_f64_e32 v[104:105], v[178:179], v[168:169]
	s_waitcnt vmcnt(29)
	v_mul_f64 v[108:109], v[200:201], v[182:183]
	v_fmac_f64_e32 v[106:107], v[190:191], v[172:173]
	v_add_f64 v[104:105], v[104:105], 0
	s_waitcnt vmcnt(28) lgkmcnt(13)
	v_mul_f64 v[110:111], v[212:213], v[186:187]
	v_fmac_f64_e32 v[108:109], v[202:203], v[180:181]
	v_add_f64 v[104:105], v[104:105], v[106:107]
	s_waitcnt vmcnt(27) lgkmcnt(12)
	;; [unrolled: 4-line block ×12, first 2 shown]
	v_mul_f64 v[156:157], v[112:113], v[26:27]
	v_fmac_f64_e32 v[154:155], v[118:119], v[20:21]
	v_add_f64 v[104:105], v[104:105], v[152:153]
	v_fmac_f64_e32 v[156:157], v[114:115], v[24:25]
	v_add_f64 v[104:105], v[104:105], v[154:155]
	s_waitcnt vmcnt(16) lgkmcnt(1)
	v_mul_f64 v[106:107], v[100:101], v[30:31]
	v_add_f64 v[104:105], v[104:105], v[156:157]
	v_fmac_f64_e32 v[106:107], v[102:103], v[28:29]
	v_add_f64 v[108:109], v[104:105], v[106:107]
	ds_read_b128 v[144:147], v2 offset:1280
	ds_read_b128 v[148:151], v2 offset:1296
	scratch_load_dwordx4 v[104:107], off, off offset:736
	s_waitcnt vmcnt(16) lgkmcnt(2)
	v_mul_f64 v[110:111], v[96:97], v[34:35]
	v_fmac_f64_e32 v[110:111], v[98:99], v[32:33]
	v_add_f64 v[120:121], v[108:109], v[110:111]
	scratch_load_dwordx4 v[108:111], off, off offset:752
	s_waitcnt vmcnt(16) lgkmcnt(1)
	v_mul_f64 v[122:123], v[144:145], v[38:39]
	v_fmac_f64_e32 v[122:123], v[146:147], v[36:37]
	v_add_f64 v[132:133], v[120:121], v[122:123]
	s_waitcnt vmcnt(15) lgkmcnt(0)
	v_mul_f64 v[134:135], v[148:149], v[42:43]
	scratch_load_dwordx4 v[120:123], off, off offset:768
	v_fmac_f64_e32 v[134:135], v[150:151], v[40:41]
	v_add_f64 v[160:161], v[132:133], v[134:135]
	scratch_load_dwordx4 v[132:135], off, off offset:784
	ds_read_b128 v[152:155], v2 offset:1312
	ds_read_b128 v[156:159], v2 offset:1328
	v_mul_f64 v[170:171], v[178:179], v[170:171]
	v_fma_f64 v[250:251], v[176:177], v[168:169], -v[170:171]
	ds_read_b128 v[168:171], v2 offset:1376
	s_waitcnt vmcnt(16) lgkmcnt(2)
	v_mul_f64 v[162:163], v[152:153], v[46:47]
	v_fmac_f64_e32 v[162:163], v[154:155], v[44:45]
	s_waitcnt vmcnt(15) lgkmcnt(1)
	v_mul_f64 v[166:167], v[156:157], v[50:51]
	v_add_f64 v[164:165], v[160:161], v[162:163]
	ds_read_b128 v[160:163], v2 offset:1344
	v_fmac_f64_e32 v[166:167], v[158:159], v[48:49]
	v_add_f64 v[232:233], v[164:165], v[166:167]
	ds_read_b128 v[164:167], v2 offset:1360
	v_mul_f64 v[174:175], v[190:191], v[174:175]
	s_waitcnt vmcnt(14) lgkmcnt(1)
	v_mul_f64 v[234:235], v[160:161], v[54:55]
	v_fmac_f64_e32 v[234:235], v[162:163], v[52:53]
	v_add_f64 v[232:233], v[232:233], v[234:235]
	s_waitcnt vmcnt(13) lgkmcnt(0)
	v_mul_f64 v[176:177], v[164:165], v[58:59]
	v_fmac_f64_e32 v[176:177], v[166:167], v[56:57]
	v_fma_f64 v[252:253], v[188:189], v[172:173], -v[174:175]
	ds_read_b128 v[172:175], v2 offset:1392
	s_waitcnt vmcnt(12)
	v_mul_f64 v[178:179], v[168:169], v[62:63]
	v_add_f64 v[176:177], v[232:233], v[176:177]
	v_fmac_f64_e32 v[178:179], v[170:171], v[60:61]
	v_add_f64 v[188:189], v[176:177], v[178:179]
	ds_read_b128 v[176:179], v2 offset:1408
	v_mul_f64 v[182:183], v[202:203], v[182:183]
	v_fma_f64 v[254:255], v[200:201], v[180:181], -v[182:183]
	ds_read_b128 v[180:183], v2 offset:1424
	s_waitcnt vmcnt(11) lgkmcnt(2)
	v_mul_f64 v[190:191], v[172:173], v[66:67]
	v_fmac_f64_e32 v[190:191], v[174:175], v[64:65]
	v_add_f64 v[188:189], v[188:189], v[190:191]
	s_waitcnt vmcnt(10) lgkmcnt(1)
	v_mul_f64 v[190:191], v[176:177], v[70:71]
	v_fmac_f64_e32 v[190:191], v[178:179], v[68:69]
	v_mul_f64 v[186:187], v[214:215], v[186:187]
	v_fma_f64 v[240:241], v[212:213], v[184:185], -v[186:187]
	ds_read_b128 v[184:187], v2 offset:1440
	v_add_f64 v[188:189], v[188:189], v[190:191]
	s_waitcnt vmcnt(9) lgkmcnt(1)
	v_mul_f64 v[190:191], v[180:181], v[74:75]
	v_fmac_f64_e32 v[190:191], v[182:183], v[72:73]
	v_add_f64 v[200:201], v[188:189], v[190:191]
	ds_read_b128 v[188:191], v2 offset:1456
	v_mul_f64 v[194:195], v[222:223], v[194:195]
	v_fma_f64 v[232:233], v[220:221], v[192:193], -v[194:195]
	ds_read_b128 v[192:195], v2 offset:1472
	s_waitcnt vmcnt(8) lgkmcnt(2)
	v_mul_f64 v[202:203], v[184:185], v[78:79]
	v_fmac_f64_e32 v[202:203], v[186:187], v[76:77]
	v_add_f64 v[200:201], v[200:201], v[202:203]
	s_waitcnt vmcnt(7) lgkmcnt(1)
	v_mul_f64 v[202:203], v[188:189], v[82:83]
	v_fmac_f64_e32 v[202:203], v[190:191], v[80:81]
	v_mul_f64 v[198:199], v[226:227], v[198:199]
	v_add_f64 v[200:201], v[200:201], v[202:203]
	v_fma_f64 v[234:235], v[224:225], v[196:197], -v[198:199]
	ds_read_b128 v[196:199], v2 offset:1488
	s_waitcnt vmcnt(6) lgkmcnt(1)
	v_mul_f64 v[202:203], v[192:193], v[86:87]
	v_fmac_f64_e32 v[202:203], v[194:195], v[84:85]
	v_add_f64 v[212:213], v[200:201], v[202:203]
	ds_read_b128 v[200:203], v2 offset:1504
	v_mul_f64 v[206:207], v[230:231], v[206:207]
	v_fma_f64 v[236:237], v[228:229], v[204:205], -v[206:207]
	ds_read_b128 v[204:207], v2 offset:1520
	s_waitcnt vmcnt(5) lgkmcnt(2)
	v_mul_f64 v[214:215], v[196:197], v[94:95]
	v_fmac_f64_e32 v[214:215], v[198:199], v[92:93]
	v_add_f64 v[212:213], v[212:213], v[214:215]
	s_waitcnt vmcnt(4) lgkmcnt(1)
	v_mul_f64 v[214:215], v[200:201], v[90:91]
	v_fmac_f64_e32 v[214:215], v[202:203], v[88:89]
	v_mul_f64 v[210:211], v[244:245], v[210:211]
	v_fma_f64 v[238:239], v[242:243], v[208:209], -v[210:211]
	ds_read_b128 v[208:211], v2 offset:1536
	v_add_f64 v[212:213], v[212:213], v[214:215]
	s_waitcnt vmcnt(3) lgkmcnt(1)
	v_mul_f64 v[214:215], v[204:205], v[106:107]
	v_fmac_f64_e32 v[214:215], v[206:207], v[104:105]
	v_add_f64 v[220:221], v[212:213], v[214:215]
	ds_read_b128 v[212:215], v2 offset:1552
	v_mul_f64 v[218:219], v[248:249], v[218:219]
	v_fma_f64 v[242:243], v[246:247], v[216:217], -v[218:219]
	ds_read_b128 v[216:219], v2 offset:1568
	ds_read_b128 v[224:227], v2 offset:1584
	s_waitcnt vmcnt(2) lgkmcnt(3)
	v_mul_f64 v[222:223], v[208:209], v[110:111]
	v_fmac_f64_e32 v[222:223], v[210:211], v[108:109]
	v_add_f64 v[220:221], v[220:221], v[222:223]
	s_waitcnt vmcnt(1) lgkmcnt(2)
	v_mul_f64 v[222:223], v[212:213], v[122:123]
	v_fmac_f64_e32 v[222:223], v[214:215], v[120:121]
	v_add_f64 v[220:221], v[220:221], v[222:223]
	;; [unrolled: 4-line block ×3, first 2 shown]
	scratch_load_dwordx4 v[220:223], off, off offset:800
	v_mul_f64 v[6:7], v[142:143], v[6:7]
	v_fma_f64 v[4:5], v[140:141], v[4:5], -v[6:7]
	v_mul_f64 v[6:7], v[138:139], v[10:11]
	v_fma_f64 v[6:7], v[136:137], v[8:9], -v[6:7]
	s_waitcnt vmcnt(0) lgkmcnt(0)
	v_mul_f64 v[230:231], v[224:225], v[222:223]
	v_fmac_f64_e32 v[230:231], v[226:227], v[220:221]
	v_add_f64 v[246:247], v[228:229], v[230:231]
	v_add_f64 v[228:229], v[250:251], 0
	v_add_f64 v[228:229], v[228:229], v[252:253]
	v_add_f64 v[228:229], v[228:229], v[254:255]
	v_add_f64 v[228:229], v[228:229], v[240:241]
	v_add_f64 v[244:245], v[228:229], v[232:233]
	scratch_load_dwordx4 v[228:231], off, off offset:208
	v_add_f64 v[232:233], v[244:245], v[234:235]
	v_add_f64 v[232:233], v[232:233], v[236:237]
	v_add_f64 v[232:233], v[232:233], v[238:239]
	v_add_f64 v[232:233], v[232:233], v[242:243]
	v_add_f64 v[4:5], v[232:233], v[4:5]
	v_add_f64 v[4:5], v[4:5], v[6:7]
	v_mul_f64 v[6:7], v[130:131], v[14:15]
	v_fma_f64 v[6:7], v[128:129], v[12:13], -v[6:7]
	v_add_f64 v[4:5], v[4:5], v[6:7]
	v_mul_f64 v[6:7], v[126:127], v[18:19]
	v_fma_f64 v[6:7], v[124:125], v[16:17], -v[6:7]
	v_add_f64 v[4:5], v[4:5], v[6:7]
	;; [unrolled: 3-line block ×26, first 2 shown]
	s_waitcnt vmcnt(0)
	v_add_f64 v[4:5], v[228:229], -v[4:5]
	v_add_f64 v[6:7], v[230:231], -v[246:247]
	scratch_store_dwordx4 off, v[4:7], off offset:208
	s_and_saveexec_b64 s[0:1], vcc
	s_cbranch_execz .LBB113_291
; %bb.290:
	scratch_load_dwordx4 v[6:9], off, s55
	v_mov_b32_e32 v3, v2
	v_mov_b32_e32 v4, v2
	;; [unrolled: 1-line block ×3, first 2 shown]
	v_accvgpr_read_b32 v0, a101
	scratch_store_dwordx4 off, v[2:5], off offset:192
	s_waitcnt vmcnt(1)
	ds_write_b128 v0, v[6:9]
.LBB113_291:
	s_or_b64 exec, exec, s[0:1]
	s_waitcnt lgkmcnt(0)
	; wave barrier
	scratch_load_dwordx4 v[168:171], off, off offset:208
	scratch_load_dwordx4 v[172:175], off, off offset:224
	;; [unrolled: 1-line block ×16, first 2 shown]
	ds_read_b128 v[232:235], v2 offset:992
	ds_read_b128 v[176:179], v2 offset:1008
	scratch_load_dwordx4 v[32:35], off, off offset:464
	ds_read_b128 v[236:239], v2 offset:1024
	ds_read_b128 v[188:191], v2 offset:1040
	ds_read_b128 v[228:231], v2 offset:1056
	ds_read_b128 v[200:203], v2 offset:1072
	ds_read_b128 v[212:215], v2 offset:1088
	scratch_load_dwordx4 v[36:39], off, off offset:480
	ds_read_b128 v[224:227], v2 offset:1104
	ds_read_b128 v[220:223], v2 offset:1120
	;; [unrolled: 1-line block ×3, first 2 shown]
	scratch_load_dwordx4 v[40:43], off, off offset:496
	ds_read_b128 v[64:67], v2 offset:1152
	ds_read_b128 v[60:63], v2 offset:1168
	;; [unrolled: 1-line block ×4, first 2 shown]
	scratch_load_dwordx4 v[48:51], off, off offset:512
	ds_read_b128 v[80:83], v2 offset:1216
	ds_read_b128 v[72:75], v2 offset:1232
	;; [unrolled: 1-line block ×3, first 2 shown]
	scratch_load_dwordx4 v[76:79], off, off offset:528
	scratch_load_dwordx4 v[84:87], off, off offset:544
	;; [unrolled: 1-line block ×12, first 2 shown]
	v_accvgpr_read_b32 v0, a100
	v_cmp_lt_u32_e32 vcc, 10, v0
	s_waitcnt vmcnt(31) lgkmcnt(14)
	v_mul_f64 v[128:129], v[232:233], v[170:171]
	s_waitcnt vmcnt(30)
	v_mul_f64 v[130:131], v[176:177], v[174:175]
	v_fmac_f64_e32 v[128:129], v[234:235], v[168:169]
	s_waitcnt vmcnt(29)
	v_mul_f64 v[132:133], v[236:237], v[182:183]
	v_fmac_f64_e32 v[130:131], v[178:179], v[172:173]
	v_add_f64 v[128:129], v[128:129], 0
	s_waitcnt vmcnt(28) lgkmcnt(13)
	v_mul_f64 v[134:135], v[188:189], v[186:187]
	v_fmac_f64_e32 v[132:133], v[238:239], v[180:181]
	v_add_f64 v[128:129], v[128:129], v[130:131]
	s_waitcnt vmcnt(27) lgkmcnt(12)
	;; [unrolled: 4-line block ×13, first 2 shown]
	v_mul_f64 v[158:159], v[72:73], v[30:31]
	v_fmac_f64_e32 v[156:157], v[82:83], v[24:25]
	v_add_f64 v[128:129], v[128:129], v[154:155]
	v_add_f64 v[128:129], v[128:129], v[156:157]
	v_fmac_f64_e32 v[158:159], v[74:75], v[28:29]
	v_add_f64 v[132:133], v[128:129], v[158:159]
	ds_read_b128 v[144:147], v2 offset:1264
	ds_read_b128 v[148:151], v2 offset:1280
	scratch_load_dwordx4 v[128:131], off, off offset:720
	s_waitcnt vmcnt(16) lgkmcnt(2)
	v_mul_f64 v[134:135], v[68:69], v[34:35]
	v_fmac_f64_e32 v[134:135], v[70:71], v[32:33]
	s_waitcnt vmcnt(15) lgkmcnt(1)
	v_mul_f64 v[138:139], v[144:145], v[38:39]
	v_add_f64 v[136:137], v[132:133], v[134:135]
	scratch_load_dwordx4 v[132:135], off, off offset:736
	v_fmac_f64_e32 v[138:139], v[146:147], v[36:37]
	v_add_f64 v[140:141], v[136:137], v[138:139]
	s_waitcnt vmcnt(15) lgkmcnt(0)
	v_mul_f64 v[142:143], v[148:149], v[42:43]
	scratch_load_dwordx4 v[136:139], off, off offset:752
	v_fmac_f64_e32 v[142:143], v[150:151], v[40:41]
	v_add_f64 v[160:161], v[140:141], v[142:143]
	scratch_load_dwordx4 v[140:143], off, off offset:768
	ds_read_b128 v[152:155], v2 offset:1296
	ds_read_b128 v[156:159], v2 offset:1312
	v_mul_f64 v[170:171], v[234:235], v[170:171]
	v_fma_f64 v[246:247], v[232:233], v[168:169], -v[170:171]
	ds_read_b128 v[168:171], v2 offset:1360
	s_waitcnt vmcnt(16) lgkmcnt(2)
	v_mul_f64 v[162:163], v[152:153], v[50:51]
	v_fmac_f64_e32 v[162:163], v[154:155], v[48:49]
	s_waitcnt vmcnt(15) lgkmcnt(1)
	v_mul_f64 v[166:167], v[156:157], v[78:79]
	v_add_f64 v[164:165], v[160:161], v[162:163]
	ds_read_b128 v[160:163], v2 offset:1328
	v_fmac_f64_e32 v[166:167], v[158:159], v[76:77]
	v_add_f64 v[240:241], v[164:165], v[166:167]
	ds_read_b128 v[164:167], v2 offset:1344
	v_mul_f64 v[174:175], v[178:179], v[174:175]
	s_waitcnt vmcnt(14) lgkmcnt(1)
	v_mul_f64 v[242:243], v[160:161], v[86:87]
	v_fmac_f64_e32 v[242:243], v[162:163], v[84:85]
	v_add_f64 v[240:241], v[240:241], v[242:243]
	s_waitcnt vmcnt(13) lgkmcnt(0)
	v_mul_f64 v[232:233], v[164:165], v[90:91]
	v_fmac_f64_e32 v[232:233], v[166:167], v[88:89]
	v_add_f64 v[232:233], v[240:241], v[232:233]
	v_fma_f64 v[240:241], v[176:177], v[172:173], -v[174:175]
	ds_read_b128 v[172:175], v2 offset:1376
	s_waitcnt vmcnt(12)
	v_mul_f64 v[176:177], v[168:169], v[94:95]
	v_fmac_f64_e32 v[176:177], v[170:171], v[92:93]
	v_add_f64 v[232:233], v[232:233], v[176:177]
	ds_read_b128 v[176:179], v2 offset:1392
	v_mul_f64 v[182:183], v[238:239], v[182:183]
	v_fma_f64 v[236:237], v[236:237], v[180:181], -v[182:183]
	ds_read_b128 v[180:183], v2 offset:1408
	s_waitcnt vmcnt(11) lgkmcnt(2)
	v_mul_f64 v[234:235], v[172:173], v[98:99]
	v_fmac_f64_e32 v[234:235], v[174:175], v[96:97]
	v_add_f64 v[232:233], v[232:233], v[234:235]
	s_waitcnt vmcnt(10) lgkmcnt(1)
	v_mul_f64 v[234:235], v[176:177], v[102:103]
	v_fmac_f64_e32 v[234:235], v[178:179], v[100:101]
	v_mul_f64 v[186:187], v[190:191], v[186:187]
	s_waitcnt vmcnt(9) lgkmcnt(0)
	v_mul_f64 v[190:191], v[180:181], v[106:107]
	v_fma_f64 v[238:239], v[188:189], v[184:185], -v[186:187]
	ds_read_b128 v[184:187], v2 offset:1424
	v_add_f64 v[188:189], v[232:233], v[234:235]
	v_fmac_f64_e32 v[190:191], v[182:183], v[104:105]
	v_add_f64 v[232:233], v[188:189], v[190:191]
	ds_read_b128 v[188:191], v2 offset:1440
	v_mul_f64 v[194:195], v[230:231], v[194:195]
	v_fma_f64 v[248:249], v[228:229], v[192:193], -v[194:195]
	ds_read_b128 v[192:195], v2 offset:1456
	s_waitcnt vmcnt(8) lgkmcnt(2)
	v_mul_f64 v[234:235], v[184:185], v[110:111]
	v_fmac_f64_e32 v[234:235], v[186:187], v[108:109]
	s_waitcnt vmcnt(7) lgkmcnt(1)
	v_mul_f64 v[228:229], v[188:189], v[114:115]
	v_mul_f64 v[198:199], v[202:203], v[198:199]
	v_add_f64 v[232:233], v[232:233], v[234:235]
	v_fmac_f64_e32 v[228:229], v[190:191], v[112:113]
	v_fma_f64 v[250:251], v[200:201], v[196:197], -v[198:199]
	ds_read_b128 v[196:199], v2 offset:1472
	s_waitcnt vmcnt(6) lgkmcnt(1)
	v_mul_f64 v[200:201], v[192:193], v[118:119]
	v_add_f64 v[228:229], v[232:233], v[228:229]
	v_fmac_f64_e32 v[200:201], v[194:195], v[116:117]
	v_add_f64 v[228:229], v[228:229], v[200:201]
	ds_read_b128 v[200:203], v2 offset:1488
	v_mul_f64 v[206:207], v[214:215], v[206:207]
	v_add_f64 v[246:247], v[246:247], 0
	v_fma_f64 v[252:253], v[212:213], v[204:205], -v[206:207]
	ds_read_b128 v[204:207], v2 offset:1504
	v_add_f64 v[240:241], v[246:247], v[240:241]
	v_add_f64 v[236:237], v[240:241], v[236:237]
	;; [unrolled: 1-line block ×3, first 2 shown]
	s_waitcnt vmcnt(5) lgkmcnt(2)
	v_mul_f64 v[230:231], v[196:197], v[126:127]
	v_add_f64 v[236:237], v[236:237], v[248:249]
	v_fmac_f64_e32 v[230:231], v[198:199], v[124:125]
	s_waitcnt vmcnt(4) lgkmcnt(1)
	v_mul_f64 v[212:213], v[200:201], v[122:123]
	v_add_f64 v[236:237], v[236:237], v[250:251]
	v_add_f64 v[228:229], v[228:229], v[230:231]
	v_fmac_f64_e32 v[212:213], v[202:203], v[120:121]
	v_mul_f64 v[210:211], v[226:227], v[210:211]
	v_add_f64 v[246:247], v[236:237], v[252:253]
	scratch_load_dwordx4 v[236:239], off, off offset:192
	s_waitcnt vmcnt(4) lgkmcnt(0)
	v_mul_f64 v[214:215], v[204:205], v[130:131]
	v_fma_f64 v[242:243], v[224:225], v[208:209], -v[210:211]
	ds_read_b128 v[208:211], v2 offset:1520
	v_add_f64 v[212:213], v[228:229], v[212:213]
	v_fmac_f64_e32 v[214:215], v[206:207], v[128:129]
	v_add_f64 v[224:225], v[212:213], v[214:215]
	ds_read_b128 v[212:215], v2 offset:1536
	v_mul_f64 v[218:219], v[222:223], v[218:219]
	v_fma_f64 v[244:245], v[220:221], v[216:217], -v[218:219]
	ds_read_b128 v[216:219], v2 offset:1552
	s_waitcnt vmcnt(3) lgkmcnt(2)
	v_mul_f64 v[220:221], v[208:209], v[134:135]
	v_fmac_f64_e32 v[220:221], v[210:211], v[132:133]
	s_waitcnt vmcnt(2) lgkmcnt(1)
	v_mul_f64 v[222:223], v[212:213], v[138:139]
	v_add_f64 v[220:221], v[224:225], v[220:221]
	v_fmac_f64_e32 v[222:223], v[214:215], v[136:137]
	v_add_f64 v[220:221], v[220:221], v[222:223]
	ds_read_b128 v[224:227], v2 offset:1568
	scratch_load_dwordx4 v[232:235], off, off offset:800
	s_waitcnt vmcnt(2) lgkmcnt(1)
	v_mul_f64 v[222:223], v[216:217], v[142:143]
	v_fmac_f64_e32 v[222:223], v[218:219], v[140:141]
	v_add_f64 v[228:229], v[220:221], v[222:223]
	scratch_load_dwordx4 v[220:223], off, off offset:784
	v_add_f64 v[240:241], v[246:247], v[242:243]
	v_mul_f64 v[6:7], v[46:47], v[6:7]
	v_add_f64 v[240:241], v[240:241], v[244:245]
	v_fma_f64 v[4:5], v[44:45], v[4:5], -v[6:7]
	v_mul_f64 v[6:7], v[66:67], v[10:11]
	v_add_f64 v[4:5], v[240:241], v[4:5]
	v_fma_f64 v[6:7], v[64:65], v[8:9], -v[6:7]
	v_add_f64 v[4:5], v[4:5], v[6:7]
	v_mul_f64 v[6:7], v[62:63], v[14:15]
	v_fma_f64 v[6:7], v[60:61], v[12:13], -v[6:7]
	v_add_f64 v[4:5], v[4:5], v[6:7]
	v_mul_f64 v[6:7], v[58:59], v[18:19]
	;; [unrolled: 3-line block ×24, first 2 shown]
	v_fma_f64 v[6:7], v[212:213], v[136:137], -v[6:7]
	s_waitcnt vmcnt(0) lgkmcnt(0)
	v_mul_f64 v[230:231], v[224:225], v[222:223]
	v_fmac_f64_e32 v[230:231], v[226:227], v[220:221]
	v_add_f64 v[254:255], v[228:229], v[230:231]
	ds_read_b128 v[228:231], v2 offset:1584
	v_add_f64 v[4:5], v[4:5], v[6:7]
	v_mul_f64 v[6:7], v[218:219], v[142:143]
	v_fma_f64 v[6:7], v[216:217], v[140:141], -v[6:7]
	v_add_f64 v[4:5], v[4:5], v[6:7]
	v_mul_f64 v[6:7], v[226:227], v[222:223]
	v_fma_f64 v[6:7], v[224:225], v[220:221], -v[6:7]
	s_waitcnt lgkmcnt(0)
	v_mul_f64 v[2:3], v[228:229], v[234:235]
	v_add_f64 v[4:5], v[4:5], v[6:7]
	v_mul_f64 v[6:7], v[230:231], v[234:235]
	v_fmac_f64_e32 v[2:3], v[230:231], v[232:233]
	v_fma_f64 v[6:7], v[228:229], v[232:233], -v[6:7]
	v_add_f64 v[2:3], v[254:255], v[2:3]
	v_add_f64 v[4:5], v[4:5], v[6:7]
	v_add_f64 v[4:5], v[236:237], -v[4:5]
	v_add_f64 v[6:7], v[238:239], -v[2:3]
	scratch_store_dwordx4 off, v[4:7], off offset:192
	s_and_saveexec_b64 s[0:1], vcc
	s_cbranch_execz .LBB113_293
; %bb.292:
	scratch_load_dwordx4 v[2:5], off, s56
	v_mov_b32_e32 v6, 0
	v_mov_b32_e32 v7, v6
	;; [unrolled: 1-line block ×4, first 2 shown]
	v_accvgpr_read_b32 v0, a101
	scratch_store_dwordx4 off, v[6:9], off offset:176
	s_waitcnt vmcnt(1)
	ds_write_b128 v0, v[2:5]
.LBB113_293:
	s_or_b64 exec, exec, s[0:1]
	s_waitcnt lgkmcnt(0)
	; wave barrier
	scratch_load_dwordx4 v[80:83], off, off offset:192
	scratch_load_dwordx4 v[84:87], off, off offset:208
	;; [unrolled: 1-line block ×31, first 2 shown]
	v_mov_b32_e32 v2, 0
	ds_read_b128 v[196:199], v2 offset:976
	ds_read_b128 v[200:203], v2 offset:992
	ds_read_b128 v[204:207], v2 offset:1008
	ds_read_b128 v[208:211], v2 offset:1024
	ds_read_b128 v[212:215], v2 offset:1040
	ds_read_b128 v[216:219], v2 offset:1056
	ds_read_b128 v[220:223], v2 offset:1072
	ds_read_b128 v[224:227], v2 offset:1088
	ds_read_b128 v[228:231], v2 offset:1104
	ds_read_b128 v[242:245], v2 offset:1120
	ds_read_b128 v[246:249], v2 offset:1136
	ds_read_b128 v[156:159], v2 offset:1152
	ds_read_b128 v[148:151], v2 offset:1168
	ds_read_b128 v[144:147], v2 offset:1184
	ds_read_b128 v[136:139], v2 offset:1200
	ds_read_b128 v[132:135], v2 offset:1216
	ds_read_b128 v[128:131], v2 offset:1232
	ds_read_b128 v[184:187], v2 offset:1280
	ds_read_b128 v[188:191], v2 offset:1296
	ds_read_b128 v[192:195], v2 offset:1312
	s_waitcnt vmcnt(30) lgkmcnt(14)
	v_mul_f64 v[140:141], v[196:197], v[82:83]
	s_waitcnt vmcnt(29)
	v_mul_f64 v[142:143], v[200:201], v[86:87]
	v_fmac_f64_e32 v[140:141], v[198:199], v[80:81]
	s_waitcnt vmcnt(28)
	v_mul_f64 v[152:153], v[204:205], v[90:91]
	v_fmac_f64_e32 v[142:143], v[202:203], v[84:85]
	v_add_f64 v[140:141], v[140:141], 0
	s_waitcnt vmcnt(27)
	v_mul_f64 v[154:155], v[208:209], v[94:95]
	v_fmac_f64_e32 v[152:153], v[206:207], v[88:89]
	v_add_f64 v[140:141], v[140:141], v[142:143]
	;; [unrolled: 4-line block ×4, first 2 shown]
	s_waitcnt vmcnt(24) lgkmcnt(13)
	v_mul_f64 v[164:165], v[220:221], v[106:107]
	v_fmac_f64_e32 v[162:163], v[218:219], v[100:101]
	v_add_f64 v[140:141], v[140:141], v[160:161]
	s_waitcnt vmcnt(23) lgkmcnt(12)
	v_mul_f64 v[166:167], v[224:225], v[110:111]
	v_fmac_f64_e32 v[164:165], v[222:223], v[104:105]
	v_add_f64 v[140:141], v[140:141], v[162:163]
	;; [unrolled: 4-line block ×8, first 2 shown]
	v_fmac_f64_e32 v[178:179], v[146:147], v[12:13]
	v_add_f64 v[140:141], v[140:141], v[176:177]
	v_add_f64 v[140:141], v[140:141], v[178:179]
	ds_read_b128 v[176:179], v2 offset:1248
	s_waitcnt vmcnt(16) lgkmcnt(6)
	v_mul_f64 v[180:181], v[136:137], v[18:19]
	s_waitcnt vmcnt(15) lgkmcnt(5)
	v_mul_f64 v[182:183], v[132:133], v[22:23]
	v_fmac_f64_e32 v[180:181], v[138:139], v[16:17]
	v_add_f64 v[152:153], v[140:141], v[180:181]
	v_fmac_f64_e32 v[182:183], v[134:135], v[20:21]
	scratch_load_dwordx4 v[140:143], off, off offset:688
	s_waitcnt vmcnt(15) lgkmcnt(4)
	v_mul_f64 v[154:155], v[128:129], v[26:27]
	v_add_f64 v[152:153], v[152:153], v[182:183]
	v_fmac_f64_e32 v[154:155], v[130:131], v[24:25]
	v_add_f64 v[160:161], v[152:153], v[154:155]
	ds_read_b128 v[180:183], v2 offset:1264
	s_waitcnt vmcnt(14) lgkmcnt(1)
	v_mul_f64 v[162:163], v[176:177], v[30:31]
	scratch_load_dwordx4 v[152:155], off, off offset:704
	v_fmac_f64_e32 v[162:163], v[178:179], v[28:29]
	v_add_f64 v[164:165], v[160:161], v[162:163]
	scratch_load_dwordx4 v[160:163], off, off offset:720
	s_waitcnt vmcnt(15) lgkmcnt(0)
	v_mul_f64 v[166:167], v[180:181], v[34:35]
	v_fmac_f64_e32 v[166:167], v[182:183], v[32:33]
	v_add_f64 v[168:169], v[164:165], v[166:167]
	s_waitcnt vmcnt(14)
	v_mul_f64 v[170:171], v[184:185], v[38:39]
	scratch_load_dwordx4 v[164:167], off, off offset:736
	v_fmac_f64_e32 v[170:171], v[186:187], v[36:37]
	v_add_f64 v[168:169], v[168:169], v[170:171]
	s_waitcnt vmcnt(14)
	v_mul_f64 v[170:171], v[188:189], v[42:43]
	scratch_load_dwordx4 v[172:175], off, off offset:752
	v_fmac_f64_e32 v[170:171], v[190:191], v[40:41]
	v_add_f64 v[232:233], v[168:169], v[170:171]
	scratch_load_dwordx4 v[168:171], off, off offset:768
	v_mul_f64 v[82:83], v[198:199], v[82:83]
	v_fma_f64 v[240:241], v[196:197], v[80:81], -v[82:83]
	ds_read_b128 v[196:199], v2 offset:1328
	s_waitcnt vmcnt(15)
	v_mul_f64 v[80:81], v[192:193], v[46:47]
	v_fmac_f64_e32 v[80:81], v[194:195], v[44:45]
	v_add_f64 v[232:233], v[232:233], v[80:81]
	v_mul_f64 v[80:81], v[202:203], v[86:87]
	v_fma_f64 v[250:251], v[200:201], v[84:85], -v[80:81]
	scratch_load_dwordx4 v[80:83], off, off offset:784
	ds_read_b128 v[84:87], v2 offset:1344
	v_mul_f64 v[90:91], v[206:207], v[90:91]
	v_fma_f64 v[252:253], v[204:205], v[88:89], -v[90:91]
	ds_read_b128 v[88:91], v2 offset:1360
	s_waitcnt vmcnt(15) lgkmcnt(2)
	v_mul_f64 v[200:201], v[196:197], v[50:51]
	v_fmac_f64_e32 v[200:201], v[198:199], v[48:49]
	s_waitcnt vmcnt(14) lgkmcnt(1)
	v_mul_f64 v[202:203], v[84:85], v[54:55]
	v_add_f64 v[200:201], v[232:233], v[200:201]
	v_fmac_f64_e32 v[202:203], v[86:87], v[52:53]
	v_mul_f64 v[94:95], v[210:211], v[94:95]
	v_fma_f64 v[254:255], v[208:209], v[92:93], -v[94:95]
	ds_read_b128 v[92:95], v2 offset:1376
	v_add_f64 v[200:201], v[200:201], v[202:203]
	s_waitcnt vmcnt(13) lgkmcnt(1)
	v_mul_f64 v[202:203], v[88:89], v[58:59]
	v_fmac_f64_e32 v[202:203], v[90:91], v[56:57]
	v_add_f64 v[204:205], v[200:201], v[202:203]
	ds_read_b128 v[200:203], v2 offset:1392
	v_mul_f64 v[98:99], v[214:215], v[98:99]
	v_fma_f64 v[232:233], v[212:213], v[96:97], -v[98:99]
	ds_read_b128 v[96:99], v2 offset:1408
	s_waitcnt vmcnt(12) lgkmcnt(2)
	v_mul_f64 v[206:207], v[92:93], v[62:63]
	v_fmac_f64_e32 v[206:207], v[94:95], v[60:61]
	v_add_f64 v[204:205], v[204:205], v[206:207]
	s_waitcnt vmcnt(11) lgkmcnt(1)
	v_mul_f64 v[206:207], v[200:201], v[66:67]
	v_fmac_f64_e32 v[206:207], v[202:203], v[64:65]
	v_mul_f64 v[102:103], v[218:219], v[102:103]
	v_add_f64 v[204:205], v[204:205], v[206:207]
	v_fma_f64 v[4:5], v[216:217], v[100:101], -v[102:103]
	ds_read_b128 v[100:103], v2 offset:1424
	s_waitcnt vmcnt(10) lgkmcnt(1)
	v_mul_f64 v[206:207], v[96:97], v[70:71]
	v_fmac_f64_e32 v[206:207], v[98:99], v[68:69]
	v_add_f64 v[208:209], v[204:205], v[206:207]
	ds_read_b128 v[204:207], v2 offset:1440
	v_mul_f64 v[106:107], v[222:223], v[106:107]
	v_fma_f64 v[0:1], v[220:221], v[104:105], -v[106:107]
	ds_read_b128 v[104:107], v2 offset:1456
	s_waitcnt vmcnt(9) lgkmcnt(2)
	v_mul_f64 v[210:211], v[100:101], v[74:75]
	v_fmac_f64_e32 v[210:211], v[102:103], v[72:73]
	v_add_f64 v[208:209], v[208:209], v[210:211]
	s_waitcnt vmcnt(8) lgkmcnt(1)
	v_mul_f64 v[210:211], v[204:205], v[78:79]
	v_fmac_f64_e32 v[210:211], v[206:207], v[76:77]
	v_mul_f64 v[6:7], v[226:227], v[110:111]
	v_fma_f64 v[6:7], v[224:225], v[108:109], -v[6:7]
	ds_read_b128 v[108:111], v2 offset:1472
	v_add_f64 v[208:209], v[208:209], v[210:211]
	s_waitcnt vmcnt(7) lgkmcnt(1)
	v_mul_f64 v[210:211], v[104:105], v[126:127]
	v_fmac_f64_e32 v[210:211], v[106:107], v[124:125]
	v_mul_f64 v[114:115], v[230:231], v[114:115]
	v_add_f64 v[212:213], v[208:209], v[210:211]
	ds_read_b128 v[208:211], v2 offset:1488
	v_fma_f64 v[112:113], v[228:229], v[112:113], -v[114:115]
	v_accvgpr_write_b32 a102, v112
	v_accvgpr_write_b32 a103, v113
	ds_read_b128 v[112:115], v2 offset:1504
	s_waitcnt vmcnt(6) lgkmcnt(2)
	v_mul_f64 v[214:215], v[108:109], v[142:143]
	v_fmac_f64_e32 v[214:215], v[110:111], v[140:141]
	v_add_f64 v[212:213], v[212:213], v[214:215]
	s_waitcnt vmcnt(5) lgkmcnt(1)
	v_mul_f64 v[214:215], v[208:209], v[154:155]
	v_fmac_f64_e32 v[214:215], v[210:211], v[152:153]
	v_mul_f64 v[118:119], v[244:245], v[118:119]
	v_add_f64 v[212:213], v[212:213], v[214:215]
	v_fma_f64 v[238:239], v[242:243], v[116:117], -v[118:119]
	ds_read_b128 v[116:119], v2 offset:1520
	s_waitcnt vmcnt(4) lgkmcnt(1)
	v_mul_f64 v[214:215], v[112:113], v[162:163]
	v_fmac_f64_e32 v[214:215], v[114:115], v[160:161]
	v_add_f64 v[216:217], v[212:213], v[214:215]
	ds_read_b128 v[212:215], v2 offset:1536
	v_mul_f64 v[122:123], v[248:249], v[122:123]
	v_fma_f64 v[242:243], v[246:247], v[120:121], -v[122:123]
	ds_read_b128 v[120:123], v2 offset:1552
	s_waitcnt vmcnt(3) lgkmcnt(2)
	v_mul_f64 v[218:219], v[116:117], v[166:167]
	v_fmac_f64_e32 v[218:219], v[118:119], v[164:165]
	v_add_f64 v[216:217], v[216:217], v[218:219]
	s_waitcnt vmcnt(2) lgkmcnt(1)
	v_mul_f64 v[218:219], v[212:213], v[174:175]
	v_fmac_f64_e32 v[218:219], v[214:215], v[172:173]
	v_add_f64 v[216:217], v[216:217], v[218:219]
	s_waitcnt vmcnt(1) lgkmcnt(0)
	v_mul_f64 v[218:219], v[120:121], v[170:171]
	v_fmac_f64_e32 v[218:219], v[122:123], v[168:169]
	v_add_f64 v[220:221], v[216:217], v[218:219]
	ds_read_b128 v[216:219], v2 offset:1568
	ds_read_b128 v[224:227], v2 offset:1584
	s_waitcnt vmcnt(0) lgkmcnt(1)
	v_mul_f64 v[222:223], v[216:217], v[82:83]
	v_fmac_f64_e32 v[222:223], v[218:219], v[80:81]
	v_add_f64 v[228:229], v[220:221], v[222:223]
	scratch_load_dwordx4 v[220:223], off, off offset:800
	s_waitcnt vmcnt(0) lgkmcnt(0)
	v_mul_f64 v[230:231], v[224:225], v[222:223]
	v_fmac_f64_e32 v[230:231], v[226:227], v[220:221]
	v_add_f64 v[246:247], v[228:229], v[230:231]
	v_add_f64 v[228:229], v[240:241], 0
	;; [unrolled: 1-line block ×7, first 2 shown]
	scratch_load_dwordx4 v[228:231], off, off offset:176
	v_add_f64 v[244:245], v[4:5], v[0:1]
	v_accvgpr_read_b32 v4, a102
	v_add_f64 v[0:1], v[244:245], v[6:7]
	v_accvgpr_read_b32 v5, a103
	v_add_f64 v[0:1], v[0:1], v[4:5]
	v_add_f64 v[0:1], v[0:1], v[238:239]
	v_mul_f64 v[4:5], v[158:159], v[236:237]
	v_add_f64 v[0:1], v[0:1], v[242:243]
	v_fma_f64 v[4:5], v[156:157], v[234:235], -v[4:5]
	v_add_f64 v[0:1], v[0:1], v[4:5]
	v_mul_f64 v[4:5], v[150:151], v[10:11]
	v_fma_f64 v[4:5], v[148:149], v[8:9], -v[4:5]
	v_add_f64 v[0:1], v[0:1], v[4:5]
	v_mul_f64 v[4:5], v[146:147], v[14:15]
	;; [unrolled: 3-line block ×27, first 2 shown]
	v_fma_f64 v[4:5], v[224:225], v[220:221], -v[4:5]
	v_add_f64 v[0:1], v[0:1], v[4:5]
	s_waitcnt vmcnt(0)
	v_add_f64 v[4:5], v[228:229], -v[0:1]
	v_accvgpr_read_b32 v0, a100
	v_add_f64 v[6:7], v[230:231], -v[246:247]
	v_cmp_lt_u32_e32 vcc, 9, v0
	scratch_store_dwordx4 off, v[4:7], off offset:176
	s_and_saveexec_b64 s[0:1], vcc
	s_cbranch_execz .LBB113_295
; %bb.294:
	scratch_load_dwordx4 v[6:9], off, s57
	v_mov_b32_e32 v3, v2
	v_mov_b32_e32 v4, v2
	;; [unrolled: 1-line block ×3, first 2 shown]
	v_accvgpr_read_b32 v0, a101
	scratch_store_dwordx4 off, v[2:5], off offset:160
	s_waitcnt vmcnt(1)
	ds_write_b128 v0, v[6:9]
.LBB113_295:
	s_or_b64 exec, exec, s[0:1]
	s_waitcnt lgkmcnt(0)
	; wave barrier
	scratch_load_dwordx4 v[132:135], off, off offset:176
	scratch_load_dwordx4 v[160:163], off, off offset:192
	;; [unrolled: 1-line block ×16, first 2 shown]
	ds_read_b128 v[156:159], v2 offset:960
	ds_read_b128 v[172:175], v2 offset:976
	scratch_load_dwordx4 v[24:27], off, off offset:432
	ds_read_b128 v[232:235], v2 offset:992
	ds_read_b128 v[228:231], v2 offset:1008
	scratch_load_dwordx4 v[28:31], off, off offset:448
	ds_read_b128 v[236:239], v2 offset:1024
	ds_read_b128 v[184:187], v2 offset:1040
	;; [unrolled: 1-line block ×5, first 2 shown]
	scratch_load_dwordx4 v[32:35], off, off offset:464
	ds_read_b128 v[220:223], v2 offset:1104
	ds_read_b128 v[216:219], v2 offset:1120
	;; [unrolled: 1-line block ×3, first 2 shown]
	scratch_load_dwordx4 v[36:39], off, off offset:480
	ds_read_b128 v[64:67], v2 offset:1152
	ds_read_b128 v[60:63], v2 offset:1168
	;; [unrolled: 1-line block ×5, first 2 shown]
	scratch_load_dwordx4 v[52:55], off, off offset:496
	scratch_load_dwordx4 v[68:71], off, off offset:512
	;; [unrolled: 1-line block ×11, first 2 shown]
	ds_read_b128 v[144:147], v2 offset:1264
	ds_read_b128 v[148:151], v2 offset:1280
	;; [unrolled: 1-line block ×3, first 2 shown]
	s_waitcnt vmcnt(30) lgkmcnt(14)
	v_mul_f64 v[0:1], v[156:157], v[134:135]
	s_waitcnt vmcnt(29)
	v_mul_f64 v[108:109], v[172:173], v[162:163]
	v_fmac_f64_e32 v[0:1], v[158:159], v[132:133]
	s_waitcnt vmcnt(28)
	v_mul_f64 v[110:111], v[232:233], v[166:167]
	v_fmac_f64_e32 v[108:109], v[174:175], v[160:161]
	v_add_f64 v[0:1], v[0:1], 0
	s_waitcnt vmcnt(27)
	v_mul_f64 v[112:113], v[228:229], v[170:171]
	v_fmac_f64_e32 v[110:111], v[234:235], v[164:165]
	v_add_f64 v[0:1], v[0:1], v[108:109]
	;; [unrolled: 4-line block ×4, first 2 shown]
	s_waitcnt vmcnt(24) lgkmcnt(13)
	v_mul_f64 v[118:119], v[224:225], v[190:191]
	v_fmac_f64_e32 v[116:117], v[186:187], v[180:181]
	v_add_f64 v[0:1], v[0:1], v[114:115]
	s_waitcnt vmcnt(23) lgkmcnt(12)
	v_mul_f64 v[120:121], v[196:197], v[194:195]
	v_fmac_f64_e32 v[118:119], v[226:227], v[188:189]
	v_add_f64 v[0:1], v[0:1], v[116:117]
	;; [unrolled: 4-line block ×9, first 2 shown]
	v_fmac_f64_e32 v[138:139], v[58:59], v[16:17]
	v_add_f64 v[0:1], v[0:1], v[136:137]
	v_add_f64 v[0:1], v[0:1], v[138:139]
	ds_read_b128 v[136:139], v2 offset:1232
	s_waitcnt vmcnt(15) lgkmcnt(5)
	v_mul_f64 v[140:141], v[48:49], v[22:23]
	v_fmac_f64_e32 v[140:141], v[50:51], v[20:21]
	s_waitcnt vmcnt(14) lgkmcnt(4)
	v_mul_f64 v[112:113], v[44:45], v[26:27]
	scratch_load_dwordx4 v[108:111], off, off offset:672
	v_add_f64 v[0:1], v[0:1], v[140:141]
	v_fmac_f64_e32 v[112:113], v[46:47], v[24:25]
	v_add_f64 v[0:1], v[0:1], v[112:113]
	scratch_load_dwordx4 v[112:115], off, off offset:688
	ds_read_b128 v[140:143], v2 offset:1248
	s_waitcnt vmcnt(15) lgkmcnt(1)
	v_mul_f64 v[116:117], v[136:137], v[30:31]
	v_fmac_f64_e32 v[116:117], v[138:139], v[28:29]
	v_add_f64 v[0:1], v[0:1], v[116:117]
	scratch_load_dwordx4 v[116:119], off, off offset:704
	s_waitcnt vmcnt(15) lgkmcnt(0)
	v_mul_f64 v[120:121], v[140:141], v[34:35]
	v_fmac_f64_e32 v[120:121], v[142:143], v[32:33]
	s_waitcnt vmcnt(14)
	v_mul_f64 v[124:125], v[144:145], v[38:39]
	v_add_f64 v[0:1], v[0:1], v[120:121]
	scratch_load_dwordx4 v[120:123], off, off offset:720
	v_fmac_f64_e32 v[124:125], v[146:147], v[36:37]
	v_add_f64 v[0:1], v[0:1], v[124:125]
	s_waitcnt vmcnt(14)
	v_mul_f64 v[124:125], v[148:149], v[54:55]
	scratch_load_dwordx4 v[128:131], off, off offset:736
	v_fmac_f64_e32 v[124:125], v[150:151], v[52:53]
	v_add_f64 v[0:1], v[0:1], v[124:125]
	scratch_load_dwordx4 v[124:127], off, off offset:752
	v_mul_f64 v[134:135], v[158:159], v[134:135]
	v_fma_f64 v[240:241], v[156:157], v[132:133], -v[134:135]
	ds_read_b128 v[156:159], v2 offset:1312
	s_waitcnt vmcnt(15)
	v_mul_f64 v[132:133], v[152:153], v[70:71]
	v_fmac_f64_e32 v[132:133], v[154:155], v[68:69]
	v_add_f64 v[0:1], v[0:1], v[132:133]
	v_mul_f64 v[132:133], v[174:175], v[162:163]
	v_fma_f64 v[246:247], v[172:173], v[160:161], -v[132:133]
	scratch_load_dwordx4 v[132:135], off, off offset:768
	ds_read_b128 v[160:163], v2 offset:1328
	v_mul_f64 v[166:167], v[234:235], v[166:167]
	v_fma_f64 v[248:249], v[232:233], v[164:165], -v[166:167]
	ds_read_b128 v[164:167], v2 offset:1344
	s_waitcnt vmcnt(15) lgkmcnt(2)
	v_mul_f64 v[172:173], v[156:157], v[74:75]
	v_fmac_f64_e32 v[172:173], v[158:159], v[72:73]
	v_add_f64 v[0:1], v[0:1], v[172:173]
	s_waitcnt vmcnt(14) lgkmcnt(1)
	v_mul_f64 v[172:173], v[160:161], v[78:79]
	v_fmac_f64_e32 v[172:173], v[162:163], v[76:77]
	v_mul_f64 v[170:171], v[230:231], v[170:171]
	v_fma_f64 v[250:251], v[228:229], v[168:169], -v[170:171]
	ds_read_b128 v[168:171], v2 offset:1360
	v_add_f64 v[0:1], v[0:1], v[172:173]
	s_waitcnt vmcnt(13) lgkmcnt(1)
	v_mul_f64 v[172:173], v[164:165], v[82:83]
	v_fmac_f64_e32 v[172:173], v[166:167], v[80:81]
	v_add_f64 v[0:1], v[0:1], v[172:173]
	ds_read_b128 v[172:175], v2 offset:1376
	v_mul_f64 v[178:179], v[238:239], v[178:179]
	v_fma_f64 v[236:237], v[236:237], v[176:177], -v[178:179]
	ds_read_b128 v[176:179], v2 offset:1392
	s_waitcnt vmcnt(12) lgkmcnt(2)
	v_mul_f64 v[228:229], v[168:169], v[86:87]
	v_fmac_f64_e32 v[228:229], v[170:171], v[84:85]
	v_add_f64 v[0:1], v[0:1], v[228:229]
	s_waitcnt vmcnt(11) lgkmcnt(1)
	v_mul_f64 v[228:229], v[172:173], v[90:91]
	v_mul_f64 v[182:183], v[186:187], v[182:183]
	v_fmac_f64_e32 v[228:229], v[174:175], v[88:89]
	v_fma_f64 v[238:239], v[184:185], v[180:181], -v[182:183]
	ds_read_b128 v[180:183], v2 offset:1408
	s_waitcnt vmcnt(10) lgkmcnt(1)
	v_mul_f64 v[184:185], v[176:177], v[94:95]
	v_add_f64 v[0:1], v[0:1], v[228:229]
	v_fmac_f64_e32 v[184:185], v[178:179], v[92:93]
	v_add_f64 v[0:1], v[0:1], v[184:185]
	ds_read_b128 v[184:187], v2 offset:1424
	v_mul_f64 v[190:191], v[226:227], v[190:191]
	v_fma_f64 v[252:253], v[224:225], v[188:189], -v[190:191]
	ds_read_b128 v[188:191], v2 offset:1440
	s_waitcnt vmcnt(9) lgkmcnt(2)
	v_mul_f64 v[228:229], v[180:181], v[98:99]
	v_fmac_f64_e32 v[228:229], v[182:183], v[96:97]
	s_waitcnt vmcnt(8) lgkmcnt(1)
	v_mul_f64 v[224:225], v[184:185], v[102:103]
	v_mul_f64 v[194:195], v[198:199], v[194:195]
	v_add_f64 v[0:1], v[0:1], v[228:229]
	v_fmac_f64_e32 v[224:225], v[186:187], v[100:101]
	v_fma_f64 v[254:255], v[196:197], v[192:193], -v[194:195]
	s_waitcnt vmcnt(7) lgkmcnt(0)
	v_mul_f64 v[196:197], v[188:189], v[106:107]
	ds_read_b128 v[192:195], v2 offset:1456
	v_add_f64 v[0:1], v[0:1], v[224:225]
	v_fmac_f64_e32 v[196:197], v[190:191], v[104:105]
	v_add_f64 v[0:1], v[0:1], v[196:197]
	ds_read_b128 v[196:199], v2 offset:1472
	v_mul_f64 v[202:203], v[210:211], v[202:203]
	v_fma_f64 v[242:243], v[208:209], v[200:201], -v[202:203]
	ds_read_b128 v[200:203], v2 offset:1488
	s_waitcnt vmcnt(6) lgkmcnt(2)
	v_mul_f64 v[224:225], v[192:193], v[110:111]
	v_fmac_f64_e32 v[224:225], v[194:195], v[108:109]
	s_waitcnt vmcnt(5) lgkmcnt(1)
	v_mul_f64 v[208:209], v[196:197], v[114:115]
	v_add_f64 v[0:1], v[0:1], v[224:225]
	v_fmac_f64_e32 v[208:209], v[198:199], v[112:113]
	v_add_f64 v[208:209], v[0:1], v[208:209]
	v_mul_f64 v[0:1], v[222:223], v[206:207]
	v_fma_f64 v[0:1], v[220:221], v[204:205], -v[0:1]
	ds_read_b128 v[204:207], v2 offset:1504
	s_waitcnt vmcnt(4) lgkmcnt(1)
	v_mul_f64 v[210:211], v[200:201], v[118:119]
	v_fmac_f64_e32 v[210:211], v[202:203], v[116:117]
	v_add_f64 v[220:221], v[208:209], v[210:211]
	ds_read_b128 v[208:211], v2 offset:1520
	v_mul_f64 v[214:215], v[218:219], v[214:215]
	v_fma_f64 v[244:245], v[216:217], v[212:213], -v[214:215]
	ds_read_b128 v[212:215], v2 offset:1536
	s_waitcnt vmcnt(3) lgkmcnt(2)
	v_mul_f64 v[216:217], v[204:205], v[122:123]
	v_fmac_f64_e32 v[216:217], v[206:207], v[120:121]
	s_waitcnt vmcnt(2) lgkmcnt(1)
	v_mul_f64 v[218:219], v[208:209], v[130:131]
	v_add_f64 v[216:217], v[220:221], v[216:217]
	v_fmac_f64_e32 v[218:219], v[210:211], v[128:129]
	v_add_f64 v[216:217], v[216:217], v[218:219]
	s_waitcnt vmcnt(1) lgkmcnt(0)
	v_mul_f64 v[218:219], v[212:213], v[126:127]
	v_fmac_f64_e32 v[218:219], v[214:215], v[124:125]
	v_add_f64 v[220:221], v[216:217], v[218:219]
	ds_read_b128 v[216:219], v2 offset:1552
	ds_read_b128 v[224:227], v2 offset:1568
	scratch_load_dwordx4 v[232:235], off, off offset:800
	v_accvgpr_write_b32 a103, v1
	v_accvgpr_write_b32 a102, v0
	s_waitcnt vmcnt(1) lgkmcnt(1)
	v_mul_f64 v[222:223], v[216:217], v[134:135]
	v_fmac_f64_e32 v[222:223], v[218:219], v[132:133]
	v_add_f64 v[228:229], v[220:221], v[222:223]
	scratch_load_dwordx4 v[220:223], off, off offset:784
	v_mul_f64 v[6:7], v[42:43], v[6:7]
	v_fma_f64 v[4:5], v[40:41], v[4:5], -v[6:7]
	s_waitcnt vmcnt(0) lgkmcnt(0)
	v_mul_f64 v[230:231], v[224:225], v[222:223]
	v_fmac_f64_e32 v[230:231], v[226:227], v[220:221]
	v_add_f64 v[0:1], v[228:229], v[230:231]
	ds_read_b128 v[228:231], v2 offset:1584
	s_waitcnt lgkmcnt(0)
	v_mul_f64 v[2:3], v[228:229], v[234:235]
	v_fmac_f64_e32 v[2:3], v[230:231], v[232:233]
	v_add_f64 v[2:3], v[0:1], v[2:3]
	v_add_f64 v[0:1], v[240:241], 0
	;; [unrolled: 1-line block ×7, first 2 shown]
	scratch_load_dwordx4 v[236:239], off, off offset:160
	v_add_f64 v[0:1], v[0:1], v[252:253]
	v_add_f64 v[0:1], v[0:1], v[254:255]
	v_add_f64 v[246:247], v[0:1], v[242:243]
	v_accvgpr_read_b32 v0, a102
	v_accvgpr_read_b32 v1, a103
	v_add_f64 v[0:1], v[246:247], v[0:1]
	v_add_f64 v[0:1], v[0:1], v[244:245]
	;; [unrolled: 1-line block ×3, first 2 shown]
	v_mul_f64 v[4:5], v[66:67], v[10:11]
	v_fma_f64 v[4:5], v[64:65], v[8:9], -v[4:5]
	v_add_f64 v[0:1], v[0:1], v[4:5]
	v_mul_f64 v[4:5], v[62:63], v[14:15]
	v_fma_f64 v[4:5], v[60:61], v[12:13], -v[4:5]
	v_add_f64 v[0:1], v[0:1], v[4:5]
	;; [unrolled: 3-line block ×28, first 2 shown]
	s_waitcnt vmcnt(0)
	v_add_f64 v[4:5], v[236:237], -v[0:1]
	v_accvgpr_read_b32 v0, a100
	v_add_f64 v[6:7], v[238:239], -v[2:3]
	v_cmp_lt_u32_e32 vcc, 8, v0
	scratch_store_dwordx4 off, v[4:7], off offset:160
	s_and_saveexec_b64 s[0:1], vcc
	s_cbranch_execz .LBB113_297
; %bb.296:
	scratch_load_dwordx4 v[2:5], off, s58
	v_mov_b32_e32 v6, 0
	v_mov_b32_e32 v7, v6
	;; [unrolled: 1-line block ×4, first 2 shown]
	v_accvgpr_read_b32 v0, a101
	scratch_store_dwordx4 off, v[6:9], off offset:144
	s_waitcnt vmcnt(1)
	ds_write_b128 v0, v[2:5]
.LBB113_297:
	s_or_b64 exec, exec, s[0:1]
	s_waitcnt lgkmcnt(0)
	; wave barrier
	scratch_load_dwordx4 v[112:115], off, off offset:160
	scratch_load_dwordx4 v[116:119], off, off offset:176
	scratch_load_dwordx4 v[120:123], off, off offset:192
	scratch_load_dwordx4 v[152:155], off, off offset:208
	scratch_load_dwordx4 v[160:163], off, off offset:224
	scratch_load_dwordx4 v[164:167], off, off offset:240
	scratch_load_dwordx4 v[172:175], off, off offset:256
	scratch_load_dwordx4 v[176:179], off, off offset:272
	scratch_load_dwordx4 v[184:187], off, off offset:288
	scratch_load_dwordx4 v[188:191], off, off offset:304
	scratch_load_dwordx4 v[196:199], off, off offset:320
	scratch_load_dwordx4 v[200:203], off, off offset:336
	scratch_load_dwordx4 v[208:211], off, off offset:352
	scratch_load_dwordx4 v[4:7], off, off offset:368
	scratch_load_dwordx4 v[8:11], off, off offset:384
	scratch_load_dwordx4 v[234:237], off, off offset:400
	scratch_load_dwordx4 v[16:19], off, off offset:416
	scratch_load_dwordx4 v[20:23], off, off offset:432
	scratch_load_dwordx4 v[24:27], off, off offset:448
	scratch_load_dwordx4 v[28:31], off, off offset:464
	scratch_load_dwordx4 v[32:35], off, off offset:480
	scratch_load_dwordx4 v[36:39], off, off offset:496
	scratch_load_dwordx4 v[40:43], off, off offset:512
	scratch_load_dwordx4 v[44:47], off, off offset:528
	scratch_load_dwordx4 v[48:51], off, off offset:544
	scratch_load_dwordx4 v[52:55], off, off offset:560
	scratch_load_dwordx4 v[56:59], off, off offset:576
	scratch_load_dwordx4 v[60:63], off, off offset:592
	scratch_load_dwordx4 v[64:67], off, off offset:608
	scratch_load_dwordx4 v[68:71], off, off offset:624
	v_mov_b32_e32 v2, 0
	ds_read_b128 v[144:147], v2 offset:944
	ds_read_b128 v[156:159], v2 offset:960
	;; [unrolled: 1-line block ×20, first 2 shown]
	s_waitcnt vmcnt(29) lgkmcnt(14)
	v_mul_f64 v[0:1], v[144:145], v[114:115]
	s_waitcnt vmcnt(28)
	v_mul_f64 v[88:89], v[156:157], v[118:119]
	v_fmac_f64_e32 v[0:1], v[146:147], v[112:113]
	s_waitcnt vmcnt(27)
	v_mul_f64 v[90:91], v[168:169], v[122:123]
	v_fmac_f64_e32 v[88:89], v[158:159], v[116:117]
	v_add_f64 v[0:1], v[0:1], 0
	s_waitcnt vmcnt(26)
	v_mul_f64 v[92:93], v[180:181], v[154:155]
	v_fmac_f64_e32 v[90:91], v[170:171], v[120:121]
	v_add_f64 v[0:1], v[0:1], v[88:89]
	;; [unrolled: 4-line block ×4, first 2 shown]
	s_waitcnt vmcnt(23) lgkmcnt(13)
	v_mul_f64 v[98:99], v[212:213], v[174:175]
	v_fmac_f64_e32 v[96:97], v[206:207], v[164:165]
	v_add_f64 v[0:1], v[0:1], v[94:95]
	s_waitcnt vmcnt(22) lgkmcnt(12)
	v_mul_f64 v[100:101], v[216:217], v[178:179]
	v_fmac_f64_e32 v[98:99], v[214:215], v[172:173]
	v_add_f64 v[0:1], v[0:1], v[96:97]
	;; [unrolled: 4-line block ×9, first 2 shown]
	v_fmac_f64_e32 v[126:127], v[82:83], v[8:9]
	v_add_f64 v[0:1], v[0:1], v[124:125]
	scratch_load_dwordx4 v[88:91], off, off offset:640
	s_waitcnt vmcnt(15) lgkmcnt(4)
	v_mul_f64 v[128:129], v[76:77], v[236:237]
	v_add_f64 v[0:1], v[0:1], v[126:127]
	ds_read_b128 v[124:127], v2 offset:1216
	v_fmac_f64_e32 v[128:129], v[78:79], v[234:235]
	v_add_f64 v[0:1], v[0:1], v[128:129]
	ds_read_b128 v[128:131], v2 offset:1232
	s_waitcnt vmcnt(14) lgkmcnt(5)
	v_mul_f64 v[92:93], v[72:73], v[18:19]
	v_fmac_f64_e32 v[92:93], v[74:75], v[16:17]
	v_add_f64 v[0:1], v[0:1], v[92:93]
	s_waitcnt vmcnt(13) lgkmcnt(1)
	v_mul_f64 v[96:97], v[124:125], v[22:23]
	scratch_load_dwordx4 v[92:95], off, off offset:656
	v_fmac_f64_e32 v[96:97], v[126:127], v[20:21]
	v_add_f64 v[0:1], v[0:1], v[96:97]
	s_waitcnt vmcnt(13) lgkmcnt(0)
	v_mul_f64 v[100:101], v[128:129], v[26:27]
	scratch_load_dwordx4 v[96:99], off, off offset:672
	v_fmac_f64_e32 v[100:101], v[130:131], v[24:25]
	v_add_f64 v[0:1], v[0:1], v[100:101]
	scratch_load_dwordx4 v[100:103], off, off offset:688
	s_waitcnt vmcnt(14)
	v_mul_f64 v[104:105], v[132:133], v[30:31]
	v_fmac_f64_e32 v[104:105], v[134:135], v[28:29]
	v_add_f64 v[0:1], v[0:1], v[104:105]
	s_waitcnt vmcnt(13)
	v_mul_f64 v[104:105], v[136:137], v[34:35]
	v_fmac_f64_e32 v[104:105], v[138:139], v[32:33]
	v_add_f64 v[0:1], v[0:1], v[104:105]
	scratch_load_dwordx4 v[104:107], off, off offset:704
	s_waitcnt vmcnt(13)
	v_mul_f64 v[108:109], v[140:141], v[38:39]
	v_fmac_f64_e32 v[108:109], v[142:143], v[36:37]
	v_add_f64 v[0:1], v[0:1], v[108:109]
	scratch_load_dwordx4 v[108:111], off, off offset:720
	v_mul_f64 v[114:115], v[146:147], v[114:115]
	v_fma_f64 v[240:241], v[144:145], v[112:113], -v[114:115]
	v_mul_f64 v[112:113], v[158:159], v[118:119]
	ds_read_b128 v[148:151], v2 offset:1296
	ds_read_b128 v[144:147], v2 offset:1312
	v_fma_f64 v[250:251], v[156:157], v[116:117], -v[112:113]
	scratch_load_dwordx4 v[116:119], off, off offset:736
	scratch_load_dwordx4 v[112:115], off, off offset:752
	v_mul_f64 v[122:123], v[170:171], v[122:123]
	v_fma_f64 v[252:253], v[168:169], v[120:121], -v[122:123]
	scratch_load_dwordx4 v[120:123], off, off offset:768
	s_waitcnt vmcnt(16) lgkmcnt(1)
	v_mul_f64 v[156:157], v[148:149], v[42:43]
	v_fmac_f64_e32 v[156:157], v[150:151], v[40:41]
	v_mul_f64 v[154:155], v[182:183], v[154:155]
	v_add_f64 v[0:1], v[0:1], v[156:157]
	v_fma_f64 v[254:255], v[180:181], v[152:153], -v[154:155]
	ds_read_b128 v[152:155], v2 offset:1328
	s_waitcnt vmcnt(15) lgkmcnt(1)
	v_mul_f64 v[156:157], v[144:145], v[46:47]
	v_fmac_f64_e32 v[156:157], v[146:147], v[44:45]
	v_add_f64 v[0:1], v[0:1], v[156:157]
	ds_read_b128 v[156:159], v2 offset:1344
	v_mul_f64 v[162:163], v[194:195], v[162:163]
	v_fma_f64 v[232:233], v[192:193], v[160:161], -v[162:163]
	ds_read_b128 v[160:163], v2 offset:1360
	s_waitcnt vmcnt(14) lgkmcnt(2)
	v_mul_f64 v[168:169], v[152:153], v[50:51]
	v_fmac_f64_e32 v[168:169], v[154:155], v[48:49]
	v_mul_f64 v[166:167], v[206:207], v[166:167]
	v_add_f64 v[0:1], v[0:1], v[168:169]
	s_waitcnt vmcnt(13) lgkmcnt(1)
	v_mul_f64 v[168:169], v[156:157], v[54:55]
	v_fma_f64 v[12:13], v[204:205], v[164:165], -v[166:167]
	ds_read_b128 v[164:167], v2 offset:1376
	v_accvgpr_write_b32 a105, v7
	v_fmac_f64_e32 v[168:169], v[158:159], v[52:53]
	v_accvgpr_write_b32 a104, v6
	v_accvgpr_write_b32 a103, v5
	;; [unrolled: 1-line block ×3, first 2 shown]
	v_add_f64 v[0:1], v[0:1], v[168:169]
	s_waitcnt vmcnt(12) lgkmcnt(1)
	v_mul_f64 v[6:7], v[160:161], v[58:59]
	ds_read_b128 v[168:171], v2 offset:1392
	v_fmac_f64_e32 v[6:7], v[162:163], v[56:57]
	v_accvgpr_write_b32 a109, v11
	v_add_f64 v[0:1], v[0:1], v[6:7]
	v_mul_f64 v[6:7], v[214:215], v[174:175]
	v_accvgpr_write_b32 a108, v10
	v_accvgpr_write_b32 a107, v9
	;; [unrolled: 1-line block ×3, first 2 shown]
	v_fma_f64 v[8:9], v[212:213], v[172:173], -v[6:7]
	s_waitcnt vmcnt(11) lgkmcnt(1)
	v_mul_f64 v[6:7], v[164:165], v[62:63]
	v_fmac_f64_e32 v[6:7], v[166:167], v[60:61]
	ds_read_b128 v[172:175], v2 offset:1408
	v_add_f64 v[0:1], v[0:1], v[6:7]
	s_waitcnt vmcnt(10) lgkmcnt(1)
	v_mul_f64 v[6:7], v[168:169], v[66:67]
	v_fmac_f64_e32 v[6:7], v[170:171], v[64:65]
	v_add_f64 v[0:1], v[0:1], v[6:7]
	v_mul_f64 v[6:7], v[218:219], v[178:179]
	v_fma_f64 v[10:11], v[216:217], v[176:177], -v[6:7]
	ds_read_b128 v[176:179], v2 offset:1424
	ds_read_b128 v[180:183], v2 offset:1440
	s_waitcnt vmcnt(9) lgkmcnt(2)
	v_mul_f64 v[6:7], v[172:173], v[70:71]
	v_fmac_f64_e32 v[6:7], v[174:175], v[68:69]
	v_add_f64 v[0:1], v[0:1], v[6:7]
	s_waitcnt vmcnt(8) lgkmcnt(1)
	v_mul_f64 v[6:7], v[176:177], v[90:91]
	v_fmac_f64_e32 v[6:7], v[178:179], v[88:89]
	v_add_f64 v[0:1], v[0:1], v[6:7]
	v_mul_f64 v[6:7], v[222:223], v[186:187]
	v_fma_f64 v[4:5], v[220:221], v[184:185], -v[6:7]
	ds_read_b128 v[184:187], v2 offset:1456
	v_mul_f64 v[6:7], v[226:227], v[190:191]
	v_fma_f64 v[6:7], v[224:225], v[188:189], -v[6:7]
	ds_read_b128 v[188:191], v2 offset:1472
	s_waitcnt vmcnt(7) lgkmcnt(2)
	v_mul_f64 v[14:15], v[180:181], v[94:95]
	v_fmac_f64_e32 v[14:15], v[182:183], v[92:93]
	v_add_f64 v[0:1], v[0:1], v[14:15]
	s_waitcnt vmcnt(6) lgkmcnt(1)
	v_mul_f64 v[14:15], v[184:185], v[98:99]
	v_fmac_f64_e32 v[14:15], v[186:187], v[96:97]
	v_add_f64 v[0:1], v[0:1], v[14:15]
	s_waitcnt vmcnt(5) lgkmcnt(0)
	v_mul_f64 v[14:15], v[188:189], v[102:103]
	ds_read_b128 v[192:195], v2 offset:1488
	v_fmac_f64_e32 v[14:15], v[190:191], v[100:101]
	v_add_f64 v[14:15], v[0:1], v[14:15]
	v_mul_f64 v[0:1], v[230:231], v[198:199]
	v_fma_f64 v[0:1], v[228:229], v[196:197], -v[0:1]
	ds_read_b128 v[196:199], v2 offset:1504
	v_mul_f64 v[202:203], v[244:245], v[202:203]
	s_waitcnt vmcnt(4) lgkmcnt(1)
	v_mul_f64 v[204:205], v[192:193], v[106:107]
	v_fma_f64 v[238:239], v[242:243], v[200:201], -v[202:203]
	ds_read_b128 v[200:203], v2 offset:1520
	v_fmac_f64_e32 v[204:205], v[194:195], v[104:105]
	v_add_f64 v[14:15], v[14:15], v[204:205]
	ds_read_b128 v[204:207], v2 offset:1536
	s_waitcnt vmcnt(3) lgkmcnt(2)
	v_mul_f64 v[212:213], v[196:197], v[110:111]
	v_mul_f64 v[210:211], v[248:249], v[210:211]
	v_fmac_f64_e32 v[212:213], v[198:199], v[108:109]
	v_fma_f64 v[242:243], v[246:247], v[208:209], -v[210:211]
	ds_read_b128 v[208:211], v2 offset:1552
	ds_read_b128 v[216:219], v2 offset:1568
	v_add_f64 v[14:15], v[14:15], v[212:213]
	s_waitcnt vmcnt(2) lgkmcnt(3)
	v_mul_f64 v[212:213], v[200:201], v[118:119]
	v_fmac_f64_e32 v[212:213], v[202:203], v[116:117]
	v_add_f64 v[14:15], v[14:15], v[212:213]
	s_waitcnt vmcnt(1) lgkmcnt(2)
	v_mul_f64 v[212:213], v[204:205], v[114:115]
	v_fmac_f64_e32 v[212:213], v[206:207], v[112:113]
	;; [unrolled: 4-line block ×3, first 2 shown]
	v_add_f64 v[14:15], v[14:15], v[212:213]
	scratch_load_dwordx4 v[212:215], off, off offset:784
	ds_read_b128 v[224:227], v2 offset:1584
	s_waitcnt vmcnt(0) lgkmcnt(1)
	v_mul_f64 v[220:221], v[216:217], v[214:215]
	v_fmac_f64_e32 v[220:221], v[218:219], v[212:213]
	v_add_f64 v[14:15], v[14:15], v[220:221]
	scratch_load_dwordx4 v[220:223], off, off offset:800
	s_waitcnt vmcnt(0) lgkmcnt(0)
	v_mul_f64 v[228:229], v[224:225], v[222:223]
	v_fmac_f64_e32 v[228:229], v[226:227], v[220:221]
	v_add_f64 v[246:247], v[14:15], v[228:229]
	scratch_load_dwordx4 v[228:231], off, off offset:144
	v_add_f64 v[14:15], v[240:241], 0
	v_add_f64 v[14:15], v[14:15], v[250:251]
	;; [unrolled: 1-line block ×10, first 2 shown]
	v_accvgpr_read_b32 v6, a102
	v_accvgpr_read_b32 v8, a104
	;; [unrolled: 1-line block ×3, first 2 shown]
	v_add_f64 v[0:1], v[4:5], v[0:1]
	v_accvgpr_read_b32 v7, a103
	v_mul_f64 v[4:5], v[86:87], v[8:9]
	v_add_f64 v[0:1], v[0:1], v[238:239]
	v_fma_f64 v[4:5], v[84:85], v[6:7], -v[4:5]
	v_accvgpr_read_b32 v6, a106
	v_add_f64 v[0:1], v[0:1], v[242:243]
	v_accvgpr_read_b32 v8, a108
	v_accvgpr_read_b32 v9, a109
	v_add_f64 v[0:1], v[0:1], v[4:5]
	v_accvgpr_read_b32 v7, a107
	v_mul_f64 v[4:5], v[82:83], v[8:9]
	v_fma_f64 v[4:5], v[80:81], v[6:7], -v[4:5]
	v_add_f64 v[0:1], v[0:1], v[4:5]
	v_mul_f64 v[4:5], v[78:79], v[236:237]
	v_fma_f64 v[4:5], v[76:77], v[234:235], -v[4:5]
	v_add_f64 v[0:1], v[0:1], v[4:5]
	;; [unrolled: 3-line block ×27, first 2 shown]
	s_waitcnt vmcnt(0)
	v_add_f64 v[4:5], v[228:229], -v[0:1]
	v_accvgpr_read_b32 v0, a100
	v_add_f64 v[6:7], v[230:231], -v[246:247]
	v_cmp_lt_u32_e32 vcc, 7, v0
	scratch_store_dwordx4 off, v[4:7], off offset:144
	s_and_saveexec_b64 s[0:1], vcc
	s_cbranch_execz .LBB113_299
; %bb.298:
	scratch_load_dwordx4 v[6:9], off, s59
	v_mov_b32_e32 v3, v2
	v_mov_b32_e32 v4, v2
	;; [unrolled: 1-line block ×3, first 2 shown]
	v_accvgpr_read_b32 v0, a101
	scratch_store_dwordx4 off, v[2:5], off offset:128
	s_waitcnt vmcnt(1)
	ds_write_b128 v0, v[6:9]
.LBB113_299:
	s_or_b64 exec, exec, s[0:1]
	s_waitcnt lgkmcnt(0)
	; wave barrier
	scratch_load_dwordx4 v[88:91], off, off offset:144
	scratch_load_dwordx4 v[92:95], off, off offset:160
	;; [unrolled: 1-line block ×17, first 2 shown]
	ds_read_b128 v[212:215], v2 offset:928
	ds_read_b128 v[204:207], v2 offset:944
	;; [unrolled: 1-line block ×3, first 2 shown]
	scratch_load_dwordx4 v[20:23], off, off offset:416
	ds_read_b128 v[216:219], v2 offset:976
	ds_read_b128 v[208:211], v2 offset:992
	;; [unrolled: 1-line block ×5, first 2 shown]
	scratch_load_dwordx4 v[24:27], off, off offset:432
	ds_read_b128 v[180:183], v2 offset:1056
	ds_read_b128 v[160:163], v2 offset:1072
	;; [unrolled: 1-line block ×3, first 2 shown]
	scratch_load_dwordx4 v[28:31], off, off offset:448
	ds_read_b128 v[172:175], v2 offset:1104
	ds_read_b128 v[148:151], v2 offset:1120
	;; [unrolled: 1-line block ×5, first 2 shown]
	scratch_load_dwordx4 v[36:39], off, off offset:464
	ds_read_b128 v[48:51], v2 offset:1184
	scratch_load_dwordx4 v[52:55], off, off offset:480
	scratch_load_dwordx4 v[56:59], off, off offset:496
	scratch_load_dwordx4 v[60:63], off, off offset:512
	scratch_load_dwordx4 v[64:67], off, off offset:528
	scratch_load_dwordx4 v[68:71], off, off offset:544
	scratch_load_dwordx4 v[72:75], off, off offset:560
	scratch_load_dwordx4 v[76:79], off, off offset:576
	scratch_load_dwordx4 v[80:83], off, off offset:592
	scratch_load_dwordx4 v[84:87], off, off offset:608
	ds_read_b128 v[140:143], v2 offset:1200
	ds_read_b128 v[232:235], v2 offset:1264
	;; [unrolled: 1-line block ×3, first 2 shown]
	s_waitcnt vmcnt(29) lgkmcnt(14)
	v_mul_f64 v[0:1], v[212:213], v[90:91]
	s_waitcnt vmcnt(28)
	v_mul_f64 v[152:153], v[204:205], v[94:95]
	v_fmac_f64_e32 v[0:1], v[214:215], v[88:89]
	s_waitcnt vmcnt(27)
	v_mul_f64 v[154:155], v[196:197], v[98:99]
	v_fmac_f64_e32 v[152:153], v[206:207], v[92:93]
	v_add_f64 v[0:1], v[0:1], 0
	s_waitcnt vmcnt(26)
	v_mul_f64 v[164:165], v[216:217], v[102:103]
	v_fmac_f64_e32 v[154:155], v[198:199], v[96:97]
	v_add_f64 v[0:1], v[0:1], v[152:153]
	;; [unrolled: 4-line block ×4, first 2 shown]
	s_waitcnt vmcnt(23) lgkmcnt(13)
	v_mul_f64 v[170:171], v[184:185], v[114:115]
	v_fmac_f64_e32 v[168:169], v[202:203], v[108:109]
	v_add_f64 v[0:1], v[0:1], v[166:167]
	s_waitcnt vmcnt(22) lgkmcnt(12)
	v_mul_f64 v[176:177], v[156:157], v[118:119]
	v_fmac_f64_e32 v[170:171], v[186:187], v[112:113]
	v_add_f64 v[0:1], v[0:1], v[168:169]
	;; [unrolled: 4-line block ×10, first 2 shown]
	v_fmac_f64_e32 v[224:225], v[34:35], v[12:13]
	v_add_f64 v[0:1], v[0:1], v[222:223]
	ds_read_b128 v[220:223], v2 offset:1216
	v_add_f64 v[0:1], v[0:1], v[224:225]
	ds_read_b128 v[224:227], v2 offset:1232
	s_waitcnt vmcnt(13) lgkmcnt(5)
	v_mul_f64 v[164:165], v[48:49], v[18:19]
	scratch_load_dwordx4 v[152:155], off, off offset:624
	v_fmac_f64_e32 v[164:165], v[50:51], v[16:17]
	s_waitcnt vmcnt(13) lgkmcnt(4)
	v_mul_f64 v[168:169], v[140:141], v[22:23]
	v_add_f64 v[0:1], v[0:1], v[164:165]
	v_fmac_f64_e32 v[168:169], v[142:143], v[20:21]
	scratch_load_dwordx4 v[164:167], off, off offset:640
	v_add_f64 v[0:1], v[0:1], v[168:169]
	s_waitcnt vmcnt(13) lgkmcnt(1)
	v_mul_f64 v[176:177], v[220:221], v[26:27]
	scratch_load_dwordx4 v[168:171], off, off offset:656
	v_fmac_f64_e32 v[176:177], v[222:223], v[24:25]
	s_waitcnt vmcnt(13) lgkmcnt(0)
	v_mul_f64 v[188:189], v[224:225], v[30:31]
	v_add_f64 v[0:1], v[0:1], v[176:177]
	scratch_load_dwordx4 v[176:179], off, off offset:672
	v_fmac_f64_e32 v[188:189], v[226:227], v[28:29]
	v_add_f64 v[0:1], v[0:1], v[188:189]
	s_waitcnt vmcnt(13)
	v_mul_f64 v[188:189], v[228:229], v[38:39]
	v_fmac_f64_e32 v[188:189], v[230:231], v[36:37]
	v_add_f64 v[0:1], v[0:1], v[188:189]
	scratch_load_dwordx4 v[188:191], off, off offset:688
	s_waitcnt vmcnt(13)
	v_mul_f64 v[192:193], v[232:233], v[54:55]
	v_fmac_f64_e32 v[192:193], v[234:235], v[52:53]
	v_mul_f64 v[90:91], v[214:215], v[90:91]
	v_add_f64 v[0:1], v[0:1], v[192:193]
	scratch_load_dwordx4 v[192:195], off, off offset:704
	v_fma_f64 v[240:241], v[212:213], v[88:89], -v[90:91]
	v_mul_f64 v[88:89], v[206:207], v[94:95]
	ds_read_b128 v[236:239], v2 offset:1280
	ds_read_b128 v[212:215], v2 offset:1296
	v_fma_f64 v[246:247], v[204:205], v[92:93], -v[88:89]
	scratch_load_dwordx4 v[92:95], off, off offset:720
	scratch_load_dwordx4 v[88:91], off, off offset:736
	v_mul_f64 v[98:99], v[198:199], v[98:99]
	v_fma_f64 v[248:249], v[196:197], v[96:97], -v[98:99]
	scratch_load_dwordx4 v[96:99], off, off offset:752
	s_waitcnt vmcnt(16) lgkmcnt(1)
	v_mul_f64 v[204:205], v[236:237], v[58:59]
	v_mul_f64 v[102:103], v[218:219], v[102:103]
	v_fmac_f64_e32 v[204:205], v[238:239], v[56:57]
	v_fma_f64 v[216:217], v[216:217], v[100:101], -v[102:103]
	ds_read_b128 v[100:103], v2 offset:1312
	s_waitcnt vmcnt(15) lgkmcnt(1)
	v_mul_f64 v[196:197], v[212:213], v[62:63]
	v_add_f64 v[0:1], v[0:1], v[204:205]
	v_fmac_f64_e32 v[196:197], v[214:215], v[60:61]
	v_add_f64 v[0:1], v[0:1], v[196:197]
	ds_read_b128 v[196:199], v2 offset:1328
	v_mul_f64 v[106:107], v[210:211], v[106:107]
	v_fma_f64 v[218:219], v[208:209], v[104:105], -v[106:107]
	ds_read_b128 v[104:107], v2 offset:1344
	s_waitcnt vmcnt(14) lgkmcnt(2)
	v_mul_f64 v[204:205], v[100:101], v[66:67]
	v_fmac_f64_e32 v[204:205], v[102:103], v[64:65]
	v_add_f64 v[0:1], v[0:1], v[204:205]
	s_waitcnt vmcnt(13) lgkmcnt(1)
	v_mul_f64 v[204:205], v[196:197], v[70:71]
	v_mul_f64 v[110:111], v[202:203], v[110:111]
	v_fmac_f64_e32 v[204:205], v[198:199], v[68:69]
	v_fma_f64 v[250:251], v[200:201], v[108:109], -v[110:111]
	ds_read_b128 v[108:111], v2 offset:1360
	s_waitcnt vmcnt(12) lgkmcnt(1)
	v_mul_f64 v[200:201], v[104:105], v[74:75]
	v_add_f64 v[0:1], v[0:1], v[204:205]
	v_fmac_f64_e32 v[200:201], v[106:107], v[72:73]
	v_add_f64 v[0:1], v[0:1], v[200:201]
	ds_read_b128 v[200:203], v2 offset:1376
	v_mul_f64 v[114:115], v[186:187], v[114:115]
	v_fma_f64 v[252:253], v[184:185], v[112:113], -v[114:115]
	ds_read_b128 v[112:115], v2 offset:1392
	s_waitcnt vmcnt(11) lgkmcnt(2)
	v_mul_f64 v[184:185], v[108:109], v[78:79]
	v_fmac_f64_e32 v[184:185], v[110:111], v[76:77]
	v_add_f64 v[0:1], v[0:1], v[184:185]
	s_waitcnt vmcnt(10) lgkmcnt(1)
	v_mul_f64 v[184:185], v[200:201], v[82:83]
	v_mul_f64 v[118:119], v[158:159], v[118:119]
	v_fmac_f64_e32 v[184:185], v[202:203], v[80:81]
	v_fma_f64 v[254:255], v[156:157], v[116:117], -v[118:119]
	s_waitcnt vmcnt(9) lgkmcnt(0)
	v_mul_f64 v[156:157], v[112:113], v[86:87]
	v_add_f64 v[0:1], v[0:1], v[184:185]
	ds_read_b128 v[116:119], v2 offset:1408
	v_fmac_f64_e32 v[156:157], v[114:115], v[84:85]
	v_add_f64 v[0:1], v[0:1], v[156:157]
	ds_read_b128 v[156:159], v2 offset:1424
	v_mul_f64 v[122:123], v[182:183], v[122:123]
	v_fma_f64 v[242:243], v[180:181], v[120:121], -v[122:123]
	ds_read_b128 v[120:123], v2 offset:1440
	v_accvgpr_write_b32 a105, v7
	v_mul_f64 v[126:127], v[162:163], v[126:127]
	v_accvgpr_write_b32 a104, v6
	v_accvgpr_write_b32 a103, v5
	;; [unrolled: 1-line block ×3, first 2 shown]
	v_fma_f64 v[4:5], v[160:161], v[124:125], -v[126:127]
	ds_read_b128 v[124:127], v2 offset:1456
	s_waitcnt vmcnt(8) lgkmcnt(3)
	v_mul_f64 v[184:185], v[116:117], v[154:155]
	v_fmac_f64_e32 v[184:185], v[118:119], v[152:153]
	s_waitcnt vmcnt(7) lgkmcnt(2)
	v_mul_f64 v[180:181], v[156:157], v[166:167]
	v_add_f64 v[0:1], v[0:1], v[184:185]
	v_fmac_f64_e32 v[180:181], v[158:159], v[164:165]
	s_waitcnt vmcnt(6) lgkmcnt(1)
	v_mul_f64 v[6:7], v[120:121], v[170:171]
	ds_read_b128 v[160:163], v2 offset:1472
	v_add_f64 v[0:1], v[0:1], v[180:181]
	v_fmac_f64_e32 v[6:7], v[122:123], v[168:169]
	v_add_f64 v[0:1], v[0:1], v[6:7]
	s_waitcnt vmcnt(5) lgkmcnt(1)
	v_mul_f64 v[6:7], v[124:125], v[178:179]
	v_fmac_f64_e32 v[6:7], v[126:127], v[176:177]
	v_add_f64 v[0:1], v[0:1], v[6:7]
	v_mul_f64 v[6:7], v[146:147], v[130:131]
	v_fma_f64 v[6:7], v[144:145], v[128:129], -v[6:7]
	ds_read_b128 v[128:131], v2 offset:1488
	s_waitcnt vmcnt(4) lgkmcnt(1)
	v_mul_f64 v[144:145], v[160:161], v[190:191]
	v_fmac_f64_e32 v[144:145], v[162:163], v[188:189]
	v_add_f64 v[180:181], v[0:1], v[144:145]
	v_mul_f64 v[0:1], v[174:175], v[134:135]
	v_fma_f64 v[0:1], v[172:173], v[132:133], -v[0:1]
	ds_read_b128 v[132:135], v2 offset:1504
	ds_read_b128 v[144:147], v2 offset:1520
	v_mul_f64 v[138:139], v[150:151], v[138:139]
	v_fma_f64 v[244:245], v[148:149], v[136:137], -v[138:139]
	ds_read_b128 v[136:139], v2 offset:1536
	s_waitcnt vmcnt(3) lgkmcnt(3)
	v_mul_f64 v[172:173], v[128:129], v[194:195]
	v_fmac_f64_e32 v[172:173], v[130:131], v[192:193]
	s_waitcnt vmcnt(2) lgkmcnt(2)
	v_mul_f64 v[148:149], v[132:133], v[94:95]
	v_add_f64 v[172:173], v[180:181], v[172:173]
	v_fmac_f64_e32 v[148:149], v[134:135], v[92:93]
	s_waitcnt vmcnt(1) lgkmcnt(1)
	v_mul_f64 v[150:151], v[144:145], v[90:91]
	v_add_f64 v[148:149], v[172:173], v[148:149]
	v_fmac_f64_e32 v[150:151], v[146:147], v[88:89]
	v_add_f64 v[148:149], v[148:149], v[150:151]
	ds_read_b128 v[172:175], v2 offset:1552
	scratch_load_dwordx4 v[208:211], off, off offset:800
	s_waitcnt vmcnt(1) lgkmcnt(1)
	v_mul_f64 v[150:151], v[136:137], v[98:99]
	v_fmac_f64_e32 v[150:151], v[138:139], v[96:97]
	v_add_f64 v[180:181], v[148:149], v[150:151]
	scratch_load_dwordx4 v[148:151], off, off offset:768
	ds_read_b128 v[184:187], v2 offset:1568
	v_accvgpr_write_b32 a107, v1
	v_accvgpr_write_b32 a106, v0
	s_waitcnt vmcnt(0) lgkmcnt(1)
	v_mul_f64 v[182:183], v[172:173], v[150:151]
	v_fmac_f64_e32 v[182:183], v[174:175], v[148:149]
	v_add_f64 v[204:205], v[180:181], v[182:183]
	scratch_load_dwordx4 v[180:183], off, off offset:784
	s_waitcnt vmcnt(0) lgkmcnt(0)
	v_mul_f64 v[206:207], v[184:185], v[182:183]
	v_fmac_f64_e32 v[206:207], v[186:187], v[180:181]
	v_add_f64 v[0:1], v[204:205], v[206:207]
	ds_read_b128 v[204:207], v2 offset:1584
	s_waitcnt lgkmcnt(0)
	v_mul_f64 v[2:3], v[204:205], v[210:211]
	v_fmac_f64_e32 v[2:3], v[206:207], v[208:209]
	v_add_f64 v[2:3], v[0:1], v[2:3]
	v_add_f64 v[0:1], v[240:241], 0
	v_add_f64 v[0:1], v[0:1], v[246:247]
	v_add_f64 v[0:1], v[0:1], v[248:249]
	v_add_f64 v[0:1], v[0:1], v[216:217]
	v_add_f64 v[0:1], v[0:1], v[218:219]
	scratch_load_dwordx4 v[216:219], off, off offset:128
	v_add_f64 v[0:1], v[0:1], v[250:251]
	v_add_f64 v[0:1], v[0:1], v[252:253]
	v_add_f64 v[0:1], v[0:1], v[254:255]
	v_add_f64 v[0:1], v[0:1], v[242:243]
	v_add_f64 v[0:1], v[0:1], v[4:5]
	v_add_f64 v[246:247], v[0:1], v[6:7]
	v_accvgpr_read_b32 v0, a106
	v_accvgpr_read_b32 v243, a105
	;; [unrolled: 1-line block ×4, first 2 shown]
	v_add_f64 v[0:1], v[246:247], v[0:1]
	v_accvgpr_read_b32 v241, a103
	v_accvgpr_read_b32 v240, a102
	v_mul_f64 v[4:5], v[46:47], v[242:243]
	v_add_f64 v[0:1], v[0:1], v[244:245]
	v_fma_f64 v[4:5], v[44:45], v[240:241], -v[4:5]
	v_add_f64 v[0:1], v[0:1], v[4:5]
	v_mul_f64 v[4:5], v[42:43], v[10:11]
	v_fma_f64 v[4:5], v[40:41], v[8:9], -v[4:5]
	v_add_f64 v[0:1], v[0:1], v[4:5]
	v_mul_f64 v[4:5], v[34:35], v[14:15]
	;; [unrolled: 3-line block ×28, first 2 shown]
	v_fma_f64 v[4:5], v[204:205], v[208:209], -v[4:5]
	v_add_f64 v[0:1], v[0:1], v[4:5]
	s_waitcnt vmcnt(0)
	v_add_f64 v[4:5], v[216:217], -v[0:1]
	v_accvgpr_read_b32 v0, a100
	v_add_f64 v[6:7], v[218:219], -v[2:3]
	v_cmp_lt_u32_e32 vcc, 6, v0
	scratch_store_dwordx4 off, v[4:7], off offset:128
	s_and_saveexec_b64 s[0:1], vcc
	s_cbranch_execz .LBB113_301
; %bb.300:
	scratch_load_dwordx4 v[2:5], off, s60
	v_mov_b32_e32 v6, 0
	v_mov_b32_e32 v7, v6
	;; [unrolled: 1-line block ×4, first 2 shown]
	v_accvgpr_read_b32 v0, a101
	scratch_store_dwordx4 off, v[6:9], off offset:112
	s_waitcnt vmcnt(1)
	ds_write_b128 v0, v[2:5]
.LBB113_301:
	s_or_b64 exec, exec, s[0:1]
	s_waitcnt lgkmcnt(0)
	; wave barrier
	scratch_load_dwordx4 v[96:99], off, off offset:128
	scratch_load_dwordx4 v[100:103], off, off offset:144
	;; [unrolled: 1-line block ×30, first 2 shown]
	v_mov_b32_e32 v2, 0
	ds_read_b128 v[136:139], v2 offset:912
	ds_read_b128 v[144:147], v2 offset:928
	;; [unrolled: 1-line block ×20, first 2 shown]
	s_waitcnt vmcnt(29) lgkmcnt(14)
	v_mul_f64 v[0:1], v[136:137], v[98:99]
	s_waitcnt vmcnt(28)
	v_mul_f64 v[72:73], v[144:145], v[102:103]
	v_fmac_f64_e32 v[0:1], v[138:139], v[96:97]
	s_waitcnt vmcnt(27)
	v_mul_f64 v[74:75], v[148:149], v[106:107]
	v_fmac_f64_e32 v[72:73], v[146:147], v[100:101]
	v_add_f64 v[0:1], v[0:1], 0
	s_waitcnt vmcnt(26)
	v_mul_f64 v[76:77], v[164:165], v[110:111]
	v_fmac_f64_e32 v[74:75], v[150:151], v[104:105]
	v_add_f64 v[0:1], v[0:1], v[72:73]
	;; [unrolled: 4-line block ×4, first 2 shown]
	s_waitcnt vmcnt(23) lgkmcnt(13)
	v_mul_f64 v[82:83], v[200:201], v[158:159]
	v_fmac_f64_e32 v[80:81], v[190:191], v[152:153]
	v_add_f64 v[0:1], v[0:1], v[78:79]
	s_waitcnt vmcnt(22) lgkmcnt(12)
	v_mul_f64 v[84:85], v[208:209], v[162:163]
	v_fmac_f64_e32 v[82:83], v[202:203], v[156:157]
	v_add_f64 v[0:1], v[0:1], v[80:81]
	;; [unrolled: 4-line block ×9, first 2 shown]
	s_waitcnt vmcnt(14) lgkmcnt(4)
	v_mul_f64 v[120:121], v[68:69], v[6:7]
	v_fmac_f64_e32 v[118:119], v[248:249], v[204:205]
	v_accvgpr_write_b32 a105, v7
	v_add_f64 v[0:1], v[0:1], v[116:117]
	v_fmac_f64_e32 v[120:121], v[70:71], v[4:5]
	v_accvgpr_write_b32 a104, v6
	v_accvgpr_write_b32 a103, v5
	;; [unrolled: 1-line block ×3, first 2 shown]
	v_add_f64 v[0:1], v[0:1], v[118:119]
	ds_read_b128 v[116:119], v2 offset:1184
	s_waitcnt vmcnt(13)
	v_mov_b64_e32 v[4:5], v[8:9]
	v_mov_b64_e32 v[6:7], v[10:11]
	s_waitcnt lgkmcnt(4)
	v_mul_f64 v[76:77], v[64:65], v[6:7]
	scratch_load_dwordx4 v[72:75], off, off offset:608
	v_add_f64 v[0:1], v[0:1], v[120:121]
	v_fmac_f64_e32 v[76:77], v[66:67], v[4:5]
	s_waitcnt vmcnt(13)
	v_mov_b64_e32 v[4:5], v[12:13]
	v_add_f64 v[0:1], v[0:1], v[76:77]
	v_mov_b64_e32 v[6:7], v[14:15]
	scratch_load_dwordx4 v[76:79], off, off offset:624
	ds_read_b128 v[120:123], v2 offset:1200
	s_waitcnt lgkmcnt(1)
	v_mul_f64 v[80:81], v[116:117], v[6:7]
	v_fmac_f64_e32 v[80:81], v[118:119], v[4:5]
	v_add_f64 v[0:1], v[0:1], v[80:81]
	scratch_load_dwordx4 v[80:83], off, off offset:640
	s_waitcnt vmcnt(14) lgkmcnt(0)
	v_mul_f64 v[84:85], v[120:121], v[236:237]
	v_fmac_f64_e32 v[84:85], v[122:123], v[234:235]
	s_waitcnt vmcnt(13)
	v_mul_f64 v[88:89], v[124:125], v[22:23]
	v_add_f64 v[0:1], v[0:1], v[84:85]
	v_fmac_f64_e32 v[88:89], v[126:127], v[20:21]
	scratch_load_dwordx4 v[84:87], off, off offset:656
	v_add_f64 v[0:1], v[0:1], v[88:89]
	s_waitcnt vmcnt(13)
	v_mul_f64 v[88:89], v[128:129], v[26:27]
	v_fmac_f64_e32 v[88:89], v[130:131], v[24:25]
	v_add_f64 v[0:1], v[0:1], v[88:89]
	scratch_load_dwordx4 v[88:91], off, off offset:672
	s_waitcnt vmcnt(13)
	v_mul_f64 v[92:93], v[132:133], v[30:31]
	v_fmac_f64_e32 v[92:93], v[134:135], v[28:29]
	v_add_f64 v[0:1], v[0:1], v[92:93]
	scratch_load_dwordx4 v[92:95], off, off offset:688
	v_mul_f64 v[98:99], v[138:139], v[98:99]
	v_fma_f64 v[240:241], v[136:137], v[96:97], -v[98:99]
	v_mul_f64 v[96:97], v[146:147], v[102:103]
	ds_read_b128 v[140:143], v2 offset:1264
	ds_read_b128 v[136:139], v2 offset:1280
	v_fma_f64 v[250:251], v[144:145], v[100:101], -v[96:97]
	scratch_load_dwordx4 v[100:103], off, off offset:704
	scratch_load_dwordx4 v[96:99], off, off offset:720
	s_waitcnt vmcnt(15) lgkmcnt(1)
	v_mul_f64 v[144:145], v[140:141], v[34:35]
	v_fmac_f64_e32 v[144:145], v[142:143], v[32:33]
	v_mul_f64 v[106:107], v[150:151], v[106:107]
	v_add_f64 v[0:1], v[0:1], v[144:145]
	s_waitcnt vmcnt(14) lgkmcnt(0)
	v_mul_f64 v[144:145], v[136:137], v[38:39]
	v_fma_f64 v[252:253], v[148:149], v[104:105], -v[106:107]
	v_mul_f64 v[104:105], v[166:167], v[110:111]
	v_fmac_f64_e32 v[144:145], v[138:139], v[36:37]
	v_fma_f64 v[254:255], v[164:165], v[108:109], -v[104:105]
	scratch_load_dwordx4 v[104:107], off, off offset:736
	v_add_f64 v[0:1], v[0:1], v[144:145]
	ds_read_b128 v[144:147], v2 offset:1296
	ds_read_b128 v[148:151], v2 offset:1312
	v_mul_f64 v[108:109], v[178:179], v[114:115]
	v_fma_f64 v[232:233], v[176:177], v[112:113], -v[108:109]
	scratch_load_dwordx4 v[108:111], off, off offset:752
	s_waitcnt vmcnt(15) lgkmcnt(1)
	v_mul_f64 v[112:113], v[144:145], v[42:43]
	v_fmac_f64_e32 v[112:113], v[146:147], v[40:41]
	v_add_f64 v[0:1], v[0:1], v[112:113]
	v_mul_f64 v[112:113], v[190:191], v[154:155]
	v_fma_f64 v[16:17], v[188:189], v[152:153], -v[112:113]
	scratch_load_dwordx4 v[112:115], off, off offset:768
	ds_read_b128 v[152:155], v2 offset:1328
	s_waitcnt vmcnt(15) lgkmcnt(1)
	v_mul_f64 v[6:7], v[148:149], v[46:47]
	v_fmac_f64_e32 v[6:7], v[150:151], v[44:45]
	v_accvgpr_write_b32 a113, v15
	v_add_f64 v[0:1], v[0:1], v[6:7]
	v_mul_f64 v[6:7], v[202:203], v[158:159]
	v_accvgpr_write_b32 a112, v14
	v_accvgpr_write_b32 a111, v13
	;; [unrolled: 1-line block ×3, first 2 shown]
	v_fma_f64 v[12:13], v[200:201], v[156:157], -v[6:7]
	ds_read_b128 v[156:159], v2 offset:1344
	s_waitcnt vmcnt(14) lgkmcnt(1)
	v_mul_f64 v[6:7], v[152:153], v[50:51]
	v_fmac_f64_e32 v[6:7], v[154:155], v[48:49]
	v_accvgpr_write_b32 a109, v11
	v_add_f64 v[0:1], v[0:1], v[6:7]
	v_mul_f64 v[6:7], v[210:211], v[162:163]
	v_accvgpr_write_b32 a108, v10
	v_accvgpr_write_b32 a107, v9
	;; [unrolled: 1-line block ×3, first 2 shown]
	v_fma_f64 v[10:11], v[208:209], v[160:161], -v[6:7]
	ds_read_b128 v[160:163], v2 offset:1360
	ds_read_b128 v[164:167], v2 offset:1376
	s_waitcnt vmcnt(13) lgkmcnt(2)
	v_mul_f64 v[6:7], v[156:157], v[54:55]
	v_fmac_f64_e32 v[6:7], v[158:159], v[52:53]
	v_add_f64 v[0:1], v[0:1], v[6:7]
	s_waitcnt vmcnt(12) lgkmcnt(1)
	v_mul_f64 v[6:7], v[160:161], v[62:63]
	v_fmac_f64_e32 v[6:7], v[162:163], v[60:61]
	v_add_f64 v[0:1], v[0:1], v[6:7]
	v_mul_f64 v[6:7], v[214:215], v[170:171]
	v_fma_f64 v[8:9], v[212:213], v[168:169], -v[6:7]
	s_waitcnt vmcnt(11) lgkmcnt(0)
	v_mul_f64 v[6:7], v[164:165], v[58:59]
	v_fmac_f64_e32 v[6:7], v[166:167], v[56:57]
	ds_read_b128 v[168:171], v2 offset:1392
	v_add_f64 v[0:1], v[0:1], v[6:7]
	v_mul_f64 v[6:7], v[218:219], v[174:175]
	v_fma_f64 v[14:15], v[216:217], v[172:173], -v[6:7]
	ds_read_b128 v[172:175], v2 offset:1408
	s_waitcnt vmcnt(10) lgkmcnt(1)
	v_mul_f64 v[6:7], v[168:169], v[74:75]
	ds_read_b128 v[176:179], v2 offset:1424
	v_fmac_f64_e32 v[6:7], v[170:171], v[72:73]
	v_add_f64 v[0:1], v[0:1], v[6:7]
	s_waitcnt vmcnt(9) lgkmcnt(1)
	v_mul_f64 v[6:7], v[172:173], v[78:79]
	v_fmac_f64_e32 v[6:7], v[174:175], v[76:77]
	v_add_f64 v[0:1], v[0:1], v[6:7]
	v_mul_f64 v[6:7], v[222:223], v[182:183]
	v_fma_f64 v[4:5], v[220:221], v[180:181], -v[6:7]
	ds_read_b128 v[180:183], v2 offset:1440
	s_waitcnt vmcnt(8) lgkmcnt(1)
	v_mul_f64 v[6:7], v[176:177], v[82:83]
	v_fmac_f64_e32 v[6:7], v[178:179], v[80:81]
	v_add_f64 v[0:1], v[0:1], v[6:7]
	v_mul_f64 v[6:7], v[226:227], v[186:187]
	v_fma_f64 v[6:7], v[224:225], v[184:185], -v[6:7]
	ds_read_b128 v[184:187], v2 offset:1456
	ds_read_b128 v[188:191], v2 offset:1472
	s_waitcnt vmcnt(7) lgkmcnt(2)
	v_mul_f64 v[18:19], v[180:181], v[86:87]
	v_fmac_f64_e32 v[18:19], v[182:183], v[84:85]
	v_add_f64 v[0:1], v[0:1], v[18:19]
	s_waitcnt vmcnt(6) lgkmcnt(1)
	v_mul_f64 v[18:19], v[184:185], v[90:91]
	v_fmac_f64_e32 v[18:19], v[186:187], v[88:89]
	v_add_f64 v[18:19], v[0:1], v[18:19]
	v_mul_f64 v[0:1], v[230:231], v[194:195]
	v_fma_f64 v[0:1], v[228:229], v[192:193], -v[0:1]
	ds_read_b128 v[192:195], v2 offset:1488
	s_waitcnt vmcnt(5) lgkmcnt(1)
	v_mul_f64 v[200:201], v[188:189], v[94:95]
	v_fmac_f64_e32 v[200:201], v[190:191], v[92:93]
	v_mul_f64 v[198:199], v[244:245], v[198:199]
	v_fma_f64 v[238:239], v[242:243], v[196:197], -v[198:199]
	ds_read_b128 v[196:199], v2 offset:1504
	v_add_f64 v[18:19], v[18:19], v[200:201]
	s_waitcnt vmcnt(4) lgkmcnt(1)
	v_mul_f64 v[200:201], v[192:193], v[102:103]
	v_fmac_f64_e32 v[200:201], v[194:195], v[100:101]
	v_add_f64 v[18:19], v[18:19], v[200:201]
	ds_read_b128 v[200:203], v2 offset:1520
	v_mul_f64 v[206:207], v[248:249], v[206:207]
	v_fma_f64 v[242:243], v[246:247], v[204:205], -v[206:207]
	ds_read_b128 v[204:207], v2 offset:1536
	s_waitcnt vmcnt(3) lgkmcnt(2)
	v_mul_f64 v[208:209], v[196:197], v[98:99]
	v_fmac_f64_e32 v[208:209], v[198:199], v[96:97]
	v_add_f64 v[18:19], v[18:19], v[208:209]
	s_waitcnt vmcnt(2) lgkmcnt(1)
	v_mul_f64 v[208:209], v[200:201], v[106:107]
	v_fmac_f64_e32 v[208:209], v[202:203], v[104:105]
	v_add_f64 v[18:19], v[18:19], v[208:209]
	;; [unrolled: 4-line block ×3, first 2 shown]
	ds_read_b128 v[208:211], v2 offset:1552
	ds_read_b128 v[216:219], v2 offset:1568
	;; [unrolled: 1-line block ×3, first 2 shown]
	s_waitcnt vmcnt(0) lgkmcnt(2)
	v_mul_f64 v[212:213], v[208:209], v[114:115]
	v_fmac_f64_e32 v[212:213], v[210:211], v[112:113]
	v_add_f64 v[18:19], v[18:19], v[212:213]
	scratch_load_dwordx4 v[212:215], off, off offset:784
	s_waitcnt vmcnt(0) lgkmcnt(1)
	v_mul_f64 v[220:221], v[216:217], v[214:215]
	v_fmac_f64_e32 v[220:221], v[218:219], v[212:213]
	v_add_f64 v[18:19], v[18:19], v[220:221]
	scratch_load_dwordx4 v[220:223], off, off offset:800
	s_waitcnt vmcnt(0) lgkmcnt(0)
	v_mul_f64 v[228:229], v[224:225], v[222:223]
	v_fmac_f64_e32 v[228:229], v[226:227], v[220:221]
	v_add_f64 v[246:247], v[18:19], v[228:229]
	scratch_load_dwordx4 v[228:231], off, off offset:112
	v_add_f64 v[18:19], v[240:241], 0
	v_add_f64 v[18:19], v[18:19], v[250:251]
	;; [unrolled: 1-line block ×12, first 2 shown]
	v_accvgpr_read_b32 v6, a102
	v_accvgpr_read_b32 v8, a104
	;; [unrolled: 1-line block ×3, first 2 shown]
	v_add_f64 v[0:1], v[4:5], v[0:1]
	v_accvgpr_read_b32 v7, a103
	v_mul_f64 v[4:5], v[70:71], v[8:9]
	v_add_f64 v[0:1], v[0:1], v[238:239]
	v_fma_f64 v[4:5], v[68:69], v[6:7], -v[4:5]
	v_accvgpr_read_b32 v6, a106
	v_add_f64 v[0:1], v[0:1], v[242:243]
	v_accvgpr_read_b32 v8, a108
	v_accvgpr_read_b32 v9, a109
	v_add_f64 v[0:1], v[0:1], v[4:5]
	v_accvgpr_read_b32 v7, a107
	v_mul_f64 v[4:5], v[66:67], v[8:9]
	v_fma_f64 v[4:5], v[64:65], v[6:7], -v[4:5]
	v_accvgpr_read_b32 v6, a110
	v_accvgpr_read_b32 v8, a112
	;; [unrolled: 1-line block ×3, first 2 shown]
	v_add_f64 v[0:1], v[0:1], v[4:5]
	v_accvgpr_read_b32 v7, a111
	v_mul_f64 v[4:5], v[118:119], v[8:9]
	v_fma_f64 v[4:5], v[116:117], v[6:7], -v[4:5]
	v_add_f64 v[0:1], v[0:1], v[4:5]
	v_mul_f64 v[4:5], v[122:123], v[236:237]
	v_fma_f64 v[4:5], v[120:121], v[234:235], -v[4:5]
	v_add_f64 v[0:1], v[0:1], v[4:5]
	;; [unrolled: 3-line block ×26, first 2 shown]
	s_waitcnt vmcnt(0)
	v_add_f64 v[4:5], v[228:229], -v[0:1]
	v_accvgpr_read_b32 v0, a100
	v_add_f64 v[6:7], v[230:231], -v[246:247]
	v_cmp_lt_u32_e32 vcc, 5, v0
	scratch_store_dwordx4 off, v[4:7], off offset:112
	s_and_saveexec_b64 s[0:1], vcc
	s_cbranch_execz .LBB113_303
; %bb.302:
	scratch_load_dwordx4 v[6:9], off, s61
	v_mov_b32_e32 v3, v2
	v_mov_b32_e32 v4, v2
	;; [unrolled: 1-line block ×3, first 2 shown]
	v_accvgpr_read_b32 v0, a101
	scratch_store_dwordx4 off, v[2:5], off offset:96
	s_waitcnt vmcnt(1)
	ds_write_b128 v0, v[6:9]
.LBB113_303:
	s_or_b64 exec, exec, s[0:1]
	s_waitcnt lgkmcnt(0)
	; wave barrier
	scratch_load_dwordx4 v[72:75], off, off offset:112
	scratch_load_dwordx4 v[76:79], off, off offset:128
	;; [unrolled: 1-line block ×17, first 2 shown]
	ds_read_b128 v[176:179], v2 offset:896
	ds_read_b128 v[192:195], v2 offset:912
	;; [unrolled: 1-line block ×3, first 2 shown]
	scratch_load_dwordx4 v[20:23], off, off offset:384
	ds_read_b128 v[236:239], v2 offset:944
	ds_read_b128 v[232:235], v2 offset:960
	;; [unrolled: 1-line block ×5, first 2 shown]
	scratch_load_dwordx4 v[168:171], off, off offset:400
	ds_read_b128 v[224:227], v2 offset:1024
	ds_read_b128 v[212:215], v2 offset:1040
	ds_read_b128 v[200:203], v2 offset:1056
	scratch_load_dwordx4 v[12:15], off, off offset:416
	ds_read_b128 v[216:219], v2 offset:1072
	ds_read_b128 v[204:207], v2 offset:1088
	;; [unrolled: 1-line block ×5, first 2 shown]
	scratch_load_dwordx4 v[28:31], off, off offset:432
	ds_read_b128 v[32:35], v2 offset:1152
	scratch_load_dwordx4 v[36:39], off, off offset:448
	scratch_load_dwordx4 v[40:43], off, off offset:464
	;; [unrolled: 1-line block ×9, first 2 shown]
	ds_read_b128 v[132:135], v2 offset:1168
	s_waitcnt lgkmcnt(2)
	v_accvgpr_write_b32 a109, v19
	v_accvgpr_write_b32 a108, v18
	v_accvgpr_write_b32 a107, v17
	v_accvgpr_write_b32 a106, v16
	ds_read_b128 v[172:175], v2 offset:1232
	s_waitcnt vmcnt(29)
	v_mul_f64 v[0:1], v[176:177], v[74:75]
	s_waitcnt vmcnt(28)
	v_mul_f64 v[136:137], v[192:193], v[78:79]
	v_fmac_f64_e32 v[0:1], v[178:179], v[72:73]
	s_waitcnt vmcnt(27)
	v_mul_f64 v[138:139], v[188:189], v[82:83]
	v_fmac_f64_e32 v[136:137], v[194:195], v[76:77]
	v_add_f64 v[0:1], v[0:1], 0
	s_waitcnt vmcnt(26)
	v_mul_f64 v[140:141], v[236:237], v[86:87]
	v_fmac_f64_e32 v[138:139], v[190:191], v[80:81]
	v_add_f64 v[0:1], v[0:1], v[136:137]
	;; [unrolled: 4-line block ×14, first 2 shown]
	v_fmac_f64_e32 v[164:165], v[18:19], v[4:5]
	v_add_f64 v[0:1], v[0:1], v[162:163]
	s_waitcnt vmcnt(13) lgkmcnt(2)
	v_mul_f64 v[140:141], v[32:33], v[26:27]
	scratch_load_dwordx4 v[136:139], off, off offset:592
	v_add_f64 v[0:1], v[0:1], v[164:165]
	v_fmac_f64_e32 v[140:141], v[34:35], v[24:25]
	v_add_f64 v[0:1], v[0:1], v[140:141]
	ds_read_b128 v[160:163], v2 offset:1184
	scratch_load_dwordx4 v[140:143], off, off offset:608
	ds_read_b128 v[164:167], v2 offset:1200
	s_waitcnt vmcnt(13)
	v_mov_b64_e32 v[16:17], v[168:169]
	v_mov_b64_e32 v[18:19], v[170:171]
	ds_read_b128 v[168:171], v2 offset:1216
	s_waitcnt lgkmcnt(4)
	v_mul_f64 v[144:145], v[132:133], v[22:23]
	v_fmac_f64_e32 v[144:145], v[134:135], v[20:21]
	s_waitcnt lgkmcnt(2)
	v_mul_f64 v[148:149], v[160:161], v[18:19]
	v_add_f64 v[0:1], v[0:1], v[144:145]
	v_fmac_f64_e32 v[148:149], v[162:163], v[16:17]
	s_waitcnt vmcnt(12) lgkmcnt(1)
	v_mul_f64 v[152:153], v[164:165], v[14:15]
	scratch_load_dwordx4 v[144:147], off, off offset:624
	v_add_f64 v[0:1], v[0:1], v[148:149]
	v_fmac_f64_e32 v[152:153], v[166:167], v[12:13]
	scratch_load_dwordx4 v[148:151], off, off offset:640
	v_add_f64 v[0:1], v[0:1], v[152:153]
	s_waitcnt vmcnt(13) lgkmcnt(0)
	v_mul_f64 v[152:153], v[168:169], v[30:31]
	v_fmac_f64_e32 v[152:153], v[170:171], v[28:29]
	v_add_f64 v[0:1], v[0:1], v[152:153]
	scratch_load_dwordx4 v[152:155], off, off offset:656
	s_waitcnt vmcnt(13)
	v_mul_f64 v[156:157], v[172:173], v[38:39]
	v_fmac_f64_e32 v[156:157], v[174:175], v[36:37]
	v_mul_f64 v[74:75], v[178:179], v[74:75]
	v_add_f64 v[0:1], v[0:1], v[156:157]
	scratch_load_dwordx4 v[156:159], off, off offset:672
	v_fma_f64 v[240:241], v[176:177], v[72:73], -v[74:75]
	v_mul_f64 v[72:73], v[194:195], v[78:79]
	ds_read_b128 v[180:183], v2 offset:1248
	ds_read_b128 v[176:179], v2 offset:1264
	v_fma_f64 v[246:247], v[192:193], v[76:77], -v[72:73]
	scratch_load_dwordx4 v[76:79], off, off offset:688
	scratch_load_dwordx4 v[72:75], off, off offset:704
	v_mul_f64 v[82:83], v[190:191], v[82:83]
	v_fma_f64 v[248:249], v[188:189], v[80:81], -v[82:83]
	v_mul_f64 v[80:81], v[238:239], v[86:87]
	v_fma_f64 v[236:237], v[236:237], v[84:85], -v[80:81]
	scratch_load_dwordx4 v[80:83], off, off offset:720
	ds_read_b128 v[188:191], v2 offset:1280
	v_mul_f64 v[84:85], v[234:235], v[90:91]
	s_waitcnt vmcnt(16) lgkmcnt(2)
	v_mul_f64 v[192:193], v[180:181], v[42:43]
	v_fma_f64 v[238:239], v[232:233], v[88:89], -v[84:85]
	scratch_load_dwordx4 v[84:87], off, off offset:736
	v_fmac_f64_e32 v[192:193], v[182:183], v[40:41]
	v_add_f64 v[0:1], v[0:1], v[192:193]
	s_waitcnt vmcnt(16) lgkmcnt(1)
	v_mul_f64 v[192:193], v[176:177], v[46:47]
	v_fmac_f64_e32 v[192:193], v[178:179], v[44:45]
	v_add_f64 v[0:1], v[0:1], v[192:193]
	ds_read_b128 v[192:195], v2 offset:1296
	s_waitcnt vmcnt(15) lgkmcnt(1)
	v_mul_f64 v[88:89], v[188:189], v[50:51]
	v_fmac_f64_e32 v[88:89], v[190:191], v[48:49]
	v_add_f64 v[0:1], v[0:1], v[88:89]
	v_mul_f64 v[88:89], v[230:231], v[94:95]
	v_fma_f64 v[250:251], v[228:229], v[92:93], -v[88:89]
	scratch_load_dwordx4 v[88:91], off, off offset:752
	scratch_load_dwordx4 v[232:235], off, off offset:800
	ds_read_b128 v[92:95], v2 offset:1312
	v_mul_f64 v[98:99], v[222:223], v[98:99]
	v_fma_f64 v[252:253], v[220:221], v[96:97], -v[98:99]
	ds_read_b128 v[96:99], v2 offset:1328
	v_mul_f64 v[102:103], v[210:211], v[102:103]
	s_waitcnt vmcnt(16) lgkmcnt(2)
	v_mul_f64 v[228:229], v[192:193], v[54:55]
	v_fma_f64 v[254:255], v[208:209], v[100:101], -v[102:103]
	ds_read_b128 v[100:103], v2 offset:1344
	ds_read_b128 v[208:211], v2 offset:1360
	v_fmac_f64_e32 v[228:229], v[194:195], v[52:53]
	s_waitcnt vmcnt(15) lgkmcnt(3)
	v_mul_f64 v[220:221], v[92:93], v[58:59]
	v_add_f64 v[0:1], v[0:1], v[228:229]
	v_fmac_f64_e32 v[220:221], v[94:95], v[56:57]
	v_mul_f64 v[106:107], v[226:227], v[106:107]
	v_add_f64 v[0:1], v[0:1], v[220:221]
	s_waitcnt vmcnt(14) lgkmcnt(2)
	v_mul_f64 v[220:221], v[96:97], v[62:63]
	v_fma_f64 v[242:243], v[224:225], v[104:105], -v[106:107]
	ds_read_b128 v[104:107], v2 offset:1376
	v_fmac_f64_e32 v[220:221], v[98:99], v[60:61]
	v_mul_f64 v[110:111], v[214:215], v[110:111]
	v_add_f64 v[0:1], v[0:1], v[220:221]
	s_waitcnt vmcnt(13) lgkmcnt(2)
	v_mul_f64 v[220:221], v[100:101], v[70:71]
	v_fma_f64 v[8:9], v[212:213], v[108:109], -v[110:111]
	ds_read_b128 v[108:111], v2 offset:1392
	v_fmac_f64_e32 v[220:221], v[102:103], v[68:69]
	v_accvgpr_write_b32 a105, v7
	v_add_f64 v[0:1], v[0:1], v[220:221]
	s_waitcnt vmcnt(12) lgkmcnt(2)
	v_mul_f64 v[220:221], v[208:209], v[66:67]
	v_accvgpr_write_b32 a104, v6
	v_accvgpr_write_b32 a103, v5
	;; [unrolled: 1-line block ×3, first 2 shown]
	v_fmac_f64_e32 v[220:221], v[210:211], v[64:65]
	s_waitcnt vmcnt(11) lgkmcnt(1)
	v_mul_f64 v[6:7], v[104:105], v[138:139]
	v_add_f64 v[0:1], v[0:1], v[220:221]
	v_fmac_f64_e32 v[6:7], v[106:107], v[136:137]
	v_add_f64 v[0:1], v[0:1], v[6:7]
	s_waitcnt vmcnt(10) lgkmcnt(0)
	v_mul_f64 v[6:7], v[108:109], v[142:143]
	v_fmac_f64_e32 v[6:7], v[110:111], v[140:141]
	ds_read_b128 v[212:215], v2 offset:1408
	v_add_f64 v[0:1], v[0:1], v[6:7]
	v_mul_f64 v[6:7], v[202:203], v[114:115]
	v_fma_f64 v[6:7], v[200:201], v[112:113], -v[6:7]
	ds_read_b128 v[112:115], v2 offset:1424
	v_mul_f64 v[118:119], v[218:219], v[118:119]
	v_fma_f64 v[4:5], v[216:217], v[116:117], -v[118:119]
	ds_read_b128 v[116:119], v2 offset:1440
	s_waitcnt vmcnt(9) lgkmcnt(2)
	v_mul_f64 v[200:201], v[212:213], v[146:147]
	v_fmac_f64_e32 v[200:201], v[214:215], v[144:145]
	s_waitcnt vmcnt(8) lgkmcnt(1)
	v_mul_f64 v[10:11], v[112:113], v[150:151]
	v_add_f64 v[0:1], v[0:1], v[200:201]
	v_fmac_f64_e32 v[10:11], v[114:115], v[148:149]
	v_add_f64 v[0:1], v[0:1], v[10:11]
	ds_read_b128 v[200:203], v2 offset:1456
	s_waitcnt vmcnt(7) lgkmcnt(1)
	v_mul_f64 v[10:11], v[116:117], v[154:155]
	v_fmac_f64_e32 v[10:11], v[118:119], v[152:153]
	v_add_f64 v[10:11], v[0:1], v[10:11]
	v_mul_f64 v[0:1], v[206:207], v[122:123]
	v_fma_f64 v[0:1], v[204:205], v[120:121], -v[0:1]
	ds_read_b128 v[120:123], v2 offset:1472
	v_mul_f64 v[126:127], v[198:199], v[126:127]
	v_fma_f64 v[124:125], v[196:197], v[124:125], -v[126:127]
	s_waitcnt vmcnt(6) lgkmcnt(1)
	v_mul_f64 v[204:205], v[200:201], v[158:159]
	v_accvgpr_write_b32 a110, v124
	v_fmac_f64_e32 v[204:205], v[202:203], v[156:157]
	v_accvgpr_write_b32 a111, v125
	ds_read_b128 v[124:127], v2 offset:1488
	s_waitcnt vmcnt(5) lgkmcnt(1)
	v_mul_f64 v[196:197], v[120:121], v[78:79]
	v_add_f64 v[10:11], v[10:11], v[204:205]
	v_fmac_f64_e32 v[196:197], v[122:123], v[76:77]
	v_add_f64 v[10:11], v[10:11], v[196:197]
	ds_read_b128 v[196:199], v2 offset:1504
	v_mul_f64 v[130:131], v[186:187], v[130:131]
	v_fma_f64 v[244:245], v[184:185], v[128:129], -v[130:131]
	ds_read_b128 v[128:131], v2 offset:1520
	s_waitcnt vmcnt(4) lgkmcnt(2)
	v_mul_f64 v[184:185], v[124:125], v[74:75]
	v_fmac_f64_e32 v[184:185], v[126:127], v[72:73]
	v_add_f64 v[10:11], v[10:11], v[184:185]
	s_waitcnt vmcnt(3) lgkmcnt(1)
	v_mul_f64 v[184:185], v[196:197], v[82:83]
	v_fmac_f64_e32 v[184:185], v[198:199], v[80:81]
	v_add_f64 v[10:11], v[10:11], v[184:185]
	;; [unrolled: 4-line block ×3, first 2 shown]
	ds_read_b128 v[184:187], v2 offset:1536
	ds_read_b128 v[216:219], v2 offset:1552
	;; [unrolled: 1-line block ×3, first 2 shown]
	s_waitcnt vmcnt(1) lgkmcnt(2)
	v_mul_f64 v[204:205], v[184:185], v[90:91]
	v_fmac_f64_e32 v[204:205], v[186:187], v[88:89]
	v_add_f64 v[10:11], v[10:11], v[204:205]
	scratch_load_dwordx4 v[204:207], off, off offset:768
	s_waitcnt vmcnt(0) lgkmcnt(1)
	v_mul_f64 v[220:221], v[216:217], v[206:207]
	v_fmac_f64_e32 v[220:221], v[218:219], v[204:205]
	v_add_f64 v[10:11], v[10:11], v[220:221]
	scratch_load_dwordx4 v[220:223], off, off offset:784
	s_waitcnt vmcnt(0) lgkmcnt(0)
	v_mul_f64 v[228:229], v[224:225], v[222:223]
	v_fmac_f64_e32 v[228:229], v[226:227], v[220:221]
	v_add_f64 v[10:11], v[10:11], v[228:229]
	ds_read_b128 v[228:231], v2 offset:1584
	s_waitcnt lgkmcnt(0)
	v_mul_f64 v[2:3], v[228:229], v[234:235]
	v_fmac_f64_e32 v[2:3], v[230:231], v[232:233]
	v_add_f64 v[2:3], v[10:11], v[2:3]
	v_add_f64 v[10:11], v[240:241], 0
	v_add_f64 v[10:11], v[10:11], v[246:247]
	v_add_f64 v[10:11], v[10:11], v[248:249]
	v_add_f64 v[10:11], v[10:11], v[236:237]
	v_add_f64 v[10:11], v[10:11], v[238:239]
	scratch_load_dwordx4 v[236:239], off, off offset:96
	v_add_f64 v[10:11], v[10:11], v[250:251]
	v_add_f64 v[10:11], v[10:11], v[252:253]
	;; [unrolled: 1-line block ×8, first 2 shown]
	v_accvgpr_read_b32 v0, a110
	v_accvgpr_read_b32 v6, a102
	v_accvgpr_read_b32 v243, a109
	v_accvgpr_read_b32 v1, a111
	v_accvgpr_read_b32 v8, a104
	v_accvgpr_read_b32 v9, a105
	v_accvgpr_read_b32 v242, a108
	v_add_f64 v[0:1], v[246:247], v[0:1]
	v_accvgpr_read_b32 v7, a103
	v_accvgpr_read_b32 v241, a107
	;; [unrolled: 1-line block ×3, first 2 shown]
	v_mul_f64 v[4:5], v[242:243], v[8:9]
	v_add_f64 v[0:1], v[0:1], v[244:245]
	v_fma_f64 v[4:5], v[240:241], v[6:7], -v[4:5]
	v_add_f64 v[0:1], v[0:1], v[4:5]
	v_mul_f64 v[4:5], v[34:35], v[26:27]
	v_fma_f64 v[4:5], v[32:33], v[24:25], -v[4:5]
	v_add_f64 v[0:1], v[0:1], v[4:5]
	v_mul_f64 v[4:5], v[134:135], v[22:23]
	;; [unrolled: 3-line block ×28, first 2 shown]
	v_fma_f64 v[4:5], v[228:229], v[232:233], -v[4:5]
	v_add_f64 v[0:1], v[0:1], v[4:5]
	s_waitcnt vmcnt(0)
	v_add_f64 v[4:5], v[236:237], -v[0:1]
	v_accvgpr_read_b32 v0, a100
	v_add_f64 v[6:7], v[238:239], -v[2:3]
	v_cmp_lt_u32_e32 vcc, 4, v0
	scratch_store_dwordx4 off, v[4:7], off offset:96
	s_and_saveexec_b64 s[0:1], vcc
	s_cbranch_execz .LBB113_305
; %bb.304:
	scratch_load_dwordx4 v[2:5], off, s62
	v_mov_b32_e32 v6, 0
	v_mov_b32_e32 v7, v6
	;; [unrolled: 1-line block ×4, first 2 shown]
	v_accvgpr_read_b32 v0, a101
	scratch_store_dwordx4 off, v[6:9], off offset:80
	s_waitcnt vmcnt(1)
	ds_write_b128 v0, v[2:5]
.LBB113_305:
	s_or_b64 exec, exec, s[0:1]
	s_waitcnt lgkmcnt(0)
	; wave barrier
	scratch_load_dwordx4 v[80:83], off, off offset:96
	scratch_load_dwordx4 v[84:87], off, off offset:112
	;; [unrolled: 1-line block ×29, first 2 shown]
	v_mov_b32_e32 v2, 0
	ds_read_b128 v[132:135], v2 offset:880
	ds_read_b128 v[136:139], v2 offset:896
	;; [unrolled: 1-line block ×22, first 2 shown]
	s_waitcnt vmcnt(28) lgkmcnt(14)
	v_mul_f64 v[0:1], v[132:133], v[82:83]
	s_waitcnt vmcnt(27)
	v_mul_f64 v[56:57], v[136:137], v[86:87]
	v_fmac_f64_e32 v[0:1], v[134:135], v[80:81]
	s_waitcnt vmcnt(26)
	v_mul_f64 v[58:59], v[140:141], v[90:91]
	v_fmac_f64_e32 v[56:57], v[138:139], v[84:85]
	v_add_f64 v[0:1], v[0:1], 0
	s_waitcnt vmcnt(25)
	v_mul_f64 v[60:61], v[148:149], v[94:95]
	v_fmac_f64_e32 v[58:59], v[142:143], v[88:89]
	v_add_f64 v[0:1], v[0:1], v[56:57]
	;; [unrolled: 4-line block ×6, first 2 shown]
	s_waitcnt vmcnt(20) lgkmcnt(13)
	v_mul_f64 v[70:71], v[204:205], v[154:155]
	v_fmac_f64_e32 v[68:69], v[198:199], v[144:145]
	v_add_f64 v[0:1], v[0:1], v[66:67]
	s_waitcnt vmcnt(19) lgkmcnt(12)
	v_mul_f64 v[72:73], v[208:209], v[158:159]
	v_fmac_f64_e32 v[70:71], v[206:207], v[152:153]
	v_add_f64 v[0:1], v[0:1], v[68:69]
	;; [unrolled: 4-line block ×8, first 2 shown]
	v_fmac_f64_e32 v[112:113], v[244:245], v[192:193]
	v_add_f64 v[0:1], v[0:1], v[110:111]
	s_waitcnt vmcnt(12) lgkmcnt(5)
	v_mul_f64 v[60:61], v[246:247], v[202:203]
	scratch_load_dwordx4 v[56:59], off, off offset:560
	ds_read_b128 v[108:111], v2 offset:1168
	v_add_f64 v[0:1], v[0:1], v[112:113]
	v_fmac_f64_e32 v[60:61], v[248:249], v[200:201]
	v_add_f64 v[0:1], v[0:1], v[60:61]
	s_waitcnt vmcnt(12) lgkmcnt(5)
	v_mul_f64 v[64:65], v[52:53], v[6:7]
	scratch_load_dwordx4 v[60:63], off, off offset:576
	v_accvgpr_write_b32 a105, v7
	v_fmac_f64_e32 v[64:65], v[54:55], v[4:5]
	v_accvgpr_write_b32 a104, v6
	v_accvgpr_write_b32 a103, v5
	;; [unrolled: 1-line block ×3, first 2 shown]
	ds_read_b128 v[112:115], v2 offset:1184
	s_waitcnt vmcnt(12)
	v_mov_b64_e32 v[4:5], v[8:9]
	v_mov_b64_e32 v[6:7], v[10:11]
	s_waitcnt lgkmcnt(1)
	v_mul_f64 v[68:69], v[108:109], v[6:7]
	v_fmac_f64_e32 v[68:69], v[110:111], v[4:5]
	s_waitcnt vmcnt(11)
	v_mov_b64_e32 v[4:5], v[12:13]
	v_add_f64 v[0:1], v[0:1], v[64:65]
	v_mov_b64_e32 v[6:7], v[14:15]
	scratch_load_dwordx4 v[64:67], off, off offset:592
	v_add_f64 v[0:1], v[0:1], v[68:69]
	s_waitcnt lgkmcnt(0)
	v_mul_f64 v[68:69], v[112:113], v[6:7]
	v_fmac_f64_e32 v[68:69], v[114:115], v[4:5]
	s_waitcnt vmcnt(11)
	v_mov_b64_e32 v[4:5], v[16:17]
	v_add_f64 v[0:1], v[0:1], v[68:69]
	scratch_load_dwordx4 v[68:71], off, off offset:608
	v_mov_b64_e32 v[6:7], v[18:19]
	v_mul_f64 v[76:77], v[116:117], v[6:7]
	scratch_load_dwordx4 v[72:75], off, off offset:624
	v_fmac_f64_e32 v[76:77], v[118:119], v[4:5]
	v_add_f64 v[0:1], v[0:1], v[76:77]
	s_waitcnt vmcnt(12)
	v_mul_f64 v[76:77], v[120:121], v[236:237]
	v_fmac_f64_e32 v[76:77], v[122:123], v[234:235]
	v_add_f64 v[0:1], v[0:1], v[76:77]
	scratch_load_dwordx4 v[76:79], off, off offset:640
	v_mul_f64 v[82:83], v[134:135], v[82:83]
	v_fma_f64 v[240:241], v[132:133], v[80:81], -v[82:83]
	scratch_load_dwordx4 v[80:83], off, off offset:656
	v_mul_f64 v[86:87], v[138:139], v[86:87]
	v_fma_f64 v[250:251], v[136:137], v[84:85], -v[86:87]
	scratch_load_dwordx4 v[84:87], off, off offset:672
	v_mul_f64 v[90:91], v[142:143], v[90:91]
	s_waitcnt vmcnt(14)
	v_mul_f64 v[132:133], v[124:125], v[26:27]
	v_fma_f64 v[252:253], v[140:141], v[88:89], -v[90:91]
	scratch_load_dwordx4 v[88:91], off, off offset:688
	v_fmac_f64_e32 v[132:133], v[126:127], v[24:25]
	s_waitcnt vmcnt(14)
	v_mul_f64 v[136:137], v[128:129], v[30:31]
	v_mul_f64 v[94:95], v[150:151], v[94:95]
	v_add_f64 v[0:1], v[0:1], v[132:133]
	v_fmac_f64_e32 v[136:137], v[130:131], v[28:29]
	v_fma_f64 v[254:255], v[148:149], v[92:93], -v[94:95]
	v_mul_f64 v[92:93], v[162:163], v[98:99]
	ds_read_b128 v[132:135], v2 offset:1264
	v_add_f64 v[0:1], v[0:1], v[136:137]
	ds_read_b128 v[136:139], v2 offset:1280
	v_fma_f64 v[232:233], v[160:161], v[96:97], -v[92:93]
	scratch_load_dwordx4 v[96:99], off, off offset:704
	scratch_load_dwordx4 v[92:95], off, off offset:720
	v_mul_f64 v[102:103], v[174:175], v[102:103]
	v_fma_f64 v[20:21], v[172:173], v[100:101], -v[102:103]
	scratch_load_dwordx4 v[100:103], off, off offset:736
	v_accvgpr_write_b32 a117, v19
	v_mul_f64 v[6:7], v[186:187], v[106:107]
	v_accvgpr_write_b32 a116, v18
	v_accvgpr_write_b32 a115, v17
	;; [unrolled: 1-line block ×3, first 2 shown]
	v_fma_f64 v[16:17], v[184:185], v[104:105], -v[6:7]
	scratch_load_dwordx4 v[104:107], off, off offset:752
	s_waitcnt vmcnt(17) lgkmcnt(1)
	v_mul_f64 v[140:141], v[132:133], v[34:35]
	v_fmac_f64_e32 v[140:141], v[134:135], v[32:33]
	v_add_f64 v[0:1], v[0:1], v[140:141]
	ds_read_b128 v[140:143], v2 offset:1296
	v_accvgpr_write_b32 a113, v15
	v_mul_f64 v[6:7], v[198:199], v[146:147]
	v_accvgpr_write_b32 a112, v14
	v_accvgpr_write_b32 a111, v13
	;; [unrolled: 1-line block ×3, first 2 shown]
	v_fma_f64 v[12:13], v[196:197], v[144:145], -v[6:7]
	ds_read_b128 v[144:147], v2 offset:1312
	s_waitcnt vmcnt(16) lgkmcnt(2)
	v_mul_f64 v[148:149], v[136:137], v[38:39]
	v_fmac_f64_e32 v[148:149], v[138:139], v[36:37]
	v_add_f64 v[0:1], v[0:1], v[148:149]
	s_waitcnt vmcnt(15) lgkmcnt(1)
	v_mul_f64 v[6:7], v[140:141], v[42:43]
	ds_read_b128 v[148:151], v2 offset:1328
	v_fmac_f64_e32 v[6:7], v[142:143], v[40:41]
	v_add_f64 v[0:1], v[0:1], v[6:7]
	s_waitcnt vmcnt(14) lgkmcnt(1)
	v_mul_f64 v[6:7], v[144:145], v[46:47]
	v_fmac_f64_e32 v[6:7], v[146:147], v[44:45]
	v_accvgpr_write_b32 a109, v11
	v_add_f64 v[0:1], v[0:1], v[6:7]
	v_mul_f64 v[6:7], v[206:207], v[154:155]
	v_accvgpr_write_b32 a108, v10
	v_accvgpr_write_b32 a107, v9
	;; [unrolled: 1-line block ×3, first 2 shown]
	v_fma_f64 v[10:11], v[204:205], v[152:153], -v[6:7]
	ds_read_b128 v[152:155], v2 offset:1344
	s_waitcnt vmcnt(13) lgkmcnt(1)
	v_mul_f64 v[6:7], v[148:149], v[50:51]
	v_fmac_f64_e32 v[6:7], v[150:151], v[48:49]
	v_add_f64 v[0:1], v[0:1], v[6:7]
	v_mul_f64 v[6:7], v[210:211], v[158:159]
	v_fma_f64 v[14:15], v[208:209], v[156:157], -v[6:7]
	ds_read_b128 v[156:159], v2 offset:1360
	ds_read_b128 v[160:163], v2 offset:1376
	s_waitcnt vmcnt(12) lgkmcnt(2)
	v_mul_f64 v[6:7], v[152:153], v[58:59]
	v_fmac_f64_e32 v[6:7], v[154:155], v[56:57]
	v_add_f64 v[0:1], v[0:1], v[6:7]
	s_waitcnt vmcnt(11) lgkmcnt(1)
	v_mul_f64 v[6:7], v[156:157], v[62:63]
	v_fmac_f64_e32 v[6:7], v[158:159], v[60:61]
	v_add_f64 v[0:1], v[0:1], v[6:7]
	v_mul_f64 v[6:7], v[214:215], v[166:167]
	v_fma_f64 v[8:9], v[212:213], v[164:165], -v[6:7]
	ds_read_b128 v[164:167], v2 offset:1392
	v_mul_f64 v[18:19], v[218:219], v[170:171]
	v_fma_f64 v[18:19], v[216:217], v[168:169], -v[18:19]
	ds_read_b128 v[168:171], v2 offset:1408
	s_waitcnt vmcnt(10) lgkmcnt(2)
	v_mul_f64 v[6:7], v[160:161], v[66:67]
	v_fmac_f64_e32 v[6:7], v[162:163], v[64:65]
	v_add_f64 v[0:1], v[0:1], v[6:7]
	s_waitcnt vmcnt(9) lgkmcnt(1)
	v_mul_f64 v[6:7], v[164:165], v[70:71]
	ds_read_b128 v[172:175], v2 offset:1424
	v_fmac_f64_e32 v[6:7], v[166:167], v[68:69]
	v_add_f64 v[0:1], v[0:1], v[6:7]
	s_waitcnt vmcnt(8) lgkmcnt(1)
	v_mul_f64 v[6:7], v[168:169], v[74:75]
	v_fmac_f64_e32 v[6:7], v[170:171], v[72:73]
	v_add_f64 v[0:1], v[0:1], v[6:7]
	v_mul_f64 v[6:7], v[222:223], v[178:179]
	v_fma_f64 v[4:5], v[220:221], v[176:177], -v[6:7]
	ds_read_b128 v[176:179], v2 offset:1440
	s_waitcnt vmcnt(7) lgkmcnt(1)
	v_mul_f64 v[6:7], v[172:173], v[78:79]
	v_fmac_f64_e32 v[6:7], v[174:175], v[76:77]
	v_add_f64 v[0:1], v[0:1], v[6:7]
	v_mul_f64 v[6:7], v[226:227], v[182:183]
	v_fma_f64 v[6:7], v[224:225], v[180:181], -v[6:7]
	ds_read_b128 v[180:183], v2 offset:1456
	ds_read_b128 v[184:187], v2 offset:1472
	s_waitcnt vmcnt(6) lgkmcnt(2)
	v_mul_f64 v[22:23], v[176:177], v[82:83]
	v_fmac_f64_e32 v[22:23], v[178:179], v[80:81]
	v_add_f64 v[0:1], v[0:1], v[22:23]
	s_waitcnt vmcnt(5) lgkmcnt(1)
	v_mul_f64 v[22:23], v[180:181], v[86:87]
	v_fmac_f64_e32 v[22:23], v[182:183], v[84:85]
	v_add_f64 v[22:23], v[0:1], v[22:23]
	v_mul_f64 v[0:1], v[230:231], v[190:191]
	v_fma_f64 v[0:1], v[228:229], v[188:189], -v[0:1]
	ds_read_b128 v[188:191], v2 offset:1488
	s_waitcnt vmcnt(4) lgkmcnt(1)
	v_mul_f64 v[196:197], v[184:185], v[90:91]
	v_fmac_f64_e32 v[196:197], v[186:187], v[88:89]
	v_mul_f64 v[194:195], v[244:245], v[194:195]
	v_fma_f64 v[238:239], v[242:243], v[192:193], -v[194:195]
	ds_read_b128 v[192:195], v2 offset:1504
	v_add_f64 v[22:23], v[22:23], v[196:197]
	s_waitcnt vmcnt(3) lgkmcnt(1)
	v_mul_f64 v[196:197], v[188:189], v[98:99]
	v_fmac_f64_e32 v[196:197], v[190:191], v[96:97]
	v_add_f64 v[22:23], v[22:23], v[196:197]
	ds_read_b128 v[196:199], v2 offset:1520
	v_mul_f64 v[202:203], v[248:249], v[202:203]
	v_fma_f64 v[242:243], v[246:247], v[200:201], -v[202:203]
	ds_read_b128 v[200:203], v2 offset:1536
	s_waitcnt vmcnt(2) lgkmcnt(2)
	v_mul_f64 v[204:205], v[192:193], v[94:95]
	v_fmac_f64_e32 v[204:205], v[194:195], v[92:93]
	v_add_f64 v[22:23], v[22:23], v[204:205]
	s_waitcnt vmcnt(1) lgkmcnt(1)
	v_mul_f64 v[204:205], v[196:197], v[102:103]
	v_fmac_f64_e32 v[204:205], v[198:199], v[100:101]
	v_add_f64 v[22:23], v[22:23], v[204:205]
	s_waitcnt vmcnt(0) lgkmcnt(0)
	v_mul_f64 v[204:205], v[200:201], v[106:107]
	v_fmac_f64_e32 v[204:205], v[202:203], v[104:105]
	v_add_f64 v[22:23], v[22:23], v[204:205]
	scratch_load_dwordx4 v[204:207], off, off offset:768
	ds_read_b128 v[208:211], v2 offset:1552
	ds_read_b128 v[216:219], v2 offset:1568
	;; [unrolled: 1-line block ×3, first 2 shown]
	s_waitcnt vmcnt(0) lgkmcnt(2)
	v_mul_f64 v[212:213], v[208:209], v[206:207]
	v_fmac_f64_e32 v[212:213], v[210:211], v[204:205]
	v_add_f64 v[22:23], v[22:23], v[212:213]
	scratch_load_dwordx4 v[212:215], off, off offset:784
	s_waitcnt vmcnt(0) lgkmcnt(1)
	v_mul_f64 v[220:221], v[216:217], v[214:215]
	v_fmac_f64_e32 v[220:221], v[218:219], v[212:213]
	v_add_f64 v[22:23], v[22:23], v[220:221]
	scratch_load_dwordx4 v[220:223], off, off offset:800
	s_waitcnt vmcnt(0) lgkmcnt(0)
	v_mul_f64 v[228:229], v[224:225], v[222:223]
	v_fmac_f64_e32 v[228:229], v[226:227], v[220:221]
	v_add_f64 v[246:247], v[22:23], v[228:229]
	scratch_load_dwordx4 v[228:231], off, off offset:80
	v_add_f64 v[22:23], v[240:241], 0
	v_add_f64 v[22:23], v[22:23], v[250:251]
	;; [unrolled: 1-line block ×14, first 2 shown]
	v_accvgpr_read_b32 v6, a102
	v_accvgpr_read_b32 v8, a104
	;; [unrolled: 1-line block ×3, first 2 shown]
	v_add_f64 v[0:1], v[4:5], v[0:1]
	v_accvgpr_read_b32 v7, a103
	v_mul_f64 v[4:5], v[54:55], v[8:9]
	v_add_f64 v[0:1], v[0:1], v[238:239]
	v_fma_f64 v[4:5], v[52:53], v[6:7], -v[4:5]
	v_accvgpr_read_b32 v6, a106
	v_add_f64 v[0:1], v[0:1], v[242:243]
	v_accvgpr_read_b32 v8, a108
	v_accvgpr_read_b32 v9, a109
	v_add_f64 v[0:1], v[0:1], v[4:5]
	v_accvgpr_read_b32 v7, a107
	v_mul_f64 v[4:5], v[110:111], v[8:9]
	v_fma_f64 v[4:5], v[108:109], v[6:7], -v[4:5]
	v_accvgpr_read_b32 v6, a110
	v_accvgpr_read_b32 v8, a112
	;; [unrolled: 1-line block ×3, first 2 shown]
	v_add_f64 v[0:1], v[0:1], v[4:5]
	v_accvgpr_read_b32 v7, a111
	v_mul_f64 v[4:5], v[114:115], v[8:9]
	v_fma_f64 v[4:5], v[112:113], v[6:7], -v[4:5]
	v_accvgpr_read_b32 v6, a114
	v_accvgpr_read_b32 v8, a116
	;; [unrolled: 1-line block ×3, first 2 shown]
	v_add_f64 v[0:1], v[0:1], v[4:5]
	v_accvgpr_read_b32 v7, a115
	v_mul_f64 v[4:5], v[118:119], v[8:9]
	v_fma_f64 v[4:5], v[116:117], v[6:7], -v[4:5]
	v_add_f64 v[0:1], v[0:1], v[4:5]
	v_mul_f64 v[4:5], v[122:123], v[236:237]
	v_fma_f64 v[4:5], v[120:121], v[234:235], -v[4:5]
	v_add_f64 v[0:1], v[0:1], v[4:5]
	;; [unrolled: 3-line block ×25, first 2 shown]
	s_waitcnt vmcnt(0)
	v_add_f64 v[4:5], v[228:229], -v[0:1]
	v_accvgpr_read_b32 v0, a100
	v_add_f64 v[6:7], v[230:231], -v[246:247]
	v_cmp_lt_u32_e32 vcc, 3, v0
	scratch_store_dwordx4 off, v[4:7], off offset:80
	s_and_saveexec_b64 s[0:1], vcc
	s_cbranch_execz .LBB113_307
; %bb.306:
	scratch_load_dwordx4 v[6:9], off, s63
	v_mov_b32_e32 v3, v2
	v_mov_b32_e32 v4, v2
	;; [unrolled: 1-line block ×3, first 2 shown]
	v_accvgpr_read_b32 v0, a101
	scratch_store_dwordx4 off, v[2:5], off offset:64
	s_waitcnt vmcnt(1)
	ds_write_b128 v0, v[6:9]
.LBB113_307:
	s_or_b64 exec, exec, s[0:1]
	s_waitcnt lgkmcnt(0)
	; wave barrier
	scratch_load_dwordx4 v[80:83], off, off offset:80
	scratch_load_dwordx4 v[84:87], off, off offset:96
	;; [unrolled: 1-line block ×17, first 2 shown]
	ds_read_b128 v[136:139], v2 offset:864
	ds_read_b128 v[132:135], v2 offset:880
	scratch_load_dwordx4 v[4:7], off, off offset:352
	ds_read_b128 v[236:239], v2 offset:896
	ds_read_b128 v[228:231], v2 offset:912
	;; [unrolled: 1-line block ×5, first 2 shown]
	scratch_load_dwordx4 v[8:11], off, off offset:368
	ds_read_b128 v[232:235], v2 offset:976
	ds_read_b128 v[216:219], v2 offset:992
	;; [unrolled: 1-line block ×3, first 2 shown]
	scratch_load_dwordx4 v[12:15], off, off offset:384
	ds_read_b128 v[220:223], v2 offset:1024
	ds_read_b128 v[172:175], v2 offset:1040
	;; [unrolled: 1-line block ×5, first 2 shown]
	scratch_load_dwordx4 v[16:19], off, off offset:400
	ds_read_b128 v[208:211], v2 offset:1104
	ds_read_b128 v[204:207], v2 offset:1120
	;; [unrolled: 1-line block ×3, first 2 shown]
	scratch_load_dwordx4 v[24:27], off, off offset:416
	scratch_load_dwordx4 v[28:31], off, off offset:432
	;; [unrolled: 1-line block ×8, first 2 shown]
	ds_read_b128 v[116:119], v2 offset:1184
	ds_read_b128 v[120:123], v2 offset:1200
	;; [unrolled: 1-line block ×4, first 2 shown]
	s_waitcnt vmcnt(28) lgkmcnt(14)
	v_mul_f64 v[0:1], v[136:137], v[82:83]
	s_waitcnt vmcnt(27)
	v_mul_f64 v[56:57], v[132:133], v[86:87]
	v_fmac_f64_e32 v[0:1], v[138:139], v[80:81]
	s_waitcnt vmcnt(26)
	v_mul_f64 v[58:59], v[236:237], v[90:91]
	v_fmac_f64_e32 v[56:57], v[134:135], v[84:85]
	v_add_f64 v[0:1], v[0:1], 0
	s_waitcnt vmcnt(25)
	v_mul_f64 v[60:61], v[228:229], v[94:95]
	v_fmac_f64_e32 v[58:59], v[238:239], v[88:89]
	v_add_f64 v[0:1], v[0:1], v[56:57]
	;; [unrolled: 4-line block ×6, first 2 shown]
	s_waitcnt vmcnt(20) lgkmcnt(13)
	v_mul_f64 v[70:71], v[216:217], v[154:155]
	v_fmac_f64_e32 v[68:69], v[234:235], v[144:145]
	v_add_f64 v[0:1], v[0:1], v[66:67]
	s_waitcnt vmcnt(19) lgkmcnt(12)
	v_mul_f64 v[72:73], v[160:161], v[158:159]
	v_fmac_f64_e32 v[70:71], v[218:219], v[152:153]
	v_add_f64 v[0:1], v[0:1], v[68:69]
	;; [unrolled: 4-line block ×7, first 2 shown]
	v_fmac_f64_e32 v[110:111], v[198:199], v[188:189]
	v_add_f64 v[0:1], v[0:1], v[108:109]
	s_waitcnt vmcnt(13) lgkmcnt(6)
	v_mul_f64 v[112:113], v[208:209], v[194:195]
	v_add_f64 v[0:1], v[0:1], v[110:111]
	scratch_load_dwordx4 v[56:59], off, off offset:544
	scratch_load_dwordx4 v[60:63], off, off offset:560
	ds_read_b128 v[108:111], v2 offset:1152
	s_waitcnt vmcnt(14) lgkmcnt(6)
	v_mul_f64 v[114:115], v[204:205], v[202:203]
	v_fmac_f64_e32 v[112:113], v[210:211], v[192:193]
	v_add_f64 v[0:1], v[0:1], v[112:113]
	v_fmac_f64_e32 v[114:115], v[206:207], v[200:201]
	s_waitcnt vmcnt(13) lgkmcnt(5)
	v_mul_f64 v[64:65], v[20:21], v[6:7]
	v_accvgpr_write_b32 a105, v7
	v_add_f64 v[0:1], v[0:1], v[114:115]
	v_fmac_f64_e32 v[64:65], v[22:23], v[4:5]
	v_accvgpr_write_b32 a104, v6
	v_accvgpr_write_b32 a103, v5
	;; [unrolled: 1-line block ×3, first 2 shown]
	ds_read_b128 v[112:115], v2 offset:1168
	s_waitcnt vmcnt(12)
	v_mov_b64_e32 v[4:5], v[8:9]
	v_mov_b64_e32 v[6:7], v[10:11]
	s_waitcnt lgkmcnt(1)
	v_mul_f64 v[68:69], v[108:109], v[6:7]
	v_fmac_f64_e32 v[68:69], v[110:111], v[4:5]
	s_waitcnt vmcnt(11)
	v_mov_b64_e32 v[4:5], v[12:13]
	v_add_f64 v[0:1], v[0:1], v[64:65]
	v_mov_b64_e32 v[6:7], v[14:15]
	v_add_f64 v[0:1], v[0:1], v[68:69]
	s_waitcnt lgkmcnt(0)
	v_mul_f64 v[68:69], v[112:113], v[6:7]
	scratch_load_dwordx4 v[64:67], off, off offset:576
	v_fmac_f64_e32 v[68:69], v[114:115], v[4:5]
	v_add_f64 v[0:1], v[0:1], v[68:69]
	scratch_load_dwordx4 v[68:71], off, off offset:592
	scratch_load_dwordx4 v[72:75], off, off offset:608
	s_waitcnt vmcnt(13)
	v_mul_f64 v[76:77], v[116:117], v[18:19]
	v_fmac_f64_e32 v[76:77], v[118:119], v[16:17]
	v_add_f64 v[0:1], v[0:1], v[76:77]
	s_waitcnt vmcnt(12)
	v_mul_f64 v[76:77], v[120:121], v[26:27]
	v_fmac_f64_e32 v[76:77], v[122:123], v[24:25]
	v_add_f64 v[0:1], v[0:1], v[76:77]
	scratch_load_dwordx4 v[76:79], off, off offset:624
	v_mul_f64 v[82:83], v[138:139], v[82:83]
	v_fma_f64 v[240:241], v[136:137], v[80:81], -v[82:83]
	scratch_load_dwordx4 v[80:83], off, off offset:640
	v_mul_f64 v[86:87], v[134:135], v[86:87]
	v_fma_f64 v[246:247], v[132:133], v[84:85], -v[86:87]
	scratch_load_dwordx4 v[84:87], off, off offset:656
	s_waitcnt vmcnt(14)
	v_mul_f64 v[136:137], v[124:125], v[30:31]
	v_mul_f64 v[90:91], v[238:239], v[90:91]
	v_fmac_f64_e32 v[136:137], v[126:127], v[28:29]
	v_fma_f64 v[236:237], v[236:237], v[88:89], -v[90:91]
	scratch_load_dwordx4 v[88:91], off, off offset:672
	v_add_f64 v[0:1], v[0:1], v[136:137]
	s_waitcnt vmcnt(14)
	v_mul_f64 v[136:137], v[128:129], v[34:35]
	v_mul_f64 v[94:95], v[230:231], v[94:95]
	v_fmac_f64_e32 v[136:137], v[130:131], v[32:33]
	v_fma_f64 v[238:239], v[228:229], v[92:93], -v[94:95]
	v_mul_f64 v[92:93], v[226:227], v[98:99]
	ds_read_b128 v[132:135], v2 offset:1248
	v_add_f64 v[0:1], v[0:1], v[136:137]
	ds_read_b128 v[136:139], v2 offset:1264
	v_fma_f64 v[248:249], v[224:225], v[96:97], -v[92:93]
	scratch_load_dwordx4 v[96:99], off, off offset:688
	scratch_load_dwordx4 v[92:95], off, off offset:704
	v_mul_f64 v[102:103], v[150:151], v[102:103]
	v_fma_f64 v[250:251], v[148:149], v[100:101], -v[102:103]
	scratch_load_dwordx4 v[100:103], off, off offset:720
	v_mul_f64 v[106:107], v[142:143], v[106:107]
	v_fma_f64 v[252:253], v[140:141], v[104:105], -v[106:107]
	v_mul_f64 v[104:105], v[234:235], v[146:147]
	v_fma_f64 v[254:255], v[232:233], v[144:145], -v[104:105]
	scratch_load_dwordx4 v[104:107], off, off offset:736
	ds_read_b128 v[140:143], v2 offset:1280
	ds_read_b128 v[144:147], v2 offset:1296
	s_waitcnt vmcnt(17) lgkmcnt(3)
	v_mul_f64 v[228:229], v[132:133], v[38:39]
	v_fmac_f64_e32 v[228:229], v[134:135], v[36:37]
	s_waitcnt vmcnt(16) lgkmcnt(2)
	v_mul_f64 v[224:225], v[136:137], v[42:43]
	v_add_f64 v[0:1], v[0:1], v[228:229]
	v_fmac_f64_e32 v[224:225], v[138:139], v[40:41]
	s_waitcnt vmcnt(15) lgkmcnt(1)
	v_mul_f64 v[148:149], v[140:141], v[46:47]
	v_add_f64 v[0:1], v[0:1], v[224:225]
	v_fmac_f64_e32 v[148:149], v[142:143], v[44:45]
	v_add_f64 v[0:1], v[0:1], v[148:149]
	ds_read_b128 v[148:151], v2 offset:1312
	v_mul_f64 v[154:155], v[218:219], v[154:155]
	v_fma_f64 v[242:243], v[216:217], v[152:153], -v[154:155]
	ds_read_b128 v[152:155], v2 offset:1328
	v_accvgpr_write_b32 a113, v15
	v_mul_f64 v[158:159], v[162:163], v[158:159]
	v_accvgpr_write_b32 a112, v14
	v_accvgpr_write_b32 a111, v13
	;; [unrolled: 1-line block ×3, first 2 shown]
	v_fma_f64 v[12:13], v[160:161], v[156:157], -v[158:159]
	ds_read_b128 v[156:159], v2 offset:1344
	ds_read_b128 v[160:163], v2 offset:1360
	s_waitcnt vmcnt(14) lgkmcnt(4)
	v_mul_f64 v[224:225], v[144:145], v[50:51]
	v_fmac_f64_e32 v[224:225], v[146:147], v[48:49]
	s_waitcnt vmcnt(13) lgkmcnt(3)
	v_mul_f64 v[216:217], v[148:149], v[54:55]
	v_add_f64 v[0:1], v[0:1], v[224:225]
	v_fmac_f64_e32 v[216:217], v[150:151], v[52:53]
	s_waitcnt vmcnt(12) lgkmcnt(2)
	v_mul_f64 v[6:7], v[152:153], v[58:59]
	v_add_f64 v[0:1], v[0:1], v[216:217]
	v_fmac_f64_e32 v[6:7], v[154:155], v[56:57]
	v_add_f64 v[0:1], v[0:1], v[6:7]
	s_waitcnt vmcnt(11) lgkmcnt(1)
	v_mul_f64 v[6:7], v[156:157], v[62:63]
	v_fmac_f64_e32 v[6:7], v[158:159], v[60:61]
	v_accvgpr_write_b32 a109, v11
	v_add_f64 v[0:1], v[0:1], v[6:7]
	v_mul_f64 v[6:7], v[222:223], v[166:167]
	v_accvgpr_write_b32 a108, v10
	v_accvgpr_write_b32 a107, v9
	;; [unrolled: 1-line block ×3, first 2 shown]
	v_fma_f64 v[8:9], v[220:221], v[164:165], -v[6:7]
	ds_read_b128 v[164:167], v2 offset:1376
	v_mul_f64 v[170:171], v[174:175], v[170:171]
	v_fma_f64 v[6:7], v[172:173], v[168:169], -v[170:171]
	ds_read_b128 v[168:171], v2 offset:1392
	s_waitcnt vmcnt(10) lgkmcnt(2)
	v_mul_f64 v[216:217], v[160:161], v[66:67]
	v_fmac_f64_e32 v[216:217], v[162:163], v[64:65]
	s_waitcnt vmcnt(9) lgkmcnt(1)
	v_mul_f64 v[10:11], v[164:165], v[70:71]
	v_add_f64 v[0:1], v[0:1], v[216:217]
	v_fmac_f64_e32 v[10:11], v[166:167], v[68:69]
	v_add_f64 v[0:1], v[0:1], v[10:11]
	s_waitcnt vmcnt(8) lgkmcnt(0)
	v_mul_f64 v[10:11], v[168:169], v[74:75]
	v_fmac_f64_e32 v[10:11], v[170:171], v[72:73]
	ds_read_b128 v[172:175], v2 offset:1408
	v_add_f64 v[0:1], v[0:1], v[10:11]
	v_mul_f64 v[10:11], v[214:215], v[178:179]
	v_fma_f64 v[10:11], v[212:213], v[176:177], -v[10:11]
	ds_read_b128 v[176:179], v2 offset:1424
	v_mul_f64 v[182:183], v[186:187], v[182:183]
	v_fma_f64 v[4:5], v[184:185], v[180:181], -v[182:183]
	ds_read_b128 v[180:183], v2 offset:1440
	ds_read_b128 v[184:187], v2 offset:1456
	s_waitcnt vmcnt(7) lgkmcnt(3)
	v_mul_f64 v[212:213], v[172:173], v[78:79]
	v_fmac_f64_e32 v[212:213], v[174:175], v[76:77]
	s_waitcnt vmcnt(6) lgkmcnt(2)
	v_mul_f64 v[14:15], v[176:177], v[82:83]
	v_add_f64 v[0:1], v[0:1], v[212:213]
	v_fmac_f64_e32 v[14:15], v[178:179], v[80:81]
	v_add_f64 v[0:1], v[0:1], v[14:15]
	s_waitcnt vmcnt(5) lgkmcnt(1)
	v_mul_f64 v[14:15], v[180:181], v[86:87]
	v_fmac_f64_e32 v[14:15], v[182:183], v[84:85]
	v_add_f64 v[14:15], v[0:1], v[14:15]
	v_mul_f64 v[0:1], v[198:199], v[190:191]
	v_fma_f64 v[0:1], v[196:197], v[188:189], -v[0:1]
	ds_read_b128 v[188:191], v2 offset:1472
	v_mul_f64 v[194:195], v[210:211], v[194:195]
	s_waitcnt vmcnt(4) lgkmcnt(1)
	v_mul_f64 v[196:197], v[184:185], v[90:91]
	v_fma_f64 v[192:193], v[208:209], v[192:193], -v[194:195]
	v_fmac_f64_e32 v[196:197], v[186:187], v[88:89]
	v_accvgpr_write_b32 a114, v192
	v_accvgpr_write_b32 a115, v193
	ds_read_b128 v[192:195], v2 offset:1488
	v_add_f64 v[14:15], v[14:15], v[196:197]
	s_waitcnt vmcnt(3) lgkmcnt(1)
	v_mul_f64 v[196:197], v[188:189], v[98:99]
	v_fmac_f64_e32 v[196:197], v[190:191], v[96:97]
	v_add_f64 v[14:15], v[14:15], v[196:197]
	ds_read_b128 v[196:199], v2 offset:1504
	v_mul_f64 v[202:203], v[206:207], v[202:203]
	v_fma_f64 v[244:245], v[204:205], v[200:201], -v[202:203]
	ds_read_b128 v[200:203], v2 offset:1520
	s_waitcnt vmcnt(2) lgkmcnt(2)
	v_mul_f64 v[204:205], v[192:193], v[94:95]
	v_fmac_f64_e32 v[204:205], v[194:195], v[92:93]
	v_add_f64 v[14:15], v[14:15], v[204:205]
	s_waitcnt vmcnt(1) lgkmcnt(1)
	v_mul_f64 v[204:205], v[196:197], v[102:103]
	v_fmac_f64_e32 v[204:205], v[198:199], v[100:101]
	v_add_f64 v[14:15], v[14:15], v[204:205]
	;; [unrolled: 4-line block ×3, first 2 shown]
	scratch_load_dwordx4 v[204:207], off, off offset:752
	scratch_load_dwordx4 v[232:235], off, off offset:800
	ds_read_b128 v[208:211], v2 offset:1536
	ds_read_b128 v[216:219], v2 offset:1552
	;; [unrolled: 1-line block ×3, first 2 shown]
	s_waitcnt vmcnt(1) lgkmcnt(2)
	v_mul_f64 v[212:213], v[208:209], v[206:207]
	v_fmac_f64_e32 v[212:213], v[210:211], v[204:205]
	v_add_f64 v[14:15], v[14:15], v[212:213]
	scratch_load_dwordx4 v[212:215], off, off offset:768
	s_waitcnt vmcnt(0) lgkmcnt(1)
	v_mul_f64 v[220:221], v[216:217], v[214:215]
	v_fmac_f64_e32 v[220:221], v[218:219], v[212:213]
	v_add_f64 v[14:15], v[14:15], v[220:221]
	scratch_load_dwordx4 v[220:223], off, off offset:784
	s_waitcnt vmcnt(0) lgkmcnt(0)
	v_mul_f64 v[228:229], v[224:225], v[222:223]
	v_fmac_f64_e32 v[228:229], v[226:227], v[220:221]
	v_add_f64 v[14:15], v[14:15], v[228:229]
	ds_read_b128 v[228:231], v2 offset:1584
	s_waitcnt lgkmcnt(0)
	v_mul_f64 v[2:3], v[228:229], v[234:235]
	v_fmac_f64_e32 v[2:3], v[230:231], v[232:233]
	v_add_f64 v[2:3], v[14:15], v[2:3]
	v_add_f64 v[14:15], v[240:241], 0
	;; [unrolled: 1-line block ×5, first 2 shown]
	scratch_load_dwordx4 v[236:239], off, off offset:64
	v_add_f64 v[14:15], v[14:15], v[248:249]
	v_add_f64 v[14:15], v[14:15], v[250:251]
	;; [unrolled: 1-line block ×10, first 2 shown]
	v_accvgpr_read_b32 v6, a102
	v_add_f64 v[246:247], v[4:5], v[0:1]
	v_accvgpr_read_b32 v0, a114
	v_accvgpr_read_b32 v8, a104
	;; [unrolled: 1-line block ×5, first 2 shown]
	v_mul_f64 v[4:5], v[22:23], v[8:9]
	v_add_f64 v[0:1], v[246:247], v[0:1]
	v_fma_f64 v[4:5], v[20:21], v[6:7], -v[4:5]
	v_accvgpr_read_b32 v6, a106
	v_add_f64 v[0:1], v[0:1], v[244:245]
	v_accvgpr_read_b32 v8, a108
	v_accvgpr_read_b32 v9, a109
	v_add_f64 v[0:1], v[0:1], v[4:5]
	v_accvgpr_read_b32 v7, a107
	v_mul_f64 v[4:5], v[110:111], v[8:9]
	v_fma_f64 v[4:5], v[108:109], v[6:7], -v[4:5]
	v_accvgpr_read_b32 v6, a110
	v_accvgpr_read_b32 v8, a112
	;; [unrolled: 1-line block ×3, first 2 shown]
	v_add_f64 v[0:1], v[0:1], v[4:5]
	v_accvgpr_read_b32 v7, a111
	v_mul_f64 v[4:5], v[114:115], v[8:9]
	v_fma_f64 v[4:5], v[112:113], v[6:7], -v[4:5]
	v_add_f64 v[0:1], v[0:1], v[4:5]
	v_mul_f64 v[4:5], v[118:119], v[18:19]
	v_fma_f64 v[4:5], v[116:117], v[16:17], -v[4:5]
	v_add_f64 v[0:1], v[0:1], v[4:5]
	;; [unrolled: 3-line block ×27, first 2 shown]
	s_waitcnt vmcnt(0)
	v_add_f64 v[4:5], v[236:237], -v[0:1]
	v_accvgpr_read_b32 v0, a100
	v_add_f64 v[6:7], v[238:239], -v[2:3]
	v_cmp_lt_u32_e32 vcc, 2, v0
	scratch_store_dwordx4 off, v[4:7], off offset:64
	s_and_saveexec_b64 s[0:1], vcc
	s_cbranch_execz .LBB113_309
; %bb.308:
	scratch_load_dwordx4 v[2:5], off, s64
	v_mov_b32_e32 v6, 0
	v_mov_b32_e32 v7, v6
	;; [unrolled: 1-line block ×4, first 2 shown]
	v_accvgpr_read_b32 v0, a101
	scratch_store_dwordx4 off, v[6:9], off offset:48
	s_waitcnt vmcnt(1)
	ds_write_b128 v0, v[2:5]
.LBB113_309:
	s_or_b64 exec, exec, s[0:1]
	s_waitcnt lgkmcnt(0)
	; wave barrier
	scratch_load_dwordx4 v[68:71], off, off offset:64
	scratch_load_dwordx4 v[72:75], off, off offset:80
	;; [unrolled: 1-line block ×28, first 2 shown]
	v_mov_b32_e32 v2, 0
	ds_read_b128 v[124:127], v2 offset:848
	ds_read_b128 v[128:131], v2 offset:864
	;; [unrolled: 1-line block ×23, first 2 shown]
	s_waitcnt vmcnt(27) lgkmcnt(14)
	v_mul_f64 v[0:1], v[124:125], v[70:71]
	s_waitcnt vmcnt(26)
	v_mul_f64 v[40:41], v[128:129], v[74:75]
	v_fmac_f64_e32 v[0:1], v[126:127], v[68:69]
	s_waitcnt vmcnt(25)
	v_mul_f64 v[42:43], v[132:133], v[78:79]
	v_fmac_f64_e32 v[40:41], v[130:131], v[72:73]
	v_add_f64 v[0:1], v[0:1], 0
	s_waitcnt vmcnt(24)
	v_mul_f64 v[44:45], v[136:137], v[82:83]
	v_fmac_f64_e32 v[42:43], v[134:135], v[76:77]
	v_add_f64 v[0:1], v[0:1], v[40:41]
	;; [unrolled: 4-line block ×7, first 2 shown]
	s_waitcnt vmcnt(18) lgkmcnt(13)
	v_mul_f64 v[56:57], v[200:201], v[146:147]
	v_fmac_f64_e32 v[54:55], v[194:195], v[112:113]
	v_add_f64 v[0:1], v[0:1], v[52:53]
	s_waitcnt vmcnt(17) lgkmcnt(12)
	v_mul_f64 v[58:59], v[204:205], v[150:151]
	v_fmac_f64_e32 v[56:57], v[202:203], v[144:145]
	v_add_f64 v[0:1], v[0:1], v[54:55]
	;; [unrolled: 4-line block ×7, first 2 shown]
	scratch_load_dwordx4 v[40:43], off, off offset:512
	scratch_load_dwordx4 v[44:47], off, off offset:528
	s_waitcnt vmcnt(13) lgkmcnt(6)
	v_mul_f64 v[102:103], v[228:229], v[186:187]
	v_fmac_f64_e32 v[100:101], v[226:227], v[176:177]
	v_add_f64 v[0:1], v[0:1], v[66:67]
	v_add_f64 v[0:1], v[0:1], v[100:101]
	v_fmac_f64_e32 v[102:103], v[230:231], v[184:185]
	v_add_f64 v[0:1], v[0:1], v[102:103]
	ds_read_b128 v[100:103], v2 offset:1152
	s_waitcnt vmcnt(12) lgkmcnt(6)
	v_mul_f64 v[48:49], v[242:243], v[190:191]
	v_fmac_f64_e32 v[48:49], v[244:245], v[188:189]
	v_add_f64 v[0:1], v[0:1], v[48:49]
	s_waitcnt vmcnt(11) lgkmcnt(5)
	v_mul_f64 v[48:49], v[246:247], v[198:199]
	v_fmac_f64_e32 v[48:49], v[248:249], v[196:197]
	v_add_f64 v[0:1], v[0:1], v[48:49]
	scratch_load_dwordx4 v[48:51], off, off offset:544
	scratch_load_dwordx4 v[52:55], off, off offset:560
	s_waitcnt vmcnt(12) lgkmcnt(0)
	v_mul_f64 v[56:57], v[100:101], v[6:7]
	v_accvgpr_write_b32 a105, v7
	v_fmac_f64_e32 v[56:57], v[102:103], v[4:5]
	v_accvgpr_write_b32 a104, v6
	v_accvgpr_write_b32 a103, v5
	;; [unrolled: 1-line block ×3, first 2 shown]
	s_waitcnt vmcnt(11)
	v_mov_b64_e32 v[4:5], v[8:9]
	v_mov_b64_e32 v[6:7], v[10:11]
	v_add_f64 v[0:1], v[0:1], v[56:57]
	v_mul_f64 v[56:57], v[104:105], v[6:7]
	v_fmac_f64_e32 v[56:57], v[106:107], v[4:5]
	v_add_f64 v[0:1], v[0:1], v[56:57]
	scratch_load_dwordx4 v[56:59], off, off offset:576
	s_waitcnt vmcnt(11)
	v_mov_b64_e32 v[4:5], v[12:13]
	v_mov_b64_e32 v[6:7], v[14:15]
	v_mul_f64 v[60:61], v[108:109], v[6:7]
	v_fmac_f64_e32 v[60:61], v[110:111], v[4:5]
	s_waitcnt vmcnt(10)
	v_mov_b64_e32 v[4:5], v[16:17]
	v_mov_b64_e32 v[6:7], v[18:19]
	v_add_f64 v[0:1], v[0:1], v[60:61]
	scratch_load_dwordx4 v[60:63], off, off offset:592
	v_mul_f64 v[64:65], v[116:117], v[6:7]
	v_fmac_f64_e32 v[64:65], v[118:119], v[4:5]
	v_add_f64 v[0:1], v[0:1], v[64:65]
	scratch_load_dwordx4 v[64:67], off, off offset:608
	v_mul_f64 v[70:71], v[126:127], v[70:71]
	s_waitcnt vmcnt(11)
	v_mov_b64_e32 v[4:5], v[20:21]
	v_fma_f64 v[240:241], v[124:125], v[68:69], -v[70:71]
	v_mov_b64_e32 v[6:7], v[22:23]
	scratch_load_dwordx4 v[68:71], off, off offset:624
	v_mul_f64 v[124:125], v[120:121], v[6:7]
	v_mul_f64 v[74:75], v[130:131], v[74:75]
	v_fmac_f64_e32 v[124:125], v[122:123], v[4:5]
	v_fma_f64 v[250:251], v[128:129], v[72:73], -v[74:75]
	scratch_load_dwordx4 v[72:75], off, off offset:640
	v_mul_f64 v[78:79], v[134:135], v[78:79]
	v_add_f64 v[0:1], v[0:1], v[124:125]
	ds_read_b128 v[124:127], v2 offset:1232
	ds_read_b128 v[128:131], v2 offset:1248
	v_fma_f64 v[252:253], v[132:133], v[76:77], -v[78:79]
	v_mul_f64 v[76:77], v[138:139], v[82:83]
	v_fma_f64 v[254:255], v[136:137], v[80:81], -v[76:77]
	scratch_load_dwordx4 v[76:79], off, off offset:656
	s_waitcnt vmcnt(13) lgkmcnt(1)
	v_mul_f64 v[132:133], v[124:125], v[236:237]
	v_fmac_f64_e32 v[132:133], v[126:127], v[234:235]
	v_add_f64 v[0:1], v[0:1], v[132:133]
	s_waitcnt vmcnt(12) lgkmcnt(0)
	v_mul_f64 v[132:133], v[128:129], v[30:31]
	scratch_load_dwordx4 v[80:83], off, off offset:672
	v_fmac_f64_e32 v[132:133], v[130:131], v[28:29]
	v_mul_f64 v[86:87], v[142:143], v[86:87]
	v_add_f64 v[0:1], v[0:1], v[132:133]
	v_fma_f64 v[232:233], v[140:141], v[84:85], -v[86:87]
	ds_read_b128 v[132:135], v2 offset:1264
	v_mul_f64 v[84:85], v[158:159], v[90:91]
	v_fma_f64 v[24:25], v[156:157], v[88:89], -v[84:85]
	scratch_load_dwordx4 v[88:91], off, off offset:688
	scratch_load_dwordx4 v[84:87], off, off offset:704
	v_accvgpr_write_b32 a121, v23
	v_mul_f64 v[6:7], v[170:171], v[94:95]
	v_accvgpr_write_b32 a120, v22
	v_accvgpr_write_b32 a119, v21
	;; [unrolled: 1-line block ×3, first 2 shown]
	v_fma_f64 v[20:21], v[168:169], v[92:93], -v[6:7]
	s_waitcnt vmcnt(14) lgkmcnt(0)
	v_mul_f64 v[6:7], v[132:133], v[34:35]
	v_fmac_f64_e32 v[6:7], v[134:135], v[32:33]
	v_accvgpr_write_b32 a117, v19
	v_add_f64 v[0:1], v[0:1], v[6:7]
	v_mul_f64 v[6:7], v[182:183], v[98:99]
	v_accvgpr_write_b32 a116, v18
	v_accvgpr_write_b32 a115, v17
	;; [unrolled: 1-line block ×3, first 2 shown]
	ds_read_b128 v[136:139], v2 offset:1280
	v_fma_f64 v[16:17], v[180:181], v[96:97], -v[6:7]
	scratch_load_dwordx4 v[96:99], off, off offset:720
	scratch_load_dwordx4 v[92:95], off, off offset:736
	v_accvgpr_write_b32 a113, v15
	v_mul_f64 v[6:7], v[194:195], v[114:115]
	v_accvgpr_write_b32 a112, v14
	v_accvgpr_write_b32 a111, v13
	;; [unrolled: 1-line block ×3, first 2 shown]
	v_fma_f64 v[12:13], v[192:193], v[112:113], -v[6:7]
	scratch_load_dwordx4 v[112:115], off, off offset:752
	ds_read_b128 v[140:143], v2 offset:1296
	s_waitcnt vmcnt(16) lgkmcnt(1)
	v_mul_f64 v[6:7], v[136:137], v[38:39]
	v_fmac_f64_e32 v[6:7], v[138:139], v[36:37]
	v_add_f64 v[0:1], v[0:1], v[6:7]
	v_mul_f64 v[6:7], v[202:203], v[146:147]
	v_fma_f64 v[14:15], v[200:201], v[144:145], -v[6:7]
	ds_read_b128 v[144:147], v2 offset:1312
	s_waitcnt vmcnt(15) lgkmcnt(1)
	v_mul_f64 v[6:7], v[140:141], v[42:43]
	v_fmac_f64_e32 v[6:7], v[142:143], v[40:41]
	v_accvgpr_write_b32 a109, v11
	v_add_f64 v[0:1], v[0:1], v[6:7]
	v_mul_f64 v[6:7], v[206:207], v[150:151]
	v_accvgpr_write_b32 a108, v10
	v_accvgpr_write_b32 a107, v9
	;; [unrolled: 1-line block ×3, first 2 shown]
	v_fma_f64 v[10:11], v[204:205], v[148:149], -v[6:7]
	ds_read_b128 v[148:151], v2 offset:1328
	v_mul_f64 v[18:19], v[210:211], v[154:155]
	v_fma_f64 v[18:19], v[208:209], v[152:153], -v[18:19]
	ds_read_b128 v[152:155], v2 offset:1344
	s_waitcnt vmcnt(14) lgkmcnt(2)
	v_mul_f64 v[6:7], v[144:145], v[46:47]
	v_fmac_f64_e32 v[6:7], v[146:147], v[44:45]
	v_add_f64 v[0:1], v[0:1], v[6:7]
	s_waitcnt vmcnt(13) lgkmcnt(1)
	v_mul_f64 v[6:7], v[148:149], v[50:51]
	ds_read_b128 v[156:159], v2 offset:1360
	v_fmac_f64_e32 v[6:7], v[150:151], v[48:49]
	v_add_f64 v[0:1], v[0:1], v[6:7]
	s_waitcnt vmcnt(12) lgkmcnt(1)
	v_mul_f64 v[6:7], v[152:153], v[54:55]
	v_fmac_f64_e32 v[6:7], v[154:155], v[52:53]
	v_add_f64 v[0:1], v[0:1], v[6:7]
	v_mul_f64 v[6:7], v[214:215], v[162:163]
	v_fma_f64 v[8:9], v[212:213], v[160:161], -v[6:7]
	ds_read_b128 v[160:163], v2 offset:1376
	s_waitcnt vmcnt(11) lgkmcnt(1)
	v_mul_f64 v[6:7], v[156:157], v[58:59]
	v_fmac_f64_e32 v[6:7], v[158:159], v[56:57]
	v_add_f64 v[0:1], v[0:1], v[6:7]
	v_mul_f64 v[6:7], v[218:219], v[166:167]
	v_fma_f64 v[22:23], v[216:217], v[164:165], -v[6:7]
	ds_read_b128 v[164:167], v2 offset:1392
	ds_read_b128 v[168:171], v2 offset:1408
	s_waitcnt vmcnt(10) lgkmcnt(2)
	v_mul_f64 v[6:7], v[160:161], v[62:63]
	v_fmac_f64_e32 v[6:7], v[162:163], v[60:61]
	v_add_f64 v[0:1], v[0:1], v[6:7]
	s_waitcnt vmcnt(9) lgkmcnt(1)
	v_mul_f64 v[6:7], v[164:165], v[66:67]
	v_fmac_f64_e32 v[6:7], v[166:167], v[64:65]
	v_add_f64 v[0:1], v[0:1], v[6:7]
	v_mul_f64 v[6:7], v[222:223], v[174:175]
	v_fma_f64 v[4:5], v[220:221], v[172:173], -v[6:7]
	ds_read_b128 v[172:175], v2 offset:1424
	v_mul_f64 v[6:7], v[226:227], v[178:179]
	v_fma_f64 v[6:7], v[224:225], v[176:177], -v[6:7]
	ds_read_b128 v[176:179], v2 offset:1440
	s_waitcnt vmcnt(8) lgkmcnt(2)
	v_mul_f64 v[26:27], v[168:169], v[70:71]
	v_fmac_f64_e32 v[26:27], v[170:171], v[68:69]
	v_add_f64 v[0:1], v[0:1], v[26:27]
	s_waitcnt vmcnt(7) lgkmcnt(1)
	v_mul_f64 v[26:27], v[172:173], v[74:75]
	v_fmac_f64_e32 v[26:27], v[174:175], v[72:73]
	v_add_f64 v[0:1], v[0:1], v[26:27]
	s_waitcnt vmcnt(6) lgkmcnt(0)
	v_mul_f64 v[26:27], v[176:177], v[78:79]
	v_fmac_f64_e32 v[26:27], v[178:179], v[76:77]
	ds_read_b128 v[180:183], v2 offset:1456
	v_add_f64 v[26:27], v[0:1], v[26:27]
	v_mul_f64 v[0:1], v[230:231], v[186:187]
	v_fma_f64 v[0:1], v[228:229], v[184:185], -v[0:1]
	ds_read_b128 v[184:187], v2 offset:1472
	s_waitcnt vmcnt(5) lgkmcnt(1)
	v_mul_f64 v[192:193], v[180:181], v[82:83]
	v_fmac_f64_e32 v[192:193], v[182:183], v[80:81]
	v_mul_f64 v[190:191], v[244:245], v[190:191]
	v_add_f64 v[26:27], v[26:27], v[192:193]
	v_fma_f64 v[238:239], v[242:243], v[188:189], -v[190:191]
	ds_read_b128 v[188:191], v2 offset:1488
	s_waitcnt vmcnt(4) lgkmcnt(1)
	v_mul_f64 v[192:193], v[184:185], v[90:91]
	v_fmac_f64_e32 v[192:193], v[186:187], v[88:89]
	v_add_f64 v[26:27], v[26:27], v[192:193]
	ds_read_b128 v[192:195], v2 offset:1504
	v_mul_f64 v[198:199], v[248:249], v[198:199]
	v_fma_f64 v[242:243], v[246:247], v[196:197], -v[198:199]
	ds_read_b128 v[196:199], v2 offset:1520
	ds_read_b128 v[208:211], v2 offset:1552
	s_waitcnt vmcnt(3) lgkmcnt(3)
	v_mul_f64 v[200:201], v[188:189], v[86:87]
	v_fmac_f64_e32 v[200:201], v[190:191], v[84:85]
	v_add_f64 v[26:27], v[26:27], v[200:201]
	s_waitcnt vmcnt(2) lgkmcnt(2)
	v_mul_f64 v[200:201], v[192:193], v[98:99]
	v_fmac_f64_e32 v[200:201], v[194:195], v[96:97]
	v_add_f64 v[26:27], v[26:27], v[200:201]
	;; [unrolled: 4-line block ×3, first 2 shown]
	ds_read_b128 v[200:203], v2 offset:1536
	ds_read_b128 v[216:219], v2 offset:1568
	;; [unrolled: 1-line block ×3, first 2 shown]
	s_waitcnt vmcnt(0) lgkmcnt(2)
	v_mul_f64 v[204:205], v[200:201], v[114:115]
	v_fmac_f64_e32 v[204:205], v[202:203], v[112:113]
	v_add_f64 v[26:27], v[26:27], v[204:205]
	scratch_load_dwordx4 v[204:207], off, off offset:768
	s_waitcnt vmcnt(0)
	v_mul_f64 v[212:213], v[208:209], v[206:207]
	v_fmac_f64_e32 v[212:213], v[210:211], v[204:205]
	v_add_f64 v[26:27], v[26:27], v[212:213]
	scratch_load_dwordx4 v[212:215], off, off offset:784
	s_waitcnt vmcnt(0) lgkmcnt(1)
	v_mul_f64 v[220:221], v[216:217], v[214:215]
	v_fmac_f64_e32 v[220:221], v[218:219], v[212:213]
	v_add_f64 v[26:27], v[26:27], v[220:221]
	scratch_load_dwordx4 v[220:223], off, off offset:800
	s_waitcnt vmcnt(0) lgkmcnt(0)
	v_mul_f64 v[228:229], v[224:225], v[222:223]
	v_fmac_f64_e32 v[228:229], v[226:227], v[220:221]
	v_add_f64 v[246:247], v[26:27], v[228:229]
	scratch_load_dwordx4 v[228:231], off, off offset:48
	v_add_f64 v[26:27], v[240:241], 0
	v_add_f64 v[26:27], v[26:27], v[250:251]
	;; [unrolled: 1-line block ×16, first 2 shown]
	v_accvgpr_read_b32 v6, a102
	v_accvgpr_read_b32 v8, a104
	;; [unrolled: 1-line block ×3, first 2 shown]
	v_add_f64 v[0:1], v[4:5], v[0:1]
	v_accvgpr_read_b32 v7, a103
	v_mul_f64 v[4:5], v[102:103], v[8:9]
	v_add_f64 v[0:1], v[0:1], v[238:239]
	v_fma_f64 v[4:5], v[100:101], v[6:7], -v[4:5]
	v_accvgpr_read_b32 v6, a106
	v_add_f64 v[0:1], v[0:1], v[242:243]
	v_accvgpr_read_b32 v8, a108
	v_accvgpr_read_b32 v9, a109
	v_add_f64 v[0:1], v[0:1], v[4:5]
	v_accvgpr_read_b32 v7, a107
	v_mul_f64 v[4:5], v[106:107], v[8:9]
	v_fma_f64 v[4:5], v[104:105], v[6:7], -v[4:5]
	v_accvgpr_read_b32 v6, a110
	v_accvgpr_read_b32 v8, a112
	v_accvgpr_read_b32 v9, a113
	v_add_f64 v[0:1], v[0:1], v[4:5]
	v_accvgpr_read_b32 v7, a111
	v_mul_f64 v[4:5], v[110:111], v[8:9]
	v_fma_f64 v[4:5], v[108:109], v[6:7], -v[4:5]
	v_accvgpr_read_b32 v6, a114
	;; [unrolled: 7-line block ×3, first 2 shown]
	v_accvgpr_read_b32 v8, a120
	v_accvgpr_read_b32 v9, a121
	v_add_f64 v[0:1], v[0:1], v[4:5]
	v_accvgpr_read_b32 v7, a119
	v_mul_f64 v[4:5], v[122:123], v[8:9]
	v_fma_f64 v[4:5], v[120:121], v[6:7], -v[4:5]
	v_add_f64 v[0:1], v[0:1], v[4:5]
	v_mul_f64 v[4:5], v[126:127], v[236:237]
	v_fma_f64 v[4:5], v[124:125], v[234:235], -v[4:5]
	v_add_f64 v[0:1], v[0:1], v[4:5]
	;; [unrolled: 3-line block ×24, first 2 shown]
	s_waitcnt vmcnt(0)
	v_add_f64 v[4:5], v[228:229], -v[0:1]
	v_accvgpr_read_b32 v0, a100
	v_add_f64 v[6:7], v[230:231], -v[246:247]
	v_cmp_lt_u32_e32 vcc, 1, v0
	scratch_store_dwordx4 off, v[4:7], off offset:48
	s_and_saveexec_b64 s[0:1], vcc
	s_cbranch_execz .LBB113_311
; %bb.310:
	scratch_load_dwordx4 v[6:9], off, s65
	v_mov_b32_e32 v3, v2
	v_mov_b32_e32 v4, v2
	;; [unrolled: 1-line block ×3, first 2 shown]
	v_accvgpr_read_b32 v0, a101
	scratch_store_dwordx4 off, v[2:5], off offset:32
	s_waitcnt vmcnt(1)
	ds_write_b128 v0, v[6:9]
.LBB113_311:
	s_or_b64 exec, exec, s[0:1]
	s_waitcnt lgkmcnt(0)
	; wave barrier
	scratch_load_dwordx4 v[40:43], off, off offset:48
	scratch_load_dwordx4 v[44:47], off, off offset:64
	scratch_load_dwordx4 v[48:51], off, off offset:80
	scratch_load_dwordx4 v[52:55], off, off offset:96
	scratch_load_dwordx4 v[56:59], off, off offset:112
	scratch_load_dwordx4 v[60:63], off, off offset:128
	scratch_load_dwordx4 v[64:67], off, off offset:144
	scratch_load_dwordx4 v[68:71], off, off offset:160
	scratch_load_dwordx4 v[76:79], off, off offset:176
	scratch_load_dwordx4 v[80:83], off, off offset:192
	scratch_load_dwordx4 v[84:87], off, off offset:208
	scratch_load_dwordx4 v[88:91], off, off offset:224
	scratch_load_dwordx4 v[92:95], off, off offset:240
	scratch_load_dwordx4 v[96:99], off, off offset:256
	scratch_load_dwordx4 v[100:103], off, off offset:272
	scratch_load_dwordx4 v[104:107], off, off offset:288
	scratch_load_dwordx4 v[112:115], off, off offset:304
	scratch_load_dwordx4 v[136:139], off, off offset:320
	ds_read_b128 v[164:167], v2 offset:832
	ds_read_b128 v[232:235], v2 offset:848
	;; [unrolled: 1-line block ×6, first 2 shown]
	scratch_load_dwordx4 v[140:143], off, off offset:336
	ds_read_b128 v[224:227], v2 offset:928
	ds_read_b128 v[212:215], v2 offset:944
	;; [unrolled: 1-line block ×3, first 2 shown]
	scratch_load_dwordx4 v[4:7], off, off offset:352
	ds_read_b128 v[228:231], v2 offset:976
	ds_read_b128 v[216:219], v2 offset:992
	;; [unrolled: 1-line block ×5, first 2 shown]
	scratch_load_dwordx4 v[8:11], off, off offset:368
	ds_read_b128 v[208:211], v2 offset:1056
	ds_read_b128 v[196:199], v2 offset:1072
	;; [unrolled: 1-line block ×3, first 2 shown]
	scratch_load_dwordx4 v[12:15], off, off offset:384
	ds_read_b128 v[200:203], v2 offset:1104
	scratch_load_dwordx4 v[16:19], off, off offset:400
	scratch_load_dwordx4 v[20:23], off, off offset:416
	;; [unrolled: 1-line block ×7, first 2 shown]
	ds_read_b128 v[236:239], v2 offset:1120
	ds_read_b128 v[156:159], v2 offset:1184
	;; [unrolled: 1-line block ×4, first 2 shown]
	s_waitcnt vmcnt(28) lgkmcnt(14)
	v_mul_f64 v[0:1], v[164:165], v[42:43]
	s_waitcnt vmcnt(27)
	v_mul_f64 v[108:109], v[232:233], v[46:47]
	v_fmac_f64_e32 v[0:1], v[166:167], v[40:41]
	s_waitcnt vmcnt(26)
	v_mul_f64 v[110:111], v[168:169], v[50:51]
	v_fmac_f64_e32 v[108:109], v[234:235], v[44:45]
	v_add_f64 v[0:1], v[0:1], 0
	s_waitcnt vmcnt(25)
	v_mul_f64 v[116:117], v[220:221], v[54:55]
	v_fmac_f64_e32 v[110:111], v[170:171], v[48:49]
	v_add_f64 v[0:1], v[0:1], v[108:109]
	;; [unrolled: 4-line block ×6, first 2 shown]
	s_waitcnt vmcnt(20) lgkmcnt(13)
	v_mul_f64 v[126:127], v[180:181], v[78:79]
	v_fmac_f64_e32 v[124:125], v[214:215], v[68:69]
	v_add_f64 v[0:1], v[0:1], v[122:123]
	s_waitcnt vmcnt(19) lgkmcnt(12)
	v_mul_f64 v[128:129], v[228:229], v[82:83]
	v_fmac_f64_e32 v[126:127], v[182:183], v[76:77]
	v_add_f64 v[0:1], v[0:1], v[124:125]
	;; [unrolled: 4-line block ×9, first 2 shown]
	v_add_f64 v[0:1], v[0:1], v[148:149]
	v_fmac_f64_e32 v[150:151], v[186:187], v[112:113]
	s_waitcnt vmcnt(11) lgkmcnt(4)
	v_mul_f64 v[116:117], v[200:201], v[138:139]
	v_add_f64 v[0:1], v[0:1], v[150:151]
	v_fmac_f64_e32 v[116:117], v[202:203], v[136:137]
	v_add_f64 v[0:1], v[0:1], v[116:117]
	ds_read_b128 v[144:147], v2 offset:1136
	s_waitcnt vmcnt(10) lgkmcnt(4)
	v_mul_f64 v[116:117], v[236:237], v[142:143]
	scratch_load_dwordx4 v[108:111], off, off offset:512
	v_fmac_f64_e32 v[116:117], v[238:239], v[140:141]
	v_add_f64 v[0:1], v[0:1], v[116:117]
	scratch_load_dwordx4 v[116:119], off, off offset:528
	ds_read_b128 v[148:151], v2 offset:1152
	scratch_load_dwordx4 v[120:123], off, off offset:544
	s_waitcnt vmcnt(12) lgkmcnt(1)
	v_mul_f64 v[124:125], v[144:145], v[6:7]
	v_fmac_f64_e32 v[124:125], v[146:147], v[4:5]
	v_add_f64 v[0:1], v[0:1], v[124:125]
	s_waitcnt vmcnt(11) lgkmcnt(0)
	v_mul_f64 v[124:125], v[148:149], v[10:11]
	v_fmac_f64_e32 v[124:125], v[150:151], v[8:9]
	s_waitcnt vmcnt(10)
	v_mul_f64 v[128:129], v[152:153], v[14:15]
	v_add_f64 v[0:1], v[0:1], v[124:125]
	scratch_load_dwordx4 v[124:127], off, off offset:560
	v_fmac_f64_e32 v[128:129], v[154:155], v[12:13]
	v_add_f64 v[0:1], v[0:1], v[128:129]
	scratch_load_dwordx4 v[128:131], off, off offset:576
	s_waitcnt vmcnt(11)
	v_mul_f64 v[132:133], v[156:157], v[18:19]
	v_fmac_f64_e32 v[132:133], v[158:159], v[16:17]
	v_add_f64 v[0:1], v[0:1], v[132:133]
	scratch_load_dwordx4 v[132:135], off, off offset:592
	v_mul_f64 v[42:43], v[166:167], v[42:43]
	v_fma_f64 v[240:241], v[164:165], v[40:41], -v[42:43]
	scratch_load_dwordx4 v[40:43], off, off offset:608
	v_mul_f64 v[46:47], v[234:235], v[46:47]
	v_fma_f64 v[246:247], v[232:233], v[44:45], -v[46:47]
	scratch_load_dwordx4 v[44:47], off, off offset:624
	v_mul_f64 v[50:51], v[170:171], v[50:51]
	v_fma_f64 v[248:249], v[168:169], v[48:49], -v[50:51]
	v_mul_f64 v[48:49], v[222:223], v[54:55]
	v_fma_f64 v[250:251], v[220:221], v[52:53], -v[48:49]
	scratch_load_dwordx4 v[48:51], off, off offset:640
	scratch_load_dwordx4 v[52:55], off, off offset:656
	s_waitcnt vmcnt(15)
	v_mul_f64 v[164:165], v[160:161], v[22:23]
	v_fmac_f64_e32 v[164:165], v[162:163], v[20:21]
	v_add_f64 v[0:1], v[0:1], v[164:165]
	ds_read_b128 v[164:167], v2 offset:1216
	ds_read_b128 v[168:171], v2 offset:1232
	v_mul_f64 v[58:59], v[174:175], v[58:59]
	v_fma_f64 v[252:253], v[172:173], v[56:57], -v[58:59]
	ds_read_b128 v[172:175], v2 offset:1248
	v_mul_f64 v[56:57], v[178:179], v[62:63]
	v_fma_f64 v[254:255], v[176:177], v[60:61], -v[56:57]
	scratch_load_dwordx4 v[60:63], off, off offset:672
	scratch_load_dwordx4 v[56:59], off, off offset:688
	s_waitcnt vmcnt(16) lgkmcnt(2)
	v_mul_f64 v[232:233], v[164:165], v[34:35]
	v_fmac_f64_e32 v[232:233], v[166:167], v[32:33]
	s_waitcnt vmcnt(15) lgkmcnt(1)
	v_mul_f64 v[220:221], v[168:169], v[38:39]
	v_mul_f64 v[66:67], v[226:227], v[66:67]
	v_add_f64 v[0:1], v[0:1], v[232:233]
	v_fmac_f64_e32 v[220:221], v[170:171], v[36:37]
	v_fma_f64 v[242:243], v[224:225], v[64:65], -v[66:67]
	s_waitcnt vmcnt(14) lgkmcnt(0)
	v_mul_f64 v[64:65], v[172:173], v[30:31]
	v_add_f64 v[0:1], v[0:1], v[220:221]
	v_fmac_f64_e32 v[64:65], v[174:175], v[28:29]
	v_accvgpr_write_b32 a129, v23
	v_add_f64 v[0:1], v[0:1], v[64:65]
	v_mul_f64 v[64:65], v[214:215], v[70:71]
	v_accvgpr_write_b32 a128, v22
	v_accvgpr_write_b32 a127, v21
	;; [unrolled: 1-line block ×3, first 2 shown]
	ds_read_b128 v[176:179], v2 offset:1264
	v_fma_f64 v[20:21], v[212:213], v[68:69], -v[64:65]
	scratch_load_dwordx4 v[68:71], off, off offset:704
	scratch_load_dwordx4 v[64:67], off, off offset:720
	v_accvgpr_write_b32 a113, v7
	v_accvgpr_write_b32 a112, v6
	;; [unrolled: 1-line block ×5, first 2 shown]
	v_mul_f64 v[6:7], v[182:183], v[78:79]
	v_accvgpr_write_b32 a124, v18
	v_accvgpr_write_b32 a123, v17
	;; [unrolled: 1-line block ×3, first 2 shown]
	v_fma_f64 v[16:17], v[180:181], v[76:77], -v[6:7]
	s_waitcnt vmcnt(15) lgkmcnt(0)
	v_mul_f64 v[76:77], v[176:177], v[26:27]
	v_fmac_f64_e32 v[76:77], v[178:179], v[24:25]
	v_accvgpr_write_b32 a121, v15
	v_add_f64 v[0:1], v[0:1], v[76:77]
	v_mul_f64 v[76:77], v[230:231], v[82:83]
	v_accvgpr_write_b32 a120, v14
	v_accvgpr_write_b32 a119, v13
	;; [unrolled: 1-line block ×3, first 2 shown]
	v_fma_f64 v[12:13], v[228:229], v[80:81], -v[76:77]
	scratch_load_dwordx4 v[76:79], off, off offset:736
	scratch_load_dwordx4 v[232:235], off, off offset:800
	ds_read_b128 v[180:183], v2 offset:1280
	ds_read_b128 v[80:83], v2 offset:1296
	v_accvgpr_write_b32 a117, v11
	v_accvgpr_write_b32 a116, v10
	;; [unrolled: 1-line block ×4, first 2 shown]
	s_waitcnt vmcnt(16) lgkmcnt(1)
	v_mul_f64 v[10:11], v[180:181], v[74:75]
	v_fmac_f64_e32 v[10:11], v[182:183], v[72:73]
	v_add_f64 v[0:1], v[0:1], v[10:11]
	v_mul_f64 v[10:11], v[218:219], v[86:87]
	v_fma_f64 v[10:11], v[216:217], v[84:85], -v[10:11]
	ds_read_b128 v[84:87], v2 offset:1312
	v_mul_f64 v[90:91], v[190:191], v[90:91]
	v_fma_f64 v[8:9], v[188:189], v[88:89], -v[90:91]
	ds_read_b128 v[88:91], v2 offset:1328
	s_waitcnt vmcnt(15) lgkmcnt(2)
	v_mul_f64 v[212:213], v[80:81], v[110:111]
	v_fmac_f64_e32 v[212:213], v[82:83], v[108:109]
	s_waitcnt vmcnt(14) lgkmcnt(1)
	v_mul_f64 v[14:15], v[84:85], v[118:119]
	v_add_f64 v[0:1], v[0:1], v[212:213]
	v_fmac_f64_e32 v[14:15], v[86:87], v[116:117]
	v_add_f64 v[0:1], v[0:1], v[14:15]
	s_waitcnt vmcnt(13) lgkmcnt(0)
	v_mul_f64 v[14:15], v[88:89], v[122:123]
	v_fmac_f64_e32 v[14:15], v[90:91], v[120:121]
	ds_read_b128 v[188:191], v2 offset:1344
	v_add_f64 v[0:1], v[0:1], v[14:15]
	v_mul_f64 v[14:15], v[206:207], v[94:95]
	v_fma_f64 v[14:15], v[204:205], v[92:93], -v[14:15]
	ds_read_b128 v[92:95], v2 offset:1360
	v_mul_f64 v[98:99], v[194:195], v[98:99]
	v_fma_f64 v[6:7], v[192:193], v[96:97], -v[98:99]
	ds_read_b128 v[96:99], v2 offset:1376
	ds_read_b128 v[192:195], v2 offset:1392
	s_waitcnt vmcnt(12) lgkmcnt(3)
	v_mul_f64 v[204:205], v[188:189], v[126:127]
	v_fmac_f64_e32 v[204:205], v[190:191], v[124:125]
	s_waitcnt vmcnt(11) lgkmcnt(2)
	v_mul_f64 v[18:19], v[92:93], v[130:131]
	v_add_f64 v[0:1], v[0:1], v[204:205]
	v_fmac_f64_e32 v[18:19], v[94:95], v[128:129]
	v_add_f64 v[0:1], v[0:1], v[18:19]
	s_waitcnt vmcnt(10) lgkmcnt(1)
	v_mul_f64 v[18:19], v[96:97], v[134:135]
	v_fmac_f64_e32 v[18:19], v[98:99], v[132:133]
	v_add_f64 v[0:1], v[0:1], v[18:19]
	v_mul_f64 v[18:19], v[210:211], v[102:103]
	v_fma_f64 v[18:19], v[208:209], v[100:101], -v[18:19]
	ds_read_b128 v[100:103], v2 offset:1408
	v_mul_f64 v[106:107], v[198:199], v[106:107]
	v_fma_f64 v[4:5], v[196:197], v[104:105], -v[106:107]
	ds_read_b128 v[104:107], v2 offset:1424
	s_waitcnt vmcnt(9) lgkmcnt(2)
	v_mul_f64 v[204:205], v[192:193], v[42:43]
	v_fmac_f64_e32 v[204:205], v[194:195], v[40:41]
	s_waitcnt vmcnt(8) lgkmcnt(1)
	v_mul_f64 v[22:23], v[100:101], v[46:47]
	v_add_f64 v[0:1], v[0:1], v[204:205]
	v_fmac_f64_e32 v[22:23], v[102:103], v[44:45]
	v_add_f64 v[0:1], v[0:1], v[22:23]
	s_waitcnt vmcnt(7) lgkmcnt(0)
	v_mul_f64 v[22:23], v[104:105], v[50:51]
	ds_read_b128 v[196:199], v2 offset:1440
	v_fmac_f64_e32 v[22:23], v[106:107], v[48:49]
	v_add_f64 v[0:1], v[0:1], v[22:23]
	v_mul_f64 v[22:23], v[186:187], v[114:115]
	v_fma_f64 v[22:23], v[184:185], v[112:113], -v[22:23]
	ds_read_b128 v[112:115], v2 offset:1456
	s_waitcnt vmcnt(6) lgkmcnt(1)
	v_mul_f64 v[184:185], v[196:197], v[54:55]
	v_fmac_f64_e32 v[184:185], v[198:199], v[52:53]
	v_add_f64 v[184:185], v[0:1], v[184:185]
	v_mul_f64 v[0:1], v[202:203], v[138:139]
	v_fma_f64 v[0:1], v[200:201], v[136:137], -v[0:1]
	ds_read_b128 v[136:139], v2 offset:1472
	s_waitcnt vmcnt(5) lgkmcnt(1)
	v_mul_f64 v[186:187], v[112:113], v[62:63]
	v_fmac_f64_e32 v[186:187], v[114:115], v[60:61]
	v_add_f64 v[200:201], v[184:185], v[186:187]
	ds_read_b128 v[184:187], v2 offset:1488
	v_mul_f64 v[142:143], v[238:239], v[142:143]
	v_fma_f64 v[244:245], v[236:237], v[140:141], -v[142:143]
	ds_read_b128 v[140:143], v2 offset:1504
	ds_read_b128 v[208:211], v2 offset:1536
	s_waitcnt vmcnt(4) lgkmcnt(3)
	v_mul_f64 v[202:203], v[136:137], v[58:59]
	v_fmac_f64_e32 v[202:203], v[138:139], v[56:57]
	v_add_f64 v[200:201], v[200:201], v[202:203]
	s_waitcnt vmcnt(3) lgkmcnt(2)
	v_mul_f64 v[202:203], v[184:185], v[70:71]
	v_fmac_f64_e32 v[202:203], v[186:187], v[68:69]
	v_add_f64 v[200:201], v[200:201], v[202:203]
	;; [unrolled: 4-line block ×3, first 2 shown]
	ds_read_b128 v[200:203], v2 offset:1520
	ds_read_b128 v[216:219], v2 offset:1552
	;; [unrolled: 1-line block ×3, first 2 shown]
	s_waitcnt vmcnt(1) lgkmcnt(2)
	v_mul_f64 v[206:207], v[200:201], v[78:79]
	v_fmac_f64_e32 v[206:207], v[202:203], v[76:77]
	v_add_f64 v[212:213], v[204:205], v[206:207]
	scratch_load_dwordx4 v[204:207], off, off offset:752
	s_waitcnt vmcnt(0)
	v_mul_f64 v[214:215], v[208:209], v[206:207]
	v_fmac_f64_e32 v[214:215], v[210:211], v[204:205]
	v_add_f64 v[220:221], v[212:213], v[214:215]
	scratch_load_dwordx4 v[212:215], off, off offset:768
	s_waitcnt vmcnt(0) lgkmcnt(1)
	v_mul_f64 v[222:223], v[216:217], v[214:215]
	v_fmac_f64_e32 v[222:223], v[218:219], v[212:213]
	v_add_f64 v[228:229], v[220:221], v[222:223]
	scratch_load_dwordx4 v[220:223], off, off offset:784
	s_waitcnt vmcnt(0) lgkmcnt(0)
	v_mul_f64 v[230:231], v[224:225], v[222:223]
	v_fmac_f64_e32 v[230:231], v[226:227], v[220:221]
	v_add_f64 v[236:237], v[228:229], v[230:231]
	ds_read_b128 v[228:231], v2 offset:1584
	s_waitcnt lgkmcnt(0)
	v_mul_f64 v[2:3], v[228:229], v[234:235]
	v_fmac_f64_e32 v[2:3], v[230:231], v[232:233]
	v_add_f64 v[2:3], v[236:237], v[2:3]
	v_add_f64 v[236:237], v[240:241], 0
	;; [unrolled: 1-line block ×9, first 2 shown]
	scratch_load_dwordx4 v[236:239], off, off offset:32
	v_add_f64 v[16:17], v[20:21], v[16:17]
	v_add_f64 v[12:13], v[16:17], v[12:13]
	;; [unrolled: 1-line block ×8, first 2 shown]
	v_accvgpr_read_b32 v6, a110
	v_accvgpr_read_b32 v8, a112
	;; [unrolled: 1-line block ×3, first 2 shown]
	v_add_f64 v[246:247], v[4:5], v[22:23]
	v_accvgpr_read_b32 v7, a111
	v_mul_f64 v[4:5], v[146:147], v[8:9]
	v_add_f64 v[0:1], v[246:247], v[0:1]
	v_fma_f64 v[4:5], v[144:145], v[6:7], -v[4:5]
	v_accvgpr_read_b32 v6, a114
	v_add_f64 v[0:1], v[0:1], v[244:245]
	v_accvgpr_read_b32 v8, a116
	v_accvgpr_read_b32 v9, a117
	v_add_f64 v[0:1], v[0:1], v[4:5]
	v_accvgpr_read_b32 v7, a115
	v_mul_f64 v[4:5], v[150:151], v[8:9]
	v_fma_f64 v[4:5], v[148:149], v[6:7], -v[4:5]
	v_accvgpr_read_b32 v6, a118
	v_accvgpr_read_b32 v8, a120
	v_accvgpr_read_b32 v9, a121
	v_add_f64 v[0:1], v[0:1], v[4:5]
	v_accvgpr_read_b32 v7, a119
	v_mul_f64 v[4:5], v[154:155], v[8:9]
	v_fma_f64 v[4:5], v[152:153], v[6:7], -v[4:5]
	v_accvgpr_read_b32 v6, a122
	v_accvgpr_read_b32 v8, a124
	v_accvgpr_read_b32 v9, a125
	v_add_f64 v[0:1], v[0:1], v[4:5]
	v_accvgpr_read_b32 v7, a123
	v_mul_f64 v[4:5], v[158:159], v[8:9]
	v_fma_f64 v[4:5], v[156:157], v[6:7], -v[4:5]
	v_accvgpr_read_b32 v6, a126
	v_accvgpr_read_b32 v8, a128
	v_accvgpr_read_b32 v9, a129
	v_add_f64 v[0:1], v[0:1], v[4:5]
	v_accvgpr_read_b32 v7, a127
	v_mul_f64 v[4:5], v[162:163], v[8:9]
	v_fma_f64 v[4:5], v[160:161], v[6:7], -v[4:5]
	v_add_f64 v[0:1], v[0:1], v[4:5]
	v_mul_f64 v[4:5], v[166:167], v[34:35]
	v_fma_f64 v[4:5], v[164:165], v[32:33], -v[4:5]
	v_add_f64 v[0:1], v[0:1], v[4:5]
	;; [unrolled: 3-line block ×25, first 2 shown]
	s_waitcnt vmcnt(0)
	v_add_f64 v[4:5], v[236:237], -v[0:1]
	v_accvgpr_read_b32 v0, a100
	v_add_f64 v[6:7], v[238:239], -v[2:3]
	v_cmp_ne_u32_e32 vcc, 0, v0
	scratch_store_dwordx4 off, v[4:7], off offset:32
	s_and_saveexec_b64 s[0:1], vcc
	s_cbranch_execz .LBB113_313
; %bb.312:
	scratch_load_dwordx4 v[2:5], off, off offset:16
	v_mov_b32_e32 v6, 0
	v_mov_b32_e32 v7, v6
	;; [unrolled: 1-line block ×4, first 2 shown]
	v_accvgpr_read_b32 v0, a101
	scratch_store_dwordx4 off, v[6:9], off offset:16
	s_waitcnt vmcnt(1)
	ds_write_b128 v0, v[2:5]
.LBB113_313:
	s_or_b64 exec, exec, s[0:1]
	s_waitcnt lgkmcnt(0)
	; wave barrier
	scratch_load_dwordx4 v[60:63], off, off offset:32
	scratch_load_dwordx4 v[64:67], off, off offset:48
	;; [unrolled: 1-line block ×28, first 2 shown]
	v_mov_b32_e32 v20, 0
	ds_read_b128 v[120:123], v20 offset:816
	ds_read_b128 v[124:127], v20 offset:832
	ds_read_b128 v[128:131], v20 offset:848
	ds_read_b128 v[132:135], v20 offset:864
	ds_read_b128 v[136:139], v20 offset:880
	ds_read_b128 v[148:151], v20 offset:896
	ds_read_b128 v[160:163], v20 offset:912
	ds_read_b128 v[172:175], v20 offset:928
	ds_read_b128 v[184:187], v20 offset:944
	ds_read_b128 v[196:199], v20 offset:960
	ds_read_b128 v[200:203], v20 offset:976
	ds_read_b128 v[204:207], v20 offset:992
	ds_read_b128 v[208:211], v20 offset:1008
	ds_read_b128 v[212:215], v20 offset:1024
	ds_read_b128 v[216:219], v20 offset:1040
	ds_read_b128 v[220:223], v20 offset:1056
	ds_read_b128 v[224:227], v20 offset:1072
	ds_read_b128 v[228:231], v20 offset:1088
	ds_read_b128 v[232:235], v20 offset:1104
	ds_read_b128 v[242:245], v20 offset:1120
	ds_read_b128 v[108:111], v20 offset:1168
	ds_read_b128 v[112:115], v20 offset:1184
	ds_read_b128 v[116:119], v20 offset:1200
	s_and_b64 vcc, exec, s[10:11]
	s_waitcnt vmcnt(27) lgkmcnt(14)
	v_mul_f64 v[32:33], v[120:121], v[62:63]
	s_waitcnt vmcnt(26)
	v_mul_f64 v[34:35], v[124:125], v[66:67]
	v_fmac_f64_e32 v[32:33], v[122:123], v[60:61]
	s_waitcnt vmcnt(25)
	v_mul_f64 v[36:37], v[128:129], v[70:71]
	v_fmac_f64_e32 v[34:35], v[126:127], v[64:65]
	v_add_f64 v[32:33], v[32:33], 0
	s_waitcnt vmcnt(24)
	v_mul_f64 v[38:39], v[132:133], v[74:75]
	v_fmac_f64_e32 v[36:37], v[130:131], v[68:69]
	v_add_f64 v[32:33], v[32:33], v[34:35]
	;; [unrolled: 4-line block ×7, first 2 shown]
	s_waitcnt vmcnt(18) lgkmcnt(13)
	v_mul_f64 v[50:51], v[196:197], v[106:107]
	v_fmac_f64_e32 v[48:49], v[186:187], v[100:101]
	v_add_f64 v[32:33], v[32:33], v[46:47]
	s_waitcnt vmcnt(17) lgkmcnt(12)
	v_mul_f64 v[52:53], v[200:201], v[142:143]
	v_fmac_f64_e32 v[50:51], v[198:199], v[104:105]
	v_add_f64 v[32:33], v[32:33], v[48:49]
	s_waitcnt vmcnt(16) lgkmcnt(11)
	v_mul_f64 v[54:55], v[204:205], v[146:147]
	v_fmac_f64_e32 v[52:53], v[202:203], v[140:141]
	v_add_f64 v[32:33], v[32:33], v[50:51]
	s_waitcnt vmcnt(15) lgkmcnt(10)
	v_mul_f64 v[56:57], v[208:209], v[154:155]
	v_fmac_f64_e32 v[54:55], v[206:207], v[144:145]
	v_add_f64 v[32:33], v[32:33], v[52:53]
	s_waitcnt vmcnt(14) lgkmcnt(9)
	v_mul_f64 v[58:59], v[212:213], v[158:159]
	v_fmac_f64_e32 v[56:57], v[210:211], v[152:153]
	v_add_f64 v[32:33], v[32:33], v[54:55]
	s_waitcnt vmcnt(13) lgkmcnt(8)
	v_mul_f64 v[92:93], v[216:217], v[166:167]
	v_fmac_f64_e32 v[58:59], v[214:215], v[156:157]
	v_add_f64 v[32:33], v[32:33], v[56:57]
	s_waitcnt vmcnt(12) lgkmcnt(7)
	v_mul_f64 v[94:95], v[220:221], v[170:171]
	v_fmac_f64_e32 v[92:93], v[218:219], v[164:165]
	v_add_f64 v[32:33], v[32:33], v[58:59]
	v_fmac_f64_e32 v[94:95], v[222:223], v[168:169]
	v_add_f64 v[32:33], v[32:33], v[92:93]
	s_waitcnt vmcnt(11) lgkmcnt(6)
	v_mul_f64 v[96:97], v[224:225], v[178:179]
	v_add_f64 v[36:37], v[32:33], v[94:95]
	ds_read_b128 v[92:95], v20 offset:1136
	scratch_load_dwordx4 v[32:35], off, off offset:480
	v_fmac_f64_e32 v[96:97], v[226:227], v[176:177]
	s_waitcnt vmcnt(11) lgkmcnt(6)
	v_mul_f64 v[38:39], v[228:229], v[182:183]
	v_add_f64 v[36:37], v[36:37], v[96:97]
	v_fmac_f64_e32 v[38:39], v[230:231], v[180:181]
	s_waitcnt vmcnt(10) lgkmcnt(5)
	v_mul_f64 v[42:43], v[232:233], v[190:191]
	v_add_f64 v[40:41], v[36:37], v[38:39]
	v_fmac_f64_e32 v[42:43], v[234:235], v[188:189]
	scratch_load_dwordx4 v[36:39], off, off offset:496
	ds_read_b128 v[96:99], v20 offset:1152
	v_add_f64 v[44:45], v[40:41], v[42:43]
	scratch_load_dwordx4 v[40:43], off, off offset:512
	s_waitcnt vmcnt(11) lgkmcnt(5)
	v_mul_f64 v[46:47], v[242:243], v[194:195]
	s_waitcnt vmcnt(10) lgkmcnt(1)
	v_mul_f64 v[50:51], v[92:93], v[2:3]
	v_accvgpr_write_b32 a103, v3
	v_fmac_f64_e32 v[46:47], v[244:245], v[192:193]
	v_fmac_f64_e32 v[50:51], v[94:95], v[0:1]
	v_accvgpr_write_b32 a102, v2
	v_accvgpr_write_b32 a101, v1
	;; [unrolled: 1-line block ×3, first 2 shown]
	s_waitcnt vmcnt(9)
	v_mov_b64_e32 v[0:1], v[4:5]
	v_add_f64 v[48:49], v[44:45], v[46:47]
	v_mov_b64_e32 v[2:3], v[6:7]
	scratch_load_dwordx4 v[44:47], off, off offset:528
	v_add_f64 v[48:49], v[48:49], v[50:51]
	s_waitcnt lgkmcnt(0)
	v_mul_f64 v[50:51], v[96:97], v[2:3]
	v_fmac_f64_e32 v[50:51], v[98:99], v[0:1]
	v_add_f64 v[56:57], v[48:49], v[50:51]
	scratch_load_dwordx4 v[48:51], off, off offset:544
	scratch_load_dwordx4 v[52:55], off, off offset:560
	s_waitcnt vmcnt(11)
	v_mov_b64_e32 v[0:1], v[8:9]
	v_mov_b64_e32 v[2:3], v[10:11]
	v_mul_f64 v[58:59], v[108:109], v[2:3]
	v_fmac_f64_e32 v[58:59], v[110:111], v[0:1]
	s_waitcnt vmcnt(10)
	v_mov_b64_e32 v[0:1], v[12:13]
	v_mov_b64_e32 v[2:3], v[14:15]
	v_add_f64 v[56:57], v[56:57], v[58:59]
	v_mul_f64 v[58:59], v[112:113], v[2:3]
	v_fmac_f64_e32 v[58:59], v[114:115], v[0:1]
	v_mul_f64 v[62:63], v[122:123], v[62:63]
	v_add_f64 v[236:237], v[56:57], v[58:59]
	scratch_load_dwordx4 v[56:59], off, off offset:576
	v_fma_f64 v[240:241], v[120:121], v[60:61], -v[62:63]
	v_mul_f64 v[60:61], v[126:127], v[66:67]
	s_waitcnt vmcnt(10)
	v_mov_b64_e32 v[0:1], v[16:17]
	v_fma_f64 v[248:249], v[124:125], v[64:65], -v[60:61]
	scratch_load_dwordx4 v[60:63], off, off offset:592
	v_mov_b64_e32 v[2:3], v[18:19]
	ds_read_b128 v[120:123], v20 offset:1216
	v_mul_f64 v[64:65], v[116:117], v[2:3]
	v_fmac_f64_e32 v[64:65], v[118:119], v[0:1]
	v_add_f64 v[124:125], v[236:237], v[64:65]
	scratch_load_dwordx4 v[64:67], off, off offset:608
	v_mul_f64 v[70:71], v[130:131], v[70:71]
	v_fma_f64 v[250:251], v[128:129], v[68:69], -v[70:71]
	scratch_load_dwordx4 v[68:71], off, off offset:624
	s_waitcnt vmcnt(12)
	v_mov_b64_e32 v[0:1], v[252:253]
	v_accvgpr_write_b32 a120, v252
	v_mul_f64 v[74:75], v[134:135], v[74:75]
	v_mov_b64_e32 v[2:3], v[254:255]
	v_accvgpr_write_b32 a121, v253
	v_accvgpr_write_b32 a122, v254
	;; [unrolled: 1-line block ×3, first 2 shown]
	v_fma_f64 v[252:253], v[132:133], v[72:73], -v[74:75]
	scratch_load_dwordx4 v[72:75], off, off offset:640
	s_waitcnt lgkmcnt(0)
	v_mul_f64 v[126:127], v[120:121], v[2:3]
	v_mul_f64 v[78:79], v[138:139], v[78:79]
	v_accvgpr_write_b32 a115, v15
	v_fmac_f64_e32 v[126:127], v[122:123], v[0:1]
	v_fma_f64 v[254:255], v[136:137], v[76:77], -v[78:79]
	v_mul_f64 v[76:77], v[150:151], v[82:83]
	v_accvgpr_write_b32 a114, v14
	v_accvgpr_write_b32 a113, v13
	;; [unrolled: 1-line block ×3, first 2 shown]
	v_add_f64 v[236:237], v[124:125], v[126:127]
	ds_read_b128 v[124:127], v20 offset:1232
	ds_read_b128 v[128:131], v20 offset:1248
	v_fma_f64 v[12:13], v[148:149], v[80:81], -v[76:77]
	scratch_load_dwordx4 v[76:79], off, off offset:656
	scratch_load_dwordx4 v[80:83], off, off offset:672
	s_waitcnt vmcnt(14) lgkmcnt(1)
	v_mul_f64 v[132:133], v[124:125], v[26:27]
	v_fmac_f64_e32 v[132:133], v[126:127], v[24:25]
	v_mul_f64 v[86:87], v[162:163], v[86:87]
	v_add_f64 v[2:3], v[236:237], v[132:133]
	v_fma_f64 v[236:237], v[160:161], v[84:85], -v[86:87]
	scratch_load_dwordx4 v[84:87], off, off offset:688
	v_accvgpr_write_b32 a107, v7
	v_accvgpr_write_b32 a111, v11
	v_mul_f64 v[90:91], v[174:175], v[90:91]
	v_accvgpr_write_b32 a106, v6
	v_accvgpr_write_b32 a105, v5
	;; [unrolled: 1-line block ×6, first 2 shown]
	v_fma_f64 v[8:9], v[172:173], v[88:89], -v[90:91]
	scratch_load_dwordx4 v[88:91], off, off offset:704
	v_mul_f64 v[6:7], v[186:187], v[102:103]
	v_fma_f64 v[6:7], v[184:185], v[100:101], -v[6:7]
	v_mul_f64 v[100:101], v[198:199], v[106:107]
	v_fma_f64 v[4:5], v[196:197], v[104:105], -v[100:101]
	scratch_load_dwordx4 v[100:103], off, off offset:720
	scratch_load_dwordx4 v[104:107], off, off offset:736
	s_waitcnt vmcnt(17) lgkmcnt(0)
	v_mul_f64 v[132:133], v[128:129], v[30:31]
	v_fmac_f64_e32 v[132:133], v[130:131], v[28:29]
	v_add_f64 v[2:3], v[2:3], v[132:133]
	ds_read_b128 v[132:135], v20 offset:1264
	ds_read_b128 v[136:139], v20 offset:1280
	v_mul_f64 v[10:11], v[202:203], v[142:143]
	v_fma_f64 v[10:11], v[200:201], v[140:141], -v[10:11]
	ds_read_b128 v[140:143], v20 offset:1296
	s_waitcnt vmcnt(16) lgkmcnt(2)
	v_mul_f64 v[148:149], v[132:133], v[34:35]
	v_fmac_f64_e32 v[148:149], v[134:135], v[32:33]
	v_mul_f64 v[146:147], v[206:207], v[146:147]
	v_add_f64 v[2:3], v[2:3], v[148:149]
	s_waitcnt vmcnt(15) lgkmcnt(1)
	v_mul_f64 v[148:149], v[136:137], v[38:39]
	v_fma_f64 v[0:1], v[204:205], v[144:145], -v[146:147]
	ds_read_b128 v[144:147], v20 offset:1312
	v_fmac_f64_e32 v[148:149], v[138:139], v[36:37]
	s_waitcnt vmcnt(14) lgkmcnt(1)
	v_mul_f64 v[14:15], v[140:141], v[42:43]
	v_add_f64 v[2:3], v[2:3], v[148:149]
	v_fmac_f64_e32 v[14:15], v[142:143], v[40:41]
	ds_read_b128 v[148:151], v20 offset:1328
	v_add_f64 v[2:3], v[2:3], v[14:15]
	v_mul_f64 v[14:15], v[210:211], v[154:155]
	v_fma_f64 v[14:15], v[208:209], v[152:153], -v[14:15]
	ds_read_b128 v[152:155], v20 offset:1344
	s_waitcnt vmcnt(13) lgkmcnt(2)
	v_mul_f64 v[160:161], v[144:145], v[46:47]
	v_fmac_f64_e32 v[160:161], v[146:147], v[44:45]
	v_add_f64 v[2:3], v[2:3], v[160:161]
	s_waitcnt vmcnt(12) lgkmcnt(1)
	v_mul_f64 v[160:161], v[148:149], v[50:51]
	v_fmac_f64_e32 v[160:161], v[150:151], v[48:49]
	v_add_f64 v[2:3], v[2:3], v[160:161]
	v_mul_f64 v[158:159], v[214:215], v[158:159]
	s_waitcnt vmcnt(11) lgkmcnt(0)
	v_mul_f64 v[160:161], v[152:153], v[54:55]
	v_fma_f64 v[246:247], v[212:213], v[156:157], -v[158:159]
	ds_read_b128 v[156:159], v20 offset:1360
	v_fmac_f64_e32 v[160:161], v[154:155], v[52:53]
	v_add_f64 v[2:3], v[2:3], v[160:161]
	ds_read_b128 v[160:163], v20 offset:1376
	v_mul_f64 v[166:167], v[218:219], v[166:167]
	v_fma_f64 v[238:239], v[216:217], v[164:165], -v[166:167]
	ds_read_b128 v[164:167], v20 offset:1392
	v_accvgpr_write_b32 a119, v19
	s_waitcnt vmcnt(10) lgkmcnt(2)
	v_mul_f64 v[172:173], v[156:157], v[58:59]
	v_accvgpr_write_b32 a118, v18
	v_accvgpr_write_b32 a117, v17
	;; [unrolled: 1-line block ×3, first 2 shown]
	v_fmac_f64_e32 v[172:173], v[158:159], v[56:57]
	s_waitcnt vmcnt(9) lgkmcnt(1)
	v_mul_f64 v[18:19], v[160:161], v[62:63]
	v_add_f64 v[2:3], v[2:3], v[172:173]
	v_fmac_f64_e32 v[18:19], v[162:163], v[60:61]
	v_add_f64 v[2:3], v[2:3], v[18:19]
	v_mul_f64 v[18:19], v[222:223], v[170:171]
	v_fma_f64 v[18:19], v[220:221], v[168:169], -v[18:19]
	ds_read_b128 v[168:171], v20 offset:1408
	s_waitcnt vmcnt(8) lgkmcnt(1)
	v_mul_f64 v[172:173], v[164:165], v[66:67]
	v_fmac_f64_e32 v[172:173], v[166:167], v[64:65]
	v_add_f64 v[2:3], v[2:3], v[172:173]
	ds_read_b128 v[172:175], v20 offset:1424
	s_waitcnt vmcnt(7) lgkmcnt(1)
	v_mul_f64 v[22:23], v[168:169], v[70:71]
	v_mul_f64 v[178:179], v[226:227], v[178:179]
	v_fmac_f64_e32 v[22:23], v[170:171], v[68:69]
	v_fma_f64 v[16:17], v[224:225], v[176:177], -v[178:179]
	ds_read_b128 v[176:179], v20 offset:1440
	v_add_f64 v[2:3], v[2:3], v[22:23]
	s_waitcnt vmcnt(6) lgkmcnt(1)
	v_mul_f64 v[22:23], v[172:173], v[74:75]
	v_fmac_f64_e32 v[22:23], v[174:175], v[72:73]
	v_add_f64 v[2:3], v[2:3], v[22:23]
	v_mul_f64 v[22:23], v[230:231], v[182:183]
	v_fma_f64 v[22:23], v[228:229], v[180:181], -v[22:23]
	ds_read_b128 v[180:183], v20 offset:1456
	s_waitcnt vmcnt(5) lgkmcnt(1)
	v_mul_f64 v[184:185], v[176:177], v[78:79]
	v_fmac_f64_e32 v[184:185], v[178:179], v[76:77]
	v_add_f64 v[2:3], v[2:3], v[184:185]
	ds_read_b128 v[184:187], v20 offset:1472
	s_waitcnt vmcnt(4) lgkmcnt(1)
	v_mul_f64 v[196:197], v[180:181], v[82:83]
	v_fmac_f64_e32 v[196:197], v[182:183], v[80:81]
	v_add_f64 v[196:197], v[2:3], v[196:197]
	v_mul_f64 v[2:3], v[234:235], v[190:191]
	v_fma_f64 v[2:3], v[232:233], v[188:189], -v[2:3]
	ds_read_b128 v[188:191], v20 offset:1488
	v_mul_f64 v[194:195], v[244:245], v[194:195]
	s_waitcnt vmcnt(3) lgkmcnt(1)
	v_mul_f64 v[198:199], v[184:185], v[86:87]
	v_fma_f64 v[242:243], v[242:243], v[192:193], -v[194:195]
	ds_read_b128 v[192:195], v20 offset:1504
	v_fmac_f64_e32 v[198:199], v[186:187], v[84:85]
	v_add_f64 v[200:201], v[196:197], v[198:199]
	ds_read_b128 v[196:199], v20 offset:1520
	ds_read_b128 v[204:207], v20 offset:1536
	s_waitcnt vmcnt(2) lgkmcnt(3)
	v_mul_f64 v[202:203], v[188:189], v[90:91]
	v_fmac_f64_e32 v[202:203], v[190:191], v[88:89]
	v_add_f64 v[200:201], v[200:201], v[202:203]
	s_waitcnt vmcnt(1) lgkmcnt(2)
	v_mul_f64 v[202:203], v[192:193], v[102:103]
	v_fmac_f64_e32 v[202:203], v[194:195], v[100:101]
	v_add_f64 v[200:201], v[200:201], v[202:203]
	;; [unrolled: 4-line block ×3, first 2 shown]
	scratch_load_dwordx4 v[200:203], off, off offset:752
	ds_read_b128 v[212:215], v20 offset:1552
	ds_read_b128 v[220:223], v20 offset:1568
	ds_read_b128 v[228:231], v20 offset:1584
	s_waitcnt vmcnt(0) lgkmcnt(3)
	v_mul_f64 v[210:211], v[204:205], v[202:203]
	v_fmac_f64_e32 v[210:211], v[206:207], v[200:201]
	v_add_f64 v[216:217], v[208:209], v[210:211]
	scratch_load_dwordx4 v[208:211], off, off offset:768
	s_waitcnt vmcnt(0) lgkmcnt(2)
	v_mul_f64 v[218:219], v[212:213], v[210:211]
	v_fmac_f64_e32 v[218:219], v[214:215], v[208:209]
	v_add_f64 v[224:225], v[216:217], v[218:219]
	scratch_load_dwordx4 v[216:219], off, off offset:784
	;; [unrolled: 5-line block ×3, first 2 shown]
	s_waitcnt vmcnt(0) lgkmcnt(0)
	v_mul_f64 v[234:235], v[228:229], v[226:227]
	v_fmac_f64_e32 v[234:235], v[230:231], v[224:225]
	v_add_f64 v[232:233], v[232:233], v[234:235]
	v_accvgpr_write_b32 a124, v232
	v_accvgpr_write_b32 a125, v233
	v_add_f64 v[232:233], v[240:241], 0
	v_add_f64 v[232:233], v[232:233], v[248:249]
	;; [unrolled: 1-line block ×6, first 2 shown]
	scratch_load_dwordx4 v[232:235], off, off offset:16
	v_add_f64 v[12:13], v[12:13], v[236:237]
	v_add_f64 v[8:9], v[12:13], v[8:9]
	;; [unrolled: 1-line block ×11, first 2 shown]
	v_accvgpr_read_b32 v4, a100
	v_add_f64 v[244:245], v[0:1], v[22:23]
	v_accvgpr_read_b32 v6, a102
	v_accvgpr_read_b32 v7, a103
	v_add_f64 v[0:1], v[244:245], v[2:3]
	v_accvgpr_read_b32 v5, a101
	v_mul_f64 v[2:3], v[94:95], v[6:7]
	v_fma_f64 v[2:3], v[92:93], v[4:5], -v[2:3]
	v_accvgpr_read_b32 v4, a104
	v_add_f64 v[0:1], v[0:1], v[242:243]
	v_accvgpr_read_b32 v6, a106
	v_accvgpr_read_b32 v7, a107
	v_add_f64 v[0:1], v[0:1], v[2:3]
	v_accvgpr_read_b32 v5, a105
	v_mul_f64 v[2:3], v[98:99], v[6:7]
	v_fma_f64 v[2:3], v[96:97], v[4:5], -v[2:3]
	v_accvgpr_read_b32 v4, a108
	v_accvgpr_read_b32 v6, a110
	v_accvgpr_read_b32 v7, a111
	v_add_f64 v[0:1], v[0:1], v[2:3]
	v_accvgpr_read_b32 v5, a109
	v_mul_f64 v[2:3], v[110:111], v[6:7]
	v_fma_f64 v[2:3], v[108:109], v[4:5], -v[2:3]
	v_accvgpr_read_b32 v4, a112
	;; [unrolled: 7-line block ×4, first 2 shown]
	v_accvgpr_read_b32 v6, a122
	v_accvgpr_read_b32 v7, a123
	v_add_f64 v[0:1], v[0:1], v[2:3]
	v_accvgpr_read_b32 v5, a121
	v_mul_f64 v[2:3], v[122:123], v[6:7]
	v_fma_f64 v[2:3], v[120:121], v[4:5], -v[2:3]
	v_add_f64 v[0:1], v[0:1], v[2:3]
	v_mul_f64 v[2:3], v[126:127], v[26:27]
	v_fma_f64 v[2:3], v[124:125], v[24:25], -v[2:3]
	v_add_f64 v[0:1], v[0:1], v[2:3]
	;; [unrolled: 3-line block ×24, first 2 shown]
	v_accvgpr_read_b32 v2, a124
	v_accvgpr_read_b32 v3, a125
	s_waitcnt vmcnt(0)
	v_add_f64 v[0:1], v[232:233], -v[0:1]
	v_add_f64 v[2:3], v[234:235], -v[2:3]
	scratch_store_dwordx4 off, v[0:3], off offset:16
	s_cbranch_vccz .LBB113_412
; %bb.314:
	global_load_dword v0, v20, s[8:9] offset:192
	s_waitcnt vmcnt(0)
	v_readfirstlane_b32 s0, v0
	s_add_i32 s0, s0, -1
	s_cmp_lg_u32 s0, 48
	s_cbranch_scc0 .LBB113_316
; %bb.315:
	s_lshl_b32 s0, s0, 4
	s_add_i32 s0, s0, 16
	scratch_load_dwordx4 v[0:3], off, s0
	scratch_load_dwordx4 v[4:7], off, s17
	s_waitcnt vmcnt(1)
	scratch_store_dwordx4 off, v[0:3], s17
	s_waitcnt vmcnt(1)
	scratch_store_dwordx4 off, v[4:7], s0
.LBB113_316:
	v_mov_b32_e32 v0, 0
	global_load_dword v1, v0, s[8:9] offset:188
	s_waitcnt vmcnt(0)
	v_readfirstlane_b32 s0, v1
	s_add_i32 s0, s0, -1
	s_cmp_eq_u32 s0, 47
	s_cbranch_scc1 .LBB113_318
; %bb.317:
	s_lshl_b32 s0, s0, 4
	s_add_i32 s0, s0, 16
	scratch_load_dwordx4 v[2:5], off, s0
	scratch_load_dwordx4 v[6:9], off, s18
	s_waitcnt vmcnt(1)
	scratch_store_dwordx4 off, v[2:5], s18
	s_waitcnt vmcnt(1)
	scratch_store_dwordx4 off, v[6:9], s0
.LBB113_318:
	global_load_dword v0, v0, s[8:9] offset:184
	s_waitcnt vmcnt(0)
	v_readfirstlane_b32 s0, v0
	s_add_i32 s0, s0, -1
	s_cmp_eq_u32 s0, 46
	s_cbranch_scc1 .LBB113_320
; %bb.319:
	s_lshl_b32 s0, s0, 4
	s_add_i32 s0, s0, 16
	scratch_load_dwordx4 v[0:3], off, s0
	scratch_load_dwordx4 v[4:7], off, s19
	s_waitcnt vmcnt(1)
	scratch_store_dwordx4 off, v[0:3], s19
	s_waitcnt vmcnt(1)
	scratch_store_dwordx4 off, v[4:7], s0
.LBB113_320:
	v_mov_b32_e32 v0, 0
	global_load_dword v1, v0, s[8:9] offset:180
	s_waitcnt vmcnt(0)
	v_readfirstlane_b32 s0, v1
	s_add_i32 s0, s0, -1
	s_cmp_eq_u32 s0, 45
	s_cbranch_scc1 .LBB113_322
; %bb.321:
	s_lshl_b32 s0, s0, 4
	s_add_i32 s0, s0, 16
	scratch_load_dwordx4 v[2:5], off, s0
	scratch_load_dwordx4 v[6:9], off, s20
	s_waitcnt vmcnt(1)
	scratch_store_dwordx4 off, v[2:5], s20
	s_waitcnt vmcnt(1)
	scratch_store_dwordx4 off, v[6:9], s0
.LBB113_322:
	global_load_dword v0, v0, s[8:9] offset:176
	s_waitcnt vmcnt(0)
	v_readfirstlane_b32 s0, v0
	s_add_i32 s0, s0, -1
	s_cmp_eq_u32 s0, 44
	s_cbranch_scc1 .LBB113_324
; %bb.323:
	s_lshl_b32 s0, s0, 4
	s_add_i32 s0, s0, 16
	scratch_load_dwordx4 v[0:3], off, s0
	scratch_load_dwordx4 v[4:7], off, s21
	s_waitcnt vmcnt(1)
	scratch_store_dwordx4 off, v[0:3], s21
	s_waitcnt vmcnt(1)
	scratch_store_dwordx4 off, v[4:7], s0
.LBB113_324:
	;; [unrolled: 33-line block ×23, first 2 shown]
	v_mov_b32_e32 v0, 0
	global_load_dword v1, v0, s[8:9] offset:4
	s_waitcnt vmcnt(0)
	v_readfirstlane_b32 s0, v1
	s_add_i32 s0, s0, -1
	s_cmp_eq_u32 s0, 1
	s_cbranch_scc1 .LBB113_410
; %bb.409:
	s_lshl_b32 s0, s0, 4
	s_add_i32 s0, s0, 16
	scratch_load_dwordx4 v[2:5], off, s0
	scratch_load_dwordx4 v[6:9], off, s65
	s_waitcnt vmcnt(1)
	scratch_store_dwordx4 off, v[2:5], s65
	s_waitcnt vmcnt(1)
	scratch_store_dwordx4 off, v[6:9], s0
.LBB113_410:
	global_load_dword v0, v0, s[8:9]
	s_waitcnt vmcnt(0)
	v_readfirstlane_b32 s0, v0
	s_add_i32 s0, s0, -1
	s_cmp_eq_u32 s0, 0
	s_cbranch_scc1 .LBB113_412
; %bb.411:
	s_lshl_b32 s0, s0, 4
	s_add_i32 s0, s0, 16
	scratch_load_dwordx4 v[0:3], off, s0
	scratch_load_dwordx4 v[4:7], off, off offset:16
	s_waitcnt vmcnt(1)
	scratch_store_dwordx4 off, v[0:3], off offset:16
	s_waitcnt vmcnt(1)
	scratch_store_dwordx4 off, v[4:7], s0
.LBB113_412:
	scratch_load_dwordx4 v[0:3], off, off offset:16
	s_nop 0
	v_accvgpr_read_b32 v5, a1
	v_accvgpr_read_b32 v4, a0
	s_waitcnt vmcnt(0)
	flat_store_dwordx4 v[4:5], v[0:3]
	scratch_load_dwordx4 v[0:3], off, s65
	v_accvgpr_read_b32 v5, a3
	v_accvgpr_read_b32 v4, a2
	s_waitcnt vmcnt(0)
	flat_store_dwordx4 v[4:5], v[0:3]
	scratch_load_dwordx4 v[0:3], off, s64
	;; [unrolled: 5-line block ×49, first 2 shown]
	v_accvgpr_read_b32 v4, a98
	v_accvgpr_read_b32 v5, a99
	s_waitcnt vmcnt(0)
	flat_store_dwordx4 v[4:5], v[0:3]
	s_endpgm
	.section	.rodata,"a",@progbits
	.p2align	6, 0x0
	.amdhsa_kernel _ZN9rocsolver6v33100L18getri_kernel_smallILi50E19rocblas_complex_numIdEPKPS3_EEvT1_iilPiilS8_bb
		.amdhsa_group_segment_fixed_size 1608
		.amdhsa_private_segment_fixed_size 832
		.amdhsa_kernarg_size 60
		.amdhsa_user_sgpr_count 2
		.amdhsa_user_sgpr_dispatch_ptr 0
		.amdhsa_user_sgpr_queue_ptr 0
		.amdhsa_user_sgpr_kernarg_segment_ptr 1
		.amdhsa_user_sgpr_dispatch_id 0
		.amdhsa_user_sgpr_kernarg_preload_length 0
		.amdhsa_user_sgpr_kernarg_preload_offset 0
		.amdhsa_user_sgpr_private_segment_size 0
		.amdhsa_uses_dynamic_stack 0
		.amdhsa_enable_private_segment 1
		.amdhsa_system_sgpr_workgroup_id_x 1
		.amdhsa_system_sgpr_workgroup_id_y 0
		.amdhsa_system_sgpr_workgroup_id_z 0
		.amdhsa_system_sgpr_workgroup_info 0
		.amdhsa_system_vgpr_workitem_id 0
		.amdhsa_next_free_vgpr 386
		.amdhsa_next_free_sgpr 85
		.amdhsa_accum_offset 256
		.amdhsa_reserve_vcc 1
		.amdhsa_float_round_mode_32 0
		.amdhsa_float_round_mode_16_64 0
		.amdhsa_float_denorm_mode_32 3
		.amdhsa_float_denorm_mode_16_64 3
		.amdhsa_dx10_clamp 1
		.amdhsa_ieee_mode 1
		.amdhsa_fp16_overflow 0
		.amdhsa_tg_split 0
		.amdhsa_exception_fp_ieee_invalid_op 0
		.amdhsa_exception_fp_denorm_src 0
		.amdhsa_exception_fp_ieee_div_zero 0
		.amdhsa_exception_fp_ieee_overflow 0
		.amdhsa_exception_fp_ieee_underflow 0
		.amdhsa_exception_fp_ieee_inexact 0
		.amdhsa_exception_int_div_zero 0
	.end_amdhsa_kernel
	.section	.text._ZN9rocsolver6v33100L18getri_kernel_smallILi50E19rocblas_complex_numIdEPKPS3_EEvT1_iilPiilS8_bb,"axG",@progbits,_ZN9rocsolver6v33100L18getri_kernel_smallILi50E19rocblas_complex_numIdEPKPS3_EEvT1_iilPiilS8_bb,comdat
.Lfunc_end113:
	.size	_ZN9rocsolver6v33100L18getri_kernel_smallILi50E19rocblas_complex_numIdEPKPS3_EEvT1_iilPiilS8_bb, .Lfunc_end113-_ZN9rocsolver6v33100L18getri_kernel_smallILi50E19rocblas_complex_numIdEPKPS3_EEvT1_iilPiilS8_bb
                                        ; -- End function
	.set _ZN9rocsolver6v33100L18getri_kernel_smallILi50E19rocblas_complex_numIdEPKPS3_EEvT1_iilPiilS8_bb.num_vgpr, 256
	.set _ZN9rocsolver6v33100L18getri_kernel_smallILi50E19rocblas_complex_numIdEPKPS3_EEvT1_iilPiilS8_bb.num_agpr, 130
	.set _ZN9rocsolver6v33100L18getri_kernel_smallILi50E19rocblas_complex_numIdEPKPS3_EEvT1_iilPiilS8_bb.numbered_sgpr, 85
	.set _ZN9rocsolver6v33100L18getri_kernel_smallILi50E19rocblas_complex_numIdEPKPS3_EEvT1_iilPiilS8_bb.num_named_barrier, 0
	.set _ZN9rocsolver6v33100L18getri_kernel_smallILi50E19rocblas_complex_numIdEPKPS3_EEvT1_iilPiilS8_bb.private_seg_size, 832
	.set _ZN9rocsolver6v33100L18getri_kernel_smallILi50E19rocblas_complex_numIdEPKPS3_EEvT1_iilPiilS8_bb.uses_vcc, 1
	.set _ZN9rocsolver6v33100L18getri_kernel_smallILi50E19rocblas_complex_numIdEPKPS3_EEvT1_iilPiilS8_bb.uses_flat_scratch, 0
	.set _ZN9rocsolver6v33100L18getri_kernel_smallILi50E19rocblas_complex_numIdEPKPS3_EEvT1_iilPiilS8_bb.has_dyn_sized_stack, 0
	.set _ZN9rocsolver6v33100L18getri_kernel_smallILi50E19rocblas_complex_numIdEPKPS3_EEvT1_iilPiilS8_bb.has_recursion, 0
	.set _ZN9rocsolver6v33100L18getri_kernel_smallILi50E19rocblas_complex_numIdEPKPS3_EEvT1_iilPiilS8_bb.has_indirect_call, 0
	.section	.AMDGPU.csdata,"",@progbits
; Kernel info:
; codeLenInByte = 106276
; TotalNumSgprs: 91
; NumVgprs: 256
; NumAgprs: 130
; TotalNumVgprs: 386
; ScratchSize: 832
; MemoryBound: 0
; FloatMode: 240
; IeeeMode: 1
; LDSByteSize: 1608 bytes/workgroup (compile time only)
; SGPRBlocks: 11
; VGPRBlocks: 48
; NumSGPRsForWavesPerEU: 91
; NumVGPRsForWavesPerEU: 386
; AccumOffset: 256
; Occupancy: 1
; WaveLimiterHint : 1
; COMPUTE_PGM_RSRC2:SCRATCH_EN: 1
; COMPUTE_PGM_RSRC2:USER_SGPR: 2
; COMPUTE_PGM_RSRC2:TRAP_HANDLER: 0
; COMPUTE_PGM_RSRC2:TGID_X_EN: 1
; COMPUTE_PGM_RSRC2:TGID_Y_EN: 0
; COMPUTE_PGM_RSRC2:TGID_Z_EN: 0
; COMPUTE_PGM_RSRC2:TIDIG_COMP_CNT: 0
; COMPUTE_PGM_RSRC3_GFX90A:ACCUM_OFFSET: 63
; COMPUTE_PGM_RSRC3_GFX90A:TG_SPLIT: 0
	.section	.text._ZN9rocsolver6v33100L18getri_kernel_smallILi51E19rocblas_complex_numIdEPKPS3_EEvT1_iilPiilS8_bb,"axG",@progbits,_ZN9rocsolver6v33100L18getri_kernel_smallILi51E19rocblas_complex_numIdEPKPS3_EEvT1_iilPiilS8_bb,comdat
	.globl	_ZN9rocsolver6v33100L18getri_kernel_smallILi51E19rocblas_complex_numIdEPKPS3_EEvT1_iilPiilS8_bb ; -- Begin function _ZN9rocsolver6v33100L18getri_kernel_smallILi51E19rocblas_complex_numIdEPKPS3_EEvT1_iilPiilS8_bb
	.p2align	8
	.type	_ZN9rocsolver6v33100L18getri_kernel_smallILi51E19rocblas_complex_numIdEPKPS3_EEvT1_iilPiilS8_bb,@function
_ZN9rocsolver6v33100L18getri_kernel_smallILi51E19rocblas_complex_numIdEPKPS3_EEvT1_iilPiilS8_bb: ; @_ZN9rocsolver6v33100L18getri_kernel_smallILi51E19rocblas_complex_numIdEPKPS3_EEvT1_iilPiilS8_bb
; %bb.0:
	v_mov_b32_e32 v240, v0
	v_cmp_gt_u32_e32 vcc, 51, v240
	s_and_saveexec_b64 s[4:5], vcc
	s_cbranch_execz .LBB114_218
; %bb.1:
	s_load_dword s14, s[0:1], 0x38
	s_load_dwordx2 s[8:9], s[0:1], 0x0
	s_load_dwordx4 s[4:7], s[0:1], 0x28
	s_waitcnt lgkmcnt(0)
	s_bitcmp1_b32 s14, 8
	s_cselect_b64 s[10:11], -1, 0
	s_ashr_i32 s3, s2, 31
	s_lshl_b64 s[12:13], s[2:3], 3
	s_add_u32 s8, s8, s12
	s_addc_u32 s9, s9, s13
	s_load_dwordx2 s[12:13], s[8:9], 0x0
	s_bfe_u32 s8, s14, 0x10008
	s_cmp_eq_u32 s8, 0
                                        ; implicit-def: $sgpr8_sgpr9
	s_cbranch_scc1 .LBB114_3
; %bb.2:
	s_load_dword s8, s[0:1], 0x20
	s_load_dwordx2 s[14:15], s[0:1], 0x18
	s_mul_i32 s9, s4, s3
	s_mul_hi_u32 s16, s4, s2
	s_add_i32 s16, s16, s9
	s_mul_i32 s5, s5, s2
	s_add_i32 s5, s16, s5
	s_mul_i32 s4, s4, s2
	s_waitcnt lgkmcnt(0)
	s_ashr_i32 s9, s8, 31
	s_lshl_b64 s[4:5], s[4:5], 2
	s_add_u32 s14, s14, s4
	s_addc_u32 s15, s15, s5
	s_lshl_b64 s[4:5], s[8:9], 2
	s_add_u32 s8, s14, s4
	s_addc_u32 s9, s15, s5
.LBB114_3:
	s_load_dwordx2 s[4:5], s[0:1], 0x8
	s_load_dword s14, s[0:1], 0x38
	v_lshlrev_b32_e32 v14, 4, v240
	v_mov_b32_e32 v15, 0
	s_movk_i32 s15, 0x80
	s_waitcnt lgkmcnt(0)
	s_ashr_i32 s1, s4, 31
	s_mov_b32 s0, s4
	s_lshl_b64 s[0:1], s[0:1], 4
	s_add_u32 s0, s12, s0
	s_addc_u32 s1, s13, s1
	v_lshl_add_u64 v[0:1], s[0:1], 0, v[14:15]
	flat_load_dwordx4 v[2:5], v[0:1]
	s_mov_b32 s12, s5
	s_ashr_i32 s13, s5, 31
	v_accvgpr_write_b32 a0, v0
	v_accvgpr_write_b32 a1, v1
	v_lshl_add_u64 v[0:1], s[12:13], 4, v[0:1]
	s_add_i32 s4, s5, s5
	v_add_u32_e32 v6, s4, v240
	v_accvgpr_write_b32 a3, v1
	v_ashrrev_i32_e32 v7, 31, v6
	v_accvgpr_write_b32 a2, v0
	s_movk_i32 s4, 0x50
	s_movk_i32 s12, 0x60
	;; [unrolled: 1-line block ×42, first 2 shown]
	s_add_i32 s62, s4, 16
	s_add_i32 s61, s12, 16
	s_add_i32 s60, s13, 16
	s_add_i32 s59, s15, 16
	s_add_i32 s58, s16, 16
	s_add_i32 s57, s17, 16
	s_add_i32 s56, s18, 16
	s_add_i32 s55, s19, 16
	s_add_i32 s54, s20, 16
	s_add_i32 s53, s21, 16
	s_add_i32 s52, s22, 16
	s_add_i32 s51, s23, 16
	s_add_i32 s50, s24, 16
	s_add_i32 s49, s25, 16
	s_add_i32 s48, s26, 16
	s_add_i32 s47, s27, 16
	s_add_i32 s46, s28, 16
	s_add_i32 s45, s29, 16
	s_add_i32 s41, s30, 16
	s_add_i32 s40, s31, 16
	s_add_i32 s39, s33, 16
	s_add_i32 s38, s34, 16
	s_add_i32 s37, s35, 16
	s_add_i32 s36, s36, 16
	s_add_i32 s35, s67, 16
	s_add_i32 s34, s68, 16
	s_add_i32 s33, s69, 16
	s_waitcnt vmcnt(0) lgkmcnt(0)
	scratch_store_dwordx4 off, v[2:5], off offset:16
	flat_load_dwordx4 v[2:5], v[0:1]
	v_lshl_add_u64 v[0:1], v[6:7], 4, s[0:1]
	v_add_u32_e32 v6, s5, v6
	v_accvgpr_write_b32 a5, v1
	v_ashrrev_i32_e32 v7, 31, v6
	v_accvgpr_write_b32 a4, v0
	s_add_i32 s31, s70, 16
	s_add_i32 s30, s71, 16
	;; [unrolled: 1-line block ×16, first 2 shown]
	s_mov_b32 s66, 32
	s_mov_b32 s65, 48
	;; [unrolled: 1-line block ×3, first 2 shown]
	s_movk_i32 s63, 0x50
	s_waitcnt vmcnt(0) lgkmcnt(0)
	scratch_store_dwordx4 off, v[2:5], off offset:32
	flat_load_dwordx4 v[2:5], v[0:1]
	v_lshl_add_u64 v[0:1], v[6:7], 4, s[0:1]
	v_add_u32_e32 v6, s5, v6
	v_accvgpr_write_b32 a7, v1
	v_ashrrev_i32_e32 v7, 31, v6
	v_accvgpr_write_b32 a6, v0
	s_waitcnt vmcnt(0) lgkmcnt(0)
	scratch_store_dwordx4 off, v[2:5], off offset:48
	flat_load_dwordx4 v[2:5], v[0:1]
	v_lshl_add_u64 v[0:1], v[6:7], 4, s[0:1]
	v_add_u32_e32 v6, s5, v6
	v_accvgpr_write_b32 a9, v1
	v_ashrrev_i32_e32 v7, 31, v6
	v_accvgpr_write_b32 a8, v0
	;; [unrolled: 8-line block ×47, first 2 shown]
	s_movk_i32 s5, 0x190
	s_add_i32 s42, s5, 16
	s_mov_b64 s[4:5], -1
	s_waitcnt vmcnt(0) lgkmcnt(0)
	scratch_store_dwordx4 off, v[2:5], off offset:784
	flat_load_dwordx4 v[2:5], v[0:1]
	v_lshl_add_u64 v[0:1], v[6:7], 4, s[0:1]
	s_movk_i32 s0, 0x170
	s_movk_i32 s1, 0x180
	v_accvgpr_write_b32 a101, v1
	s_add_i32 s44, s0, 16
	s_add_i32 s43, s1, 16
	v_accvgpr_write_b32 a100, v0
	s_bitcmp0_b32 s14, 0
	s_waitcnt vmcnt(0) lgkmcnt(0)
	scratch_store_dwordx4 off, v[2:5], off offset:800
	flat_load_dwordx4 v[2:5], v[0:1]
	s_waitcnt vmcnt(0) lgkmcnt(0)
	scratch_store_dwordx4 off, v[2:5], off offset:816
	s_cbranch_scc1 .LBB114_216
; %bb.4:
	v_cmp_eq_u32_e64 s[0:1], 0, v240
	s_and_saveexec_b64 s[4:5], s[0:1]
; %bb.5:
	v_mov_b32_e32 v0, 0
	ds_write_b32 v0, v0 offset:1632
; %bb.6:
	s_or_b64 exec, exec, s[4:5]
	s_waitcnt lgkmcnt(0)
	; wave barrier
	scratch_load_dwordx4 v[2:5], v14, off offset:16
	s_waitcnt vmcnt(0)
	v_cmp_eq_f64_e32 vcc, 0, v[2:3]
	v_cmp_eq_f64_e64 s[4:5], 0, v[4:5]
	s_and_b64 s[4:5], vcc, s[4:5]
	s_and_saveexec_b64 s[12:13], s[4:5]
	s_cbranch_execz .LBB114_10
; %bb.7:
	v_mov_b32_e32 v1, 0
	ds_read_b32 v0, v1 offset:1632
	v_add_u32_e32 v2, 1, v240
	s_waitcnt lgkmcnt(0)
	v_readfirstlane_b32 s4, v0
	s_cmp_eq_u32 s4, 0
	s_cselect_b64 s[14:15], -1, 0
	v_cmp_gt_i32_e32 vcc, s4, v2
	s_or_b64 s[14:15], s[14:15], vcc
	s_and_b64 exec, exec, s[14:15]
	s_cbranch_execz .LBB114_10
; %bb.8:
	s_mov_b64 s[14:15], 0
	v_mov_b32_e32 v3, s4
.LBB114_9:                              ; =>This Inner Loop Header: Depth=1
	ds_cmpst_rtn_b32 v3, v1, v3, v2 offset:1632
	s_waitcnt lgkmcnt(0)
	v_cmp_ne_u32_e32 vcc, 0, v3
	v_cmp_le_i32_e64 s[4:5], v3, v2
	s_and_b64 s[4:5], vcc, s[4:5]
	s_and_b64 s[4:5], exec, s[4:5]
	s_or_b64 s[14:15], s[4:5], s[14:15]
	s_andn2_b64 exec, exec, s[14:15]
	s_cbranch_execnz .LBB114_9
.LBB114_10:
	s_or_b64 exec, exec, s[12:13]
	v_mov_b32_e32 v2, 0
	; wave barrier
	ds_read_b32 v1, v2 offset:1632
	s_and_saveexec_b64 s[4:5], s[0:1]
	s_cbranch_execz .LBB114_12
; %bb.11:
	s_lshl_b64 s[12:13], s[2:3], 2
	s_add_u32 s12, s6, s12
	s_addc_u32 s13, s7, s13
	s_waitcnt lgkmcnt(0)
	global_store_dword v2, v1, s[12:13]
.LBB114_12:
	s_or_b64 exec, exec, s[4:5]
	s_waitcnt lgkmcnt(0)
	v_cmp_ne_u32_e32 vcc, 0, v1
	s_mov_b64 s[4:5], 0
	s_cbranch_vccnz .LBB114_216
; %bb.13:
	v_add_u32_e32 v15, 16, v14
	scratch_load_dwordx4 v[2:5], v15, off
                                        ; implicit-def: $vgpr6_vgpr7
                                        ; implicit-def: $vgpr10_vgpr11
	s_waitcnt vmcnt(0)
	v_cmp_ngt_f64_e64 s[4:5], |v[2:3]|, |v[4:5]|
	s_and_saveexec_b64 s[12:13], s[4:5]
	s_xor_b64 s[4:5], exec, s[12:13]
	s_cbranch_execz .LBB114_15
; %bb.14:
	v_div_scale_f64 v[6:7], s[12:13], v[4:5], v[4:5], v[2:3]
	v_rcp_f64_e32 v[8:9], v[6:7]
	v_div_scale_f64 v[10:11], vcc, v[2:3], v[4:5], v[2:3]
	v_fma_f64 v[12:13], -v[6:7], v[8:9], 1.0
	v_fmac_f64_e32 v[8:9], v[8:9], v[12:13]
	v_fma_f64 v[12:13], -v[6:7], v[8:9], 1.0
	v_fmac_f64_e32 v[8:9], v[8:9], v[12:13]
	v_mul_f64 v[12:13], v[10:11], v[8:9]
	v_fma_f64 v[6:7], -v[6:7], v[12:13], v[10:11]
	v_div_fmas_f64 v[6:7], v[6:7], v[8:9], v[12:13]
	v_div_fixup_f64 v[6:7], v[6:7], v[4:5], v[2:3]
	v_fmac_f64_e32 v[4:5], v[2:3], v[6:7]
	v_div_scale_f64 v[2:3], s[12:13], v[4:5], v[4:5], 1.0
	v_rcp_f64_e32 v[8:9], v[2:3]
	s_nop 0
	v_fma_f64 v[10:11], -v[2:3], v[8:9], 1.0
	v_fmac_f64_e32 v[8:9], v[8:9], v[10:11]
	v_fma_f64 v[10:11], -v[2:3], v[8:9], 1.0
	v_fmac_f64_e32 v[8:9], v[8:9], v[10:11]
	v_div_scale_f64 v[10:11], vcc, 1.0, v[4:5], 1.0
	v_mul_f64 v[12:13], v[10:11], v[8:9]
	v_fma_f64 v[2:3], -v[2:3], v[12:13], v[10:11]
	s_nop 1
	v_div_fmas_f64 v[2:3], v[2:3], v[8:9], v[12:13]
	v_div_fixup_f64 v[8:9], v[2:3], v[4:5], 1.0
	v_mul_f64 v[6:7], v[6:7], v[8:9]
	v_xor_b32_e32 v9, 0x80000000, v9
	v_xor_b32_e32 v11, 0x80000000, v7
	v_mov_b32_e32 v10, v6
                                        ; implicit-def: $vgpr2_vgpr3
.LBB114_15:
	s_andn2_saveexec_b64 s[4:5], s[4:5]
	s_cbranch_execz .LBB114_17
; %bb.16:
	v_div_scale_f64 v[6:7], s[12:13], v[2:3], v[2:3], v[4:5]
	v_rcp_f64_e32 v[8:9], v[6:7]
	v_div_scale_f64 v[10:11], vcc, v[4:5], v[2:3], v[4:5]
	v_fma_f64 v[12:13], -v[6:7], v[8:9], 1.0
	v_fmac_f64_e32 v[8:9], v[8:9], v[12:13]
	v_fma_f64 v[12:13], -v[6:7], v[8:9], 1.0
	v_fmac_f64_e32 v[8:9], v[8:9], v[12:13]
	v_mul_f64 v[12:13], v[10:11], v[8:9]
	v_fma_f64 v[6:7], -v[6:7], v[12:13], v[10:11]
	v_div_fmas_f64 v[6:7], v[6:7], v[8:9], v[12:13]
	v_div_fixup_f64 v[8:9], v[6:7], v[2:3], v[4:5]
	v_fmac_f64_e32 v[2:3], v[4:5], v[8:9]
	v_div_scale_f64 v[4:5], s[12:13], v[2:3], v[2:3], 1.0
	v_rcp_f64_e32 v[6:7], v[4:5]
	s_nop 0
	v_fma_f64 v[10:11], -v[4:5], v[6:7], 1.0
	v_fmac_f64_e32 v[6:7], v[6:7], v[10:11]
	v_fma_f64 v[10:11], -v[4:5], v[6:7], 1.0
	v_fmac_f64_e32 v[6:7], v[6:7], v[10:11]
	v_div_scale_f64 v[10:11], vcc, 1.0, v[2:3], 1.0
	v_mul_f64 v[12:13], v[10:11], v[6:7]
	v_fma_f64 v[4:5], -v[4:5], v[12:13], v[10:11]
	s_nop 1
	v_div_fmas_f64 v[4:5], v[4:5], v[6:7], v[12:13]
	v_div_fixup_f64 v[6:7], v[4:5], v[2:3], 1.0
	v_xor_b32_e32 v11, 0x80000000, v7
	v_mov_b32_e32 v10, v6
	v_mul_f64 v[8:9], v[8:9], -v[6:7]
.LBB114_17:
	s_or_b64 exec, exec, s[4:5]
	scratch_store_dwordx4 v15, v[6:9], off
	scratch_load_dwordx4 v[2:5], off, s66
	v_xor_b32_e32 v13, 0x80000000, v9
	v_mov_b32_e32 v12, v8
	v_add_u32_e32 v1, 0x330, v14
	ds_write_b128 v14, v[10:13]
	s_waitcnt vmcnt(0)
	ds_write_b128 v14, v[2:5] offset:816
	s_waitcnt lgkmcnt(0)
	; wave barrier
	s_and_saveexec_b64 s[4:5], s[0:1]
	s_cbranch_execz .LBB114_19
; %bb.18:
	scratch_load_dwordx4 v[2:5], v15, off
	ds_read_b128 v[6:9], v1
	v_mov_b32_e32 v0, 0
	ds_read_b128 v[10:13], v0 offset:16
	s_waitcnt vmcnt(0) lgkmcnt(1)
	v_mul_f64 v[16:17], v[8:9], v[4:5]
	v_mul_f64 v[4:5], v[6:7], v[4:5]
	v_fma_f64 v[6:7], v[6:7], v[2:3], -v[16:17]
	v_fmac_f64_e32 v[4:5], v[8:9], v[2:3]
	v_add_f64 v[2:3], v[6:7], 0
	v_add_f64 v[6:7], v[4:5], 0
	s_waitcnt lgkmcnt(0)
	v_mul_f64 v[8:9], v[6:7], v[12:13]
	v_mul_f64 v[4:5], v[2:3], v[12:13]
	v_fma_f64 v[2:3], v[2:3], v[10:11], -v[8:9]
	v_fmac_f64_e32 v[4:5], v[6:7], v[10:11]
	scratch_store_dwordx4 off, v[2:5], off offset:32
.LBB114_19:
	s_or_b64 exec, exec, s[4:5]
	; wave barrier
	scratch_load_dwordx4 v[2:5], off, s65
	v_cmp_gt_u32_e32 vcc, 2, v240
	s_waitcnt vmcnt(0)
	ds_write_b128 v1, v[2:5]
	s_waitcnt lgkmcnt(0)
	; wave barrier
	s_and_saveexec_b64 s[4:5], vcc
	s_cbranch_execz .LBB114_23
; %bb.20:
	scratch_load_dwordx4 v[2:5], v15, off
	ds_read_b128 v[6:9], v1
	s_waitcnt vmcnt(0) lgkmcnt(0)
	v_mul_f64 v[10:11], v[8:9], v[4:5]
	v_mul_f64 v[12:13], v[6:7], v[4:5]
	v_fma_f64 v[4:5], v[6:7], v[2:3], -v[10:11]
	v_fmac_f64_e32 v[12:13], v[8:9], v[2:3]
	v_add_f64 v[4:5], v[4:5], 0
	v_add_f64 v[2:3], v[12:13], 0
	s_and_saveexec_b64 s[12:13], s[0:1]
	s_cbranch_execz .LBB114_22
; %bb.21:
	scratch_load_dwordx4 v[6:9], off, off offset:32
	v_mov_b32_e32 v0, 0
	ds_read_b128 v[10:13], v0 offset:832
	s_waitcnt vmcnt(0) lgkmcnt(0)
	v_mul_f64 v[16:17], v[10:11], v[8:9]
	v_mul_f64 v[8:9], v[12:13], v[8:9]
	v_fmac_f64_e32 v[16:17], v[12:13], v[6:7]
	v_fma_f64 v[6:7], v[10:11], v[6:7], -v[8:9]
	v_add_f64 v[2:3], v[2:3], v[16:17]
	v_add_f64 v[4:5], v[4:5], v[6:7]
.LBB114_22:
	s_or_b64 exec, exec, s[12:13]
	v_mov_b32_e32 v0, 0
	ds_read_b128 v[6:9], v0 offset:32
	s_waitcnt lgkmcnt(0)
	v_mul_f64 v[12:13], v[2:3], v[8:9]
	v_mul_f64 v[10:11], v[4:5], v[8:9]
	v_fma_f64 v[8:9], v[4:5], v[6:7], -v[12:13]
	v_fmac_f64_e32 v[10:11], v[2:3], v[6:7]
	scratch_store_dwordx4 off, v[8:11], off offset:48
.LBB114_23:
	s_or_b64 exec, exec, s[4:5]
	; wave barrier
	scratch_load_dwordx4 v[2:5], off, s64
	v_cmp_gt_u32_e32 vcc, 3, v240
	v_add_u32_e32 v6, -1, v240
	s_waitcnt vmcnt(0)
	ds_write_b128 v1, v[2:5]
	s_waitcnt lgkmcnt(0)
	; wave barrier
	s_and_saveexec_b64 s[0:1], vcc
	s_cbranch_execz .LBB114_27
; %bb.24:
	v_add_u32_e32 v7, -1, v240
	v_add_u32_e32 v8, 0x330, v14
	v_add_u32_e32 v9, 16, v14
	v_mov_b64_e32 v[2:3], 0
	s_mov_b64 s[4:5], 0
	v_mov_b64_e32 v[4:5], 0
.LBB114_25:                             ; =>This Inner Loop Header: Depth=1
	scratch_load_dwordx4 v[10:13], v9, off
	ds_read_b128 v[16:19], v8
	v_add_u32_e32 v7, 1, v7
	v_cmp_lt_u32_e32 vcc, 1, v7
	v_add_u32_e32 v8, 16, v8
	v_add_u32_e32 v9, 16, v9
	s_or_b64 s[4:5], vcc, s[4:5]
	s_waitcnt vmcnt(0) lgkmcnt(0)
	v_mul_f64 v[20:21], v[18:19], v[12:13]
	v_mul_f64 v[12:13], v[16:17], v[12:13]
	v_fma_f64 v[16:17], v[16:17], v[10:11], -v[20:21]
	v_fmac_f64_e32 v[12:13], v[18:19], v[10:11]
	v_add_f64 v[4:5], v[4:5], v[16:17]
	v_add_f64 v[2:3], v[2:3], v[12:13]
	s_andn2_b64 exec, exec, s[4:5]
	s_cbranch_execnz .LBB114_25
; %bb.26:
	s_or_b64 exec, exec, s[4:5]
	v_mov_b32_e32 v0, 0
	ds_read_b128 v[8:11], v0 offset:48
	s_waitcnt lgkmcnt(0)
	v_mul_f64 v[16:17], v[2:3], v[10:11]
	v_mul_f64 v[12:13], v[4:5], v[10:11]
	v_fma_f64 v[10:11], v[4:5], v[8:9], -v[16:17]
	v_fmac_f64_e32 v[12:13], v[2:3], v[8:9]
	scratch_store_dwordx4 off, v[10:13], off offset:64
.LBB114_27:
	s_or_b64 exec, exec, s[0:1]
	; wave barrier
	scratch_load_dwordx4 v[2:5], off, s63
	v_cmp_gt_u32_e32 vcc, 4, v240
	s_waitcnt vmcnt(0)
	ds_write_b128 v1, v[2:5]
	s_waitcnt lgkmcnt(0)
	; wave barrier
	s_and_saveexec_b64 s[0:1], vcc
	s_cbranch_execz .LBB114_31
; %bb.28:
	v_add_u32_e32 v7, -1, v240
	v_add_u32_e32 v8, 0x330, v14
	v_add_u32_e32 v9, 16, v14
	v_mov_b64_e32 v[2:3], 0
	s_mov_b64 s[4:5], 0
	v_mov_b64_e32 v[4:5], 0
.LBB114_29:                             ; =>This Inner Loop Header: Depth=1
	scratch_load_dwordx4 v[10:13], v9, off
	ds_read_b128 v[16:19], v8
	v_add_u32_e32 v7, 1, v7
	v_cmp_lt_u32_e32 vcc, 2, v7
	v_add_u32_e32 v8, 16, v8
	v_add_u32_e32 v9, 16, v9
	s_or_b64 s[4:5], vcc, s[4:5]
	s_waitcnt vmcnt(0) lgkmcnt(0)
	v_mul_f64 v[20:21], v[18:19], v[12:13]
	v_mul_f64 v[12:13], v[16:17], v[12:13]
	v_fma_f64 v[16:17], v[16:17], v[10:11], -v[20:21]
	v_fmac_f64_e32 v[12:13], v[18:19], v[10:11]
	v_add_f64 v[4:5], v[4:5], v[16:17]
	v_add_f64 v[2:3], v[2:3], v[12:13]
	s_andn2_b64 exec, exec, s[4:5]
	s_cbranch_execnz .LBB114_29
; %bb.30:
	s_or_b64 exec, exec, s[4:5]
	v_mov_b32_e32 v0, 0
	ds_read_b128 v[8:11], v0 offset:64
	s_waitcnt lgkmcnt(0)
	v_mul_f64 v[16:17], v[2:3], v[10:11]
	v_mul_f64 v[12:13], v[4:5], v[10:11]
	v_fma_f64 v[10:11], v[4:5], v[8:9], -v[16:17]
	v_fmac_f64_e32 v[12:13], v[2:3], v[8:9]
	scratch_store_dwordx4 off, v[10:13], off offset:80
.LBB114_31:
	s_or_b64 exec, exec, s[0:1]
	; wave barrier
	scratch_load_dwordx4 v[2:5], off, s62
	v_cmp_gt_u32_e32 vcc, 5, v240
	;; [unrolled: 45-line block ×19, first 2 shown]
	s_waitcnt vmcnt(0)
	ds_write_b128 v1, v[2:5]
	s_waitcnt lgkmcnt(0)
	; wave barrier
	s_and_saveexec_b64 s[0:1], vcc
	s_cbranch_execz .LBB114_103
; %bb.100:
	v_add_u32_e32 v7, -1, v240
	v_add_u32_e32 v8, 0x330, v14
	v_add_u32_e32 v9, 16, v14
	v_mov_b64_e32 v[2:3], 0
	s_mov_b64 s[4:5], 0
	v_mov_b64_e32 v[4:5], 0
.LBB114_101:                            ; =>This Inner Loop Header: Depth=1
	scratch_load_dwordx4 v[10:13], v9, off
	ds_read_b128 v[16:19], v8
	v_add_u32_e32 v7, 1, v7
	v_cmp_lt_u32_e32 vcc, 20, v7
	v_add_u32_e32 v8, 16, v8
	v_add_u32_e32 v9, 16, v9
	s_or_b64 s[4:5], vcc, s[4:5]
	s_waitcnt vmcnt(0) lgkmcnt(0)
	v_mul_f64 v[20:21], v[18:19], v[12:13]
	v_mul_f64 v[12:13], v[16:17], v[12:13]
	v_fma_f64 v[16:17], v[16:17], v[10:11], -v[20:21]
	v_fmac_f64_e32 v[12:13], v[18:19], v[10:11]
	v_add_f64 v[4:5], v[4:5], v[16:17]
	v_add_f64 v[2:3], v[2:3], v[12:13]
	s_andn2_b64 exec, exec, s[4:5]
	s_cbranch_execnz .LBB114_101
; %bb.102:
	s_or_b64 exec, exec, s[4:5]
	v_mov_b32_e32 v0, 0
	ds_read_b128 v[8:11], v0 offset:352
	s_waitcnt lgkmcnt(0)
	v_mul_f64 v[16:17], v[2:3], v[10:11]
	v_mul_f64 v[12:13], v[4:5], v[10:11]
	v_fma_f64 v[10:11], v[4:5], v[8:9], -v[16:17]
	v_fmac_f64_e32 v[12:13], v[2:3], v[8:9]
	scratch_store_dwordx4 off, v[10:13], off offset:368
.LBB114_103:
	s_or_b64 exec, exec, s[0:1]
	; wave barrier
	scratch_load_dwordx4 v[2:5], off, s44
	v_cmp_gt_u32_e32 vcc, 23, v240
	s_waitcnt vmcnt(0)
	ds_write_b128 v1, v[2:5]
	s_waitcnt lgkmcnt(0)
	; wave barrier
	s_and_saveexec_b64 s[0:1], vcc
	s_cbranch_execz .LBB114_107
; %bb.104:
	v_add_u32_e32 v7, -1, v240
	v_add_u32_e32 v8, 0x330, v14
	v_add_u32_e32 v9, 16, v14
	v_mov_b64_e32 v[2:3], 0
	s_mov_b64 s[4:5], 0
	v_mov_b64_e32 v[4:5], 0
.LBB114_105:                            ; =>This Inner Loop Header: Depth=1
	scratch_load_dwordx4 v[10:13], v9, off
	ds_read_b128 v[16:19], v8
	v_add_u32_e32 v7, 1, v7
	v_cmp_lt_u32_e32 vcc, 21, v7
	v_add_u32_e32 v8, 16, v8
	v_add_u32_e32 v9, 16, v9
	s_or_b64 s[4:5], vcc, s[4:5]
	s_waitcnt vmcnt(0) lgkmcnt(0)
	v_mul_f64 v[20:21], v[18:19], v[12:13]
	v_mul_f64 v[12:13], v[16:17], v[12:13]
	v_fma_f64 v[16:17], v[16:17], v[10:11], -v[20:21]
	v_fmac_f64_e32 v[12:13], v[18:19], v[10:11]
	v_add_f64 v[4:5], v[4:5], v[16:17]
	v_add_f64 v[2:3], v[2:3], v[12:13]
	s_andn2_b64 exec, exec, s[4:5]
	s_cbranch_execnz .LBB114_105
; %bb.106:
	s_or_b64 exec, exec, s[4:5]
	v_mov_b32_e32 v0, 0
	ds_read_b128 v[8:11], v0 offset:368
	s_waitcnt lgkmcnt(0)
	v_mul_f64 v[16:17], v[2:3], v[10:11]
	v_mul_f64 v[12:13], v[4:5], v[10:11]
	v_fma_f64 v[10:11], v[4:5], v[8:9], -v[16:17]
	v_fmac_f64_e32 v[12:13], v[2:3], v[8:9]
	scratch_store_dwordx4 off, v[10:13], off offset:384
.LBB114_107:
	s_or_b64 exec, exec, s[0:1]
	; wave barrier
	scratch_load_dwordx4 v[2:5], off, s43
	v_cmp_gt_u32_e32 vcc, 24, v240
	;; [unrolled: 45-line block ×27, first 2 shown]
	s_waitcnt vmcnt(0)
	ds_write_b128 v1, v[2:5]
	s_waitcnt lgkmcnt(0)
	; wave barrier
	s_and_saveexec_b64 s[0:1], vcc
	s_cbranch_execz .LBB114_211
; %bb.208:
	v_add_u32_e32 v7, -1, v240
	v_add_u32_e32 v8, 0x330, v14
	v_add_u32_e32 v9, 16, v14
	v_mov_b64_e32 v[2:3], 0
	s_mov_b64 s[4:5], 0
	v_mov_b64_e32 v[4:5], 0
.LBB114_209:                            ; =>This Inner Loop Header: Depth=1
	scratch_load_dwordx4 v[10:13], v9, off
	ds_read_b128 v[16:19], v8
	v_add_u32_e32 v7, 1, v7
	v_cmp_lt_u32_e32 vcc, 47, v7
	v_add_u32_e32 v8, 16, v8
	v_add_u32_e32 v9, 16, v9
	s_or_b64 s[4:5], vcc, s[4:5]
	s_waitcnt vmcnt(0) lgkmcnt(0)
	v_mul_f64 v[20:21], v[18:19], v[12:13]
	v_mul_f64 v[12:13], v[16:17], v[12:13]
	v_fma_f64 v[16:17], v[16:17], v[10:11], -v[20:21]
	v_fmac_f64_e32 v[12:13], v[18:19], v[10:11]
	v_add_f64 v[4:5], v[4:5], v[16:17]
	v_add_f64 v[2:3], v[2:3], v[12:13]
	s_andn2_b64 exec, exec, s[4:5]
	s_cbranch_execnz .LBB114_209
; %bb.210:
	s_or_b64 exec, exec, s[4:5]
	v_mov_b32_e32 v0, 0
	ds_read_b128 v[8:11], v0 offset:784
	s_waitcnt lgkmcnt(0)
	v_mul_f64 v[16:17], v[2:3], v[10:11]
	v_mul_f64 v[12:13], v[4:5], v[10:11]
	v_fma_f64 v[10:11], v[4:5], v[8:9], -v[16:17]
	v_fmac_f64_e32 v[12:13], v[2:3], v[8:9]
	scratch_store_dwordx4 off, v[10:13], off offset:800
.LBB114_211:
	s_or_b64 exec, exec, s[0:1]
	; wave barrier
	scratch_load_dwordx4 v[2:5], off, s16
	v_cmp_ne_u32_e32 vcc, 50, v240
	s_waitcnt vmcnt(0)
	ds_write_b128 v1, v[2:5]
	s_waitcnt lgkmcnt(0)
	; wave barrier
	s_and_saveexec_b64 s[0:1], vcc
	s_cbranch_execz .LBB114_215
; %bb.212:
	v_add_u32_e32 v1, 0x330, v14
	v_add_u32_e32 v7, 16, v14
	v_mov_b64_e32 v[2:3], 0
	s_mov_b64 s[4:5], 0
	v_mov_b64_e32 v[4:5], 0
.LBB114_213:                            ; =>This Inner Loop Header: Depth=1
	scratch_load_dwordx4 v[8:11], v7, off
	ds_read_b128 v[12:15], v1
	v_add_u32_e32 v6, 1, v6
	v_cmp_lt_u32_e32 vcc, 48, v6
	v_add_u32_e32 v1, 16, v1
	v_add_u32_e32 v7, 16, v7
	s_or_b64 s[4:5], vcc, s[4:5]
	s_waitcnt vmcnt(0) lgkmcnt(0)
	v_mul_f64 v[16:17], v[14:15], v[10:11]
	v_mul_f64 v[10:11], v[12:13], v[10:11]
	v_fma_f64 v[12:13], v[12:13], v[8:9], -v[16:17]
	v_fmac_f64_e32 v[10:11], v[14:15], v[8:9]
	v_add_f64 v[4:5], v[4:5], v[12:13]
	v_add_f64 v[2:3], v[2:3], v[10:11]
	s_andn2_b64 exec, exec, s[4:5]
	s_cbranch_execnz .LBB114_213
; %bb.214:
	s_or_b64 exec, exec, s[4:5]
	v_mov_b32_e32 v0, 0
	ds_read_b128 v[6:9], v0 offset:800
	s_waitcnt lgkmcnt(0)
	v_mul_f64 v[12:13], v[2:3], v[8:9]
	v_mul_f64 v[10:11], v[4:5], v[8:9]
	v_fma_f64 v[8:9], v[4:5], v[6:7], -v[12:13]
	v_fmac_f64_e32 v[10:11], v[2:3], v[6:7]
	scratch_store_dwordx4 off, v[8:11], off offset:816
.LBB114_215:
	s_or_b64 exec, exec, s[0:1]
	s_mov_b64 s[4:5], -1
	; wave barrier
.LBB114_216:
	s_and_b64 vcc, exec, s[4:5]
	s_cbranch_vccz .LBB114_218
; %bb.217:
	s_lshl_b64 s[0:1], s[2:3], 2
	s_add_u32 s0, s6, s0
	s_addc_u32 s1, s7, s1
	v_mov_b32_e32 v0, 0
	global_load_dword v0, v0, s[0:1]
	s_waitcnt vmcnt(0)
	v_cmp_ne_u32_e32 vcc, 0, v0
	s_cbranch_vccz .LBB114_219
.LBB114_218:
	s_endpgm
.LBB114_219:
	v_mov_b32_e32 v0, 0x330
	v_lshl_add_u32 v0, v240, 4, v0
	v_accvgpr_write_b32 a103, v0
	v_cmp_eq_u32_e32 vcc, 50, v240
	s_and_saveexec_b64 s[0:1], vcc
	s_cbranch_execz .LBB114_221
; %bb.220:
	scratch_load_dwordx4 v[2:5], off, s17
	v_mov_b32_e32 v6, 0
	v_mov_b32_e32 v7, v6
	v_mov_b32_e32 v8, v6
	v_mov_b32_e32 v9, v6
	v_accvgpr_read_b32 v0, a103
	scratch_store_dwordx4 off, v[6:9], off offset:800
	s_waitcnt vmcnt(1)
	ds_write_b128 v0, v[2:5]
.LBB114_221:
	s_or_b64 exec, exec, s[0:1]
	s_waitcnt lgkmcnt(0)
	; wave barrier
	scratch_load_dwordx4 v[4:7], off, off offset:816
	scratch_load_dwordx4 v[8:11], off, off offset:800
	v_mov_b32_e32 v2, 0
	ds_read_b128 v[12:15], v2 offset:1616
	v_cmp_lt_u32_e32 vcc, 48, v240
	s_waitcnt vmcnt(1) lgkmcnt(0)
	v_mul_f64 v[16:17], v[12:13], v[6:7]
	v_mul_f64 v[6:7], v[14:15], v[6:7]
	v_fmac_f64_e32 v[16:17], v[14:15], v[4:5]
	v_fma_f64 v[4:5], v[12:13], v[4:5], -v[6:7]
	v_add_f64 v[6:7], v[16:17], 0
	v_add_f64 v[4:5], v[4:5], 0
	s_waitcnt vmcnt(0)
	v_add_f64 v[4:5], v[8:9], -v[4:5]
	v_add_f64 v[6:7], v[10:11], -v[6:7]
	scratch_store_dwordx4 off, v[4:7], off offset:800
	s_and_saveexec_b64 s[0:1], vcc
	s_cbranch_execz .LBB114_223
; %bb.222:
	scratch_load_dwordx4 v[6:9], off, s18
	v_mov_b32_e32 v3, v2
	v_mov_b32_e32 v4, v2
	;; [unrolled: 1-line block ×3, first 2 shown]
	v_accvgpr_read_b32 v0, a103
	scratch_store_dwordx4 off, v[2:5], off offset:784
	s_waitcnt vmcnt(1)
	ds_write_b128 v0, v[6:9]
.LBB114_223:
	s_or_b64 exec, exec, s[0:1]
	s_waitcnt lgkmcnt(0)
	; wave barrier
	ds_read_b128 v[4:7], v2 offset:1600
	ds_read_b128 v[8:11], v2 offset:1616
	scratch_load_dwordx4 v[12:15], off, off offset:800
	scratch_load_dwordx4 v[16:19], off, off offset:816
	v_cmp_lt_u32_e32 vcc, 47, v240
	s_waitcnt vmcnt(1) lgkmcnt(1)
	v_mul_f64 v[2:3], v[4:5], v[14:15]
	v_fmac_f64_e32 v[2:3], v[6:7], v[12:13]
	s_waitcnt vmcnt(0) lgkmcnt(0)
	v_mul_f64 v[20:21], v[8:9], v[18:19]
	v_add_f64 v[2:3], v[2:3], 0
	v_fmac_f64_e32 v[20:21], v[10:11], v[16:17]
	v_add_f64 v[20:21], v[2:3], v[20:21]
	v_mul_f64 v[2:3], v[6:7], v[14:15]
	v_fma_f64 v[2:3], v[4:5], v[12:13], -v[2:3]
	v_mul_f64 v[4:5], v[10:11], v[18:19]
	v_add_f64 v[2:3], v[2:3], 0
	v_fma_f64 v[4:5], v[8:9], v[16:17], -v[4:5]
	v_add_f64 v[6:7], v[2:3], v[4:5]
	scratch_load_dwordx4 v[2:5], off, off offset:784
	s_waitcnt vmcnt(0)
	v_add_f64 v[2:3], v[2:3], -v[6:7]
	v_add_f64 v[4:5], v[4:5], -v[20:21]
	scratch_store_dwordx4 off, v[2:5], off offset:784
	s_and_saveexec_b64 s[0:1], vcc
	s_cbranch_execz .LBB114_225
; %bb.224:
	scratch_load_dwordx4 v[2:5], off, s19
	v_mov_b32_e32 v6, 0
	v_mov_b32_e32 v7, v6
	;; [unrolled: 1-line block ×4, first 2 shown]
	v_accvgpr_read_b32 v0, a103
	scratch_store_dwordx4 off, v[6:9], off offset:768
	s_waitcnt vmcnt(1)
	ds_write_b128 v0, v[2:5]
.LBB114_225:
	s_or_b64 exec, exec, s[0:1]
	s_waitcnt lgkmcnt(0)
	; wave barrier
	scratch_load_dwordx4 v[4:7], off, off offset:784
	scratch_load_dwordx4 v[8:11], off, off offset:800
	scratch_load_dwordx4 v[12:15], off, off offset:816
	scratch_load_dwordx4 v[16:19], off, off offset:768
	v_mov_b32_e32 v2, 0
	ds_read_b128 v[20:23], v2 offset:1584
	ds_read_b128 v[24:27], v2 offset:1600
	;; [unrolled: 1-line block ×3, first 2 shown]
	v_cmp_lt_u32_e32 vcc, 46, v240
	s_waitcnt vmcnt(3) lgkmcnt(2)
	v_mul_f64 v[32:33], v[20:21], v[6:7]
	v_mul_f64 v[6:7], v[22:23], v[6:7]
	s_waitcnt vmcnt(2) lgkmcnt(1)
	v_mul_f64 v[34:35], v[24:25], v[10:11]
	v_mul_f64 v[10:11], v[26:27], v[10:11]
	v_fmac_f64_e32 v[32:33], v[22:23], v[4:5]
	v_fma_f64 v[4:5], v[20:21], v[4:5], -v[6:7]
	s_waitcnt vmcnt(1) lgkmcnt(0)
	v_mul_f64 v[36:37], v[28:29], v[14:15]
	v_mul_f64 v[14:15], v[30:31], v[14:15]
	v_fmac_f64_e32 v[34:35], v[26:27], v[8:9]
	v_fma_f64 v[6:7], v[24:25], v[8:9], -v[10:11]
	v_add_f64 v[10:11], v[32:33], 0
	v_add_f64 v[4:5], v[4:5], 0
	v_fmac_f64_e32 v[36:37], v[30:31], v[12:13]
	v_fma_f64 v[8:9], v[28:29], v[12:13], -v[14:15]
	v_add_f64 v[10:11], v[10:11], v[34:35]
	v_add_f64 v[4:5], v[4:5], v[6:7]
	;; [unrolled: 1-line block ×4, first 2 shown]
	s_waitcnt vmcnt(0)
	v_add_f64 v[4:5], v[16:17], -v[4:5]
	v_add_f64 v[6:7], v[18:19], -v[6:7]
	scratch_store_dwordx4 off, v[4:7], off offset:768
	s_and_saveexec_b64 s[0:1], vcc
	s_cbranch_execz .LBB114_227
; %bb.226:
	scratch_load_dwordx4 v[6:9], off, s20
	v_mov_b32_e32 v3, v2
	v_mov_b32_e32 v4, v2
	;; [unrolled: 1-line block ×3, first 2 shown]
	v_accvgpr_read_b32 v0, a103
	scratch_store_dwordx4 off, v[2:5], off offset:752
	s_waitcnt vmcnt(1)
	ds_write_b128 v0, v[6:9]
.LBB114_227:
	s_or_b64 exec, exec, s[0:1]
	s_waitcnt lgkmcnt(0)
	; wave barrier
	scratch_load_dwordx4 v[4:7], off, off offset:768
	scratch_load_dwordx4 v[8:11], off, off offset:784
	scratch_load_dwordx4 v[12:15], off, off offset:800
	scratch_load_dwordx4 v[16:19], off, off offset:816
	scratch_load_dwordx4 v[20:23], off, off offset:752
	ds_read_b128 v[24:27], v2 offset:1568
	ds_read_b128 v[28:31], v2 offset:1584
	;; [unrolled: 1-line block ×4, first 2 shown]
	v_cmp_lt_u32_e32 vcc, 45, v240
	s_waitcnt vmcnt(4) lgkmcnt(3)
	v_mul_f64 v[2:3], v[24:25], v[6:7]
	v_mul_f64 v[6:7], v[26:27], v[6:7]
	s_waitcnt vmcnt(3) lgkmcnt(2)
	v_mul_f64 v[40:41], v[28:29], v[10:11]
	v_mul_f64 v[10:11], v[30:31], v[10:11]
	v_fmac_f64_e32 v[2:3], v[26:27], v[4:5]
	v_fma_f64 v[4:5], v[24:25], v[4:5], -v[6:7]
	s_waitcnt vmcnt(2) lgkmcnt(1)
	v_mul_f64 v[42:43], v[32:33], v[14:15]
	v_mul_f64 v[14:15], v[34:35], v[14:15]
	v_fmac_f64_e32 v[40:41], v[30:31], v[8:9]
	v_fma_f64 v[6:7], v[28:29], v[8:9], -v[10:11]
	v_add_f64 v[2:3], v[2:3], 0
	v_add_f64 v[4:5], v[4:5], 0
	s_waitcnt vmcnt(1) lgkmcnt(0)
	v_mul_f64 v[44:45], v[36:37], v[18:19]
	v_mul_f64 v[18:19], v[38:39], v[18:19]
	v_fmac_f64_e32 v[42:43], v[34:35], v[12:13]
	v_fma_f64 v[8:9], v[32:33], v[12:13], -v[14:15]
	v_add_f64 v[2:3], v[2:3], v[40:41]
	v_add_f64 v[4:5], v[4:5], v[6:7]
	v_fmac_f64_e32 v[44:45], v[38:39], v[16:17]
	v_fma_f64 v[10:11], v[36:37], v[16:17], -v[18:19]
	v_add_f64 v[2:3], v[2:3], v[42:43]
	v_add_f64 v[4:5], v[4:5], v[8:9]
	;; [unrolled: 1-line block ×4, first 2 shown]
	s_waitcnt vmcnt(0)
	v_add_f64 v[2:3], v[20:21], -v[2:3]
	v_add_f64 v[4:5], v[22:23], -v[6:7]
	scratch_store_dwordx4 off, v[2:5], off offset:752
	s_and_saveexec_b64 s[0:1], vcc
	s_cbranch_execz .LBB114_229
; %bb.228:
	scratch_load_dwordx4 v[2:5], off, s21
	v_mov_b32_e32 v6, 0
	v_mov_b32_e32 v7, v6
	;; [unrolled: 1-line block ×4, first 2 shown]
	v_accvgpr_read_b32 v0, a103
	scratch_store_dwordx4 off, v[6:9], off offset:736
	s_waitcnt vmcnt(1)
	ds_write_b128 v0, v[2:5]
.LBB114_229:
	s_or_b64 exec, exec, s[0:1]
	s_waitcnt lgkmcnt(0)
	; wave barrier
	scratch_load_dwordx4 v[4:7], off, off offset:752
	scratch_load_dwordx4 v[8:11], off, off offset:768
	;; [unrolled: 1-line block ×6, first 2 shown]
	v_mov_b32_e32 v2, 0
	ds_read_b128 v[28:31], v2 offset:1552
	ds_read_b128 v[32:35], v2 offset:1568
	;; [unrolled: 1-line block ×5, first 2 shown]
	v_cmp_lt_u32_e32 vcc, 44, v240
	s_waitcnt vmcnt(5) lgkmcnt(4)
	v_mul_f64 v[48:49], v[28:29], v[6:7]
	v_mul_f64 v[6:7], v[30:31], v[6:7]
	s_waitcnt vmcnt(4) lgkmcnt(3)
	v_mul_f64 v[50:51], v[32:33], v[10:11]
	s_waitcnt vmcnt(3) lgkmcnt(2)
	v_mul_f64 v[52:53], v[36:37], v[14:15]
	v_mul_f64 v[10:11], v[34:35], v[10:11]
	;; [unrolled: 1-line block ×3, first 2 shown]
	v_fmac_f64_e32 v[48:49], v[30:31], v[4:5]
	v_fma_f64 v[4:5], v[28:29], v[4:5], -v[6:7]
	v_fmac_f64_e32 v[50:51], v[34:35], v[8:9]
	v_fma_f64 v[6:7], v[32:33], v[8:9], -v[10:11]
	v_fma_f64 v[8:9], v[36:37], v[12:13], -v[14:15]
	v_add_f64 v[14:15], v[48:49], 0
	v_add_f64 v[4:5], v[4:5], 0
	s_waitcnt vmcnt(2) lgkmcnt(1)
	v_mul_f64 v[54:55], v[40:41], v[18:19]
	v_mul_f64 v[18:19], v[42:43], v[18:19]
	v_fmac_f64_e32 v[52:53], v[38:39], v[12:13]
	v_add_f64 v[14:15], v[14:15], v[50:51]
	v_add_f64 v[4:5], v[4:5], v[6:7]
	s_waitcnt vmcnt(1) lgkmcnt(0)
	v_mul_f64 v[56:57], v[44:45], v[22:23]
	v_mul_f64 v[22:23], v[46:47], v[22:23]
	v_fmac_f64_e32 v[54:55], v[42:43], v[16:17]
	v_fma_f64 v[10:11], v[40:41], v[16:17], -v[18:19]
	v_add_f64 v[6:7], v[14:15], v[52:53]
	v_add_f64 v[4:5], v[4:5], v[8:9]
	v_fmac_f64_e32 v[56:57], v[46:47], v[20:21]
	v_fma_f64 v[12:13], v[44:45], v[20:21], -v[22:23]
	v_add_f64 v[6:7], v[6:7], v[54:55]
	v_add_f64 v[4:5], v[4:5], v[10:11]
	;; [unrolled: 1-line block ×4, first 2 shown]
	s_waitcnt vmcnt(0)
	v_add_f64 v[4:5], v[24:25], -v[4:5]
	v_add_f64 v[6:7], v[26:27], -v[6:7]
	scratch_store_dwordx4 off, v[4:7], off offset:736
	s_and_saveexec_b64 s[0:1], vcc
	s_cbranch_execz .LBB114_231
; %bb.230:
	scratch_load_dwordx4 v[6:9], off, s22
	v_mov_b32_e32 v3, v2
	v_mov_b32_e32 v4, v2
	;; [unrolled: 1-line block ×3, first 2 shown]
	v_accvgpr_read_b32 v0, a103
	scratch_store_dwordx4 off, v[2:5], off offset:720
	s_waitcnt vmcnt(1)
	ds_write_b128 v0, v[6:9]
.LBB114_231:
	s_or_b64 exec, exec, s[0:1]
	s_waitcnt lgkmcnt(0)
	; wave barrier
	ds_read_b128 v[4:7], v2 offset:1536
	ds_read_b128 v[8:11], v2 offset:1552
	;; [unrolled: 1-line block ×4, first 2 shown]
	scratch_load_dwordx4 v[20:23], off, off offset:736
	scratch_load_dwordx4 v[40:43], off, off offset:800
	v_cmp_lt_u32_e32 vcc, 43, v240
	scratch_load_dwordx4 v[48:51], off, off offset:816
	s_waitcnt vmcnt(2) lgkmcnt(3)
	v_mul_f64 v[24:25], v[4:5], v[22:23]
	v_fmac_f64_e32 v[24:25], v[6:7], v[20:21]
	v_add_f64 v[28:29], v[24:25], 0
	scratch_load_dwordx4 v[24:27], off, off offset:752
	s_waitcnt vmcnt(0) lgkmcnt(2)
	v_mul_f64 v[30:31], v[8:9], v[26:27]
	v_fmac_f64_e32 v[30:31], v[10:11], v[24:25]
	v_add_f64 v[32:33], v[28:29], v[30:31]
	scratch_load_dwordx4 v[28:31], off, off offset:768
	s_waitcnt vmcnt(0) lgkmcnt(1)
	v_mul_f64 v[34:35], v[12:13], v[30:31]
	v_fmac_f64_e32 v[34:35], v[14:15], v[28:29]
	v_add_f64 v[36:37], v[32:33], v[34:35]
	scratch_load_dwordx4 v[32:35], off, off offset:784
	s_waitcnt vmcnt(0) lgkmcnt(0)
	v_mul_f64 v[38:39], v[16:17], v[34:35]
	v_fmac_f64_e32 v[38:39], v[18:19], v[32:33]
	v_add_f64 v[44:45], v[36:37], v[38:39]
	ds_read_b128 v[36:39], v2 offset:1600
	s_waitcnt lgkmcnt(0)
	v_mul_f64 v[46:47], v[36:37], v[42:43]
	v_fmac_f64_e32 v[46:47], v[38:39], v[40:41]
	v_add_f64 v[52:53], v[44:45], v[46:47]
	ds_read_b128 v[44:47], v2 offset:1616
	s_waitcnt lgkmcnt(0)
	v_mul_f64 v[2:3], v[44:45], v[50:51]
	v_fmac_f64_e32 v[2:3], v[46:47], v[48:49]
	v_add_f64 v[52:53], v[52:53], v[2:3]
	v_mul_f64 v[2:3], v[6:7], v[22:23]
	v_fma_f64 v[2:3], v[4:5], v[20:21], -v[2:3]
	v_mul_f64 v[4:5], v[10:11], v[26:27]
	v_add_f64 v[2:3], v[2:3], 0
	v_fma_f64 v[4:5], v[8:9], v[24:25], -v[4:5]
	v_add_f64 v[2:3], v[2:3], v[4:5]
	v_mul_f64 v[4:5], v[14:15], v[30:31]
	v_fma_f64 v[4:5], v[12:13], v[28:29], -v[4:5]
	v_add_f64 v[2:3], v[2:3], v[4:5]
	v_mul_f64 v[4:5], v[18:19], v[34:35]
	;; [unrolled: 3-line block ×4, first 2 shown]
	v_fma_f64 v[4:5], v[44:45], v[48:49], -v[4:5]
	v_add_f64 v[6:7], v[2:3], v[4:5]
	scratch_load_dwordx4 v[2:5], off, off offset:720
	s_waitcnt vmcnt(0)
	v_add_f64 v[2:3], v[2:3], -v[6:7]
	v_add_f64 v[4:5], v[4:5], -v[52:53]
	scratch_store_dwordx4 off, v[2:5], off offset:720
	s_and_saveexec_b64 s[0:1], vcc
	s_cbranch_execz .LBB114_233
; %bb.232:
	scratch_load_dwordx4 v[2:5], off, s23
	v_mov_b32_e32 v6, 0
	v_mov_b32_e32 v7, v6
	;; [unrolled: 1-line block ×4, first 2 shown]
	v_accvgpr_read_b32 v0, a103
	scratch_store_dwordx4 off, v[6:9], off offset:704
	s_waitcnt vmcnt(1)
	ds_write_b128 v0, v[2:5]
.LBB114_233:
	s_or_b64 exec, exec, s[0:1]
	v_mov_b32_e32 v2, 0
	s_waitcnt lgkmcnt(0)
	; wave barrier
	ds_read_b128 v[4:7], v2 offset:1520
	ds_read_b128 v[8:11], v2 offset:1536
	;; [unrolled: 1-line block ×4, first 2 shown]
	scratch_load_dwordx4 v[20:23], off, off offset:720
	scratch_load_dwordx4 v[40:43], off, off offset:784
	v_cmp_lt_u32_e32 vcc, 42, v240
	scratch_load_dwordx4 v[48:51], off, off offset:800
	scratch_load_dwordx4 v[56:59], off, off offset:816
	s_waitcnt vmcnt(3) lgkmcnt(3)
	v_mul_f64 v[24:25], v[4:5], v[22:23]
	v_fmac_f64_e32 v[24:25], v[6:7], v[20:21]
	v_add_f64 v[28:29], v[24:25], 0
	scratch_load_dwordx4 v[24:27], off, off offset:736
	v_mul_f64 v[6:7], v[6:7], v[22:23]
	v_fma_f64 v[4:5], v[4:5], v[20:21], -v[6:7]
	v_add_f64 v[4:5], v[4:5], 0
	s_waitcnt vmcnt(0) lgkmcnt(2)
	v_mul_f64 v[30:31], v[8:9], v[26:27]
	v_fmac_f64_e32 v[30:31], v[10:11], v[24:25]
	v_add_f64 v[32:33], v[28:29], v[30:31]
	scratch_load_dwordx4 v[28:31], off, off offset:752
	v_mul_f64 v[6:7], v[10:11], v[26:27]
	v_fma_f64 v[6:7], v[8:9], v[24:25], -v[6:7]
	v_add_f64 v[4:5], v[4:5], v[6:7]
	;; [unrolled: 8-line block ×3, first 2 shown]
	s_waitcnt vmcnt(0) lgkmcnt(0)
	v_mul_f64 v[38:39], v[16:17], v[34:35]
	v_fmac_f64_e32 v[38:39], v[18:19], v[32:33]
	v_add_f64 v[44:45], v[36:37], v[38:39]
	ds_read_b128 v[36:39], v2 offset:1584
	v_mul_f64 v[6:7], v[18:19], v[34:35]
	v_fma_f64 v[6:7], v[16:17], v[32:33], -v[6:7]
	v_add_f64 v[4:5], v[4:5], v[6:7]
	s_waitcnt lgkmcnt(0)
	v_mul_f64 v[46:47], v[36:37], v[42:43]
	v_fmac_f64_e32 v[46:47], v[38:39], v[40:41]
	v_add_f64 v[52:53], v[44:45], v[46:47]
	ds_read_b128 v[44:47], v2 offset:1600
	v_mul_f64 v[6:7], v[38:39], v[42:43]
	v_fma_f64 v[6:7], v[36:37], v[40:41], -v[6:7]
	v_add_f64 v[4:5], v[4:5], v[6:7]
	s_waitcnt lgkmcnt(0)
	;; [unrolled: 8-line block ×3, first 2 shown]
	v_mul_f64 v[6:7], v[54:55], v[58:59]
	v_fma_f64 v[6:7], v[52:53], v[56:57], -v[6:7]
	v_add_f64 v[8:9], v[4:5], v[6:7]
	scratch_load_dwordx4 v[4:7], off, off offset:704
	v_mul_f64 v[62:63], v[52:53], v[58:59]
	v_fmac_f64_e32 v[62:63], v[54:55], v[56:57]
	v_add_f64 v[60:61], v[60:61], v[62:63]
	s_waitcnt vmcnt(0)
	v_add_f64 v[4:5], v[4:5], -v[8:9]
	v_add_f64 v[6:7], v[6:7], -v[60:61]
	scratch_store_dwordx4 off, v[4:7], off offset:704
	s_and_saveexec_b64 s[0:1], vcc
	s_cbranch_execz .LBB114_235
; %bb.234:
	scratch_load_dwordx4 v[6:9], off, s24
	v_mov_b32_e32 v3, v2
	v_mov_b32_e32 v4, v2
	v_mov_b32_e32 v5, v2
	v_accvgpr_read_b32 v0, a103
	scratch_store_dwordx4 off, v[2:5], off offset:688
	s_waitcnt vmcnt(1)
	ds_write_b128 v0, v[6:9]
.LBB114_235:
	s_or_b64 exec, exec, s[0:1]
	s_waitcnt lgkmcnt(0)
	; wave barrier
	scratch_load_dwordx4 v[4:7], off, off offset:704
	scratch_load_dwordx4 v[8:11], off, off offset:720
	scratch_load_dwordx4 v[12:15], off, off offset:736
	scratch_load_dwordx4 v[16:19], off, off offset:752
	scratch_load_dwordx4 v[20:23], off, off offset:768
	scratch_load_dwordx4 v[24:27], off, off offset:784
	scratch_load_dwordx4 v[28:31], off, off offset:800
	scratch_load_dwordx4 v[32:35], off, off offset:816
	scratch_load_dwordx4 v[36:39], off, off offset:688
	ds_read_b128 v[40:43], v2 offset:1504
	ds_read_b128 v[44:47], v2 offset:1520
	;; [unrolled: 1-line block ×8, first 2 shown]
	v_cmp_lt_u32_e32 vcc, 41, v240
	s_waitcnt vmcnt(8) lgkmcnt(7)
	v_mul_f64 v[2:3], v[40:41], v[6:7]
	v_mul_f64 v[6:7], v[42:43], v[6:7]
	s_waitcnt vmcnt(7) lgkmcnt(6)
	v_mul_f64 v[72:73], v[44:45], v[10:11]
	v_mul_f64 v[10:11], v[46:47], v[10:11]
	v_fmac_f64_e32 v[2:3], v[42:43], v[4:5]
	v_fma_f64 v[4:5], v[40:41], v[4:5], -v[6:7]
	s_waitcnt vmcnt(6) lgkmcnt(5)
	v_mul_f64 v[74:75], v[48:49], v[14:15]
	v_mul_f64 v[14:15], v[50:51], v[14:15]
	v_fmac_f64_e32 v[72:73], v[46:47], v[8:9]
	v_fma_f64 v[6:7], v[44:45], v[8:9], -v[10:11]
	v_add_f64 v[2:3], v[2:3], 0
	v_add_f64 v[4:5], v[4:5], 0
	s_waitcnt vmcnt(5) lgkmcnt(4)
	v_mul_f64 v[76:77], v[52:53], v[18:19]
	v_mul_f64 v[18:19], v[54:55], v[18:19]
	v_fmac_f64_e32 v[74:75], v[50:51], v[12:13]
	v_fma_f64 v[8:9], v[48:49], v[12:13], -v[14:15]
	v_add_f64 v[2:3], v[2:3], v[72:73]
	v_add_f64 v[4:5], v[4:5], v[6:7]
	s_waitcnt vmcnt(4) lgkmcnt(3)
	v_mul_f64 v[78:79], v[56:57], v[22:23]
	v_mul_f64 v[22:23], v[58:59], v[22:23]
	v_fmac_f64_e32 v[76:77], v[54:55], v[16:17]
	v_fma_f64 v[10:11], v[52:53], v[16:17], -v[18:19]
	v_add_f64 v[2:3], v[2:3], v[74:75]
	v_add_f64 v[4:5], v[4:5], v[8:9]
	s_waitcnt vmcnt(3) lgkmcnt(2)
	v_mul_f64 v[80:81], v[60:61], v[26:27]
	v_mul_f64 v[26:27], v[62:63], v[26:27]
	v_fmac_f64_e32 v[78:79], v[58:59], v[20:21]
	v_fma_f64 v[12:13], v[56:57], v[20:21], -v[22:23]
	v_add_f64 v[2:3], v[2:3], v[76:77]
	v_add_f64 v[4:5], v[4:5], v[10:11]
	s_waitcnt vmcnt(2) lgkmcnt(1)
	v_mul_f64 v[82:83], v[64:65], v[30:31]
	v_mul_f64 v[30:31], v[66:67], v[30:31]
	v_fmac_f64_e32 v[80:81], v[62:63], v[24:25]
	v_fma_f64 v[14:15], v[60:61], v[24:25], -v[26:27]
	v_add_f64 v[2:3], v[2:3], v[78:79]
	v_add_f64 v[4:5], v[4:5], v[12:13]
	s_waitcnt vmcnt(1) lgkmcnt(0)
	v_mul_f64 v[84:85], v[68:69], v[34:35]
	v_mul_f64 v[34:35], v[70:71], v[34:35]
	v_fmac_f64_e32 v[82:83], v[66:67], v[28:29]
	v_fma_f64 v[16:17], v[64:65], v[28:29], -v[30:31]
	v_add_f64 v[2:3], v[2:3], v[80:81]
	v_add_f64 v[4:5], v[4:5], v[14:15]
	v_fmac_f64_e32 v[84:85], v[70:71], v[32:33]
	v_fma_f64 v[18:19], v[68:69], v[32:33], -v[34:35]
	v_add_f64 v[2:3], v[2:3], v[82:83]
	v_add_f64 v[4:5], v[4:5], v[16:17]
	;; [unrolled: 1-line block ×4, first 2 shown]
	s_waitcnt vmcnt(0)
	v_add_f64 v[2:3], v[36:37], -v[2:3]
	v_add_f64 v[4:5], v[38:39], -v[6:7]
	scratch_store_dwordx4 off, v[2:5], off offset:688
	s_and_saveexec_b64 s[0:1], vcc
	s_cbranch_execz .LBB114_237
; %bb.236:
	scratch_load_dwordx4 v[2:5], off, s25
	v_mov_b32_e32 v6, 0
	v_mov_b32_e32 v7, v6
	;; [unrolled: 1-line block ×4, first 2 shown]
	v_accvgpr_read_b32 v0, a103
	scratch_store_dwordx4 off, v[6:9], off offset:672
	s_waitcnt vmcnt(1)
	ds_write_b128 v0, v[2:5]
.LBB114_237:
	s_or_b64 exec, exec, s[0:1]
	s_waitcnt lgkmcnt(0)
	; wave barrier
	scratch_load_dwordx4 v[4:7], off, off offset:688
	scratch_load_dwordx4 v[8:11], off, off offset:704
	;; [unrolled: 1-line block ×10, first 2 shown]
	v_mov_b32_e32 v2, 0
	ds_read_b128 v[44:47], v2 offset:1488
	ds_read_b128 v[48:51], v2 offset:1504
	ds_read_b128 v[52:55], v2 offset:1520
	ds_read_b128 v[56:59], v2 offset:1536
	ds_read_b128 v[60:63], v2 offset:1552
	ds_read_b128 v[64:67], v2 offset:1568
	ds_read_b128 v[68:71], v2 offset:1584
	ds_read_b128 v[72:75], v2 offset:1600
	ds_read_b128 v[76:79], v2 offset:1616
	v_cmp_lt_u32_e32 vcc, 40, v240
	s_waitcnt vmcnt(9) lgkmcnt(8)
	v_mul_f64 v[80:81], v[44:45], v[6:7]
	v_mul_f64 v[6:7], v[46:47], v[6:7]
	s_waitcnt vmcnt(8) lgkmcnt(7)
	v_mul_f64 v[82:83], v[48:49], v[10:11]
	s_waitcnt vmcnt(7) lgkmcnt(6)
	;; [unrolled: 2-line block ×3, first 2 shown]
	v_mul_f64 v[88:89], v[60:61], v[22:23]
	v_mul_f64 v[10:11], v[50:51], v[10:11]
	;; [unrolled: 1-line block ×4, first 2 shown]
	v_fmac_f64_e32 v[80:81], v[46:47], v[4:5]
	v_fma_f64 v[4:5], v[44:45], v[4:5], -v[6:7]
	v_fmac_f64_e32 v[82:83], v[50:51], v[8:9]
	v_fmac_f64_e32 v[84:85], v[54:55], v[12:13]
	v_fma_f64 v[6:7], v[48:49], v[8:9], -v[10:11]
	v_fma_f64 v[8:9], v[52:53], v[12:13], -v[14:15]
	;; [unrolled: 1-line block ×3, first 2 shown]
	v_add_f64 v[22:23], v[80:81], 0
	v_add_f64 v[4:5], v[4:5], 0
	v_mul_f64 v[86:87], v[56:57], v[18:19]
	v_mul_f64 v[18:19], v[58:59], v[18:19]
	v_add_f64 v[22:23], v[22:23], v[82:83]
	v_add_f64 v[4:5], v[4:5], v[6:7]
	v_fmac_f64_e32 v[86:87], v[58:59], v[16:17]
	v_fma_f64 v[10:11], v[56:57], v[16:17], -v[18:19]
	v_add_f64 v[6:7], v[22:23], v[84:85]
	v_add_f64 v[4:5], v[4:5], v[8:9]
	s_waitcnt vmcnt(4) lgkmcnt(3)
	v_mul_f64 v[90:91], v[64:65], v[26:27]
	v_mul_f64 v[26:27], v[66:67], v[26:27]
	v_fmac_f64_e32 v[88:89], v[62:63], v[20:21]
	v_add_f64 v[6:7], v[6:7], v[86:87]
	v_add_f64 v[4:5], v[4:5], v[10:11]
	s_waitcnt vmcnt(3) lgkmcnt(2)
	v_mul_f64 v[92:93], v[68:69], v[30:31]
	v_mul_f64 v[30:31], v[70:71], v[30:31]
	v_fmac_f64_e32 v[90:91], v[66:67], v[24:25]
	v_fma_f64 v[14:15], v[64:65], v[24:25], -v[26:27]
	v_add_f64 v[6:7], v[6:7], v[88:89]
	v_add_f64 v[4:5], v[4:5], v[12:13]
	s_waitcnt vmcnt(2) lgkmcnt(1)
	v_mul_f64 v[94:95], v[72:73], v[34:35]
	v_mul_f64 v[34:35], v[74:75], v[34:35]
	v_fmac_f64_e32 v[92:93], v[70:71], v[28:29]
	v_fma_f64 v[16:17], v[68:69], v[28:29], -v[30:31]
	;; [unrolled: 7-line block ×3, first 2 shown]
	v_add_f64 v[6:7], v[6:7], v[92:93]
	v_add_f64 v[4:5], v[4:5], v[16:17]
	v_fmac_f64_e32 v[96:97], v[78:79], v[36:37]
	v_fma_f64 v[20:21], v[76:77], v[36:37], -v[38:39]
	v_add_f64 v[6:7], v[6:7], v[94:95]
	v_add_f64 v[4:5], v[4:5], v[18:19]
	;; [unrolled: 1-line block ×4, first 2 shown]
	s_waitcnt vmcnt(0)
	v_add_f64 v[4:5], v[40:41], -v[4:5]
	v_add_f64 v[6:7], v[42:43], -v[6:7]
	scratch_store_dwordx4 off, v[4:7], off offset:672
	s_and_saveexec_b64 s[0:1], vcc
	s_cbranch_execz .LBB114_239
; %bb.238:
	scratch_load_dwordx4 v[6:9], off, s26
	v_mov_b32_e32 v3, v2
	v_mov_b32_e32 v4, v2
	v_mov_b32_e32 v5, v2
	v_accvgpr_read_b32 v0, a103
	scratch_store_dwordx4 off, v[2:5], off offset:656
	s_waitcnt vmcnt(1)
	ds_write_b128 v0, v[6:9]
.LBB114_239:
	s_or_b64 exec, exec, s[0:1]
	s_waitcnt lgkmcnt(0)
	; wave barrier
	scratch_load_dwordx4 v[4:7], off, off offset:672
	scratch_load_dwordx4 v[8:11], off, off offset:688
	;; [unrolled: 1-line block ×11, first 2 shown]
	ds_read_b128 v[48:51], v2 offset:1472
	ds_read_b128 v[52:55], v2 offset:1488
	;; [unrolled: 1-line block ×10, first 2 shown]
	v_cmp_lt_u32_e32 vcc, 39, v240
	s_waitcnt vmcnt(10) lgkmcnt(9)
	v_mul_f64 v[2:3], v[48:49], v[6:7]
	v_mul_f64 v[6:7], v[50:51], v[6:7]
	s_waitcnt vmcnt(9) lgkmcnt(8)
	v_mul_f64 v[88:89], v[52:53], v[10:11]
	v_mul_f64 v[10:11], v[54:55], v[10:11]
	v_fmac_f64_e32 v[2:3], v[50:51], v[4:5]
	v_fma_f64 v[4:5], v[48:49], v[4:5], -v[6:7]
	s_waitcnt vmcnt(8) lgkmcnt(7)
	v_mul_f64 v[90:91], v[56:57], v[14:15]
	v_mul_f64 v[14:15], v[58:59], v[14:15]
	v_fmac_f64_e32 v[88:89], v[54:55], v[8:9]
	v_fma_f64 v[6:7], v[52:53], v[8:9], -v[10:11]
	v_add_f64 v[2:3], v[2:3], 0
	v_add_f64 v[4:5], v[4:5], 0
	s_waitcnt vmcnt(7) lgkmcnt(6)
	v_mul_f64 v[92:93], v[60:61], v[18:19]
	v_mul_f64 v[18:19], v[62:63], v[18:19]
	v_fmac_f64_e32 v[90:91], v[58:59], v[12:13]
	v_fma_f64 v[8:9], v[56:57], v[12:13], -v[14:15]
	v_add_f64 v[2:3], v[2:3], v[88:89]
	v_add_f64 v[4:5], v[4:5], v[6:7]
	;; [unrolled: 7-line block ×8, first 2 shown]
	v_fmac_f64_e32 v[104:105], v[86:87], v[40:41]
	v_fma_f64 v[22:23], v[84:85], v[40:41], -v[42:43]
	v_add_f64 v[2:3], v[2:3], v[102:103]
	v_add_f64 v[4:5], v[4:5], v[20:21]
	;; [unrolled: 1-line block ×4, first 2 shown]
	s_waitcnt vmcnt(0)
	v_add_f64 v[2:3], v[44:45], -v[2:3]
	v_add_f64 v[4:5], v[46:47], -v[6:7]
	scratch_store_dwordx4 off, v[2:5], off offset:656
	s_and_saveexec_b64 s[0:1], vcc
	s_cbranch_execz .LBB114_241
; %bb.240:
	scratch_load_dwordx4 v[2:5], off, s27
	v_mov_b32_e32 v6, 0
	v_mov_b32_e32 v7, v6
	;; [unrolled: 1-line block ×4, first 2 shown]
	v_accvgpr_read_b32 v0, a103
	scratch_store_dwordx4 off, v[6:9], off offset:640
	s_waitcnt vmcnt(1)
	ds_write_b128 v0, v[2:5]
.LBB114_241:
	s_or_b64 exec, exec, s[0:1]
	s_waitcnt lgkmcnt(0)
	; wave barrier
	scratch_load_dwordx4 v[4:7], off, off offset:656
	scratch_load_dwordx4 v[8:11], off, off offset:672
	;; [unrolled: 1-line block ×12, first 2 shown]
	v_mov_b32_e32 v2, 0
	ds_read_b128 v[52:55], v2 offset:1456
	ds_read_b128 v[56:59], v2 offset:1472
	;; [unrolled: 1-line block ×11, first 2 shown]
	v_cmp_lt_u32_e32 vcc, 38, v240
	s_waitcnt vmcnt(11) lgkmcnt(10)
	v_mul_f64 v[96:97], v[52:53], v[6:7]
	v_mul_f64 v[6:7], v[54:55], v[6:7]
	s_waitcnt vmcnt(10) lgkmcnt(9)
	v_mul_f64 v[98:99], v[56:57], v[10:11]
	s_waitcnt vmcnt(9) lgkmcnt(8)
	v_mul_f64 v[100:101], v[60:61], v[14:15]
	v_mul_f64 v[10:11], v[58:59], v[10:11]
	s_waitcnt vmcnt(6) lgkmcnt(5)
	v_mul_f64 v[106:107], v[72:73], v[26:27]
	v_mul_f64 v[14:15], v[62:63], v[14:15]
	;; [unrolled: 1-line block ×3, first 2 shown]
	v_fmac_f64_e32 v[96:97], v[54:55], v[4:5]
	v_fma_f64 v[4:5], v[52:53], v[4:5], -v[6:7]
	v_fmac_f64_e32 v[98:99], v[58:59], v[8:9]
	v_fma_f64 v[6:7], v[56:57], v[8:9], -v[10:11]
	v_fma_f64 v[8:9], v[60:61], v[12:13], -v[14:15]
	;; [unrolled: 1-line block ×3, first 2 shown]
	v_add_f64 v[26:27], v[96:97], 0
	v_add_f64 v[4:5], v[4:5], 0
	v_mul_f64 v[102:103], v[64:65], v[18:19]
	v_mul_f64 v[18:19], v[66:67], v[18:19]
	v_fmac_f64_e32 v[100:101], v[62:63], v[12:13]
	v_add_f64 v[26:27], v[26:27], v[98:99]
	v_add_f64 v[4:5], v[4:5], v[6:7]
	v_mul_f64 v[104:105], v[68:69], v[22:23]
	v_mul_f64 v[22:23], v[70:71], v[22:23]
	v_fmac_f64_e32 v[102:103], v[66:67], v[16:17]
	v_fma_f64 v[10:11], v[64:65], v[16:17], -v[18:19]
	v_add_f64 v[6:7], v[26:27], v[100:101]
	v_add_f64 v[4:5], v[4:5], v[8:9]
	v_fmac_f64_e32 v[104:105], v[70:71], v[20:21]
	v_fma_f64 v[12:13], v[68:69], v[20:21], -v[22:23]
	v_add_f64 v[6:7], v[6:7], v[102:103]
	v_add_f64 v[4:5], v[4:5], v[10:11]
	s_waitcnt vmcnt(5) lgkmcnt(4)
	v_mul_f64 v[108:109], v[76:77], v[30:31]
	v_mul_f64 v[30:31], v[78:79], v[30:31]
	v_fmac_f64_e32 v[106:107], v[74:75], v[24:25]
	v_add_f64 v[6:7], v[6:7], v[104:105]
	v_add_f64 v[4:5], v[4:5], v[12:13]
	s_waitcnt vmcnt(4) lgkmcnt(3)
	v_mul_f64 v[110:111], v[80:81], v[34:35]
	v_mul_f64 v[34:35], v[82:83], v[34:35]
	v_fmac_f64_e32 v[108:109], v[78:79], v[28:29]
	v_fma_f64 v[16:17], v[76:77], v[28:29], -v[30:31]
	v_add_f64 v[6:7], v[6:7], v[106:107]
	v_add_f64 v[4:5], v[4:5], v[14:15]
	s_waitcnt vmcnt(3) lgkmcnt(2)
	v_mul_f64 v[112:113], v[84:85], v[38:39]
	v_mul_f64 v[38:39], v[86:87], v[38:39]
	v_fmac_f64_e32 v[110:111], v[82:83], v[32:33]
	v_fma_f64 v[18:19], v[80:81], v[32:33], -v[34:35]
	;; [unrolled: 7-line block ×4, first 2 shown]
	v_add_f64 v[6:7], v[6:7], v[112:113]
	v_add_f64 v[4:5], v[4:5], v[20:21]
	v_fmac_f64_e32 v[116:117], v[94:95], v[44:45]
	v_fma_f64 v[24:25], v[92:93], v[44:45], -v[46:47]
	v_add_f64 v[6:7], v[6:7], v[114:115]
	v_add_f64 v[4:5], v[4:5], v[22:23]
	v_add_f64 v[6:7], v[6:7], v[116:117]
	v_add_f64 v[4:5], v[4:5], v[24:25]
	s_waitcnt vmcnt(0)
	v_add_f64 v[4:5], v[48:49], -v[4:5]
	v_add_f64 v[6:7], v[50:51], -v[6:7]
	scratch_store_dwordx4 off, v[4:7], off offset:640
	s_and_saveexec_b64 s[0:1], vcc
	s_cbranch_execz .LBB114_243
; %bb.242:
	scratch_load_dwordx4 v[6:9], off, s28
	v_mov_b32_e32 v3, v2
	v_mov_b32_e32 v4, v2
	;; [unrolled: 1-line block ×3, first 2 shown]
	v_accvgpr_read_b32 v0, a103
	scratch_store_dwordx4 off, v[2:5], off offset:624
	s_waitcnt vmcnt(1)
	ds_write_b128 v0, v[6:9]
.LBB114_243:
	s_or_b64 exec, exec, s[0:1]
	s_waitcnt lgkmcnt(0)
	; wave barrier
	scratch_load_dwordx4 v[4:7], off, off offset:640
	scratch_load_dwordx4 v[8:11], off, off offset:656
	;; [unrolled: 1-line block ×12, first 2 shown]
	ds_read_b128 v[52:55], v2 offset:1440
	ds_read_b128 v[56:59], v2 offset:1456
	;; [unrolled: 1-line block ×4, first 2 shown]
	scratch_load_dwordx4 v[68:71], off, off offset:624
	ds_read_b128 v[72:75], v2 offset:1504
	ds_read_b128 v[76:79], v2 offset:1520
	;; [unrolled: 1-line block ×8, first 2 shown]
	v_cmp_lt_u32_e32 vcc, 37, v240
	s_waitcnt vmcnt(12) lgkmcnt(11)
	v_mul_f64 v[2:3], v[52:53], v[6:7]
	s_waitcnt vmcnt(11) lgkmcnt(10)
	v_mul_f64 v[104:105], v[56:57], v[10:11]
	v_fmac_f64_e32 v[2:3], v[54:55], v[4:5]
	s_waitcnt vmcnt(10) lgkmcnt(9)
	v_mul_f64 v[106:107], v[60:61], v[14:15]
	v_mul_f64 v[6:7], v[54:55], v[6:7]
	v_fmac_f64_e32 v[104:105], v[58:59], v[8:9]
	v_add_f64 v[2:3], v[2:3], 0
	s_waitcnt vmcnt(9) lgkmcnt(8)
	v_mul_f64 v[108:109], v[64:65], v[18:19]
	v_mul_f64 v[10:11], v[58:59], v[10:11]
	v_fmac_f64_e32 v[106:107], v[62:63], v[12:13]
	v_fma_f64 v[4:5], v[52:53], v[4:5], -v[6:7]
	v_add_f64 v[2:3], v[2:3], v[104:105]
	s_waitcnt vmcnt(8) lgkmcnt(7)
	v_mul_f64 v[110:111], v[72:73], v[22:23]
	v_mul_f64 v[14:15], v[62:63], v[14:15]
	v_fmac_f64_e32 v[108:109], v[66:67], v[16:17]
	v_fma_f64 v[6:7], v[56:57], v[8:9], -v[10:11]
	v_add_f64 v[4:5], v[4:5], 0
	v_add_f64 v[2:3], v[2:3], v[106:107]
	s_waitcnt vmcnt(7) lgkmcnt(6)
	v_mul_f64 v[112:113], v[76:77], v[26:27]
	v_mul_f64 v[18:19], v[66:67], v[18:19]
	v_fmac_f64_e32 v[110:111], v[74:75], v[20:21]
	v_fma_f64 v[8:9], v[60:61], v[12:13], -v[14:15]
	v_add_f64 v[4:5], v[4:5], v[6:7]
	;; [unrolled: 7-line block ×8, first 2 shown]
	v_add_f64 v[2:3], v[2:3], v[120:121]
	v_mul_f64 v[46:47], v[98:99], v[46:47]
	v_fmac_f64_e32 v[124:125], v[102:103], v[48:49]
	v_fma_f64 v[22:23], v[92:93], v[40:41], -v[42:43]
	v_add_f64 v[4:5], v[4:5], v[20:21]
	v_add_f64 v[2:3], v[2:3], v[122:123]
	;; [unrolled: 1-line block ×4, first 2 shown]
	v_fma_f64 v[2:3], v[96:97], v[44:45], -v[46:47]
	v_add_f64 v[2:3], v[4:5], v[2:3]
	v_mul_f64 v[4:5], v[102:103], v[50:51]
	v_fma_f64 v[4:5], v[100:101], v[48:49], -v[4:5]
	v_add_f64 v[2:3], v[2:3], v[4:5]
	s_waitcnt vmcnt(0)
	v_add_f64 v[2:3], v[68:69], -v[2:3]
	v_add_f64 v[4:5], v[70:71], -v[6:7]
	scratch_store_dwordx4 off, v[2:5], off offset:624
	s_and_saveexec_b64 s[0:1], vcc
	s_cbranch_execz .LBB114_245
; %bb.244:
	scratch_load_dwordx4 v[2:5], off, s29
	v_mov_b32_e32 v6, 0
	v_mov_b32_e32 v7, v6
	;; [unrolled: 1-line block ×4, first 2 shown]
	v_accvgpr_read_b32 v0, a103
	scratch_store_dwordx4 off, v[6:9], off offset:608
	s_waitcnt vmcnt(1)
	ds_write_b128 v0, v[2:5]
.LBB114_245:
	s_or_b64 exec, exec, s[0:1]
	s_waitcnt lgkmcnt(0)
	; wave barrier
	scratch_load_dwordx4 v[4:7], off, off offset:624
	scratch_load_dwordx4 v[8:11], off, off offset:640
	;; [unrolled: 1-line block ×14, first 2 shown]
	v_mov_b32_e32 v2, 0
	ds_read_b128 v[60:63], v2 offset:1424
	ds_read_b128 v[64:67], v2 offset:1440
	;; [unrolled: 1-line block ×13, first 2 shown]
	v_cmp_lt_u32_e32 vcc, 36, v240
	s_waitcnt vmcnt(13) lgkmcnt(12)
	v_mul_f64 v[112:113], v[60:61], v[6:7]
	v_mul_f64 v[6:7], v[62:63], v[6:7]
	s_waitcnt vmcnt(12) lgkmcnt(11)
	v_mul_f64 v[114:115], v[64:65], v[10:11]
	v_mul_f64 v[10:11], v[66:67], v[10:11]
	v_fmac_f64_e32 v[112:113], v[62:63], v[4:5]
	v_fma_f64 v[4:5], v[60:61], v[4:5], -v[6:7]
	s_waitcnt vmcnt(11) lgkmcnt(10)
	v_mul_f64 v[116:117], v[68:69], v[14:15]
	v_mul_f64 v[14:15], v[70:71], v[14:15]
	v_fma_f64 v[6:7], v[64:65], v[8:9], -v[10:11]
	v_add_f64 v[4:5], v[4:5], 0
	s_waitcnt vmcnt(10) lgkmcnt(9)
	v_mul_f64 v[118:119], v[72:73], v[18:19]
	v_mul_f64 v[18:19], v[74:75], v[18:19]
	v_fmac_f64_e32 v[114:115], v[66:67], v[8:9]
	v_fma_f64 v[8:9], v[68:69], v[12:13], -v[14:15]
	v_add_f64 v[4:5], v[4:5], v[6:7]
	s_waitcnt vmcnt(9) lgkmcnt(8)
	v_mul_f64 v[120:121], v[76:77], v[22:23]
	v_mul_f64 v[22:23], v[78:79], v[22:23]
	v_fma_f64 v[10:11], v[72:73], v[16:17], -v[18:19]
	v_add_f64 v[4:5], v[4:5], v[8:9]
	s_waitcnt vmcnt(8) lgkmcnt(7)
	v_mul_f64 v[122:123], v[80:81], v[26:27]
	v_mul_f64 v[26:27], v[82:83], v[26:27]
	v_fmac_f64_e32 v[116:117], v[70:71], v[12:13]
	v_fma_f64 v[12:13], v[76:77], v[20:21], -v[22:23]
	v_add_f64 v[22:23], v[112:113], 0
	v_add_f64 v[4:5], v[4:5], v[10:11]
	s_waitcnt vmcnt(7) lgkmcnt(6)
	v_mul_f64 v[124:125], v[84:85], v[30:31]
	v_mul_f64 v[30:31], v[86:87], v[30:31]
	v_fma_f64 v[14:15], v[80:81], v[24:25], -v[26:27]
	v_add_f64 v[22:23], v[22:23], v[114:115]
	v_add_f64 v[4:5], v[4:5], v[12:13]
	s_waitcnt vmcnt(6) lgkmcnt(5)
	v_mul_f64 v[126:127], v[88:89], v[34:35]
	v_mul_f64 v[34:35], v[90:91], v[34:35]
	v_fmac_f64_e32 v[118:119], v[74:75], v[16:17]
	v_fma_f64 v[16:17], v[84:85], v[28:29], -v[30:31]
	v_add_f64 v[6:7], v[22:23], v[116:117]
	v_add_f64 v[4:5], v[4:5], v[14:15]
	s_waitcnt vmcnt(5) lgkmcnt(4)
	v_mul_f64 v[128:129], v[92:93], v[38:39]
	v_mul_f64 v[38:39], v[94:95], v[38:39]
	v_fmac_f64_e32 v[120:121], v[78:79], v[20:21]
	v_fma_f64 v[18:19], v[88:89], v[32:33], -v[34:35]
	v_add_f64 v[6:7], v[6:7], v[118:119]
	v_add_f64 v[4:5], v[4:5], v[16:17]
	v_fmac_f64_e32 v[122:123], v[82:83], v[24:25]
	v_fma_f64 v[20:21], v[92:93], v[36:37], -v[38:39]
	v_add_f64 v[6:7], v[6:7], v[120:121]
	v_add_f64 v[4:5], v[4:5], v[18:19]
	s_waitcnt vmcnt(4) lgkmcnt(3)
	v_mul_f64 v[8:9], v[98:99], v[42:43]
	v_fmac_f64_e32 v[124:125], v[86:87], v[28:29]
	v_add_f64 v[6:7], v[6:7], v[122:123]
	v_add_f64 v[4:5], v[4:5], v[20:21]
	v_fma_f64 v[8:9], v[96:97], v[40:41], -v[8:9]
	v_fmac_f64_e32 v[126:127], v[90:91], v[32:33]
	v_add_f64 v[6:7], v[6:7], v[124:125]
	v_add_f64 v[4:5], v[4:5], v[8:9]
	s_waitcnt vmcnt(3) lgkmcnt(2)
	v_mul_f64 v[8:9], v[102:103], v[46:47]
	v_mul_f64 v[130:131], v[96:97], v[42:43]
	v_fmac_f64_e32 v[128:129], v[94:95], v[36:37]
	v_add_f64 v[6:7], v[6:7], v[126:127]
	v_fma_f64 v[8:9], v[100:101], v[44:45], -v[8:9]
	v_mul_f64 v[132:133], v[100:101], v[46:47]
	v_fmac_f64_e32 v[130:131], v[98:99], v[40:41]
	v_add_f64 v[6:7], v[6:7], v[128:129]
	v_add_f64 v[4:5], v[4:5], v[8:9]
	s_waitcnt vmcnt(2) lgkmcnt(1)
	v_mul_f64 v[8:9], v[106:107], v[50:51]
	v_mul_f64 v[134:135], v[104:105], v[50:51]
	v_fmac_f64_e32 v[132:133], v[102:103], v[44:45]
	v_add_f64 v[6:7], v[6:7], v[130:131]
	v_fma_f64 v[8:9], v[104:105], v[48:49], -v[8:9]
	s_waitcnt vmcnt(1) lgkmcnt(0)
	v_mul_f64 v[136:137], v[108:109], v[54:55]
	v_fmac_f64_e32 v[134:135], v[106:107], v[48:49]
	v_add_f64 v[6:7], v[6:7], v[132:133]
	v_add_f64 v[4:5], v[4:5], v[8:9]
	v_mul_f64 v[8:9], v[110:111], v[54:55]
	v_fmac_f64_e32 v[136:137], v[110:111], v[52:53]
	v_add_f64 v[6:7], v[6:7], v[134:135]
	v_fma_f64 v[8:9], v[108:109], v[52:53], -v[8:9]
	v_add_f64 v[6:7], v[6:7], v[136:137]
	v_add_f64 v[4:5], v[4:5], v[8:9]
	s_waitcnt vmcnt(0)
	v_add_f64 v[4:5], v[56:57], -v[4:5]
	v_add_f64 v[6:7], v[58:59], -v[6:7]
	scratch_store_dwordx4 off, v[4:7], off offset:608
	s_and_saveexec_b64 s[0:1], vcc
	s_cbranch_execz .LBB114_247
; %bb.246:
	scratch_load_dwordx4 v[6:9], off, s30
	v_mov_b32_e32 v3, v2
	v_mov_b32_e32 v4, v2
	;; [unrolled: 1-line block ×3, first 2 shown]
	v_accvgpr_read_b32 v0, a103
	scratch_store_dwordx4 off, v[2:5], off offset:592
	s_waitcnt vmcnt(1)
	ds_write_b128 v0, v[6:9]
.LBB114_247:
	s_or_b64 exec, exec, s[0:1]
	s_waitcnt lgkmcnt(0)
	; wave barrier
	scratch_load_dwordx4 v[4:7], off, off offset:608
	scratch_load_dwordx4 v[8:11], off, off offset:624
	;; [unrolled: 1-line block ×14, first 2 shown]
	ds_read_b128 v[60:63], v2 offset:1408
	ds_read_b128 v[64:67], v2 offset:1424
	;; [unrolled: 1-line block ×14, first 2 shown]
	scratch_load_dwordx4 v[116:119], off, off offset:592
	v_cmp_lt_u32_e32 vcc, 35, v240
	s_waitcnt vmcnt(14) lgkmcnt(13)
	v_mul_f64 v[2:3], v[60:61], v[6:7]
	s_waitcnt vmcnt(13) lgkmcnt(12)
	v_mul_f64 v[120:121], v[64:65], v[10:11]
	v_fmac_f64_e32 v[2:3], v[62:63], v[4:5]
	s_waitcnt vmcnt(12) lgkmcnt(11)
	v_mul_f64 v[122:123], v[68:69], v[14:15]
	v_fmac_f64_e32 v[120:121], v[66:67], v[8:9]
	v_add_f64 v[2:3], v[2:3], 0
	s_waitcnt vmcnt(11) lgkmcnt(10)
	v_mul_f64 v[124:125], v[72:73], v[18:19]
	v_fmac_f64_e32 v[122:123], v[70:71], v[12:13]
	v_add_f64 v[2:3], v[2:3], v[120:121]
	;; [unrolled: 4-line block ×4, first 2 shown]
	s_waitcnt vmcnt(8) lgkmcnt(7)
	v_mul_f64 v[130:131], v[84:85], v[30:31]
	v_mul_f64 v[6:7], v[62:63], v[6:7]
	v_fmac_f64_e32 v[128:129], v[82:83], v[24:25]
	v_add_f64 v[2:3], v[2:3], v[126:127]
	s_waitcnt vmcnt(7) lgkmcnt(6)
	v_mul_f64 v[132:133], v[88:89], v[34:35]
	v_mul_f64 v[10:11], v[66:67], v[10:11]
	v_fmac_f64_e32 v[130:131], v[86:87], v[28:29]
	v_fma_f64 v[4:5], v[60:61], v[4:5], -v[6:7]
	v_add_f64 v[2:3], v[2:3], v[128:129]
	s_waitcnt vmcnt(6) lgkmcnt(5)
	v_mul_f64 v[134:135], v[92:93], v[38:39]
	v_mul_f64 v[14:15], v[70:71], v[14:15]
	v_fmac_f64_e32 v[132:133], v[90:91], v[32:33]
	v_fma_f64 v[6:7], v[64:65], v[8:9], -v[10:11]
	v_add_f64 v[4:5], v[4:5], 0
	v_add_f64 v[2:3], v[2:3], v[130:131]
	s_waitcnt vmcnt(5) lgkmcnt(4)
	v_mul_f64 v[136:137], v[96:97], v[42:43]
	v_mul_f64 v[18:19], v[74:75], v[18:19]
	v_fmac_f64_e32 v[134:135], v[94:95], v[36:37]
	v_fma_f64 v[8:9], v[68:69], v[12:13], -v[14:15]
	v_add_f64 v[4:5], v[4:5], v[6:7]
	v_add_f64 v[2:3], v[2:3], v[132:133]
	s_waitcnt vmcnt(4) lgkmcnt(3)
	v_mul_f64 v[138:139], v[100:101], v[46:47]
	v_mul_f64 v[22:23], v[78:79], v[22:23]
	v_fmac_f64_e32 v[136:137], v[98:99], v[40:41]
	v_fma_f64 v[10:11], v[72:73], v[16:17], -v[18:19]
	v_add_f64 v[4:5], v[4:5], v[8:9]
	v_add_f64 v[2:3], v[2:3], v[134:135]
	s_waitcnt vmcnt(3) lgkmcnt(2)
	v_mul_f64 v[140:141], v[104:105], v[50:51]
	v_mul_f64 v[26:27], v[82:83], v[26:27]
	v_fmac_f64_e32 v[138:139], v[102:103], v[44:45]
	v_fma_f64 v[12:13], v[76:77], v[20:21], -v[22:23]
	v_add_f64 v[4:5], v[4:5], v[10:11]
	v_add_f64 v[2:3], v[2:3], v[136:137]
	s_waitcnt vmcnt(2) lgkmcnt(1)
	v_mul_f64 v[142:143], v[108:109], v[54:55]
	v_mul_f64 v[30:31], v[86:87], v[30:31]
	v_fmac_f64_e32 v[140:141], v[106:107], v[48:49]
	v_fma_f64 v[14:15], v[80:81], v[24:25], -v[26:27]
	v_add_f64 v[4:5], v[4:5], v[12:13]
	v_add_f64 v[2:3], v[2:3], v[138:139]
	s_waitcnt vmcnt(1) lgkmcnt(0)
	v_mul_f64 v[144:145], v[112:113], v[58:59]
	v_mul_f64 v[34:35], v[90:91], v[34:35]
	v_fmac_f64_e32 v[142:143], v[110:111], v[52:53]
	v_fma_f64 v[16:17], v[84:85], v[28:29], -v[30:31]
	v_add_f64 v[4:5], v[4:5], v[14:15]
	v_add_f64 v[2:3], v[2:3], v[140:141]
	v_fmac_f64_e32 v[144:145], v[114:115], v[56:57]
	v_fma_f64 v[18:19], v[88:89], v[32:33], -v[34:35]
	v_add_f64 v[4:5], v[4:5], v[16:17]
	v_add_f64 v[2:3], v[2:3], v[142:143]
	;; [unrolled: 1-line block ×4, first 2 shown]
	v_mul_f64 v[4:5], v[94:95], v[38:39]
	v_fma_f64 v[4:5], v[92:93], v[36:37], -v[4:5]
	v_add_f64 v[2:3], v[2:3], v[4:5]
	v_mul_f64 v[4:5], v[98:99], v[42:43]
	v_fma_f64 v[4:5], v[96:97], v[40:41], -v[4:5]
	v_add_f64 v[2:3], v[2:3], v[4:5]
	;; [unrolled: 3-line block ×6, first 2 shown]
	s_waitcnt vmcnt(0)
	v_add_f64 v[2:3], v[116:117], -v[2:3]
	v_add_f64 v[4:5], v[118:119], -v[6:7]
	scratch_store_dwordx4 off, v[2:5], off offset:592
	s_and_saveexec_b64 s[0:1], vcc
	s_cbranch_execz .LBB114_249
; %bb.248:
	scratch_load_dwordx4 v[2:5], off, s31
	v_mov_b32_e32 v6, 0
	v_mov_b32_e32 v7, v6
	;; [unrolled: 1-line block ×4, first 2 shown]
	v_accvgpr_read_b32 v0, a103
	scratch_store_dwordx4 off, v[6:9], off offset:576
	s_waitcnt vmcnt(1)
	ds_write_b128 v0, v[2:5]
.LBB114_249:
	s_or_b64 exec, exec, s[0:1]
	v_mov_b32_e32 v2, 0
	s_waitcnt lgkmcnt(0)
	; wave barrier
	ds_read_b128 v[16:19], v2 offset:1392
	ds_read_b128 v[12:15], v2 offset:1408
	;; [unrolled: 1-line block ×4, first 2 shown]
	scratch_load_dwordx4 v[20:23], off, off offset:592
	scratch_load_dwordx4 v[40:43], off, off offset:656
	;; [unrolled: 1-line block ×9, first 2 shown]
	v_cmp_lt_u32_e32 vcc, 34, v240
	scratch_load_dwordx4 v[50:53], off, off offset:672
	scratch_load_dwordx4 v[58:61], off, off offset:688
	;; [unrolled: 1-line block ×3, first 2 shown]
	s_waitcnt vmcnt(11) lgkmcnt(3)
	v_mul_f64 v[24:25], v[16:17], v[22:23]
	v_fmac_f64_e32 v[24:25], v[18:19], v[20:21]
	v_add_f64 v[28:29], v[24:25], 0
	scratch_load_dwordx4 v[24:27], off, off offset:608
	v_mul_f64 v[18:19], v[18:19], v[22:23]
	v_fma_f64 v[16:17], v[16:17], v[20:21], -v[18:19]
	v_add_f64 v[16:17], v[16:17], 0
	s_waitcnt vmcnt(0) lgkmcnt(2)
	v_mul_f64 v[30:31], v[12:13], v[26:27]
	v_fmac_f64_e32 v[30:31], v[14:15], v[24:25]
	v_add_f64 v[32:33], v[28:29], v[30:31]
	scratch_load_dwordx4 v[28:31], off, off offset:624
	v_mul_f64 v[14:15], v[14:15], v[26:27]
	v_fma_f64 v[12:13], v[12:13], v[24:25], -v[14:15]
	v_add_f64 v[12:13], v[16:17], v[12:13]
	;; [unrolled: 8-line block ×3, first 2 shown]
	s_waitcnt vmcnt(0) lgkmcnt(0)
	v_mul_f64 v[38:39], v[4:5], v[34:35]
	v_fmac_f64_e32 v[38:39], v[6:7], v[32:33]
	v_add_f64 v[44:45], v[36:37], v[38:39]
	ds_read_b128 v[36:39], v2 offset:1456
	v_mul_f64 v[6:7], v[6:7], v[34:35]
	v_fma_f64 v[4:5], v[4:5], v[32:33], -v[6:7]
	v_add_f64 v[4:5], v[8:9], v[4:5]
	s_waitcnt lgkmcnt(0)
	v_mul_f64 v[46:47], v[36:37], v[42:43]
	v_fmac_f64_e32 v[46:47], v[38:39], v[40:41]
	v_add_f64 v[48:49], v[44:45], v[46:47]
	ds_read_b128 v[44:47], v2 offset:1472
	v_mul_f64 v[6:7], v[38:39], v[42:43]
	v_fma_f64 v[6:7], v[36:37], v[40:41], -v[6:7]
	v_add_f64 v[4:5], v[4:5], v[6:7]
	s_waitcnt lgkmcnt(0)
	;; [unrolled: 8-line block ×11, first 2 shown]
	v_mul_f64 v[6:7], v[120:121], v[124:125]
	v_fma_f64 v[6:7], v[118:119], v[122:123], -v[6:7]
	v_add_f64 v[8:9], v[4:5], v[6:7]
	scratch_load_dwordx4 v[4:7], off, off offset:576
	v_mul_f64 v[126:127], v[118:119], v[124:125]
	v_fmac_f64_e32 v[126:127], v[120:121], v[122:123]
	v_add_f64 v[48:49], v[48:49], v[126:127]
	s_waitcnt vmcnt(0)
	v_add_f64 v[4:5], v[4:5], -v[8:9]
	v_add_f64 v[6:7], v[6:7], -v[48:49]
	scratch_store_dwordx4 off, v[4:7], off offset:576
	s_and_saveexec_b64 s[0:1], vcc
	s_cbranch_execz .LBB114_251
; %bb.250:
	scratch_load_dwordx4 v[6:9], off, s33
	v_mov_b32_e32 v3, v2
	v_mov_b32_e32 v4, v2
	;; [unrolled: 1-line block ×3, first 2 shown]
	v_accvgpr_read_b32 v0, a103
	scratch_store_dwordx4 off, v[2:5], off offset:560
	s_waitcnt vmcnt(1)
	ds_write_b128 v0, v[6:9]
.LBB114_251:
	s_or_b64 exec, exec, s[0:1]
	s_waitcnt lgkmcnt(0)
	; wave barrier
	ds_read_b128 v[16:19], v2 offset:1376
	ds_read_b128 v[12:15], v2 offset:1392
	;; [unrolled: 1-line block ×4, first 2 shown]
	scratch_load_dwordx4 v[20:23], off, off offset:576
	scratch_load_dwordx4 v[40:43], off, off offset:640
	;; [unrolled: 1-line block ×10, first 2 shown]
	v_cmp_lt_u32_e32 vcc, 33, v240
	scratch_load_dwordx4 v[48:51], off, off offset:656
	scratch_load_dwordx4 v[56:59], off, off offset:672
	;; [unrolled: 1-line block ×3, first 2 shown]
	s_waitcnt vmcnt(12) lgkmcnt(3)
	v_mul_f64 v[24:25], v[16:17], v[22:23]
	v_fmac_f64_e32 v[24:25], v[18:19], v[20:21]
	v_add_f64 v[28:29], v[24:25], 0
	scratch_load_dwordx4 v[24:27], off, off offset:592
	s_waitcnt vmcnt(0) lgkmcnt(2)
	v_mul_f64 v[30:31], v[12:13], v[26:27]
	v_fmac_f64_e32 v[30:31], v[14:15], v[24:25]
	v_add_f64 v[32:33], v[28:29], v[30:31]
	scratch_load_dwordx4 v[28:31], off, off offset:608
	v_mul_f64 v[14:15], v[14:15], v[26:27]
	v_fma_f64 v[12:13], v[12:13], v[24:25], -v[14:15]
	s_waitcnt vmcnt(0) lgkmcnt(1)
	v_mul_f64 v[34:35], v[8:9], v[30:31]
	v_fmac_f64_e32 v[34:35], v[10:11], v[28:29]
	v_add_f64 v[36:37], v[32:33], v[34:35]
	scratch_load_dwordx4 v[32:35], off, off offset:624
	v_mul_f64 v[10:11], v[10:11], v[30:31]
	v_fma_f64 v[8:9], v[8:9], v[28:29], -v[10:11]
	s_waitcnt vmcnt(0) lgkmcnt(0)
	v_mul_f64 v[38:39], v[4:5], v[34:35]
	v_fmac_f64_e32 v[38:39], v[6:7], v[32:33]
	v_add_f64 v[44:45], v[36:37], v[38:39]
	ds_read_b128 v[36:39], v2 offset:1440
	v_mul_f64 v[6:7], v[6:7], v[34:35]
	v_fma_f64 v[4:5], v[4:5], v[32:33], -v[6:7]
	s_waitcnt lgkmcnt(0)
	v_mul_f64 v[46:47], v[36:37], v[42:43]
	v_fmac_f64_e32 v[46:47], v[38:39], v[40:41]
	v_add_f64 v[52:53], v[44:45], v[46:47]
	ds_read_b128 v[44:47], v2 offset:1456
	s_waitcnt lgkmcnt(0)
	v_mul_f64 v[54:55], v[44:45], v[50:51]
	v_fmac_f64_e32 v[54:55], v[46:47], v[48:49]
	v_add_f64 v[60:61], v[52:53], v[54:55]
	ds_read_b128 v[52:55], v2 offset:1472
	;; [unrolled: 5-line block ×11, first 2 shown]
	s_waitcnt lgkmcnt(0)
	v_mul_f64 v[2:3], v[126:127], v[132:133]
	v_fmac_f64_e32 v[2:3], v[128:129], v[130:131]
	v_add_f64 v[64:65], v[64:65], v[2:3]
	v_mul_f64 v[2:3], v[18:19], v[22:23]
	v_fma_f64 v[2:3], v[16:17], v[20:21], -v[2:3]
	v_add_f64 v[2:3], v[2:3], 0
	v_add_f64 v[2:3], v[2:3], v[12:13]
	;; [unrolled: 1-line block ×4, first 2 shown]
	v_mul_f64 v[4:5], v[38:39], v[42:43]
	v_fma_f64 v[4:5], v[36:37], v[40:41], -v[4:5]
	v_add_f64 v[2:3], v[2:3], v[4:5]
	v_mul_f64 v[4:5], v[46:47], v[50:51]
	v_fma_f64 v[4:5], v[44:45], v[48:49], -v[4:5]
	v_add_f64 v[2:3], v[2:3], v[4:5]
	;; [unrolled: 3-line block ×12, first 2 shown]
	scratch_load_dwordx4 v[2:5], off, off offset:560
	s_waitcnt vmcnt(0)
	v_add_f64 v[2:3], v[2:3], -v[6:7]
	v_add_f64 v[4:5], v[4:5], -v[64:65]
	scratch_store_dwordx4 off, v[2:5], off offset:560
	s_and_saveexec_b64 s[0:1], vcc
	s_cbranch_execz .LBB114_253
; %bb.252:
	scratch_load_dwordx4 v[2:5], off, s34
	v_mov_b32_e32 v6, 0
	v_mov_b32_e32 v7, v6
	v_mov_b32_e32 v8, v6
	v_mov_b32_e32 v9, v6
	v_accvgpr_read_b32 v0, a103
	scratch_store_dwordx4 off, v[6:9], off offset:544
	s_waitcnt vmcnt(1)
	ds_write_b128 v0, v[2:5]
.LBB114_253:
	s_or_b64 exec, exec, s[0:1]
	v_mov_b32_e32 v2, 0
	s_waitcnt lgkmcnt(0)
	; wave barrier
	ds_read_b128 v[16:19], v2 offset:1360
	ds_read_b128 v[12:15], v2 offset:1376
	;; [unrolled: 1-line block ×4, first 2 shown]
	scratch_load_dwordx4 v[20:23], off, off offset:560
	scratch_load_dwordx4 v[40:43], off, off offset:624
	;; [unrolled: 1-line block ×11, first 2 shown]
	v_cmp_lt_u32_e32 vcc, 32, v240
	scratch_load_dwordx4 v[48:51], off, off offset:640
	scratch_load_dwordx4 v[56:59], off, off offset:656
	;; [unrolled: 1-line block ×3, first 2 shown]
	s_waitcnt vmcnt(13) lgkmcnt(3)
	v_mul_f64 v[24:25], v[16:17], v[22:23]
	v_fmac_f64_e32 v[24:25], v[18:19], v[20:21]
	v_add_f64 v[28:29], v[24:25], 0
	scratch_load_dwordx4 v[24:27], off, off offset:576
	v_mul_f64 v[18:19], v[18:19], v[22:23]
	v_fma_f64 v[16:17], v[16:17], v[20:21], -v[18:19]
	v_add_f64 v[16:17], v[16:17], 0
	s_waitcnt vmcnt(0) lgkmcnt(2)
	v_mul_f64 v[30:31], v[12:13], v[26:27]
	v_fmac_f64_e32 v[30:31], v[14:15], v[24:25]
	v_add_f64 v[32:33], v[28:29], v[30:31]
	scratch_load_dwordx4 v[28:31], off, off offset:592
	v_mul_f64 v[14:15], v[14:15], v[26:27]
	v_fma_f64 v[12:13], v[12:13], v[24:25], -v[14:15]
	v_add_f64 v[12:13], v[16:17], v[12:13]
	;; [unrolled: 8-line block ×3, first 2 shown]
	s_waitcnt vmcnt(0) lgkmcnt(0)
	v_mul_f64 v[38:39], v[4:5], v[34:35]
	v_fmac_f64_e32 v[38:39], v[6:7], v[32:33]
	v_add_f64 v[44:45], v[36:37], v[38:39]
	ds_read_b128 v[36:39], v2 offset:1424
	v_mul_f64 v[6:7], v[6:7], v[34:35]
	v_fma_f64 v[4:5], v[4:5], v[32:33], -v[6:7]
	v_add_f64 v[4:5], v[8:9], v[4:5]
	s_waitcnt lgkmcnt(0)
	v_mul_f64 v[46:47], v[36:37], v[42:43]
	v_fmac_f64_e32 v[46:47], v[38:39], v[40:41]
	v_add_f64 v[52:53], v[44:45], v[46:47]
	ds_read_b128 v[44:47], v2 offset:1440
	v_mul_f64 v[6:7], v[38:39], v[42:43]
	v_fma_f64 v[6:7], v[36:37], v[40:41], -v[6:7]
	v_add_f64 v[4:5], v[4:5], v[6:7]
	s_waitcnt lgkmcnt(0)
	;; [unrolled: 8-line block ×13, first 2 shown]
	v_mul_f64 v[6:7], v[136:137], v[140:141]
	v_fma_f64 v[6:7], v[134:135], v[138:139], -v[6:7]
	v_add_f64 v[8:9], v[4:5], v[6:7]
	scratch_load_dwordx4 v[4:7], off, off offset:544
	v_mul_f64 v[142:143], v[134:135], v[140:141]
	v_fmac_f64_e32 v[142:143], v[136:137], v[138:139]
	v_add_f64 v[72:73], v[72:73], v[142:143]
	s_waitcnt vmcnt(0)
	v_add_f64 v[4:5], v[4:5], -v[8:9]
	v_add_f64 v[6:7], v[6:7], -v[72:73]
	scratch_store_dwordx4 off, v[4:7], off offset:544
	s_and_saveexec_b64 s[0:1], vcc
	s_cbranch_execz .LBB114_255
; %bb.254:
	scratch_load_dwordx4 v[6:9], off, s35
	v_mov_b32_e32 v3, v2
	v_mov_b32_e32 v4, v2
	;; [unrolled: 1-line block ×3, first 2 shown]
	v_accvgpr_read_b32 v0, a103
	scratch_store_dwordx4 off, v[2:5], off offset:528
	s_waitcnt vmcnt(1)
	ds_write_b128 v0, v[6:9]
.LBB114_255:
	s_or_b64 exec, exec, s[0:1]
	s_waitcnt lgkmcnt(0)
	; wave barrier
	ds_read_b128 v[16:19], v2 offset:1344
	ds_read_b128 v[12:15], v2 offset:1360
	;; [unrolled: 1-line block ×4, first 2 shown]
	scratch_load_dwordx4 v[20:23], off, off offset:544
	scratch_load_dwordx4 v[40:43], off, off offset:608
	;; [unrolled: 1-line block ×12, first 2 shown]
	v_cmp_lt_u32_e32 vcc, 31, v240
	scratch_load_dwordx4 v[48:51], off, off offset:624
	scratch_load_dwordx4 v[56:59], off, off offset:640
	;; [unrolled: 1-line block ×3, first 2 shown]
	s_waitcnt vmcnt(14) lgkmcnt(3)
	v_mul_f64 v[24:25], v[16:17], v[22:23]
	v_fmac_f64_e32 v[24:25], v[18:19], v[20:21]
	v_add_f64 v[28:29], v[24:25], 0
	scratch_load_dwordx4 v[24:27], off, off offset:560
	s_waitcnt vmcnt(0) lgkmcnt(2)
	v_mul_f64 v[30:31], v[12:13], v[26:27]
	v_fmac_f64_e32 v[30:31], v[14:15], v[24:25]
	v_add_f64 v[32:33], v[28:29], v[30:31]
	scratch_load_dwordx4 v[28:31], off, off offset:576
	v_mul_f64 v[14:15], v[14:15], v[26:27]
	v_fma_f64 v[12:13], v[12:13], v[24:25], -v[14:15]
	s_waitcnt vmcnt(0) lgkmcnt(1)
	v_mul_f64 v[34:35], v[8:9], v[30:31]
	v_fmac_f64_e32 v[34:35], v[10:11], v[28:29]
	v_add_f64 v[36:37], v[32:33], v[34:35]
	scratch_load_dwordx4 v[32:35], off, off offset:592
	v_mul_f64 v[10:11], v[10:11], v[30:31]
	v_fma_f64 v[8:9], v[8:9], v[28:29], -v[10:11]
	s_waitcnt vmcnt(0) lgkmcnt(0)
	v_mul_f64 v[38:39], v[4:5], v[34:35]
	v_fmac_f64_e32 v[38:39], v[6:7], v[32:33]
	v_add_f64 v[44:45], v[36:37], v[38:39]
	ds_read_b128 v[36:39], v2 offset:1408
	v_mul_f64 v[6:7], v[6:7], v[34:35]
	v_fma_f64 v[4:5], v[4:5], v[32:33], -v[6:7]
	s_waitcnt lgkmcnt(0)
	v_mul_f64 v[46:47], v[36:37], v[42:43]
	v_fmac_f64_e32 v[46:47], v[38:39], v[40:41]
	v_add_f64 v[52:53], v[44:45], v[46:47]
	ds_read_b128 v[44:47], v2 offset:1424
	s_waitcnt lgkmcnt(0)
	v_mul_f64 v[54:55], v[44:45], v[50:51]
	v_fmac_f64_e32 v[54:55], v[46:47], v[48:49]
	v_add_f64 v[60:61], v[52:53], v[54:55]
	ds_read_b128 v[52:55], v2 offset:1440
	;; [unrolled: 5-line block ×13, first 2 shown]
	s_waitcnt lgkmcnt(0)
	v_mul_f64 v[2:3], v[142:143], v[148:149]
	v_fmac_f64_e32 v[2:3], v[144:145], v[146:147]
	v_add_f64 v[80:81], v[80:81], v[2:3]
	v_mul_f64 v[2:3], v[18:19], v[22:23]
	v_fma_f64 v[2:3], v[16:17], v[20:21], -v[2:3]
	v_add_f64 v[2:3], v[2:3], 0
	v_add_f64 v[2:3], v[2:3], v[12:13]
	;; [unrolled: 1-line block ×4, first 2 shown]
	v_mul_f64 v[4:5], v[38:39], v[42:43]
	v_fma_f64 v[4:5], v[36:37], v[40:41], -v[4:5]
	v_add_f64 v[2:3], v[2:3], v[4:5]
	v_mul_f64 v[4:5], v[46:47], v[50:51]
	v_fma_f64 v[4:5], v[44:45], v[48:49], -v[4:5]
	v_add_f64 v[2:3], v[2:3], v[4:5]
	;; [unrolled: 3-line block ×14, first 2 shown]
	scratch_load_dwordx4 v[2:5], off, off offset:528
	s_waitcnt vmcnt(0)
	v_add_f64 v[2:3], v[2:3], -v[6:7]
	v_add_f64 v[4:5], v[4:5], -v[80:81]
	scratch_store_dwordx4 off, v[2:5], off offset:528
	s_and_saveexec_b64 s[0:1], vcc
	s_cbranch_execz .LBB114_257
; %bb.256:
	scratch_load_dwordx4 v[2:5], off, s36
	v_mov_b32_e32 v6, 0
	v_mov_b32_e32 v7, v6
	;; [unrolled: 1-line block ×4, first 2 shown]
	v_accvgpr_read_b32 v0, a103
	scratch_store_dwordx4 off, v[6:9], off offset:512
	s_waitcnt vmcnt(1)
	ds_write_b128 v0, v[2:5]
.LBB114_257:
	s_or_b64 exec, exec, s[0:1]
	v_mov_b32_e32 v2, 0
	s_waitcnt lgkmcnt(0)
	; wave barrier
	ds_read_b128 v[16:19], v2 offset:1328
	ds_read_b128 v[12:15], v2 offset:1344
	;; [unrolled: 1-line block ×4, first 2 shown]
	scratch_load_dwordx4 v[20:23], off, off offset:528
	scratch_load_dwordx4 v[40:43], off, off offset:592
	;; [unrolled: 1-line block ×13, first 2 shown]
	v_cmp_lt_u32_e32 vcc, 30, v240
	scratch_load_dwordx4 v[48:51], off, off offset:608
	scratch_load_dwordx4 v[56:59], off, off offset:624
	;; [unrolled: 1-line block ×3, first 2 shown]
	s_waitcnt vmcnt(15) lgkmcnt(3)
	v_mul_f64 v[24:25], v[16:17], v[22:23]
	v_fmac_f64_e32 v[24:25], v[18:19], v[20:21]
	v_add_f64 v[28:29], v[24:25], 0
	scratch_load_dwordx4 v[24:27], off, off offset:544
	v_mul_f64 v[18:19], v[18:19], v[22:23]
	v_fma_f64 v[16:17], v[16:17], v[20:21], -v[18:19]
	v_add_f64 v[16:17], v[16:17], 0
	s_waitcnt vmcnt(0) lgkmcnt(2)
	v_mul_f64 v[30:31], v[12:13], v[26:27]
	v_fmac_f64_e32 v[30:31], v[14:15], v[24:25]
	v_add_f64 v[32:33], v[28:29], v[30:31]
	scratch_load_dwordx4 v[28:31], off, off offset:560
	v_mul_f64 v[14:15], v[14:15], v[26:27]
	v_fma_f64 v[12:13], v[12:13], v[24:25], -v[14:15]
	v_add_f64 v[12:13], v[16:17], v[12:13]
	;; [unrolled: 8-line block ×3, first 2 shown]
	s_waitcnt vmcnt(0) lgkmcnt(0)
	v_mul_f64 v[38:39], v[4:5], v[34:35]
	v_fmac_f64_e32 v[38:39], v[6:7], v[32:33]
	v_add_f64 v[44:45], v[36:37], v[38:39]
	ds_read_b128 v[36:39], v2 offset:1392
	v_mul_f64 v[6:7], v[6:7], v[34:35]
	v_fma_f64 v[4:5], v[4:5], v[32:33], -v[6:7]
	v_add_f64 v[4:5], v[8:9], v[4:5]
	s_waitcnt lgkmcnt(0)
	v_mul_f64 v[46:47], v[36:37], v[42:43]
	v_fmac_f64_e32 v[46:47], v[38:39], v[40:41]
	v_add_f64 v[52:53], v[44:45], v[46:47]
	ds_read_b128 v[44:47], v2 offset:1408
	v_mul_f64 v[6:7], v[38:39], v[42:43]
	v_fma_f64 v[6:7], v[36:37], v[40:41], -v[6:7]
	v_add_f64 v[4:5], v[4:5], v[6:7]
	s_waitcnt lgkmcnt(0)
	;; [unrolled: 8-line block ×15, first 2 shown]
	v_mul_f64 v[6:7], v[152:153], v[156:157]
	v_fma_f64 v[6:7], v[150:151], v[154:155], -v[6:7]
	v_add_f64 v[8:9], v[4:5], v[6:7]
	scratch_load_dwordx4 v[4:7], off, off offset:512
	v_mul_f64 v[158:159], v[150:151], v[156:157]
	v_fmac_f64_e32 v[158:159], v[152:153], v[154:155]
	v_add_f64 v[88:89], v[88:89], v[158:159]
	s_waitcnt vmcnt(0)
	v_add_f64 v[4:5], v[4:5], -v[8:9]
	v_add_f64 v[6:7], v[6:7], -v[88:89]
	scratch_store_dwordx4 off, v[4:7], off offset:512
	s_and_saveexec_b64 s[0:1], vcc
	s_cbranch_execz .LBB114_259
; %bb.258:
	scratch_load_dwordx4 v[6:9], off, s37
	v_mov_b32_e32 v3, v2
	v_mov_b32_e32 v4, v2
	;; [unrolled: 1-line block ×3, first 2 shown]
	v_accvgpr_read_b32 v0, a103
	scratch_store_dwordx4 off, v[2:5], off offset:496
	s_waitcnt vmcnt(1)
	ds_write_b128 v0, v[6:9]
.LBB114_259:
	s_or_b64 exec, exec, s[0:1]
	s_waitcnt lgkmcnt(0)
	; wave barrier
	ds_read_b128 v[16:19], v2 offset:1312
	ds_read_b128 v[12:15], v2 offset:1328
	;; [unrolled: 1-line block ×4, first 2 shown]
	scratch_load_dwordx4 v[20:23], off, off offset:512
	scratch_load_dwordx4 v[40:43], off, off offset:576
	scratch_load_dwordx4 v[72:75], off, off offset:640
	scratch_load_dwordx4 v[80:83], off, off offset:656
	scratch_load_dwordx4 v[88:91], off, off offset:672
	scratch_load_dwordx4 v[98:101], off, off offset:688
	scratch_load_dwordx4 v[106:109], off, off offset:704
	scratch_load_dwordx4 v[114:117], off, off offset:720
	scratch_load_dwordx4 v[122:125], off, off offset:736
	scratch_load_dwordx4 v[130:133], off, off offset:752
	scratch_load_dwordx4 v[138:141], off, off offset:768
	scratch_load_dwordx4 v[146:149], off, off offset:784
	scratch_load_dwordx4 v[154:157], off, off offset:800
	scratch_load_dwordx4 v[162:165], off, off offset:816
	v_cmp_lt_u32_e32 vcc, 29, v240
	scratch_load_dwordx4 v[48:51], off, off offset:592
	scratch_load_dwordx4 v[56:59], off, off offset:608
	;; [unrolled: 1-line block ×3, first 2 shown]
	s_waitcnt vmcnt(16) lgkmcnt(3)
	v_mul_f64 v[24:25], v[16:17], v[22:23]
	v_fmac_f64_e32 v[24:25], v[18:19], v[20:21]
	v_add_f64 v[28:29], v[24:25], 0
	scratch_load_dwordx4 v[24:27], off, off offset:528
	s_waitcnt vmcnt(0) lgkmcnt(2)
	v_mul_f64 v[30:31], v[12:13], v[26:27]
	v_fmac_f64_e32 v[30:31], v[14:15], v[24:25]
	v_add_f64 v[32:33], v[28:29], v[30:31]
	scratch_load_dwordx4 v[28:31], off, off offset:544
	v_mul_f64 v[14:15], v[14:15], v[26:27]
	v_fma_f64 v[12:13], v[12:13], v[24:25], -v[14:15]
	s_waitcnt vmcnt(0) lgkmcnt(1)
	v_mul_f64 v[34:35], v[8:9], v[30:31]
	v_fmac_f64_e32 v[34:35], v[10:11], v[28:29]
	v_add_f64 v[36:37], v[32:33], v[34:35]
	scratch_load_dwordx4 v[32:35], off, off offset:560
	v_mul_f64 v[10:11], v[10:11], v[30:31]
	v_fma_f64 v[8:9], v[8:9], v[28:29], -v[10:11]
	s_waitcnt vmcnt(0) lgkmcnt(0)
	v_mul_f64 v[38:39], v[4:5], v[34:35]
	v_fmac_f64_e32 v[38:39], v[6:7], v[32:33]
	v_add_f64 v[44:45], v[36:37], v[38:39]
	ds_read_b128 v[36:39], v2 offset:1376
	v_mul_f64 v[6:7], v[6:7], v[34:35]
	v_fma_f64 v[4:5], v[4:5], v[32:33], -v[6:7]
	s_waitcnt lgkmcnt(0)
	v_mul_f64 v[46:47], v[36:37], v[42:43]
	v_fmac_f64_e32 v[46:47], v[38:39], v[40:41]
	v_add_f64 v[52:53], v[44:45], v[46:47]
	ds_read_b128 v[44:47], v2 offset:1392
	s_waitcnt lgkmcnt(0)
	v_mul_f64 v[54:55], v[44:45], v[50:51]
	v_fmac_f64_e32 v[54:55], v[46:47], v[48:49]
	v_add_f64 v[60:61], v[52:53], v[54:55]
	ds_read_b128 v[52:55], v2 offset:1408
	;; [unrolled: 5-line block ×15, first 2 shown]
	s_waitcnt lgkmcnt(0)
	v_mul_f64 v[2:3], v[158:159], v[164:165]
	v_fmac_f64_e32 v[2:3], v[160:161], v[162:163]
	v_add_f64 v[96:97], v[96:97], v[2:3]
	v_mul_f64 v[2:3], v[18:19], v[22:23]
	v_fma_f64 v[2:3], v[16:17], v[20:21], -v[2:3]
	v_add_f64 v[2:3], v[2:3], 0
	v_add_f64 v[2:3], v[2:3], v[12:13]
	;; [unrolled: 1-line block ×4, first 2 shown]
	v_mul_f64 v[4:5], v[38:39], v[42:43]
	v_fma_f64 v[4:5], v[36:37], v[40:41], -v[4:5]
	v_add_f64 v[2:3], v[2:3], v[4:5]
	v_mul_f64 v[4:5], v[46:47], v[50:51]
	v_fma_f64 v[4:5], v[44:45], v[48:49], -v[4:5]
	v_add_f64 v[2:3], v[2:3], v[4:5]
	;; [unrolled: 3-line block ×16, first 2 shown]
	scratch_load_dwordx4 v[2:5], off, off offset:496
	s_waitcnt vmcnt(0)
	v_add_f64 v[2:3], v[2:3], -v[6:7]
	v_add_f64 v[4:5], v[4:5], -v[96:97]
	scratch_store_dwordx4 off, v[2:5], off offset:496
	s_and_saveexec_b64 s[0:1], vcc
	s_cbranch_execz .LBB114_261
; %bb.260:
	scratch_load_dwordx4 v[2:5], off, s38
	v_mov_b32_e32 v6, 0
	v_mov_b32_e32 v7, v6
	;; [unrolled: 1-line block ×4, first 2 shown]
	v_accvgpr_read_b32 v0, a103
	scratch_store_dwordx4 off, v[6:9], off offset:480
	s_waitcnt vmcnt(1)
	ds_write_b128 v0, v[2:5]
.LBB114_261:
	s_or_b64 exec, exec, s[0:1]
	v_mov_b32_e32 v2, 0
	s_waitcnt lgkmcnt(0)
	; wave barrier
	ds_read_b128 v[16:19], v2 offset:1296
	ds_read_b128 v[12:15], v2 offset:1312
	;; [unrolled: 1-line block ×4, first 2 shown]
	scratch_load_dwordx4 v[20:23], off, off offset:496
	scratch_load_dwordx4 v[40:43], off, off offset:560
	;; [unrolled: 1-line block ×15, first 2 shown]
	v_cmp_lt_u32_e32 vcc, 28, v240
	scratch_load_dwordx4 v[48:51], off, off offset:576
	scratch_load_dwordx4 v[56:59], off, off offset:592
	;; [unrolled: 1-line block ×3, first 2 shown]
	s_waitcnt vmcnt(17) lgkmcnt(3)
	v_mul_f64 v[24:25], v[16:17], v[22:23]
	v_fmac_f64_e32 v[24:25], v[18:19], v[20:21]
	v_add_f64 v[28:29], v[24:25], 0
	scratch_load_dwordx4 v[24:27], off, off offset:512
	v_mul_f64 v[18:19], v[18:19], v[22:23]
	v_fma_f64 v[16:17], v[16:17], v[20:21], -v[18:19]
	v_add_f64 v[16:17], v[16:17], 0
	s_waitcnt vmcnt(0) lgkmcnt(2)
	v_mul_f64 v[30:31], v[12:13], v[26:27]
	v_fmac_f64_e32 v[30:31], v[14:15], v[24:25]
	v_add_f64 v[32:33], v[28:29], v[30:31]
	scratch_load_dwordx4 v[28:31], off, off offset:528
	v_mul_f64 v[14:15], v[14:15], v[26:27]
	v_fma_f64 v[12:13], v[12:13], v[24:25], -v[14:15]
	v_add_f64 v[12:13], v[16:17], v[12:13]
	;; [unrolled: 8-line block ×3, first 2 shown]
	s_waitcnt vmcnt(0) lgkmcnt(0)
	v_mul_f64 v[38:39], v[4:5], v[34:35]
	v_fmac_f64_e32 v[38:39], v[6:7], v[32:33]
	v_add_f64 v[44:45], v[36:37], v[38:39]
	ds_read_b128 v[36:39], v2 offset:1360
	v_mul_f64 v[6:7], v[6:7], v[34:35]
	v_fma_f64 v[4:5], v[4:5], v[32:33], -v[6:7]
	v_add_f64 v[4:5], v[8:9], v[4:5]
	s_waitcnt lgkmcnt(0)
	v_mul_f64 v[46:47], v[36:37], v[42:43]
	v_fmac_f64_e32 v[46:47], v[38:39], v[40:41]
	v_add_f64 v[52:53], v[44:45], v[46:47]
	ds_read_b128 v[44:47], v2 offset:1376
	v_mul_f64 v[6:7], v[38:39], v[42:43]
	v_fma_f64 v[6:7], v[36:37], v[40:41], -v[6:7]
	v_add_f64 v[4:5], v[4:5], v[6:7]
	s_waitcnt lgkmcnt(0)
	;; [unrolled: 8-line block ×17, first 2 shown]
	v_mul_f64 v[6:7], v[168:169], v[172:173]
	v_fma_f64 v[6:7], v[166:167], v[170:171], -v[6:7]
	v_add_f64 v[8:9], v[4:5], v[6:7]
	scratch_load_dwordx4 v[4:7], off, off offset:480
	v_mul_f64 v[174:175], v[166:167], v[172:173]
	v_fmac_f64_e32 v[174:175], v[168:169], v[170:171]
	v_add_f64 v[104:105], v[104:105], v[174:175]
	s_waitcnt vmcnt(0)
	v_add_f64 v[4:5], v[4:5], -v[8:9]
	v_add_f64 v[6:7], v[6:7], -v[104:105]
	scratch_store_dwordx4 off, v[4:7], off offset:480
	s_and_saveexec_b64 s[0:1], vcc
	s_cbranch_execz .LBB114_263
; %bb.262:
	scratch_load_dwordx4 v[6:9], off, s39
	v_mov_b32_e32 v3, v2
	v_mov_b32_e32 v4, v2
	;; [unrolled: 1-line block ×3, first 2 shown]
	v_accvgpr_read_b32 v0, a103
	scratch_store_dwordx4 off, v[2:5], off offset:464
	s_waitcnt vmcnt(1)
	ds_write_b128 v0, v[6:9]
.LBB114_263:
	s_or_b64 exec, exec, s[0:1]
	s_waitcnt lgkmcnt(0)
	; wave barrier
	ds_read_b128 v[16:19], v2 offset:1280
	ds_read_b128 v[12:15], v2 offset:1296
	;; [unrolled: 1-line block ×4, first 2 shown]
	scratch_load_dwordx4 v[20:23], off, off offset:480
	scratch_load_dwordx4 v[40:43], off, off offset:544
	scratch_load_dwordx4 v[72:75], off, off offset:608
	scratch_load_dwordx4 v[80:83], off, off offset:624
	scratch_load_dwordx4 v[88:91], off, off offset:640
	scratch_load_dwordx4 v[96:99], off, off offset:656
	scratch_load_dwordx4 v[104:107], off, off offset:672
	scratch_load_dwordx4 v[112:115], off, off offset:688
	scratch_load_dwordx4 v[122:125], off, off offset:704
	scratch_load_dwordx4 v[130:133], off, off offset:720
	scratch_load_dwordx4 v[138:141], off, off offset:736
	scratch_load_dwordx4 v[146:149], off, off offset:752
	scratch_load_dwordx4 v[154:157], off, off offset:768
	scratch_load_dwordx4 v[162:165], off, off offset:784
	scratch_load_dwordx4 v[170:173], off, off offset:800
	scratch_load_dwordx4 v[178:181], off, off offset:816
	v_cmp_lt_u32_e32 vcc, 27, v240
	scratch_load_dwordx4 v[48:51], off, off offset:560
	scratch_load_dwordx4 v[56:59], off, off offset:576
	;; [unrolled: 1-line block ×3, first 2 shown]
	s_waitcnt vmcnt(18) lgkmcnt(3)
	v_mul_f64 v[24:25], v[16:17], v[22:23]
	v_fmac_f64_e32 v[24:25], v[18:19], v[20:21]
	v_add_f64 v[28:29], v[24:25], 0
	scratch_load_dwordx4 v[24:27], off, off offset:496
	s_waitcnt vmcnt(0) lgkmcnt(2)
	v_mul_f64 v[30:31], v[12:13], v[26:27]
	v_fmac_f64_e32 v[30:31], v[14:15], v[24:25]
	v_add_f64 v[32:33], v[28:29], v[30:31]
	scratch_load_dwordx4 v[28:31], off, off offset:512
	v_mul_f64 v[14:15], v[14:15], v[26:27]
	v_fma_f64 v[12:13], v[12:13], v[24:25], -v[14:15]
	s_waitcnt vmcnt(0) lgkmcnt(1)
	v_mul_f64 v[34:35], v[8:9], v[30:31]
	v_fmac_f64_e32 v[34:35], v[10:11], v[28:29]
	v_add_f64 v[36:37], v[32:33], v[34:35]
	scratch_load_dwordx4 v[32:35], off, off offset:528
	v_mul_f64 v[10:11], v[10:11], v[30:31]
	v_fma_f64 v[8:9], v[8:9], v[28:29], -v[10:11]
	s_waitcnt vmcnt(0) lgkmcnt(0)
	v_mul_f64 v[38:39], v[4:5], v[34:35]
	v_fmac_f64_e32 v[38:39], v[6:7], v[32:33]
	v_add_f64 v[44:45], v[36:37], v[38:39]
	ds_read_b128 v[36:39], v2 offset:1344
	v_mul_f64 v[6:7], v[6:7], v[34:35]
	v_fma_f64 v[4:5], v[4:5], v[32:33], -v[6:7]
	s_waitcnt lgkmcnt(0)
	v_mul_f64 v[46:47], v[36:37], v[42:43]
	v_fmac_f64_e32 v[46:47], v[38:39], v[40:41]
	v_add_f64 v[52:53], v[44:45], v[46:47]
	ds_read_b128 v[44:47], v2 offset:1360
	s_waitcnt lgkmcnt(0)
	v_mul_f64 v[54:55], v[44:45], v[50:51]
	v_fmac_f64_e32 v[54:55], v[46:47], v[48:49]
	v_add_f64 v[60:61], v[52:53], v[54:55]
	ds_read_b128 v[52:55], v2 offset:1376
	;; [unrolled: 5-line block ×17, first 2 shown]
	s_waitcnt lgkmcnt(0)
	v_mul_f64 v[2:3], v[174:175], v[180:181]
	v_fmac_f64_e32 v[2:3], v[176:177], v[178:179]
	v_add_f64 v[120:121], v[120:121], v[2:3]
	v_mul_f64 v[2:3], v[18:19], v[22:23]
	v_fma_f64 v[2:3], v[16:17], v[20:21], -v[2:3]
	v_add_f64 v[2:3], v[2:3], 0
	v_add_f64 v[2:3], v[2:3], v[12:13]
	v_add_f64 v[2:3], v[2:3], v[8:9]
	v_add_f64 v[2:3], v[2:3], v[4:5]
	v_mul_f64 v[4:5], v[38:39], v[42:43]
	v_fma_f64 v[4:5], v[36:37], v[40:41], -v[4:5]
	v_add_f64 v[2:3], v[2:3], v[4:5]
	v_mul_f64 v[4:5], v[46:47], v[50:51]
	v_fma_f64 v[4:5], v[44:45], v[48:49], -v[4:5]
	v_add_f64 v[2:3], v[2:3], v[4:5]
	v_mul_f64 v[4:5], v[54:55], v[58:59]
	v_fma_f64 v[4:5], v[52:53], v[56:57], -v[4:5]
	v_add_f64 v[2:3], v[2:3], v[4:5]
	v_mul_f64 v[4:5], v[62:63], v[66:67]
	v_fma_f64 v[4:5], v[60:61], v[64:65], -v[4:5]
	v_add_f64 v[2:3], v[2:3], v[4:5]
	v_mul_f64 v[4:5], v[70:71], v[74:75]
	v_fma_f64 v[4:5], v[68:69], v[72:73], -v[4:5]
	v_add_f64 v[2:3], v[2:3], v[4:5]
	v_mul_f64 v[4:5], v[78:79], v[82:83]
	v_fma_f64 v[4:5], v[76:77], v[80:81], -v[4:5]
	v_add_f64 v[2:3], v[2:3], v[4:5]
	v_mul_f64 v[4:5], v[86:87], v[90:91]
	v_fma_f64 v[4:5], v[84:85], v[88:89], -v[4:5]
	v_add_f64 v[2:3], v[2:3], v[4:5]
	v_mul_f64 v[4:5], v[94:95], v[98:99]
	v_fma_f64 v[4:5], v[92:93], v[96:97], -v[4:5]
	v_add_f64 v[2:3], v[2:3], v[4:5]
	v_mul_f64 v[4:5], v[102:103], v[106:107]
	v_fma_f64 v[4:5], v[100:101], v[104:105], -v[4:5]
	v_add_f64 v[2:3], v[2:3], v[4:5]
	v_mul_f64 v[4:5], v[110:111], v[114:115]
	v_fma_f64 v[4:5], v[108:109], v[112:113], -v[4:5]
	v_add_f64 v[2:3], v[2:3], v[4:5]
	v_mul_f64 v[4:5], v[118:119], v[124:125]
	v_fma_f64 v[4:5], v[116:117], v[122:123], -v[4:5]
	v_add_f64 v[2:3], v[2:3], v[4:5]
	v_mul_f64 v[4:5], v[128:129], v[132:133]
	v_fma_f64 v[4:5], v[126:127], v[130:131], -v[4:5]
	v_add_f64 v[2:3], v[2:3], v[4:5]
	v_mul_f64 v[4:5], v[136:137], v[140:141]
	v_fma_f64 v[4:5], v[134:135], v[138:139], -v[4:5]
	v_add_f64 v[2:3], v[2:3], v[4:5]
	v_mul_f64 v[4:5], v[144:145], v[148:149]
	v_fma_f64 v[4:5], v[142:143], v[146:147], -v[4:5]
	v_add_f64 v[2:3], v[2:3], v[4:5]
	v_mul_f64 v[4:5], v[152:153], v[156:157]
	v_fma_f64 v[4:5], v[150:151], v[154:155], -v[4:5]
	v_add_f64 v[2:3], v[2:3], v[4:5]
	v_mul_f64 v[4:5], v[160:161], v[164:165]
	v_fma_f64 v[4:5], v[158:159], v[162:163], -v[4:5]
	v_add_f64 v[2:3], v[2:3], v[4:5]
	v_mul_f64 v[4:5], v[168:169], v[172:173]
	v_fma_f64 v[4:5], v[166:167], v[170:171], -v[4:5]
	v_add_f64 v[2:3], v[2:3], v[4:5]
	v_mul_f64 v[4:5], v[176:177], v[180:181]
	v_fma_f64 v[4:5], v[174:175], v[178:179], -v[4:5]
	v_add_f64 v[6:7], v[2:3], v[4:5]
	scratch_load_dwordx4 v[2:5], off, off offset:464
	s_waitcnt vmcnt(0)
	v_add_f64 v[2:3], v[2:3], -v[6:7]
	v_add_f64 v[4:5], v[4:5], -v[120:121]
	scratch_store_dwordx4 off, v[2:5], off offset:464
	s_and_saveexec_b64 s[0:1], vcc
	s_cbranch_execz .LBB114_265
; %bb.264:
	scratch_load_dwordx4 v[2:5], off, s40
	v_mov_b32_e32 v6, 0
	v_mov_b32_e32 v7, v6
	;; [unrolled: 1-line block ×4, first 2 shown]
	v_accvgpr_read_b32 v0, a103
	scratch_store_dwordx4 off, v[6:9], off offset:448
	s_waitcnt vmcnt(1)
	ds_write_b128 v0, v[2:5]
.LBB114_265:
	s_or_b64 exec, exec, s[0:1]
	v_mov_b32_e32 v2, 0
	s_waitcnt lgkmcnt(0)
	; wave barrier
	ds_read_b128 v[16:19], v2 offset:1264
	ds_read_b128 v[12:15], v2 offset:1280
	;; [unrolled: 1-line block ×4, first 2 shown]
	scratch_load_dwordx4 v[20:23], off, off offset:464
	scratch_load_dwordx4 v[40:43], off, off offset:528
	;; [unrolled: 1-line block ×17, first 2 shown]
	v_cmp_lt_u32_e32 vcc, 26, v240
	scratch_load_dwordx4 v[48:51], off, off offset:544
	scratch_load_dwordx4 v[56:59], off, off offset:560
	;; [unrolled: 1-line block ×3, first 2 shown]
	s_waitcnt vmcnt(19) lgkmcnt(3)
	v_mul_f64 v[24:25], v[16:17], v[22:23]
	v_fmac_f64_e32 v[24:25], v[18:19], v[20:21]
	v_add_f64 v[28:29], v[24:25], 0
	scratch_load_dwordx4 v[24:27], off, off offset:480
	v_mul_f64 v[18:19], v[18:19], v[22:23]
	v_fma_f64 v[16:17], v[16:17], v[20:21], -v[18:19]
	v_add_f64 v[16:17], v[16:17], 0
	s_waitcnt vmcnt(0) lgkmcnt(2)
	v_mul_f64 v[30:31], v[12:13], v[26:27]
	v_fmac_f64_e32 v[30:31], v[14:15], v[24:25]
	v_add_f64 v[32:33], v[28:29], v[30:31]
	scratch_load_dwordx4 v[28:31], off, off offset:496
	v_mul_f64 v[14:15], v[14:15], v[26:27]
	v_fma_f64 v[12:13], v[12:13], v[24:25], -v[14:15]
	v_add_f64 v[12:13], v[16:17], v[12:13]
	;; [unrolled: 8-line block ×3, first 2 shown]
	s_waitcnt vmcnt(0) lgkmcnt(0)
	v_mul_f64 v[38:39], v[4:5], v[34:35]
	v_fmac_f64_e32 v[38:39], v[6:7], v[32:33]
	v_add_f64 v[44:45], v[36:37], v[38:39]
	ds_read_b128 v[36:39], v2 offset:1328
	v_mul_f64 v[6:7], v[6:7], v[34:35]
	v_fma_f64 v[4:5], v[4:5], v[32:33], -v[6:7]
	v_add_f64 v[4:5], v[8:9], v[4:5]
	s_waitcnt lgkmcnt(0)
	v_mul_f64 v[46:47], v[36:37], v[42:43]
	v_fmac_f64_e32 v[46:47], v[38:39], v[40:41]
	v_add_f64 v[52:53], v[44:45], v[46:47]
	ds_read_b128 v[44:47], v2 offset:1344
	v_mul_f64 v[6:7], v[38:39], v[42:43]
	v_fma_f64 v[6:7], v[36:37], v[40:41], -v[6:7]
	v_add_f64 v[4:5], v[4:5], v[6:7]
	s_waitcnt lgkmcnt(0)
	;; [unrolled: 8-line block ×19, first 2 shown]
	v_mul_f64 v[6:7], v[184:185], v[188:189]
	v_fma_f64 v[6:7], v[182:183], v[186:187], -v[6:7]
	v_add_f64 v[8:9], v[4:5], v[6:7]
	scratch_load_dwordx4 v[4:7], off, off offset:448
	v_mul_f64 v[190:191], v[182:183], v[188:189]
	v_fmac_f64_e32 v[190:191], v[184:185], v[186:187]
	v_add_f64 v[128:129], v[128:129], v[190:191]
	s_waitcnt vmcnt(0)
	v_add_f64 v[4:5], v[4:5], -v[8:9]
	v_add_f64 v[6:7], v[6:7], -v[128:129]
	scratch_store_dwordx4 off, v[4:7], off offset:448
	s_and_saveexec_b64 s[0:1], vcc
	s_cbranch_execz .LBB114_267
; %bb.266:
	scratch_load_dwordx4 v[6:9], off, s41
	v_mov_b32_e32 v3, v2
	v_mov_b32_e32 v4, v2
	;; [unrolled: 1-line block ×3, first 2 shown]
	v_accvgpr_read_b32 v0, a103
	scratch_store_dwordx4 off, v[2:5], off offset:432
	s_waitcnt vmcnt(1)
	ds_write_b128 v0, v[6:9]
.LBB114_267:
	s_or_b64 exec, exec, s[0:1]
	s_waitcnt lgkmcnt(0)
	; wave barrier
	ds_read_b128 v[16:19], v2 offset:1248
	ds_read_b128 v[12:15], v2 offset:1264
	;; [unrolled: 1-line block ×4, first 2 shown]
	scratch_load_dwordx4 v[20:23], off, off offset:448
	scratch_load_dwordx4 v[40:43], off, off offset:512
	;; [unrolled: 1-line block ×18, first 2 shown]
	v_cmp_lt_u32_e32 vcc, 25, v240
	scratch_load_dwordx4 v[48:51], off, off offset:528
	scratch_load_dwordx4 v[56:59], off, off offset:544
	;; [unrolled: 1-line block ×3, first 2 shown]
	s_waitcnt vmcnt(20) lgkmcnt(3)
	v_mul_f64 v[24:25], v[16:17], v[22:23]
	v_fmac_f64_e32 v[24:25], v[18:19], v[20:21]
	v_add_f64 v[28:29], v[24:25], 0
	scratch_load_dwordx4 v[24:27], off, off offset:464
	s_waitcnt vmcnt(0) lgkmcnt(2)
	v_mul_f64 v[30:31], v[12:13], v[26:27]
	v_fmac_f64_e32 v[30:31], v[14:15], v[24:25]
	v_add_f64 v[32:33], v[28:29], v[30:31]
	scratch_load_dwordx4 v[28:31], off, off offset:480
	v_mul_f64 v[14:15], v[14:15], v[26:27]
	v_fma_f64 v[12:13], v[12:13], v[24:25], -v[14:15]
	s_waitcnt vmcnt(0) lgkmcnt(1)
	v_mul_f64 v[34:35], v[8:9], v[30:31]
	v_fmac_f64_e32 v[34:35], v[10:11], v[28:29]
	v_add_f64 v[36:37], v[32:33], v[34:35]
	scratch_load_dwordx4 v[32:35], off, off offset:496
	v_mul_f64 v[10:11], v[10:11], v[30:31]
	v_fma_f64 v[8:9], v[8:9], v[28:29], -v[10:11]
	s_waitcnt vmcnt(0) lgkmcnt(0)
	v_mul_f64 v[38:39], v[4:5], v[34:35]
	v_fmac_f64_e32 v[38:39], v[6:7], v[32:33]
	v_add_f64 v[44:45], v[36:37], v[38:39]
	ds_read_b128 v[36:39], v2 offset:1312
	v_mul_f64 v[6:7], v[6:7], v[34:35]
	v_fma_f64 v[4:5], v[4:5], v[32:33], -v[6:7]
	s_waitcnt lgkmcnt(0)
	v_mul_f64 v[46:47], v[36:37], v[42:43]
	v_fmac_f64_e32 v[46:47], v[38:39], v[40:41]
	v_add_f64 v[52:53], v[44:45], v[46:47]
	ds_read_b128 v[44:47], v2 offset:1328
	s_waitcnt lgkmcnt(0)
	v_mul_f64 v[54:55], v[44:45], v[50:51]
	v_fmac_f64_e32 v[54:55], v[46:47], v[48:49]
	v_add_f64 v[60:61], v[52:53], v[54:55]
	ds_read_b128 v[52:55], v2 offset:1344
	;; [unrolled: 5-line block ×19, first 2 shown]
	s_waitcnt lgkmcnt(0)
	v_mul_f64 v[2:3], v[190:191], v[196:197]
	v_fmac_f64_e32 v[2:3], v[192:193], v[194:195]
	v_add_f64 v[148:149], v[148:149], v[2:3]
	v_mul_f64 v[2:3], v[18:19], v[22:23]
	v_fma_f64 v[2:3], v[16:17], v[20:21], -v[2:3]
	v_add_f64 v[2:3], v[2:3], 0
	v_add_f64 v[2:3], v[2:3], v[12:13]
	;; [unrolled: 1-line block ×4, first 2 shown]
	v_mul_f64 v[4:5], v[38:39], v[42:43]
	v_fma_f64 v[4:5], v[36:37], v[40:41], -v[4:5]
	v_add_f64 v[2:3], v[2:3], v[4:5]
	v_mul_f64 v[4:5], v[46:47], v[50:51]
	v_fma_f64 v[4:5], v[44:45], v[48:49], -v[4:5]
	v_add_f64 v[2:3], v[2:3], v[4:5]
	;; [unrolled: 3-line block ×20, first 2 shown]
	scratch_load_dwordx4 v[2:5], off, off offset:432
	s_waitcnt vmcnt(0)
	v_add_f64 v[2:3], v[2:3], -v[6:7]
	v_add_f64 v[4:5], v[4:5], -v[148:149]
	scratch_store_dwordx4 off, v[2:5], off offset:432
	s_and_saveexec_b64 s[0:1], vcc
	s_cbranch_execz .LBB114_269
; %bb.268:
	scratch_load_dwordx4 v[2:5], off, s42
	v_mov_b32_e32 v6, 0
	v_mov_b32_e32 v7, v6
	;; [unrolled: 1-line block ×4, first 2 shown]
	v_accvgpr_read_b32 v0, a103
	scratch_store_dwordx4 off, v[6:9], off offset:416
	s_waitcnt vmcnt(1)
	ds_write_b128 v0, v[2:5]
.LBB114_269:
	s_or_b64 exec, exec, s[0:1]
	v_mov_b32_e32 v2, 0
	s_waitcnt lgkmcnt(0)
	; wave barrier
	ds_read_b128 v[16:19], v2 offset:1232
	ds_read_b128 v[12:15], v2 offset:1248
	;; [unrolled: 1-line block ×4, first 2 shown]
	scratch_load_dwordx4 v[20:23], off, off offset:432
	scratch_load_dwordx4 v[40:43], off, off offset:496
	;; [unrolled: 1-line block ×19, first 2 shown]
	v_cmp_lt_u32_e32 vcc, 24, v240
	scratch_load_dwordx4 v[48:51], off, off offset:512
	scratch_load_dwordx4 v[56:59], off, off offset:528
	;; [unrolled: 1-line block ×3, first 2 shown]
	s_waitcnt vmcnt(21) lgkmcnt(3)
	v_mul_f64 v[24:25], v[16:17], v[22:23]
	v_fmac_f64_e32 v[24:25], v[18:19], v[20:21]
	v_add_f64 v[28:29], v[24:25], 0
	scratch_load_dwordx4 v[24:27], off, off offset:448
	v_mul_f64 v[18:19], v[18:19], v[22:23]
	v_fma_f64 v[16:17], v[16:17], v[20:21], -v[18:19]
	v_add_f64 v[16:17], v[16:17], 0
	s_waitcnt vmcnt(0) lgkmcnt(2)
	v_mul_f64 v[30:31], v[12:13], v[26:27]
	v_fmac_f64_e32 v[30:31], v[14:15], v[24:25]
	v_add_f64 v[32:33], v[28:29], v[30:31]
	scratch_load_dwordx4 v[28:31], off, off offset:464
	v_mul_f64 v[14:15], v[14:15], v[26:27]
	v_fma_f64 v[12:13], v[12:13], v[24:25], -v[14:15]
	v_add_f64 v[12:13], v[16:17], v[12:13]
	s_waitcnt vmcnt(0) lgkmcnt(1)
	v_mul_f64 v[34:35], v[8:9], v[30:31]
	v_fmac_f64_e32 v[34:35], v[10:11], v[28:29]
	v_add_f64 v[36:37], v[32:33], v[34:35]
	scratch_load_dwordx4 v[32:35], off, off offset:480
	v_mul_f64 v[10:11], v[10:11], v[30:31]
	v_fma_f64 v[8:9], v[8:9], v[28:29], -v[10:11]
	v_add_f64 v[8:9], v[12:13], v[8:9]
	s_waitcnt vmcnt(0) lgkmcnt(0)
	v_mul_f64 v[38:39], v[4:5], v[34:35]
	v_fmac_f64_e32 v[38:39], v[6:7], v[32:33]
	v_add_f64 v[44:45], v[36:37], v[38:39]
	ds_read_b128 v[36:39], v2 offset:1296
	v_mul_f64 v[6:7], v[6:7], v[34:35]
	v_fma_f64 v[4:5], v[4:5], v[32:33], -v[6:7]
	v_add_f64 v[4:5], v[8:9], v[4:5]
	s_waitcnt lgkmcnt(0)
	v_mul_f64 v[46:47], v[36:37], v[42:43]
	v_fmac_f64_e32 v[46:47], v[38:39], v[40:41]
	v_add_f64 v[52:53], v[44:45], v[46:47]
	ds_read_b128 v[44:47], v2 offset:1312
	v_mul_f64 v[6:7], v[38:39], v[42:43]
	v_fma_f64 v[6:7], v[36:37], v[40:41], -v[6:7]
	v_add_f64 v[4:5], v[4:5], v[6:7]
	s_waitcnt lgkmcnt(0)
	;; [unrolled: 8-line block ×21, first 2 shown]
	v_mul_f64 v[6:7], v[200:201], v[204:205]
	v_fma_f64 v[6:7], v[198:199], v[202:203], -v[6:7]
	v_add_f64 v[8:9], v[4:5], v[6:7]
	scratch_load_dwordx4 v[4:7], off, off offset:416
	v_mul_f64 v[206:207], v[198:199], v[204:205]
	v_fmac_f64_e32 v[206:207], v[200:201], v[202:203]
	v_add_f64 v[144:145], v[144:145], v[206:207]
	s_waitcnt vmcnt(0)
	v_add_f64 v[4:5], v[4:5], -v[8:9]
	v_add_f64 v[6:7], v[6:7], -v[144:145]
	scratch_store_dwordx4 off, v[4:7], off offset:416
	s_and_saveexec_b64 s[0:1], vcc
	s_cbranch_execz .LBB114_271
; %bb.270:
	scratch_load_dwordx4 v[6:9], off, s43
	v_mov_b32_e32 v3, v2
	v_mov_b32_e32 v4, v2
	;; [unrolled: 1-line block ×3, first 2 shown]
	v_accvgpr_read_b32 v0, a103
	scratch_store_dwordx4 off, v[2:5], off offset:400
	s_waitcnt vmcnt(1)
	ds_write_b128 v0, v[6:9]
.LBB114_271:
	s_or_b64 exec, exec, s[0:1]
	s_waitcnt lgkmcnt(0)
	; wave barrier
	ds_read_b128 v[16:19], v2 offset:1216
	ds_read_b128 v[12:15], v2 offset:1232
	;; [unrolled: 1-line block ×4, first 2 shown]
	scratch_load_dwordx4 v[20:23], off, off offset:416
	scratch_load_dwordx4 v[40:43], off, off offset:480
	;; [unrolled: 1-line block ×20, first 2 shown]
	v_cmp_lt_u32_e32 vcc, 23, v240
	scratch_load_dwordx4 v[48:51], off, off offset:496
	scratch_load_dwordx4 v[56:59], off, off offset:512
	;; [unrolled: 1-line block ×3, first 2 shown]
	s_waitcnt vmcnt(22) lgkmcnt(3)
	v_mul_f64 v[24:25], v[16:17], v[22:23]
	v_fmac_f64_e32 v[24:25], v[18:19], v[20:21]
	v_add_f64 v[28:29], v[24:25], 0
	scratch_load_dwordx4 v[24:27], off, off offset:432
	s_waitcnt vmcnt(0) lgkmcnt(2)
	v_mul_f64 v[30:31], v[12:13], v[26:27]
	v_fmac_f64_e32 v[30:31], v[14:15], v[24:25]
	v_add_f64 v[32:33], v[28:29], v[30:31]
	scratch_load_dwordx4 v[28:31], off, off offset:448
	v_mul_f64 v[14:15], v[14:15], v[26:27]
	v_fma_f64 v[12:13], v[12:13], v[24:25], -v[14:15]
	s_waitcnt vmcnt(0) lgkmcnt(1)
	v_mul_f64 v[34:35], v[8:9], v[30:31]
	v_fmac_f64_e32 v[34:35], v[10:11], v[28:29]
	v_add_f64 v[36:37], v[32:33], v[34:35]
	scratch_load_dwordx4 v[32:35], off, off offset:464
	v_mul_f64 v[10:11], v[10:11], v[30:31]
	v_fma_f64 v[8:9], v[8:9], v[28:29], -v[10:11]
	s_waitcnt vmcnt(0) lgkmcnt(0)
	v_mul_f64 v[38:39], v[4:5], v[34:35]
	v_fmac_f64_e32 v[38:39], v[6:7], v[32:33]
	v_add_f64 v[44:45], v[36:37], v[38:39]
	ds_read_b128 v[36:39], v2 offset:1280
	v_mul_f64 v[6:7], v[6:7], v[34:35]
	v_fma_f64 v[4:5], v[4:5], v[32:33], -v[6:7]
	s_waitcnt lgkmcnt(0)
	v_mul_f64 v[46:47], v[36:37], v[42:43]
	v_fmac_f64_e32 v[46:47], v[38:39], v[40:41]
	v_add_f64 v[52:53], v[44:45], v[46:47]
	ds_read_b128 v[44:47], v2 offset:1296
	s_waitcnt lgkmcnt(0)
	v_mul_f64 v[54:55], v[44:45], v[50:51]
	v_fmac_f64_e32 v[54:55], v[46:47], v[48:49]
	v_add_f64 v[60:61], v[52:53], v[54:55]
	ds_read_b128 v[52:55], v2 offset:1312
	;; [unrolled: 5-line block ×21, first 2 shown]
	s_waitcnt lgkmcnt(0)
	v_mul_f64 v[2:3], v[206:207], v[212:213]
	v_fmac_f64_e32 v[2:3], v[208:209], v[210:211]
	v_add_f64 v[168:169], v[168:169], v[2:3]
	v_mul_f64 v[2:3], v[18:19], v[22:23]
	v_fma_f64 v[2:3], v[16:17], v[20:21], -v[2:3]
	v_add_f64 v[2:3], v[2:3], 0
	v_add_f64 v[2:3], v[2:3], v[12:13]
	;; [unrolled: 1-line block ×4, first 2 shown]
	v_mul_f64 v[4:5], v[38:39], v[42:43]
	v_fma_f64 v[4:5], v[36:37], v[40:41], -v[4:5]
	v_add_f64 v[2:3], v[2:3], v[4:5]
	v_mul_f64 v[4:5], v[46:47], v[50:51]
	v_fma_f64 v[4:5], v[44:45], v[48:49], -v[4:5]
	v_add_f64 v[2:3], v[2:3], v[4:5]
	;; [unrolled: 3-line block ×22, first 2 shown]
	scratch_load_dwordx4 v[2:5], off, off offset:400
	s_waitcnt vmcnt(0)
	v_add_f64 v[2:3], v[2:3], -v[6:7]
	v_add_f64 v[4:5], v[4:5], -v[168:169]
	scratch_store_dwordx4 off, v[2:5], off offset:400
	s_and_saveexec_b64 s[0:1], vcc
	s_cbranch_execz .LBB114_273
; %bb.272:
	scratch_load_dwordx4 v[2:5], off, s44
	v_mov_b32_e32 v6, 0
	v_mov_b32_e32 v7, v6
	;; [unrolled: 1-line block ×4, first 2 shown]
	v_accvgpr_read_b32 v0, a103
	scratch_store_dwordx4 off, v[6:9], off offset:384
	s_waitcnt vmcnt(1)
	ds_write_b128 v0, v[2:5]
.LBB114_273:
	s_or_b64 exec, exec, s[0:1]
	v_mov_b32_e32 v2, 0
	s_waitcnt lgkmcnt(0)
	; wave barrier
	ds_read_b128 v[16:19], v2 offset:1200
	ds_read_b128 v[12:15], v2 offset:1216
	;; [unrolled: 1-line block ×4, first 2 shown]
	scratch_load_dwordx4 v[20:23], off, off offset:400
	scratch_load_dwordx4 v[40:43], off, off offset:464
	;; [unrolled: 1-line block ×21, first 2 shown]
	v_cmp_lt_u32_e32 vcc, 22, v240
	scratch_load_dwordx4 v[48:51], off, off offset:480
	scratch_load_dwordx4 v[56:59], off, off offset:496
	;; [unrolled: 1-line block ×3, first 2 shown]
	s_waitcnt vmcnt(23) lgkmcnt(3)
	v_mul_f64 v[24:25], v[16:17], v[22:23]
	v_fmac_f64_e32 v[24:25], v[18:19], v[20:21]
	v_add_f64 v[28:29], v[24:25], 0
	scratch_load_dwordx4 v[24:27], off, off offset:416
	v_mul_f64 v[18:19], v[18:19], v[22:23]
	v_fma_f64 v[16:17], v[16:17], v[20:21], -v[18:19]
	v_add_f64 v[16:17], v[16:17], 0
	s_waitcnt vmcnt(0) lgkmcnt(2)
	v_mul_f64 v[30:31], v[12:13], v[26:27]
	v_fmac_f64_e32 v[30:31], v[14:15], v[24:25]
	v_add_f64 v[32:33], v[28:29], v[30:31]
	scratch_load_dwordx4 v[28:31], off, off offset:432
	v_mul_f64 v[14:15], v[14:15], v[26:27]
	v_fma_f64 v[12:13], v[12:13], v[24:25], -v[14:15]
	v_add_f64 v[12:13], v[16:17], v[12:13]
	;; [unrolled: 8-line block ×3, first 2 shown]
	s_waitcnt vmcnt(0) lgkmcnt(0)
	v_mul_f64 v[38:39], v[4:5], v[34:35]
	v_fmac_f64_e32 v[38:39], v[6:7], v[32:33]
	v_add_f64 v[44:45], v[36:37], v[38:39]
	ds_read_b128 v[36:39], v2 offset:1264
	v_mul_f64 v[6:7], v[6:7], v[34:35]
	v_fma_f64 v[4:5], v[4:5], v[32:33], -v[6:7]
	v_add_f64 v[4:5], v[8:9], v[4:5]
	s_waitcnt lgkmcnt(0)
	v_mul_f64 v[46:47], v[36:37], v[42:43]
	v_fmac_f64_e32 v[46:47], v[38:39], v[40:41]
	v_add_f64 v[52:53], v[44:45], v[46:47]
	ds_read_b128 v[44:47], v2 offset:1280
	v_mul_f64 v[6:7], v[38:39], v[42:43]
	v_fma_f64 v[6:7], v[36:37], v[40:41], -v[6:7]
	v_add_f64 v[4:5], v[4:5], v[6:7]
	s_waitcnt lgkmcnt(0)
	;; [unrolled: 8-line block ×23, first 2 shown]
	v_mul_f64 v[6:7], v[216:217], v[220:221]
	v_fma_f64 v[6:7], v[214:215], v[218:219], -v[6:7]
	v_add_f64 v[8:9], v[4:5], v[6:7]
	scratch_load_dwordx4 v[4:7], off, off offset:384
	v_mul_f64 v[222:223], v[214:215], v[220:221]
	v_fmac_f64_e32 v[222:223], v[216:217], v[218:219]
	v_add_f64 v[160:161], v[160:161], v[222:223]
	s_waitcnt vmcnt(0)
	v_add_f64 v[4:5], v[4:5], -v[8:9]
	v_add_f64 v[6:7], v[6:7], -v[160:161]
	scratch_store_dwordx4 off, v[4:7], off offset:384
	s_and_saveexec_b64 s[0:1], vcc
	s_cbranch_execz .LBB114_275
; %bb.274:
	scratch_load_dwordx4 v[6:9], off, s45
	v_mov_b32_e32 v3, v2
	v_mov_b32_e32 v4, v2
	;; [unrolled: 1-line block ×3, first 2 shown]
	v_accvgpr_read_b32 v0, a103
	scratch_store_dwordx4 off, v[2:5], off offset:368
	s_waitcnt vmcnt(1)
	ds_write_b128 v0, v[6:9]
.LBB114_275:
	s_or_b64 exec, exec, s[0:1]
	s_waitcnt lgkmcnt(0)
	; wave barrier
	ds_read_b128 v[16:19], v2 offset:1184
	ds_read_b128 v[12:15], v2 offset:1200
	;; [unrolled: 1-line block ×4, first 2 shown]
	scratch_load_dwordx4 v[20:23], off, off offset:384
	scratch_load_dwordx4 v[40:43], off, off offset:448
	;; [unrolled: 1-line block ×22, first 2 shown]
	v_cmp_lt_u32_e32 vcc, 21, v240
	scratch_load_dwordx4 v[48:51], off, off offset:464
	scratch_load_dwordx4 v[56:59], off, off offset:480
	;; [unrolled: 1-line block ×3, first 2 shown]
	s_waitcnt vmcnt(24) lgkmcnt(3)
	v_mul_f64 v[24:25], v[16:17], v[22:23]
	v_fmac_f64_e32 v[24:25], v[18:19], v[20:21]
	v_add_f64 v[28:29], v[24:25], 0
	scratch_load_dwordx4 v[24:27], off, off offset:400
	s_waitcnt vmcnt(0) lgkmcnt(2)
	v_mul_f64 v[30:31], v[12:13], v[26:27]
	v_fmac_f64_e32 v[30:31], v[14:15], v[24:25]
	v_add_f64 v[32:33], v[28:29], v[30:31]
	scratch_load_dwordx4 v[28:31], off, off offset:416
	v_mul_f64 v[14:15], v[14:15], v[26:27]
	v_fma_f64 v[12:13], v[12:13], v[24:25], -v[14:15]
	s_waitcnt vmcnt(0) lgkmcnt(1)
	v_mul_f64 v[34:35], v[8:9], v[30:31]
	v_fmac_f64_e32 v[34:35], v[10:11], v[28:29]
	v_add_f64 v[36:37], v[32:33], v[34:35]
	scratch_load_dwordx4 v[32:35], off, off offset:432
	v_mul_f64 v[10:11], v[10:11], v[30:31]
	v_fma_f64 v[8:9], v[8:9], v[28:29], -v[10:11]
	s_waitcnt vmcnt(0) lgkmcnt(0)
	v_mul_f64 v[38:39], v[4:5], v[34:35]
	v_fmac_f64_e32 v[38:39], v[6:7], v[32:33]
	v_add_f64 v[44:45], v[36:37], v[38:39]
	ds_read_b128 v[36:39], v2 offset:1248
	v_mul_f64 v[6:7], v[6:7], v[34:35]
	v_fma_f64 v[4:5], v[4:5], v[32:33], -v[6:7]
	s_waitcnt lgkmcnt(0)
	v_mul_f64 v[46:47], v[36:37], v[42:43]
	v_fmac_f64_e32 v[46:47], v[38:39], v[40:41]
	v_add_f64 v[52:53], v[44:45], v[46:47]
	ds_read_b128 v[44:47], v2 offset:1264
	s_waitcnt lgkmcnt(0)
	v_mul_f64 v[54:55], v[44:45], v[50:51]
	v_fmac_f64_e32 v[54:55], v[46:47], v[48:49]
	v_add_f64 v[60:61], v[52:53], v[54:55]
	ds_read_b128 v[52:55], v2 offset:1280
	;; [unrolled: 5-line block ×23, first 2 shown]
	s_waitcnt lgkmcnt(0)
	v_mul_f64 v[2:3], v[222:223], v[228:229]
	v_fmac_f64_e32 v[2:3], v[224:225], v[226:227]
	v_add_f64 v[176:177], v[176:177], v[2:3]
	v_mul_f64 v[2:3], v[18:19], v[22:23]
	v_fma_f64 v[2:3], v[16:17], v[20:21], -v[2:3]
	v_add_f64 v[2:3], v[2:3], 0
	v_add_f64 v[2:3], v[2:3], v[12:13]
	;; [unrolled: 1-line block ×4, first 2 shown]
	v_mul_f64 v[4:5], v[38:39], v[42:43]
	v_fma_f64 v[4:5], v[36:37], v[40:41], -v[4:5]
	v_add_f64 v[2:3], v[2:3], v[4:5]
	v_mul_f64 v[4:5], v[46:47], v[50:51]
	v_fma_f64 v[4:5], v[44:45], v[48:49], -v[4:5]
	v_add_f64 v[2:3], v[2:3], v[4:5]
	;; [unrolled: 3-line block ×24, first 2 shown]
	scratch_load_dwordx4 v[2:5], off, off offset:368
	s_waitcnt vmcnt(0)
	v_add_f64 v[2:3], v[2:3], -v[6:7]
	v_add_f64 v[4:5], v[4:5], -v[176:177]
	scratch_store_dwordx4 off, v[2:5], off offset:368
	s_and_saveexec_b64 s[0:1], vcc
	s_cbranch_execz .LBB114_277
; %bb.276:
	scratch_load_dwordx4 v[2:5], off, s46
	v_mov_b32_e32 v6, 0
	v_mov_b32_e32 v7, v6
	;; [unrolled: 1-line block ×4, first 2 shown]
	v_accvgpr_read_b32 v0, a103
	scratch_store_dwordx4 off, v[6:9], off offset:352
	s_waitcnt vmcnt(1)
	ds_write_b128 v0, v[2:5]
.LBB114_277:
	s_or_b64 exec, exec, s[0:1]
	v_mov_b32_e32 v2, 0
	s_waitcnt lgkmcnt(0)
	; wave barrier
	ds_read_b128 v[16:19], v2 offset:1168
	ds_read_b128 v[12:15], v2 offset:1184
	;; [unrolled: 1-line block ×4, first 2 shown]
	scratch_load_dwordx4 v[20:23], off, off offset:368
	scratch_load_dwordx4 v[40:43], off, off offset:432
	;; [unrolled: 1-line block ×23, first 2 shown]
	v_cmp_lt_u32_e32 vcc, 20, v240
	scratch_load_dwordx4 v[48:51], off, off offset:448
	scratch_load_dwordx4 v[56:59], off, off offset:464
	;; [unrolled: 1-line block ×3, first 2 shown]
	s_waitcnt vmcnt(25) lgkmcnt(3)
	v_mul_f64 v[24:25], v[16:17], v[22:23]
	v_fmac_f64_e32 v[24:25], v[18:19], v[20:21]
	v_add_f64 v[28:29], v[24:25], 0
	scratch_load_dwordx4 v[24:27], off, off offset:384
	v_mul_f64 v[18:19], v[18:19], v[22:23]
	v_fma_f64 v[16:17], v[16:17], v[20:21], -v[18:19]
	v_add_f64 v[16:17], v[16:17], 0
	s_waitcnt vmcnt(0) lgkmcnt(2)
	v_mul_f64 v[30:31], v[12:13], v[26:27]
	v_fmac_f64_e32 v[30:31], v[14:15], v[24:25]
	v_add_f64 v[32:33], v[28:29], v[30:31]
	scratch_load_dwordx4 v[28:31], off, off offset:400
	v_mul_f64 v[14:15], v[14:15], v[26:27]
	v_fma_f64 v[12:13], v[12:13], v[24:25], -v[14:15]
	v_add_f64 v[12:13], v[16:17], v[12:13]
	;; [unrolled: 8-line block ×3, first 2 shown]
	s_waitcnt vmcnt(0) lgkmcnt(0)
	v_mul_f64 v[38:39], v[4:5], v[34:35]
	v_fmac_f64_e32 v[38:39], v[6:7], v[32:33]
	v_add_f64 v[44:45], v[36:37], v[38:39]
	ds_read_b128 v[36:39], v2 offset:1232
	v_mul_f64 v[6:7], v[6:7], v[34:35]
	v_fma_f64 v[4:5], v[4:5], v[32:33], -v[6:7]
	v_add_f64 v[4:5], v[8:9], v[4:5]
	s_waitcnt lgkmcnt(0)
	v_mul_f64 v[46:47], v[36:37], v[42:43]
	v_fmac_f64_e32 v[46:47], v[38:39], v[40:41]
	v_add_f64 v[52:53], v[44:45], v[46:47]
	ds_read_b128 v[44:47], v2 offset:1248
	v_mul_f64 v[6:7], v[38:39], v[42:43]
	v_fma_f64 v[6:7], v[36:37], v[40:41], -v[6:7]
	v_add_f64 v[4:5], v[4:5], v[6:7]
	s_waitcnt lgkmcnt(0)
	;; [unrolled: 8-line block ×25, first 2 shown]
	v_mul_f64 v[6:7], v[232:233], v[236:237]
	v_fma_f64 v[6:7], v[230:231], v[234:235], -v[6:7]
	v_add_f64 v[8:9], v[4:5], v[6:7]
	scratch_load_dwordx4 v[4:7], off, off offset:352
	v_mul_f64 v[238:239], v[230:231], v[236:237]
	v_fmac_f64_e32 v[238:239], v[232:233], v[234:235]
	v_add_f64 v[176:177], v[176:177], v[238:239]
	s_waitcnt vmcnt(0)
	v_add_f64 v[4:5], v[4:5], -v[8:9]
	v_add_f64 v[6:7], v[6:7], -v[176:177]
	scratch_store_dwordx4 off, v[4:7], off offset:352
	s_and_saveexec_b64 s[0:1], vcc
	s_cbranch_execz .LBB114_279
; %bb.278:
	scratch_load_dwordx4 v[6:9], off, s47
	v_mov_b32_e32 v3, v2
	v_mov_b32_e32 v4, v2
	;; [unrolled: 1-line block ×3, first 2 shown]
	v_accvgpr_read_b32 v0, a103
	scratch_store_dwordx4 off, v[2:5], off offset:336
	s_waitcnt vmcnt(1)
	ds_write_b128 v0, v[6:9]
.LBB114_279:
	s_or_b64 exec, exec, s[0:1]
	s_waitcnt lgkmcnt(0)
	; wave barrier
	ds_read_b128 v[16:19], v2 offset:1152
	ds_read_b128 v[12:15], v2 offset:1168
	;; [unrolled: 1-line block ×4, first 2 shown]
	scratch_load_dwordx4 v[20:23], off, off offset:352
	scratch_load_dwordx4 v[40:43], off, off offset:416
	;; [unrolled: 1-line block ×24, first 2 shown]
	v_cmp_lt_u32_e32 vcc, 19, v240
	scratch_load_dwordx4 v[48:51], off, off offset:432
	scratch_load_dwordx4 v[56:59], off, off offset:448
	;; [unrolled: 1-line block ×3, first 2 shown]
	ds_read_b128 v[244:247], v2 offset:1616
	s_waitcnt vmcnt(26) lgkmcnt(4)
	v_mul_f64 v[24:25], v[16:17], v[22:23]
	v_fmac_f64_e32 v[24:25], v[18:19], v[20:21]
	v_add_f64 v[28:29], v[24:25], 0
	scratch_load_dwordx4 v[24:27], off, off offset:368
	s_waitcnt vmcnt(0) lgkmcnt(3)
	v_mul_f64 v[30:31], v[12:13], v[26:27]
	v_fmac_f64_e32 v[30:31], v[14:15], v[24:25]
	v_add_f64 v[32:33], v[28:29], v[30:31]
	scratch_load_dwordx4 v[28:31], off, off offset:384
	v_mul_f64 v[14:15], v[14:15], v[26:27]
	v_fma_f64 v[12:13], v[12:13], v[24:25], -v[14:15]
	s_waitcnt vmcnt(0) lgkmcnt(2)
	v_mul_f64 v[34:35], v[8:9], v[30:31]
	v_fmac_f64_e32 v[34:35], v[10:11], v[28:29]
	v_add_f64 v[36:37], v[32:33], v[34:35]
	scratch_load_dwordx4 v[32:35], off, off offset:400
	v_mul_f64 v[10:11], v[10:11], v[30:31]
	v_fma_f64 v[8:9], v[8:9], v[28:29], -v[10:11]
	s_waitcnt vmcnt(0) lgkmcnt(1)
	v_mul_f64 v[38:39], v[4:5], v[34:35]
	v_fmac_f64_e32 v[38:39], v[6:7], v[32:33]
	v_add_f64 v[44:45], v[36:37], v[38:39]
	ds_read_b128 v[36:39], v2 offset:1216
	v_mul_f64 v[6:7], v[6:7], v[34:35]
	v_fma_f64 v[4:5], v[4:5], v[32:33], -v[6:7]
	s_waitcnt lgkmcnt(0)
	v_mul_f64 v[46:47], v[36:37], v[42:43]
	v_fmac_f64_e32 v[46:47], v[38:39], v[40:41]
	v_add_f64 v[52:53], v[44:45], v[46:47]
	ds_read_b128 v[44:47], v2 offset:1232
	s_waitcnt lgkmcnt(0)
	v_mul_f64 v[54:55], v[44:45], v[50:51]
	v_fmac_f64_e32 v[54:55], v[46:47], v[48:49]
	v_add_f64 v[60:61], v[52:53], v[54:55]
	ds_read_b128 v[52:55], v2 offset:1248
	;; [unrolled: 5-line block ×24, first 2 shown]
	v_mul_f64 v[2:3], v[244:245], v[250:251]
	v_fmac_f64_e32 v[2:3], v[246:247], v[248:249]
	s_waitcnt lgkmcnt(0)
	v_mul_f64 v[238:239], v[230:231], v[236:237]
	v_fmac_f64_e32 v[238:239], v[232:233], v[234:235]
	v_add_f64 v[184:185], v[184:185], v[238:239]
	v_add_f64 v[184:185], v[184:185], v[2:3]
	v_mul_f64 v[2:3], v[18:19], v[22:23]
	v_fma_f64 v[2:3], v[16:17], v[20:21], -v[2:3]
	v_add_f64 v[2:3], v[2:3], 0
	v_add_f64 v[2:3], v[2:3], v[12:13]
	;; [unrolled: 1-line block ×4, first 2 shown]
	v_mul_f64 v[4:5], v[38:39], v[42:43]
	v_fma_f64 v[4:5], v[36:37], v[40:41], -v[4:5]
	v_add_f64 v[2:3], v[2:3], v[4:5]
	v_mul_f64 v[4:5], v[46:47], v[50:51]
	v_fma_f64 v[4:5], v[44:45], v[48:49], -v[4:5]
	v_add_f64 v[2:3], v[2:3], v[4:5]
	;; [unrolled: 3-line block ×26, first 2 shown]
	scratch_load_dwordx4 v[2:5], off, off offset:336
	s_waitcnt vmcnt(0)
	v_add_f64 v[2:3], v[2:3], -v[6:7]
	v_add_f64 v[4:5], v[4:5], -v[184:185]
	scratch_store_dwordx4 off, v[2:5], off offset:336
	s_and_saveexec_b64 s[0:1], vcc
	s_cbranch_execz .LBB114_281
; %bb.280:
	scratch_load_dwordx4 v[2:5], off, s48
	v_mov_b32_e32 v6, 0
	v_mov_b32_e32 v7, v6
	;; [unrolled: 1-line block ×4, first 2 shown]
	v_accvgpr_read_b32 v0, a103
	scratch_store_dwordx4 off, v[6:9], off offset:320
	s_waitcnt vmcnt(1)
	ds_write_b128 v0, v[2:5]
.LBB114_281:
	s_or_b64 exec, exec, s[0:1]
	s_waitcnt lgkmcnt(0)
	; wave barrier
	scratch_load_dwordx4 v[16:19], off, off offset:336
	scratch_load_dwordx4 v[12:15], off, off offset:352
	scratch_load_dwordx4 v[8:11], off, off offset:368
	scratch_load_dwordx4 v[4:7], off, off offset:384
	scratch_load_dwordx4 v[20:23], off, off offset:400
	scratch_load_dwordx4 v[24:27], off, off offset:416
	scratch_load_dwordx4 v[28:31], off, off offset:432
	scratch_load_dwordx4 v[32:35], off, off offset:448
	scratch_load_dwordx4 v[36:39], off, off offset:464
	scratch_load_dwordx4 v[40:43], off, off offset:480
	scratch_load_dwordx4 v[44:47], off, off offset:496
	scratch_load_dwordx4 v[48:51], off, off offset:512
	scratch_load_dwordx4 v[52:55], off, off offset:528
	scratch_load_dwordx4 v[56:59], off, off offset:544
	scratch_load_dwordx4 v[60:63], off, off offset:560
	scratch_load_dwordx4 v[64:67], off, off offset:576
	scratch_load_dwordx4 v[68:71], off, off offset:592
	scratch_load_dwordx4 v[72:75], off, off offset:608
	scratch_load_dwordx4 v[76:79], off, off offset:624
	scratch_load_dwordx4 v[80:83], off, off offset:640
	scratch_load_dwordx4 v[84:87], off, off offset:656
	scratch_load_dwordx4 v[88:91], off, off offset:672
	scratch_load_dwordx4 v[92:95], off, off offset:688
	scratch_load_dwordx4 v[96:99], off, off offset:704
	scratch_load_dwordx4 v[100:103], off, off offset:720
	scratch_load_dwordx4 v[104:107], off, off offset:736
	scratch_load_dwordx4 v[108:111], off, off offset:752
	scratch_load_dwordx4 v[112:115], off, off offset:768
	scratch_load_dwordx4 v[116:119], off, off offset:784
	scratch_load_dwordx4 v[120:123], off, off offset:800
	scratch_load_dwordx4 v[124:127], off, off offset:816
	scratch_load_dwordx4 v[128:131], off, off offset:320
	v_mov_b32_e32 v2, 0
	ds_read_b128 v[132:135], v2 offset:1136
	ds_read_b128 v[136:139], v2 offset:1152
	;; [unrolled: 1-line block ×17, first 2 shown]
	v_cmp_lt_u32_e32 vcc, 18, v240
	s_waitcnt vmcnt(31) lgkmcnt(14)
	v_mul_f64 v[200:201], v[132:133], v[18:19]
	s_waitcnt vmcnt(30)
	v_mul_f64 v[202:203], v[136:137], v[14:15]
	v_fmac_f64_e32 v[200:201], v[134:135], v[16:17]
	s_waitcnt vmcnt(29)
	v_mul_f64 v[204:205], v[140:141], v[10:11]
	v_fmac_f64_e32 v[202:203], v[138:139], v[12:13]
	v_add_f64 v[200:201], v[200:201], 0
	s_waitcnt vmcnt(28) lgkmcnt(13)
	v_mul_f64 v[206:207], v[144:145], v[6:7]
	v_fmac_f64_e32 v[204:205], v[142:143], v[8:9]
	v_add_f64 v[200:201], v[200:201], v[202:203]
	s_waitcnt vmcnt(27) lgkmcnt(12)
	;; [unrolled: 4-line block ×12, first 2 shown]
	v_mul_f64 v[228:229], v[188:189], v[62:63]
	v_fmac_f64_e32 v[226:227], v[186:187], v[56:57]
	v_add_f64 v[200:201], v[200:201], v[224:225]
	v_fmac_f64_e32 v[228:229], v[190:191], v[60:61]
	v_add_f64 v[200:201], v[200:201], v[226:227]
	s_waitcnt vmcnt(16) lgkmcnt(1)
	v_mul_f64 v[202:203], v[192:193], v[66:67]
	v_add_f64 v[200:201], v[200:201], v[228:229]
	v_fmac_f64_e32 v[202:203], v[194:195], v[64:65]
	s_waitcnt vmcnt(15) lgkmcnt(0)
	v_mul_f64 v[206:207], v[196:197], v[70:71]
	v_add_f64 v[204:205], v[200:201], v[202:203]
	ds_read_b128 v[200:203], v2 offset:1408
	v_fmac_f64_e32 v[206:207], v[198:199], v[68:69]
	v_add_f64 v[208:209], v[204:205], v[206:207]
	ds_read_b128 v[204:207], v2 offset:1424
	v_mul_f64 v[18:19], v[134:135], v[18:19]
	s_waitcnt vmcnt(14) lgkmcnt(1)
	v_mul_f64 v[210:211], v[200:201], v[74:75]
	v_fmac_f64_e32 v[210:211], v[202:203], v[72:73]
	v_add_f64 v[212:213], v[208:209], v[210:211]
	s_waitcnt vmcnt(13) lgkmcnt(0)
	v_mul_f64 v[214:215], v[204:205], v[78:79]
	ds_read_b128 v[208:211], v2 offset:1440
	v_fmac_f64_e32 v[214:215], v[206:207], v[76:77]
	v_add_f64 v[216:217], v[212:213], v[214:215]
	ds_read_b128 v[212:215], v2 offset:1456
	v_fma_f64 v[246:247], v[132:133], v[16:17], -v[18:19]
	s_waitcnt vmcnt(12) lgkmcnt(1)
	v_mul_f64 v[218:219], v[208:209], v[82:83]
	v_fmac_f64_e32 v[218:219], v[210:211], v[80:81]
	v_add_f64 v[220:221], v[216:217], v[218:219]
	s_waitcnt vmcnt(11) lgkmcnt(0)
	v_mul_f64 v[222:223], v[212:213], v[86:87]
	ds_read_b128 v[216:219], v2 offset:1472
	v_fmac_f64_e32 v[222:223], v[214:215], v[84:85]
	v_add_f64 v[224:225], v[220:221], v[222:223]
	ds_read_b128 v[220:223], v2 offset:1488
	ds_read_b128 v[16:19], v2 offset:1568
	s_waitcnt vmcnt(10) lgkmcnt(2)
	v_mul_f64 v[226:227], v[216:217], v[90:91]
	v_fmac_f64_e32 v[226:227], v[218:219], v[88:89]
	v_add_f64 v[228:229], v[224:225], v[226:227]
	s_waitcnt vmcnt(9) lgkmcnt(1)
	v_mul_f64 v[230:231], v[220:221], v[94:95]
	ds_read_b128 v[224:227], v2 offset:1504
	v_fmac_f64_e32 v[230:231], v[222:223], v[92:93]
	v_add_f64 v[232:233], v[228:229], v[230:231]
	ds_read_b128 v[228:231], v2 offset:1520
	v_mul_f64 v[14:15], v[138:139], v[14:15]
	s_waitcnt vmcnt(8) lgkmcnt(1)
	v_mul_f64 v[234:235], v[224:225], v[98:99]
	v_fmac_f64_e32 v[234:235], v[226:227], v[96:97]
	v_add_f64 v[236:237], v[232:233], v[234:235]
	s_waitcnt vmcnt(7) lgkmcnt(0)
	v_mul_f64 v[238:239], v[228:229], v[102:103]
	ds_read_b128 v[232:235], v2 offset:1536
	v_fmac_f64_e32 v[238:239], v[230:231], v[100:101]
	v_add_f64 v[244:245], v[236:237], v[238:239]
	ds_read_b128 v[236:239], v2 offset:1552
	v_fma_f64 v[136:137], v[136:137], v[12:13], -v[14:15]
	s_waitcnt vmcnt(6) lgkmcnt(1)
	v_mul_f64 v[132:133], v[232:233], v[106:107]
	v_fmac_f64_e32 v[132:133], v[234:235], v[104:105]
	v_add_f64 v[132:133], v[244:245], v[132:133]
	s_waitcnt vmcnt(5) lgkmcnt(0)
	v_mul_f64 v[134:135], v[236:237], v[110:111]
	v_fmac_f64_e32 v[134:135], v[238:239], v[108:109]
	v_add_f64 v[132:133], v[132:133], v[134:135]
	ds_read_b128 v[12:15], v2 offset:1584
	s_waitcnt vmcnt(4)
	v_mul_f64 v[134:135], v[16:17], v[114:115]
	v_fmac_f64_e32 v[134:135], v[18:19], v[112:113]
	v_add_f64 v[138:139], v[132:133], v[134:135]
	ds_read_b128 v[132:135], v2 offset:1600
	v_mul_f64 v[10:11], v[142:143], v[10:11]
	v_fma_f64 v[140:141], v[140:141], v[8:9], -v[10:11]
	ds_read_b128 v[8:11], v2 offset:1616
	s_waitcnt vmcnt(3) lgkmcnt(2)
	v_mul_f64 v[142:143], v[12:13], v[118:119]
	v_fmac_f64_e32 v[142:143], v[14:15], v[116:117]
	v_add_f64 v[138:139], v[138:139], v[142:143]
	s_waitcnt vmcnt(2) lgkmcnt(1)
	v_mul_f64 v[142:143], v[132:133], v[122:123]
	v_fmac_f64_e32 v[142:143], v[134:135], v[120:121]
	v_add_f64 v[138:139], v[138:139], v[142:143]
	;; [unrolled: 4-line block ×3, first 2 shown]
	v_add_f64 v[142:143], v[246:247], 0
	v_add_f64 v[136:137], v[142:143], v[136:137]
	v_mul_f64 v[6:7], v[146:147], v[6:7]
	v_add_f64 v[136:137], v[136:137], v[140:141]
	v_fma_f64 v[4:5], v[144:145], v[4:5], -v[6:7]
	v_mul_f64 v[6:7], v[150:151], v[22:23]
	v_add_f64 v[4:5], v[136:137], v[4:5]
	v_fma_f64 v[6:7], v[148:149], v[20:21], -v[6:7]
	v_add_f64 v[4:5], v[4:5], v[6:7]
	v_mul_f64 v[6:7], v[154:155], v[26:27]
	v_fma_f64 v[6:7], v[152:153], v[24:25], -v[6:7]
	v_add_f64 v[4:5], v[4:5], v[6:7]
	v_mul_f64 v[6:7], v[158:159], v[30:31]
	;; [unrolled: 3-line block ×26, first 2 shown]
	v_fma_f64 v[6:7], v[8:9], v[124:125], -v[6:7]
	v_add_f64 v[4:5], v[4:5], v[6:7]
	s_waitcnt vmcnt(0)
	v_add_f64 v[4:5], v[128:129], -v[4:5]
	v_add_f64 v[6:7], v[130:131], -v[138:139]
	scratch_store_dwordx4 off, v[4:7], off offset:320
	s_and_saveexec_b64 s[0:1], vcc
	s_cbranch_execz .LBB114_283
; %bb.282:
	scratch_load_dwordx4 v[6:9], off, s49
	v_mov_b32_e32 v3, v2
	v_mov_b32_e32 v4, v2
	v_mov_b32_e32 v5, v2
	v_accvgpr_read_b32 v0, a103
	scratch_store_dwordx4 off, v[2:5], off offset:304
	s_waitcnt vmcnt(1)
	ds_write_b128 v0, v[6:9]
.LBB114_283:
	s_or_b64 exec, exec, s[0:1]
	s_waitcnt lgkmcnt(0)
	; wave barrier
	scratch_load_dwordx4 v[140:143], off, off offset:320
	scratch_load_dwordx4 v[148:151], off, off offset:336
	;; [unrolled: 1-line block ×16, first 2 shown]
	ds_read_b128 v[188:191], v2 offset:1120
	ds_read_b128 v[184:187], v2 offset:1136
	scratch_load_dwordx4 v[56:59], off, off offset:576
	ds_read_b128 v[192:195], v2 offset:1152
	ds_read_b128 v[68:71], v2 offset:1168
	scratch_load_dwordx4 v[60:63], off, off offset:592
	ds_read_b128 v[88:91], v2 offset:1184
	ds_read_b128 v[84:87], v2 offset:1200
	;; [unrolled: 1-line block ×4, first 2 shown]
	scratch_load_dwordx4 v[64:67], off, off offset:608
	ds_read_b128 v[100:103], v2 offset:1248
	ds_read_b128 v[96:99], v2 offset:1264
	scratch_load_dwordx4 v[72:75], off, off offset:624
	ds_read_b128 v[116:119], v2 offset:1280
	ds_read_b128 v[112:115], v2 offset:1296
	;; [unrolled: 1-line block ×4, first 2 shown]
	scratch_load_dwordx4 v[92:95], off, off offset:640
	ds_read_b128 v[132:135], v2 offset:1344
	ds_read_b128 v[128:131], v2 offset:1360
	;; [unrolled: 1-line block ×3, first 2 shown]
	scratch_load_dwordx4 v[120:123], off, off offset:656
	scratch_load_dwordx4 v[136:139], off, off offset:672
	;; [unrolled: 1-line block ×11, first 2 shown]
	v_cmp_lt_u32_e32 vcc, 17, v240
	s_waitcnt vmcnt(31) lgkmcnt(14)
	v_mul_f64 v[200:201], v[188:189], v[142:143]
	s_waitcnt vmcnt(30)
	v_mul_f64 v[202:203], v[184:185], v[150:151]
	v_fmac_f64_e32 v[200:201], v[190:191], v[140:141]
	s_waitcnt vmcnt(29)
	v_mul_f64 v[204:205], v[192:193], v[154:155]
	v_fmac_f64_e32 v[202:203], v[186:187], v[148:149]
	v_add_f64 v[200:201], v[200:201], 0
	s_waitcnt vmcnt(28) lgkmcnt(13)
	v_mul_f64 v[206:207], v[68:69], v[6:7]
	v_fmac_f64_e32 v[204:205], v[194:195], v[152:153]
	v_add_f64 v[200:201], v[200:201], v[202:203]
	s_waitcnt vmcnt(27) lgkmcnt(12)
	;; [unrolled: 4-line block ×13, first 2 shown]
	v_mul_f64 v[230:231], v[128:129], v[54:55]
	v_fmac_f64_e32 v[228:229], v[134:135], v[48:49]
	v_add_f64 v[200:201], v[200:201], v[226:227]
	v_add_f64 v[200:201], v[200:201], v[228:229]
	v_fmac_f64_e32 v[230:231], v[130:131], v[52:53]
	v_add_f64 v[204:205], v[200:201], v[230:231]
	ds_read_b128 v[200:203], v2 offset:1392
	s_waitcnt vmcnt(15) lgkmcnt(1)
	v_mul_f64 v[206:207], v[124:125], v[58:59]
	v_fmac_f64_e32 v[206:207], v[126:127], v[56:57]
	v_add_f64 v[208:209], v[204:205], v[206:207]
	ds_read_b128 v[204:207], v2 offset:1408
	s_waitcnt vmcnt(14) lgkmcnt(1)
	v_mul_f64 v[210:211], v[200:201], v[62:63]
	;; [unrolled: 5-line block ×10, first 2 shown]
	v_fmac_f64_e32 v[246:247], v[234:235], v[160:161]
	v_mul_f64 v[142:143], v[190:191], v[142:143]
	v_add_f64 v[246:247], v[244:245], v[246:247]
	v_fma_f64 v[244:245], v[188:189], v[140:141], -v[142:143]
	ds_read_b128 v[140:143], v2 offset:1552
	s_waitcnt vmcnt(5) lgkmcnt(1)
	v_mul_f64 v[188:189], v[236:237], v[166:167]
	v_fmac_f64_e32 v[188:189], v[238:239], v[164:165]
	v_mul_f64 v[150:151], v[186:187], v[150:151]
	v_add_f64 v[188:189], v[246:247], v[188:189]
	v_fma_f64 v[246:247], v[184:185], v[148:149], -v[150:151]
	ds_read_b128 v[148:151], v2 offset:1568
	s_waitcnt vmcnt(4) lgkmcnt(1)
	v_mul_f64 v[184:185], v[140:141], v[170:171]
	v_fmac_f64_e32 v[184:185], v[142:143], v[168:169]
	v_add_f64 v[188:189], v[188:189], v[184:185]
	ds_read_b128 v[184:187], v2 offset:1584
	v_mul_f64 v[154:155], v[194:195], v[154:155]
	s_waitcnt vmcnt(3) lgkmcnt(1)
	v_mul_f64 v[190:191], v[148:149], v[174:175]
	v_fma_f64 v[250:251], v[192:193], v[152:153], -v[154:155]
	ds_read_b128 v[152:155], v2 offset:1600
	v_fmac_f64_e32 v[190:191], v[150:151], v[172:173]
	v_add_f64 v[248:249], v[188:189], v[190:191]
	ds_read_b128 v[188:191], v2 offset:1616
	s_waitcnt vmcnt(2) lgkmcnt(2)
	v_mul_f64 v[192:193], v[184:185], v[178:179]
	v_fmac_f64_e32 v[192:193], v[186:187], v[176:177]
	v_add_f64 v[2:3], v[248:249], v[192:193]
	s_waitcnt vmcnt(1) lgkmcnt(1)
	v_mul_f64 v[192:193], v[152:153], v[182:183]
	v_fmac_f64_e32 v[192:193], v[154:155], v[180:181]
	v_add_f64 v[2:3], v[2:3], v[192:193]
	;; [unrolled: 4-line block ×3, first 2 shown]
	scratch_load_dwordx4 v[192:195], off, off offset:304
	v_add_f64 v[244:245], v[244:245], 0
	v_add_f64 v[244:245], v[244:245], v[246:247]
	v_mul_f64 v[6:7], v[70:71], v[6:7]
	v_add_f64 v[244:245], v[244:245], v[250:251]
	v_fma_f64 v[4:5], v[68:69], v[4:5], -v[6:7]
	v_mul_f64 v[6:7], v[90:91], v[10:11]
	v_add_f64 v[4:5], v[244:245], v[4:5]
	v_fma_f64 v[6:7], v[88:89], v[8:9], -v[6:7]
	v_add_f64 v[4:5], v[4:5], v[6:7]
	v_mul_f64 v[6:7], v[86:87], v[14:15]
	v_fma_f64 v[6:7], v[84:85], v[12:13], -v[6:7]
	v_add_f64 v[4:5], v[4:5], v[6:7]
	v_mul_f64 v[6:7], v[82:83], v[18:19]
	;; [unrolled: 3-line block ×27, first 2 shown]
	v_fma_f64 v[6:7], v[188:189], v[196:197], -v[6:7]
	v_add_f64 v[4:5], v[4:5], v[6:7]
	s_waitcnt vmcnt(0)
	v_add_f64 v[4:5], v[192:193], -v[4:5]
	v_add_f64 v[6:7], v[194:195], -v[2:3]
	scratch_store_dwordx4 off, v[4:7], off offset:304
	s_and_saveexec_b64 s[0:1], vcc
	s_cbranch_execz .LBB114_285
; %bb.284:
	scratch_load_dwordx4 v[2:5], off, s50
	v_mov_b32_e32 v6, 0
	v_mov_b32_e32 v7, v6
	;; [unrolled: 1-line block ×4, first 2 shown]
	v_accvgpr_read_b32 v0, a103
	scratch_store_dwordx4 off, v[6:9], off offset:288
	s_waitcnt vmcnt(1)
	ds_write_b128 v0, v[2:5]
.LBB114_285:
	s_or_b64 exec, exec, s[0:1]
	s_waitcnt lgkmcnt(0)
	; wave barrier
	scratch_load_dwordx4 v[108:111], off, off offset:304
	scratch_load_dwordx4 v[116:119], off, off offset:320
	;; [unrolled: 1-line block ×33, first 2 shown]
	v_mov_b32_e32 v2, 0
	ds_read_b128 v[220:223], v2 offset:1104
	ds_read_b128 v[224:227], v2 offset:1120
	;; [unrolled: 1-line block ×16, first 2 shown]
	v_cmp_lt_u32_e32 vcc, 16, v240
	s_waitcnt vmcnt(32) lgkmcnt(14)
	v_mul_f64 v[180:181], v[220:221], v[110:111]
	s_waitcnt vmcnt(31)
	v_mul_f64 v[182:183], v[224:225], v[118:119]
	v_fmac_f64_e32 v[180:181], v[222:223], v[108:109]
	s_waitcnt vmcnt(30) lgkmcnt(13)
	v_mul_f64 v[184:185], v[234:235], v[122:123]
	v_fmac_f64_e32 v[182:183], v[226:227], v[116:117]
	v_add_f64 v[180:181], v[180:181], 0
	s_waitcnt vmcnt(29) lgkmcnt(12)
	v_mul_f64 v[186:187], v[244:245], v[126:127]
	v_fmac_f64_e32 v[184:185], v[236:237], v[120:121]
	v_add_f64 v[180:181], v[180:181], v[182:183]
	;; [unrolled: 4-line block ×13, first 2 shown]
	v_fmac_f64_e32 v[208:209], v[142:143], v[40:41]
	v_add_f64 v[180:181], v[180:181], v[206:207]
	v_add_f64 v[184:185], v[180:181], v[208:209]
	ds_read_b128 v[180:183], v2 offset:1360
	s_waitcnt vmcnt(17) lgkmcnt(1)
	v_mul_f64 v[186:187], v[136:137], v[46:47]
	v_fmac_f64_e32 v[186:187], v[138:139], v[44:45]
	v_add_f64 v[188:189], v[184:185], v[186:187]
	ds_read_b128 v[184:187], v2 offset:1376
	s_waitcnt vmcnt(16) lgkmcnt(1)
	v_mul_f64 v[190:191], v[180:181], v[50:51]
	v_fmac_f64_e32 v[190:191], v[182:183], v[48:49]
	;; [unrolled: 5-line block ×10, first 2 shown]
	v_mul_f64 v[110:111], v[222:223], v[110:111]
	v_add_f64 v[228:229], v[228:229], v[230:231]
	v_fma_f64 v[230:231], v[220:221], v[108:109], -v[110:111]
	ds_read_b128 v[108:111], v2 offset:1520
	s_waitcnt vmcnt(7) lgkmcnt(1)
	v_mul_f64 v[220:221], v[216:217], v[86:87]
	v_mul_f64 v[118:119], v[226:227], v[118:119]
	v_fmac_f64_e32 v[220:221], v[218:219], v[84:85]
	v_fma_f64 v[232:233], v[224:225], v[116:117], -v[118:119]
	ds_read_b128 v[116:119], v2 offset:1536
	s_waitcnt vmcnt(6) lgkmcnt(1)
	v_mul_f64 v[222:223], v[108:109], v[90:91]
	v_add_f64 v[220:221], v[228:229], v[220:221]
	v_fmac_f64_e32 v[222:223], v[110:111], v[88:89]
	v_add_f64 v[224:225], v[220:221], v[222:223]
	ds_read_b128 v[220:223], v2 offset:1552
	v_mul_f64 v[122:123], v[236:237], v[122:123]
	v_fma_f64 v[234:235], v[234:235], v[120:121], -v[122:123]
	ds_read_b128 v[120:123], v2 offset:1568
	s_waitcnt vmcnt(5) lgkmcnt(2)
	v_mul_f64 v[226:227], v[116:117], v[94:95]
	v_fmac_f64_e32 v[226:227], v[118:119], v[92:93]
	v_mul_f64 v[126:127], v[246:247], v[126:127]
	v_add_f64 v[224:225], v[224:225], v[226:227]
	s_waitcnt vmcnt(4) lgkmcnt(1)
	v_mul_f64 v[226:227], v[220:221], v[98:99]
	v_fma_f64 v[236:237], v[244:245], v[124:125], -v[126:127]
	ds_read_b128 v[124:127], v2 offset:1584
	v_fmac_f64_e32 v[226:227], v[222:223], v[96:97]
	v_add_f64 v[228:229], v[224:225], v[226:227]
	s_waitcnt vmcnt(3) lgkmcnt(1)
	v_mul_f64 v[238:239], v[120:121], v[102:103]
	ds_read_b128 v[224:227], v2 offset:1600
	v_fmac_f64_e32 v[238:239], v[122:123], v[100:101]
	v_mul_f64 v[130:131], v[250:251], v[130:131]
	v_add_f64 v[228:229], v[228:229], v[238:239]
	v_fma_f64 v[238:239], v[248:249], v[128:129], -v[130:131]
	ds_read_b128 v[128:131], v2 offset:1616
	s_waitcnt vmcnt(2) lgkmcnt(2)
	v_mul_f64 v[244:245], v[124:125], v[106:107]
	v_fmac_f64_e32 v[244:245], v[126:127], v[104:105]
	v_add_f64 v[228:229], v[228:229], v[244:245]
	s_waitcnt vmcnt(1) lgkmcnt(1)
	v_mul_f64 v[244:245], v[224:225], v[114:115]
	v_fmac_f64_e32 v[244:245], v[226:227], v[112:113]
	v_add_f64 v[228:229], v[228:229], v[244:245]
	;; [unrolled: 4-line block ×3, first 2 shown]
	scratch_load_dwordx4 v[244:247], off, off offset:288
	v_add_f64 v[230:231], v[230:231], 0
	v_add_f64 v[230:231], v[230:231], v[232:233]
	;; [unrolled: 1-line block ×4, first 2 shown]
	v_mul_f64 v[6:7], v[178:179], v[6:7]
	v_add_f64 v[230:231], v[230:231], v[238:239]
	v_fma_f64 v[4:5], v[176:177], v[4:5], -v[6:7]
	v_mul_f64 v[6:7], v[174:175], v[10:11]
	v_add_f64 v[4:5], v[230:231], v[4:5]
	v_fma_f64 v[6:7], v[172:173], v[8:9], -v[6:7]
	v_add_f64 v[4:5], v[4:5], v[6:7]
	v_mul_f64 v[6:7], v[170:171], v[14:15]
	v_fma_f64 v[6:7], v[168:169], v[12:13], -v[6:7]
	v_add_f64 v[4:5], v[4:5], v[6:7]
	v_mul_f64 v[6:7], v[166:167], v[18:19]
	;; [unrolled: 3-line block ×26, first 2 shown]
	v_fma_f64 v[6:7], v[128:129], v[132:133], -v[6:7]
	v_add_f64 v[4:5], v[4:5], v[6:7]
	s_waitcnt vmcnt(0)
	v_add_f64 v[4:5], v[244:245], -v[4:5]
	v_add_f64 v[6:7], v[246:247], -v[228:229]
	scratch_store_dwordx4 off, v[4:7], off offset:288
	s_and_saveexec_b64 s[0:1], vcc
	s_cbranch_execz .LBB114_287
; %bb.286:
	scratch_load_dwordx4 v[6:9], off, s51
	v_mov_b32_e32 v3, v2
	v_mov_b32_e32 v4, v2
	;; [unrolled: 1-line block ×3, first 2 shown]
	v_accvgpr_read_b32 v0, a103
	scratch_store_dwordx4 off, v[2:5], off offset:272
	s_waitcnt vmcnt(1)
	ds_write_b128 v0, v[6:9]
.LBB114_287:
	s_or_b64 exec, exec, s[0:1]
	s_waitcnt lgkmcnt(0)
	; wave barrier
	scratch_load_dwordx4 v[144:147], off, off offset:288
	scratch_load_dwordx4 v[152:155], off, off offset:304
	;; [unrolled: 1-line block ×16, first 2 shown]
	ds_read_b128 v[196:199], v2 offset:1088
	ds_read_b128 v[188:191], v2 offset:1104
	ds_read_b128 v[180:183], v2 offset:1120
	scratch_load_dwordx4 v[48:51], off, off offset:544
	ds_read_b128 v[192:195], v2 offset:1136
	ds_read_b128 v[184:187], v2 offset:1152
	ds_read_b128 v[64:67], v2 offset:1168
	scratch_load_dwordx4 v[52:55], off, off offset:560
	;; [unrolled: 4-line block ×5, first 2 shown]
	ds_read_b128 v[116:119], v2 offset:1328
	ds_read_b128 v[112:115], v2 offset:1344
	scratch_load_dwordx4 v[108:111], off, off offset:624
	scratch_load_dwordx4 v[120:123], off, off offset:640
	scratch_load_dwordx4 v[124:127], off, off offset:656
	scratch_load_dwordx4 v[128:131], off, off offset:672
	scratch_load_dwordx4 v[132:135], off, off offset:688
	scratch_load_dwordx4 v[136:139], off, off offset:704
	scratch_load_dwordx4 v[140:143], off, off offset:720
	scratch_load_dwordx4 v[148:151], off, off offset:736
	scratch_load_dwordx4 v[164:167], off, off offset:752
	scratch_load_dwordx4 v[172:175], off, off offset:768
	scratch_load_dwordx4 v[176:179], off, off offset:784
	scratch_load_dwordx4 v[200:203], off, off offset:800
	v_cmp_lt_u32_e32 vcc, 15, v240
	s_waitcnt vmcnt(32) lgkmcnt(14)
	v_mul_f64 v[204:205], v[196:197], v[146:147]
	s_waitcnt vmcnt(31)
	v_mul_f64 v[206:207], v[188:189], v[154:155]
	v_fmac_f64_e32 v[204:205], v[198:199], v[144:145]
	s_waitcnt vmcnt(30)
	v_mul_f64 v[208:209], v[180:181], v[158:159]
	v_fmac_f64_e32 v[206:207], v[190:191], v[152:153]
	v_add_f64 v[204:205], v[204:205], 0
	s_waitcnt vmcnt(29) lgkmcnt(13)
	v_mul_f64 v[210:211], v[192:193], v[162:163]
	v_fmac_f64_e32 v[208:209], v[182:183], v[156:157]
	v_add_f64 v[204:205], v[204:205], v[206:207]
	s_waitcnt vmcnt(28) lgkmcnt(12)
	;; [unrolled: 4-line block ×12, first 2 shown]
	v_mul_f64 v[232:233], v[96:97], v[42:43]
	v_fmac_f64_e32 v[230:231], v[102:103], v[36:37]
	v_add_f64 v[204:205], v[204:205], v[228:229]
	v_fmac_f64_e32 v[232:233], v[98:99], v[40:41]
	v_add_f64 v[204:205], v[204:205], v[230:231]
	s_waitcnt vmcnt(17) lgkmcnt(1)
	v_mul_f64 v[206:207], v[116:117], v[46:47]
	v_add_f64 v[204:205], v[204:205], v[232:233]
	v_fmac_f64_e32 v[206:207], v[118:119], v[44:45]
	s_waitcnt vmcnt(16) lgkmcnt(0)
	v_mul_f64 v[210:211], v[112:113], v[50:51]
	v_add_f64 v[208:209], v[204:205], v[206:207]
	ds_read_b128 v[204:207], v2 offset:1360
	v_fmac_f64_e32 v[210:211], v[114:115], v[48:49]
	v_add_f64 v[212:213], v[208:209], v[210:211]
	ds_read_b128 v[208:211], v2 offset:1376
	v_mul_f64 v[146:147], v[198:199], v[146:147]
	s_waitcnt vmcnt(15) lgkmcnt(1)
	v_mul_f64 v[214:215], v[204:205], v[54:55]
	v_fmac_f64_e32 v[214:215], v[206:207], v[52:53]
	v_add_f64 v[216:217], v[212:213], v[214:215]
	s_waitcnt vmcnt(14) lgkmcnt(0)
	v_mul_f64 v[218:219], v[208:209], v[58:59]
	ds_read_b128 v[212:215], v2 offset:1392
	v_fmac_f64_e32 v[218:219], v[210:211], v[56:57]
	v_add_f64 v[220:221], v[216:217], v[218:219]
	ds_read_b128 v[216:219], v2 offset:1408
	v_mul_f64 v[154:155], v[190:191], v[154:155]
	s_waitcnt vmcnt(13) lgkmcnt(1)
	v_mul_f64 v[222:223], v[212:213], v[62:63]
	v_fmac_f64_e32 v[222:223], v[214:215], v[60:61]
	v_add_f64 v[224:225], v[220:221], v[222:223]
	s_waitcnt vmcnt(12) lgkmcnt(0)
	v_mul_f64 v[226:227], v[216:217], v[94:95]
	ds_read_b128 v[220:223], v2 offset:1424
	v_fmac_f64_e32 v[226:227], v[218:219], v[92:93]
	v_add_f64 v[228:229], v[224:225], v[226:227]
	ds_read_b128 v[224:227], v2 offset:1440
	v_fma_f64 v[248:249], v[188:189], v[152:153], -v[154:155]
	s_waitcnt vmcnt(11) lgkmcnt(1)
	v_mul_f64 v[230:231], v[220:221], v[110:111]
	v_fmac_f64_e32 v[230:231], v[222:223], v[108:109]
	v_add_f64 v[232:233], v[228:229], v[230:231]
	s_waitcnt vmcnt(10) lgkmcnt(0)
	v_mul_f64 v[234:235], v[224:225], v[122:123]
	ds_read_b128 v[228:231], v2 offset:1456
	v_fmac_f64_e32 v[234:235], v[226:227], v[120:121]
	v_add_f64 v[236:237], v[232:233], v[234:235]
	ds_read_b128 v[232:235], v2 offset:1472
	ds_read_b128 v[152:155], v2 offset:1520
	s_waitcnt vmcnt(9) lgkmcnt(2)
	v_mul_f64 v[238:239], v[228:229], v[126:127]
	v_fmac_f64_e32 v[238:239], v[230:231], v[124:125]
	v_add_f64 v[244:245], v[236:237], v[238:239]
	s_waitcnt vmcnt(8) lgkmcnt(1)
	v_mul_f64 v[246:247], v[232:233], v[130:131]
	ds_read_b128 v[236:239], v2 offset:1488
	v_fmac_f64_e32 v[246:247], v[234:235], v[128:129]
	v_add_f64 v[244:245], v[244:245], v[246:247]
	v_fma_f64 v[246:247], v[196:197], v[144:145], -v[146:147]
	ds_read_b128 v[144:147], v2 offset:1504
	s_waitcnt vmcnt(7) lgkmcnt(1)
	v_mul_f64 v[196:197], v[236:237], v[134:135]
	v_fmac_f64_e32 v[196:197], v[238:239], v[132:133]
	v_add_f64 v[188:189], v[244:245], v[196:197]
	v_mul_f64 v[158:159], v[182:183], v[158:159]
	s_waitcnt vmcnt(6) lgkmcnt(0)
	v_mul_f64 v[190:191], v[144:145], v[138:139]
	v_fmac_f64_e32 v[190:191], v[146:147], v[136:137]
	v_add_f64 v[196:197], v[188:189], v[190:191]
	ds_read_b128 v[188:191], v2 offset:1536
	v_fma_f64 v[244:245], v[180:181], v[156:157], -v[158:159]
	ds_read_b128 v[156:159], v2 offset:1552
	s_waitcnt vmcnt(5)
	v_mul_f64 v[198:199], v[152:153], v[142:143]
	v_fmac_f64_e32 v[198:199], v[154:155], v[140:141]
	s_waitcnt vmcnt(4) lgkmcnt(1)
	v_mul_f64 v[180:181], v[188:189], v[150:151]
	v_add_f64 v[196:197], v[196:197], v[198:199]
	v_fmac_f64_e32 v[180:181], v[190:191], v[148:149]
	v_mul_f64 v[162:163], v[194:195], v[162:163]
	v_add_f64 v[198:199], v[196:197], v[180:181]
	v_fma_f64 v[196:197], v[192:193], v[160:161], -v[162:163]
	ds_read_b128 v[160:163], v2 offset:1568
	s_waitcnt vmcnt(3) lgkmcnt(1)
	v_mul_f64 v[192:193], v[156:157], v[166:167]
	ds_read_b128 v[180:183], v2 offset:1584
	v_fmac_f64_e32 v[192:193], v[158:159], v[164:165]
	v_mul_f64 v[170:171], v[186:187], v[170:171]
	v_add_f64 v[192:193], v[198:199], v[192:193]
	v_fma_f64 v[198:199], v[184:185], v[168:169], -v[170:171]
	ds_read_b128 v[168:171], v2 offset:1600
	s_waitcnt vmcnt(2) lgkmcnt(2)
	v_mul_f64 v[184:185], v[160:161], v[174:175]
	v_fmac_f64_e32 v[184:185], v[162:163], v[172:173]
	s_waitcnt vmcnt(1) lgkmcnt(1)
	v_mul_f64 v[186:187], v[180:181], v[178:179]
	v_add_f64 v[184:185], v[192:193], v[184:185]
	v_fmac_f64_e32 v[186:187], v[182:183], v[176:177]
	v_add_f64 v[184:185], v[184:185], v[186:187]
	s_waitcnt vmcnt(0) lgkmcnt(0)
	v_mul_f64 v[186:187], v[168:169], v[202:203]
	v_fmac_f64_e32 v[186:187], v[170:171], v[200:201]
	v_add_f64 v[250:251], v[184:185], v[186:187]
	scratch_load_dwordx4 v[184:187], off, off offset:816
	v_add_f64 v[246:247], v[246:247], 0
	v_add_f64 v[246:247], v[246:247], v[248:249]
	;; [unrolled: 1-line block ×3, first 2 shown]
	scratch_load_dwordx4 v[246:249], off, off offset:272
	v_add_f64 v[196:197], v[244:245], v[196:197]
	v_mul_f64 v[6:7], v[66:67], v[6:7]
	v_add_f64 v[196:197], v[196:197], v[198:199]
	v_fma_f64 v[4:5], v[64:65], v[4:5], -v[6:7]
	v_mul_f64 v[6:7], v[78:79], v[10:11]
	v_add_f64 v[4:5], v[196:197], v[4:5]
	v_fma_f64 v[6:7], v[76:77], v[8:9], -v[6:7]
	v_add_f64 v[4:5], v[4:5], v[6:7]
	v_mul_f64 v[6:7], v[74:75], v[14:15]
	v_fma_f64 v[6:7], v[72:73], v[12:13], -v[6:7]
	v_add_f64 v[4:5], v[4:5], v[6:7]
	v_mul_f64 v[6:7], v[70:71], v[18:19]
	;; [unrolled: 3-line block ×24, first 2 shown]
	ds_read_b128 v[192:195], v2 offset:1616
	v_fma_f64 v[6:7], v[160:161], v[172:173], -v[6:7]
	v_add_f64 v[4:5], v[4:5], v[6:7]
	v_mul_f64 v[6:7], v[182:183], v[178:179]
	v_fma_f64 v[6:7], v[180:181], v[176:177], -v[6:7]
	v_add_f64 v[4:5], v[4:5], v[6:7]
	v_mul_f64 v[6:7], v[170:171], v[202:203]
	v_fma_f64 v[6:7], v[168:169], v[200:201], -v[6:7]
	s_waitcnt vmcnt(1) lgkmcnt(0)
	v_mul_f64 v[2:3], v[192:193], v[186:187]
	v_add_f64 v[4:5], v[4:5], v[6:7]
	v_mul_f64 v[6:7], v[194:195], v[186:187]
	v_fmac_f64_e32 v[2:3], v[194:195], v[184:185]
	v_fma_f64 v[6:7], v[192:193], v[184:185], -v[6:7]
	v_add_f64 v[2:3], v[250:251], v[2:3]
	v_add_f64 v[4:5], v[4:5], v[6:7]
	s_waitcnt vmcnt(0)
	v_add_f64 v[4:5], v[246:247], -v[4:5]
	v_add_f64 v[6:7], v[248:249], -v[2:3]
	scratch_store_dwordx4 off, v[4:7], off offset:272
	s_and_saveexec_b64 s[0:1], vcc
	s_cbranch_execz .LBB114_289
; %bb.288:
	scratch_load_dwordx4 v[2:5], off, s52
	v_mov_b32_e32 v6, 0
	v_mov_b32_e32 v7, v6
	v_mov_b32_e32 v8, v6
	v_mov_b32_e32 v9, v6
	v_accvgpr_read_b32 v0, a103
	scratch_store_dwordx4 off, v[6:9], off offset:256
	s_waitcnt vmcnt(1)
	ds_write_b128 v0, v[2:5]
.LBB114_289:
	s_or_b64 exec, exec, s[0:1]
	s_waitcnt lgkmcnt(0)
	; wave barrier
	scratch_load_dwordx4 v[184:187], off, off offset:272
	scratch_load_dwordx4 v[188:191], off, off offset:288
	;; [unrolled: 1-line block ×32, first 2 shown]
	v_mov_b32_e32 v2, 0
	ds_read_b128 v[192:195], v2 offset:1072
	ds_read_b128 v[204:207], v2 offset:1088
	;; [unrolled: 1-line block ×16, first 2 shown]
	v_cmp_lt_u32_e32 vcc, 14, v240
	s_waitcnt vmcnt(31) lgkmcnt(14)
	v_mul_f64 v[104:105], v[192:193], v[186:187]
	s_waitcnt vmcnt(30)
	v_mul_f64 v[106:107], v[204:205], v[190:191]
	v_fmac_f64_e32 v[104:105], v[194:195], v[184:185]
	s_waitcnt vmcnt(29) lgkmcnt(13)
	v_mul_f64 v[112:113], v[216:217], v[198:199]
	v_fmac_f64_e32 v[106:107], v[206:207], v[188:189]
	v_add_f64 v[104:105], v[104:105], 0
	s_waitcnt vmcnt(28) lgkmcnt(12)
	v_mul_f64 v[114:115], v[224:225], v[202:203]
	v_fmac_f64_e32 v[112:113], v[218:219], v[196:197]
	v_add_f64 v[104:105], v[104:105], v[106:107]
	;; [unrolled: 4-line block ×10, first 2 shown]
	ds_read_b128 v[152:155], v2 offset:1328
	ds_read_b128 v[156:159], v2 offset:1344
	s_waitcnt vmcnt(19) lgkmcnt(5)
	v_mul_f64 v[164:165], v[124:125], v[26:27]
	v_fmac_f64_e32 v[162:163], v[134:135], v[20:21]
	v_add_f64 v[104:105], v[104:105], v[160:161]
	s_waitcnt vmcnt(18) lgkmcnt(4)
	v_mul_f64 v[166:167], v[120:121], v[30:31]
	v_fmac_f64_e32 v[164:165], v[126:127], v[24:25]
	v_add_f64 v[104:105], v[104:105], v[162:163]
	;; [unrolled: 4-line block ×4, first 2 shown]
	v_add_f64 v[112:113], v[104:105], v[168:169]
	v_fmac_f64_e32 v[170:171], v[110:111], v[36:37]
	scratch_load_dwordx4 v[104:107], off, off offset:784
	s_waitcnt vmcnt(16) lgkmcnt(1)
	v_mul_f64 v[114:115], v[152:153], v[42:43]
	v_add_f64 v[112:113], v[112:113], v[170:171]
	v_fmac_f64_e32 v[114:115], v[154:155], v[40:41]
	v_add_f64 v[128:129], v[112:113], v[114:115]
	scratch_load_dwordx4 v[112:115], off, off offset:800
	s_waitcnt vmcnt(16) lgkmcnt(0)
	v_mul_f64 v[130:131], v[156:157], v[46:47]
	v_fmac_f64_e32 v[130:131], v[158:159], v[44:45]
	v_add_f64 v[168:169], v[128:129], v[130:131]
	scratch_load_dwordx4 v[128:131], off, off offset:816
	ds_read_b128 v[160:163], v2 offset:1360
	ds_read_b128 v[164:167], v2 offset:1376
	v_mul_f64 v[186:187], v[194:195], v[186:187]
	v_fma_f64 v[252:253], v[192:193], v[184:185], -v[186:187]
	ds_read_b128 v[184:187], v2 offset:1456
	s_waitcnt vmcnt(16) lgkmcnt(2)
	v_mul_f64 v[170:171], v[160:161], v[50:51]
	v_fmac_f64_e32 v[170:171], v[162:163], v[48:49]
	s_waitcnt vmcnt(15) lgkmcnt(1)
	v_mul_f64 v[174:175], v[164:165], v[54:55]
	v_add_f64 v[172:173], v[168:169], v[170:171]
	ds_read_b128 v[168:171], v2 offset:1392
	v_fmac_f64_e32 v[174:175], v[166:167], v[52:53]
	v_add_f64 v[176:177], v[172:173], v[174:175]
	ds_read_b128 v[172:175], v2 offset:1408
	v_mul_f64 v[190:191], v[206:207], v[190:191]
	s_waitcnt vmcnt(14) lgkmcnt(1)
	v_mul_f64 v[178:179], v[168:169], v[58:59]
	v_fmac_f64_e32 v[178:179], v[170:171], v[56:57]
	v_add_f64 v[180:181], v[176:177], v[178:179]
	s_waitcnt vmcnt(13) lgkmcnt(0)
	v_mul_f64 v[182:183], v[172:173], v[62:63]
	ds_read_b128 v[176:179], v2 offset:1424
	v_fmac_f64_e32 v[182:183], v[174:175], v[60:61]
	v_add_f64 v[232:233], v[180:181], v[182:183]
	ds_read_b128 v[180:183], v2 offset:1440
	v_fma_f64 v[254:255], v[204:205], v[188:189], -v[190:191]
	s_waitcnt vmcnt(12) lgkmcnt(1)
	v_mul_f64 v[234:235], v[176:177], v[66:67]
	v_fmac_f64_e32 v[234:235], v[178:179], v[64:65]
	v_add_f64 v[232:233], v[232:233], v[234:235]
	s_waitcnt vmcnt(11) lgkmcnt(0)
	v_mul_f64 v[192:193], v[180:181], v[70:71]
	v_fmac_f64_e32 v[192:193], v[182:183], v[68:69]
	ds_read_b128 v[188:191], v2 offset:1472
	s_waitcnt vmcnt(10)
	v_mul_f64 v[194:195], v[184:185], v[74:75]
	v_add_f64 v[192:193], v[232:233], v[192:193]
	v_fmac_f64_e32 v[194:195], v[186:187], v[72:73]
	v_add_f64 v[204:205], v[192:193], v[194:195]
	ds_read_b128 v[192:195], v2 offset:1488
	v_mul_f64 v[198:199], v[218:219], v[198:199]
	v_fma_f64 v[242:243], v[216:217], v[196:197], -v[198:199]
	ds_read_b128 v[196:199], v2 offset:1504
	s_waitcnt vmcnt(9) lgkmcnt(2)
	v_mul_f64 v[206:207], v[188:189], v[78:79]
	v_fmac_f64_e32 v[206:207], v[190:191], v[76:77]
	v_add_f64 v[204:205], v[204:205], v[206:207]
	s_waitcnt vmcnt(8) lgkmcnt(1)
	v_mul_f64 v[206:207], v[192:193], v[82:83]
	v_fmac_f64_e32 v[206:207], v[194:195], v[80:81]
	v_mul_f64 v[202:203], v[226:227], v[202:203]
	v_add_f64 v[204:205], v[204:205], v[206:207]
	v_fma_f64 v[234:235], v[224:225], v[200:201], -v[202:203]
	ds_read_b128 v[200:203], v2 offset:1520
	s_waitcnt vmcnt(7) lgkmcnt(1)
	v_mul_f64 v[206:207], v[196:197], v[86:87]
	v_fmac_f64_e32 v[206:207], v[198:199], v[84:85]
	v_add_f64 v[216:217], v[204:205], v[206:207]
	ds_read_b128 v[204:207], v2 offset:1536
	v_mul_f64 v[210:211], v[230:231], v[210:211]
	v_fma_f64 v[236:237], v[228:229], v[208:209], -v[210:211]
	ds_read_b128 v[208:211], v2 offset:1552
	s_waitcnt vmcnt(6) lgkmcnt(2)
	v_mul_f64 v[218:219], v[200:201], v[90:91]
	v_fmac_f64_e32 v[218:219], v[202:203], v[88:89]
	v_add_f64 v[216:217], v[216:217], v[218:219]
	s_waitcnt vmcnt(5) lgkmcnt(1)
	v_mul_f64 v[218:219], v[204:205], v[94:95]
	v_fmac_f64_e32 v[218:219], v[206:207], v[92:93]
	v_mul_f64 v[214:215], v[246:247], v[214:215]
	v_fma_f64 v[238:239], v[244:245], v[212:213], -v[214:215]
	ds_read_b128 v[212:215], v2 offset:1568
	v_add_f64 v[216:217], v[216:217], v[218:219]
	s_waitcnt vmcnt(4) lgkmcnt(1)
	v_mul_f64 v[218:219], v[208:209], v[102:103]
	v_fmac_f64_e32 v[218:219], v[210:211], v[100:101]
	v_add_f64 v[224:225], v[216:217], v[218:219]
	ds_read_b128 v[216:219], v2 offset:1584
	v_mul_f64 v[222:223], v[250:251], v[222:223]
	v_fma_f64 v[244:245], v[248:249], v[220:221], -v[222:223]
	ds_read_b128 v[220:223], v2 offset:1600
	s_waitcnt vmcnt(3) lgkmcnt(2)
	v_mul_f64 v[226:227], v[212:213], v[98:99]
	v_fmac_f64_e32 v[226:227], v[214:215], v[96:97]
	v_add_f64 v[224:225], v[224:225], v[226:227]
	s_waitcnt vmcnt(2) lgkmcnt(1)
	v_mul_f64 v[226:227], v[216:217], v[106:107]
	v_fmac_f64_e32 v[226:227], v[218:219], v[104:105]
	v_add_f64 v[224:225], v[224:225], v[226:227]
	;; [unrolled: 4-line block ×3, first 2 shown]
	ds_read_b128 v[224:227], v2 offset:1616
	v_mul_f64 v[6:7], v[150:151], v[6:7]
	v_fma_f64 v[4:5], v[148:149], v[4:5], -v[6:7]
	v_mul_f64 v[6:7], v[146:147], v[10:11]
	v_fma_f64 v[6:7], v[144:145], v[8:9], -v[6:7]
	s_waitcnt vmcnt(0) lgkmcnt(0)
	v_mul_f64 v[230:231], v[224:225], v[130:131]
	v_fmac_f64_e32 v[230:231], v[226:227], v[128:129]
	v_add_f64 v[232:233], v[228:229], v[230:231]
	v_add_f64 v[228:229], v[252:253], 0
	;; [unrolled: 1-line block ×4, first 2 shown]
	scratch_load_dwordx4 v[228:231], off, off offset:256
	v_add_f64 v[234:235], v[246:247], v[234:235]
	v_add_f64 v[234:235], v[234:235], v[236:237]
	;; [unrolled: 1-line block ×6, first 2 shown]
	v_mul_f64 v[6:7], v[142:143], v[14:15]
	v_fma_f64 v[6:7], v[140:141], v[12:13], -v[6:7]
	v_add_f64 v[4:5], v[4:5], v[6:7]
	v_mul_f64 v[6:7], v[138:139], v[18:19]
	v_fma_f64 v[6:7], v[136:137], v[16:17], -v[6:7]
	v_add_f64 v[4:5], v[4:5], v[6:7]
	;; [unrolled: 3-line block ×26, first 2 shown]
	s_waitcnt vmcnt(0)
	v_add_f64 v[4:5], v[228:229], -v[4:5]
	v_add_f64 v[6:7], v[230:231], -v[232:233]
	scratch_store_dwordx4 off, v[4:7], off offset:256
	s_and_saveexec_b64 s[0:1], vcc
	s_cbranch_execz .LBB114_291
; %bb.290:
	scratch_load_dwordx4 v[6:9], off, s53
	v_mov_b32_e32 v3, v2
	v_mov_b32_e32 v4, v2
	;; [unrolled: 1-line block ×3, first 2 shown]
	v_accvgpr_read_b32 v0, a103
	scratch_store_dwordx4 off, v[2:5], off offset:240
	s_waitcnt vmcnt(1)
	ds_write_b128 v0, v[6:9]
.LBB114_291:
	s_or_b64 exec, exec, s[0:1]
	s_waitcnt lgkmcnt(0)
	; wave barrier
	scratch_load_dwordx4 v[140:143], off, off offset:256
	scratch_load_dwordx4 v[144:147], off, off offset:272
	;; [unrolled: 1-line block ×16, first 2 shown]
	ds_read_b128 v[208:211], v2 offset:1056
	ds_read_b128 v[200:203], v2 offset:1072
	;; [unrolled: 1-line block ×3, first 2 shown]
	scratch_load_dwordx4 v[40:43], off, off offset:512
	ds_read_b128 v[204:207], v2 offset:1104
	ds_read_b128 v[192:195], v2 offset:1120
	;; [unrolled: 1-line block ×3, first 2 shown]
	scratch_load_dwordx4 v[44:47], off, off offset:528
	ds_read_b128 v[196:199], v2 offset:1152
	ds_read_b128 v[64:67], v2 offset:1168
	;; [unrolled: 1-line block ×4, first 2 shown]
	scratch_load_dwordx4 v[48:51], off, off offset:544
	ds_read_b128 v[72:75], v2 offset:1216
	ds_read_b128 v[68:71], v2 offset:1232
	scratch_load_dwordx4 v[56:59], off, off offset:560
	ds_read_b128 v[92:95], v2 offset:1248
	ds_read_b128 v[88:91], v2 offset:1264
	;; [unrolled: 1-line block ×4, first 2 shown]
	scratch_load_dwordx4 v[76:79], off, off offset:576
	scratch_load_dwordx4 v[96:99], off, off offset:592
	;; [unrolled: 1-line block ×12, first 2 shown]
	ds_read_b128 v[168:171], v2 offset:1312
	v_accvgpr_write_b32 a102, v240
	v_cmp_lt_u32_e32 vcc, 13, v240
	s_waitcnt vmcnt(31) lgkmcnt(14)
	v_mul_f64 v[172:173], v[208:209], v[142:143]
	s_waitcnt vmcnt(30)
	v_mul_f64 v[174:175], v[200:201], v[146:147]
	v_fmac_f64_e32 v[172:173], v[210:211], v[140:141]
	s_waitcnt vmcnt(29)
	v_mul_f64 v[176:177], v[188:189], v[150:151]
	v_fmac_f64_e32 v[174:175], v[202:203], v[144:145]
	v_add_f64 v[172:173], v[172:173], 0
	s_waitcnt vmcnt(28) lgkmcnt(13)
	v_mul_f64 v[178:179], v[204:205], v[154:155]
	v_fmac_f64_e32 v[176:177], v[190:191], v[148:149]
	v_add_f64 v[172:173], v[172:173], v[174:175]
	s_waitcnt vmcnt(27) lgkmcnt(12)
	;; [unrolled: 4-line block ×10, first 2 shown]
	v_mul_f64 v[224:225], v[92:93], v[26:27]
	v_fmac_f64_e32 v[222:223], v[70:71], v[20:21]
	v_add_f64 v[172:173], v[172:173], v[220:221]
	ds_read_b128 v[212:215], v2 offset:1328
	s_waitcnt vmcnt(18) lgkmcnt(4)
	v_mul_f64 v[226:227], v[88:89], v[30:31]
	v_fmac_f64_e32 v[224:225], v[94:95], v[24:25]
	v_add_f64 v[172:173], v[172:173], v[222:223]
	ds_read_b128 v[216:219], v2 offset:1344
	ds_read_b128 v[220:223], v2 offset:1360
	s_waitcnt vmcnt(17) lgkmcnt(5)
	v_mul_f64 v[228:229], v[84:85], v[34:35]
	v_fmac_f64_e32 v[226:227], v[90:91], v[28:29]
	v_add_f64 v[172:173], v[172:173], v[224:225]
	s_waitcnt vmcnt(16) lgkmcnt(4)
	v_mul_f64 v[230:231], v[80:81], v[38:39]
	v_fmac_f64_e32 v[228:229], v[86:87], v[32:33]
	v_add_f64 v[172:173], v[172:173], v[226:227]
	v_add_f64 v[176:177], v[172:173], v[228:229]
	v_fmac_f64_e32 v[230:231], v[82:83], v[36:37]
	s_waitcnt vmcnt(15) lgkmcnt(3)
	v_mul_f64 v[178:179], v[168:169], v[42:43]
	v_add_f64 v[176:177], v[176:177], v[230:231]
	v_fmac_f64_e32 v[178:179], v[170:171], v[40:41]
	s_waitcnt vmcnt(14) lgkmcnt(2)
	v_mul_f64 v[182:183], v[212:213], v[46:47]
	;; [unrolled: 4-line block ×3, first 2 shown]
	v_add_f64 v[224:225], v[180:181], v[182:183]
	v_fmac_f64_e32 v[226:227], v[218:219], v[48:49]
	v_add_f64 v[228:229], v[224:225], v[226:227]
	ds_read_b128 v[224:227], v2 offset:1376
	s_waitcnt vmcnt(12) lgkmcnt(1)
	v_mul_f64 v[230:231], v[220:221], v[58:59]
	v_fmac_f64_e32 v[230:231], v[222:223], v[56:57]
	v_add_f64 v[232:233], v[228:229], v[230:231]
	ds_read_b128 v[228:231], v2 offset:1392
	s_waitcnt vmcnt(11) lgkmcnt(1)
	v_mul_f64 v[234:235], v[224:225], v[78:79]
	v_fmac_f64_e32 v[234:235], v[226:227], v[76:77]
	v_add_f64 v[236:237], v[232:233], v[234:235]
	ds_read_b128 v[232:235], v2 offset:1408
	s_waitcnt vmcnt(10) lgkmcnt(1)
	v_mul_f64 v[238:239], v[228:229], v[98:99]
	v_fmac_f64_e32 v[238:239], v[230:231], v[96:97]
	v_add_f64 v[242:243], v[236:237], v[238:239]
	ds_read_b128 v[236:239], v2 offset:1424
	s_waitcnt vmcnt(9) lgkmcnt(1)
	v_mul_f64 v[244:245], v[232:233], v[102:103]
	v_fmac_f64_e32 v[244:245], v[234:235], v[100:101]
	v_mul_f64 v[142:143], v[210:211], v[142:143]
	v_add_f64 v[242:243], v[242:243], v[244:245]
	v_fma_f64 v[244:245], v[208:209], v[140:141], -v[142:143]
	ds_read_b128 v[140:143], v2 offset:1440
	s_waitcnt vmcnt(8) lgkmcnt(1)
	v_mul_f64 v[208:209], v[236:237], v[106:107]
	v_fmac_f64_e32 v[208:209], v[238:239], v[104:105]
	v_mul_f64 v[146:147], v[202:203], v[146:147]
	v_add_f64 v[208:209], v[242:243], v[208:209]
	v_fma_f64 v[242:243], v[200:201], v[144:145], -v[146:147]
	ds_read_b128 v[144:147], v2 offset:1456
	s_waitcnt vmcnt(7) lgkmcnt(1)
	v_mul_f64 v[200:201], v[140:141], v[110:111]
	scratch_load_dwordx4 v[172:175], off, off offset:768
	v_fmac_f64_e32 v[200:201], v[142:143], v[108:109]
	v_add_f64 v[208:209], v[208:209], v[200:201]
	ds_read_b128 v[200:203], v2 offset:1472
	v_mul_f64 v[150:151], v[190:191], v[150:151]
	scratch_load_dwordx4 v[176:179], off, off offset:784
	scratch_load_dwordx4 v[180:183], off, off offset:800
	v_fma_f64 v[246:247], v[188:189], v[148:149], -v[150:151]
	ds_read_b128 v[148:151], v2 offset:1488
	s_waitcnt vmcnt(9) lgkmcnt(2)
	v_mul_f64 v[210:211], v[144:145], v[114:115]
	v_fmac_f64_e32 v[210:211], v[146:147], v[112:113]
	s_waitcnt vmcnt(8) lgkmcnt(1)
	v_mul_f64 v[188:189], v[200:201], v[118:119]
	v_add_f64 v[208:209], v[208:209], v[210:211]
	v_fmac_f64_e32 v[188:189], v[202:203], v[116:117]
	v_mul_f64 v[154:155], v[206:207], v[154:155]
	s_waitcnt vmcnt(7) lgkmcnt(0)
	v_mul_f64 v[190:191], v[148:149], v[122:123]
	v_add_f64 v[188:189], v[208:209], v[188:189]
	v_fma_f64 v[248:249], v[204:205], v[152:153], -v[154:155]
	ds_read_b128 v[152:155], v2 offset:1504
	v_fmac_f64_e32 v[190:191], v[150:151], v[120:121]
	v_add_f64 v[204:205], v[188:189], v[190:191]
	ds_read_b128 v[188:191], v2 offset:1520
	v_mul_f64 v[158:159], v[194:195], v[158:159]
	s_waitcnt vmcnt(6) lgkmcnt(1)
	v_mul_f64 v[206:207], v[152:153], v[126:127]
	v_fmac_f64_e32 v[206:207], v[154:155], v[124:125]
	v_fma_f64 v[250:251], v[192:193], v[156:157], -v[158:159]
	s_waitcnt vmcnt(5) lgkmcnt(0)
	v_mul_f64 v[192:193], v[188:189], v[130:131]
	v_add_f64 v[204:205], v[204:205], v[206:207]
	v_fmac_f64_e32 v[192:193], v[190:191], v[128:129]
	v_mul_f64 v[162:163], v[186:187], v[162:163]
	v_fma_f64 v[208:209], v[184:185], v[160:161], -v[162:163]
	v_add_f64 v[184:185], v[204:205], v[192:193]
	scratch_load_dwordx4 v[204:207], off, off offset:816
	v_add_f64 v[244:245], v[244:245], 0
	v_add_f64 v[242:243], v[244:245], v[242:243]
	;; [unrolled: 1-line block ×4, first 2 shown]
	scratch_load_dwordx4 v[246:249], off, off offset:240
	v_mul_f64 v[166:167], v[198:199], v[166:167]
	v_add_f64 v[244:245], v[242:243], v[250:251]
	v_fma_f64 v[210:211], v[196:197], v[164:165], -v[166:167]
	v_add_f64 v[208:209], v[244:245], v[208:209]
	v_mul_f64 v[6:7], v[66:67], v[6:7]
	v_add_f64 v[208:209], v[208:209], v[210:211]
	v_fma_f64 v[4:5], v[64:65], v[4:5], -v[6:7]
	v_mul_f64 v[6:7], v[62:63], v[10:11]
	v_add_f64 v[4:5], v[208:209], v[4:5]
	v_fma_f64 v[6:7], v[60:61], v[8:9], -v[6:7]
	v_add_f64 v[4:5], v[4:5], v[6:7]
	v_mul_f64 v[6:7], v[54:55], v[14:15]
	v_fma_f64 v[6:7], v[52:53], v[12:13], -v[6:7]
	v_add_f64 v[4:5], v[4:5], v[6:7]
	v_mul_f64 v[6:7], v[74:75], v[18:19]
	;; [unrolled: 3-line block ×12, first 2 shown]
	v_fma_f64 v[6:7], v[224:225], v[76:77], -v[6:7]
	ds_read_b128 v[156:159], v2 offset:1536
	ds_read_b128 v[160:163], v2 offset:1552
	v_add_f64 v[4:5], v[4:5], v[6:7]
	v_mul_f64 v[6:7], v[230:231], v[98:99]
	v_fma_f64 v[6:7], v[228:229], v[96:97], -v[6:7]
	v_add_f64 v[4:5], v[4:5], v[6:7]
	v_mul_f64 v[6:7], v[234:235], v[102:103]
	v_fma_f64 v[6:7], v[232:233], v[100:101], -v[6:7]
	v_add_f64 v[4:5], v[4:5], v[6:7]
	v_mul_f64 v[6:7], v[238:239], v[106:107]
	s_waitcnt vmcnt(6) lgkmcnt(1)
	v_mul_f64 v[186:187], v[156:157], v[138:139]
	v_fma_f64 v[6:7], v[236:237], v[104:105], -v[6:7]
	v_fmac_f64_e32 v[186:187], v[158:159], v[136:137]
	v_add_f64 v[4:5], v[4:5], v[6:7]
	v_mul_f64 v[6:7], v[142:143], v[110:111]
	v_add_f64 v[192:193], v[184:185], v[186:187]
	ds_read_b128 v[184:187], v2 offset:1568
	ds_read_b128 v[164:167], v2 offset:1584
	v_fma_f64 v[6:7], v[140:141], v[108:109], -v[6:7]
	v_add_f64 v[4:5], v[4:5], v[6:7]
	v_mul_f64 v[6:7], v[146:147], v[114:115]
	v_fma_f64 v[6:7], v[144:145], v[112:113], -v[6:7]
	s_waitcnt vmcnt(5) lgkmcnt(2)
	v_mul_f64 v[194:195], v[160:161], v[134:135]
	v_add_f64 v[4:5], v[4:5], v[6:7]
	v_mul_f64 v[6:7], v[202:203], v[118:119]
	v_fmac_f64_e32 v[194:195], v[162:163], v[132:133]
	v_fma_f64 v[6:7], v[200:201], v[116:117], -v[6:7]
	v_add_f64 v[192:193], v[192:193], v[194:195]
	s_waitcnt vmcnt(4) lgkmcnt(1)
	v_mul_f64 v[194:195], v[184:185], v[174:175]
	v_add_f64 v[4:5], v[4:5], v[6:7]
	v_mul_f64 v[6:7], v[150:151], v[122:123]
	v_fmac_f64_e32 v[194:195], v[186:187], v[172:173]
	v_fma_f64 v[6:7], v[148:149], v[120:121], -v[6:7]
	v_add_f64 v[192:193], v[192:193], v[194:195]
	;; [unrolled: 7-line block ×3, first 2 shown]
	ds_read_b128 v[192:195], v2 offset:1600
	v_add_f64 v[4:5], v[4:5], v[6:7]
	v_mul_f64 v[6:7], v[190:191], v[130:131]
	v_fma_f64 v[6:7], v[188:189], v[128:129], -v[6:7]
	v_add_f64 v[4:5], v[4:5], v[6:7]
	v_mul_f64 v[6:7], v[158:159], v[138:139]
	v_fma_f64 v[6:7], v[156:157], v[136:137], -v[6:7]
	v_add_f64 v[4:5], v[4:5], v[6:7]
	v_mul_f64 v[6:7], v[162:163], v[134:135]
	s_waitcnt vmcnt(2) lgkmcnt(0)
	v_mul_f64 v[198:199], v[192:193], v[182:183]
	v_fma_f64 v[6:7], v[160:161], v[132:133], -v[6:7]
	v_fmac_f64_e32 v[198:199], v[194:195], v[180:181]
	v_add_f64 v[4:5], v[4:5], v[6:7]
	v_mul_f64 v[6:7], v[186:187], v[174:175]
	v_add_f64 v[252:253], v[196:197], v[198:199]
	ds_read_b128 v[196:199], v2 offset:1616
	v_fma_f64 v[6:7], v[184:185], v[172:173], -v[6:7]
	v_add_f64 v[4:5], v[4:5], v[6:7]
	v_mul_f64 v[6:7], v[166:167], v[178:179]
	v_fma_f64 v[6:7], v[164:165], v[176:177], -v[6:7]
	v_add_f64 v[4:5], v[4:5], v[6:7]
	v_mul_f64 v[6:7], v[194:195], v[182:183]
	v_fma_f64 v[6:7], v[192:193], v[180:181], -v[6:7]
	s_waitcnt vmcnt(1) lgkmcnt(0)
	v_mul_f64 v[2:3], v[196:197], v[206:207]
	v_add_f64 v[4:5], v[4:5], v[6:7]
	v_mul_f64 v[6:7], v[198:199], v[206:207]
	v_fmac_f64_e32 v[2:3], v[198:199], v[204:205]
	v_fma_f64 v[6:7], v[196:197], v[204:205], -v[6:7]
	v_add_f64 v[2:3], v[252:253], v[2:3]
	v_add_f64 v[4:5], v[4:5], v[6:7]
	s_waitcnt vmcnt(0)
	v_add_f64 v[4:5], v[246:247], -v[4:5]
	v_add_f64 v[6:7], v[248:249], -v[2:3]
	scratch_store_dwordx4 off, v[4:7], off offset:240
	s_and_saveexec_b64 s[0:1], vcc
	s_cbranch_execz .LBB114_293
; %bb.292:
	scratch_load_dwordx4 v[2:5], off, s54
	v_mov_b32_e32 v6, 0
	v_mov_b32_e32 v7, v6
	;; [unrolled: 1-line block ×4, first 2 shown]
	v_accvgpr_read_b32 v0, a103
	scratch_store_dwordx4 off, v[6:9], off offset:224
	s_waitcnt vmcnt(1)
	ds_write_b128 v0, v[2:5]
.LBB114_293:
	s_or_b64 exec, exec, s[0:1]
	s_waitcnt lgkmcnt(0)
	; wave barrier
	scratch_load_dwordx4 v[168:171], off, off offset:240
	scratch_load_dwordx4 v[172:175], off, off offset:256
	;; [unrolled: 1-line block ×32, first 2 shown]
	v_mov_b32_e32 v2, 0
	ds_read_b128 v[176:179], v2 offset:1040
	ds_read_b128 v[188:191], v2 offset:1056
	;; [unrolled: 1-line block ×17, first 2 shown]
	v_accvgpr_read_b32 v0, a102
	v_cmp_lt_u32_e32 vcc, 12, v0
	s_waitcnt vmcnt(31) lgkmcnt(14)
	v_mul_f64 v[104:105], v[176:177], v[170:171]
	s_waitcnt vmcnt(30)
	v_mul_f64 v[106:107], v[188:189], v[174:175]
	v_fmac_f64_e32 v[104:105], v[178:179], v[168:169]
	s_waitcnt vmcnt(29)
	v_mul_f64 v[108:109], v[200:201], v[182:183]
	v_fmac_f64_e32 v[106:107], v[190:191], v[172:173]
	v_add_f64 v[104:105], v[104:105], 0
	s_waitcnt vmcnt(28) lgkmcnt(13)
	v_mul_f64 v[110:111], v[212:213], v[186:187]
	v_fmac_f64_e32 v[108:109], v[202:203], v[180:181]
	v_add_f64 v[104:105], v[104:105], v[106:107]
	s_waitcnt vmcnt(27) lgkmcnt(12)
	;; [unrolled: 4-line block ×12, first 2 shown]
	v_mul_f64 v[156:157], v[112:113], v[26:27]
	v_fmac_f64_e32 v[154:155], v[118:119], v[20:21]
	v_add_f64 v[104:105], v[104:105], v[152:153]
	v_fmac_f64_e32 v[156:157], v[114:115], v[24:25]
	v_add_f64 v[104:105], v[104:105], v[154:155]
	s_waitcnt vmcnt(16) lgkmcnt(1)
	v_mul_f64 v[106:107], v[100:101], v[30:31]
	v_add_f64 v[104:105], v[104:105], v[156:157]
	v_fmac_f64_e32 v[106:107], v[102:103], v[28:29]
	v_add_f64 v[108:109], v[104:105], v[106:107]
	ds_read_b128 v[144:147], v2 offset:1312
	ds_read_b128 v[148:151], v2 offset:1328
	scratch_load_dwordx4 v[104:107], off, off offset:752
	s_waitcnt vmcnt(16) lgkmcnt(2)
	v_mul_f64 v[110:111], v[96:97], v[34:35]
	v_fmac_f64_e32 v[110:111], v[98:99], v[32:33]
	v_add_f64 v[120:121], v[108:109], v[110:111]
	scratch_load_dwordx4 v[108:111], off, off offset:768
	s_waitcnt vmcnt(16) lgkmcnt(1)
	v_mul_f64 v[122:123], v[144:145], v[38:39]
	v_fmac_f64_e32 v[122:123], v[146:147], v[36:37]
	v_add_f64 v[132:133], v[120:121], v[122:123]
	s_waitcnt vmcnt(15) lgkmcnt(0)
	v_mul_f64 v[134:135], v[148:149], v[42:43]
	scratch_load_dwordx4 v[120:123], off, off offset:784
	v_fmac_f64_e32 v[134:135], v[150:151], v[40:41]
	v_add_f64 v[160:161], v[132:133], v[134:135]
	scratch_load_dwordx4 v[132:135], off, off offset:800
	ds_read_b128 v[152:155], v2 offset:1344
	ds_read_b128 v[156:159], v2 offset:1360
	v_mul_f64 v[170:171], v[178:179], v[170:171]
	v_fma_f64 v[242:243], v[176:177], v[168:169], -v[170:171]
	ds_read_b128 v[168:171], v2 offset:1408
	s_waitcnt vmcnt(16) lgkmcnt(2)
	v_mul_f64 v[162:163], v[152:153], v[46:47]
	v_fmac_f64_e32 v[162:163], v[154:155], v[44:45]
	s_waitcnt vmcnt(15) lgkmcnt(1)
	v_mul_f64 v[166:167], v[156:157], v[50:51]
	v_add_f64 v[164:165], v[160:161], v[162:163]
	ds_read_b128 v[160:163], v2 offset:1376
	v_fmac_f64_e32 v[166:167], v[158:159], v[48:49]
	v_add_f64 v[232:233], v[164:165], v[166:167]
	ds_read_b128 v[164:167], v2 offset:1392
	v_mul_f64 v[174:175], v[190:191], v[174:175]
	s_waitcnt vmcnt(14) lgkmcnt(1)
	v_mul_f64 v[234:235], v[160:161], v[54:55]
	v_fmac_f64_e32 v[234:235], v[162:163], v[52:53]
	v_add_f64 v[232:233], v[232:233], v[234:235]
	s_waitcnt vmcnt(13) lgkmcnt(0)
	v_mul_f64 v[176:177], v[164:165], v[58:59]
	v_fmac_f64_e32 v[176:177], v[166:167], v[56:57]
	v_fma_f64 v[252:253], v[188:189], v[172:173], -v[174:175]
	ds_read_b128 v[172:175], v2 offset:1424
	s_waitcnt vmcnt(12)
	v_mul_f64 v[178:179], v[168:169], v[62:63]
	v_add_f64 v[176:177], v[232:233], v[176:177]
	v_fmac_f64_e32 v[178:179], v[170:171], v[60:61]
	v_add_f64 v[188:189], v[176:177], v[178:179]
	ds_read_b128 v[176:179], v2 offset:1440
	v_mul_f64 v[182:183], v[202:203], v[182:183]
	v_fma_f64 v[254:255], v[200:201], v[180:181], -v[182:183]
	ds_read_b128 v[180:183], v2 offset:1456
	s_waitcnt vmcnt(11) lgkmcnt(2)
	v_mul_f64 v[190:191], v[172:173], v[66:67]
	v_fmac_f64_e32 v[190:191], v[174:175], v[64:65]
	v_add_f64 v[188:189], v[188:189], v[190:191]
	s_waitcnt vmcnt(10) lgkmcnt(1)
	v_mul_f64 v[190:191], v[176:177], v[70:71]
	v_fmac_f64_e32 v[190:191], v[178:179], v[68:69]
	v_mul_f64 v[186:187], v[214:215], v[186:187]
	v_fma_f64 v[240:241], v[212:213], v[184:185], -v[186:187]
	ds_read_b128 v[184:187], v2 offset:1472
	v_add_f64 v[188:189], v[188:189], v[190:191]
	s_waitcnt vmcnt(9) lgkmcnt(1)
	v_mul_f64 v[190:191], v[180:181], v[74:75]
	v_fmac_f64_e32 v[190:191], v[182:183], v[72:73]
	v_add_f64 v[200:201], v[188:189], v[190:191]
	ds_read_b128 v[188:191], v2 offset:1488
	v_mul_f64 v[194:195], v[222:223], v[194:195]
	v_fma_f64 v[232:233], v[220:221], v[192:193], -v[194:195]
	ds_read_b128 v[192:195], v2 offset:1504
	s_waitcnt vmcnt(8) lgkmcnt(2)
	v_mul_f64 v[202:203], v[184:185], v[78:79]
	v_fmac_f64_e32 v[202:203], v[186:187], v[76:77]
	v_add_f64 v[200:201], v[200:201], v[202:203]
	s_waitcnt vmcnt(7) lgkmcnt(1)
	v_mul_f64 v[202:203], v[188:189], v[82:83]
	v_fmac_f64_e32 v[202:203], v[190:191], v[80:81]
	v_mul_f64 v[198:199], v[226:227], v[198:199]
	v_add_f64 v[200:201], v[200:201], v[202:203]
	v_fma_f64 v[234:235], v[224:225], v[196:197], -v[198:199]
	ds_read_b128 v[196:199], v2 offset:1520
	s_waitcnt vmcnt(6) lgkmcnt(1)
	v_mul_f64 v[202:203], v[192:193], v[86:87]
	v_fmac_f64_e32 v[202:203], v[194:195], v[84:85]
	v_add_f64 v[212:213], v[200:201], v[202:203]
	ds_read_b128 v[200:203], v2 offset:1536
	v_mul_f64 v[206:207], v[230:231], v[206:207]
	v_fma_f64 v[236:237], v[228:229], v[204:205], -v[206:207]
	ds_read_b128 v[204:207], v2 offset:1552
	s_waitcnt vmcnt(5) lgkmcnt(2)
	v_mul_f64 v[214:215], v[196:197], v[94:95]
	v_fmac_f64_e32 v[214:215], v[198:199], v[92:93]
	v_add_f64 v[212:213], v[212:213], v[214:215]
	s_waitcnt vmcnt(4) lgkmcnt(1)
	v_mul_f64 v[214:215], v[200:201], v[90:91]
	v_fmac_f64_e32 v[214:215], v[202:203], v[88:89]
	v_mul_f64 v[210:211], v[246:247], v[210:211]
	v_fma_f64 v[238:239], v[244:245], v[208:209], -v[210:211]
	ds_read_b128 v[208:211], v2 offset:1568
	v_add_f64 v[212:213], v[212:213], v[214:215]
	s_waitcnt vmcnt(3) lgkmcnt(1)
	v_mul_f64 v[214:215], v[204:205], v[106:107]
	v_fmac_f64_e32 v[214:215], v[206:207], v[104:105]
	v_add_f64 v[220:221], v[212:213], v[214:215]
	ds_read_b128 v[212:215], v2 offset:1584
	v_mul_f64 v[218:219], v[250:251], v[218:219]
	v_fma_f64 v[244:245], v[248:249], v[216:217], -v[218:219]
	ds_read_b128 v[216:219], v2 offset:1600
	ds_read_b128 v[224:227], v2 offset:1616
	s_waitcnt vmcnt(2) lgkmcnt(3)
	v_mul_f64 v[222:223], v[208:209], v[110:111]
	v_fmac_f64_e32 v[222:223], v[210:211], v[108:109]
	v_add_f64 v[220:221], v[220:221], v[222:223]
	s_waitcnt vmcnt(1) lgkmcnt(2)
	v_mul_f64 v[222:223], v[212:213], v[122:123]
	v_fmac_f64_e32 v[222:223], v[214:215], v[120:121]
	v_add_f64 v[220:221], v[220:221], v[222:223]
	;; [unrolled: 4-line block ×3, first 2 shown]
	scratch_load_dwordx4 v[220:223], off, off offset:816
	v_mul_f64 v[6:7], v[142:143], v[6:7]
	v_fma_f64 v[4:5], v[140:141], v[4:5], -v[6:7]
	v_mul_f64 v[6:7], v[138:139], v[10:11]
	v_fma_f64 v[6:7], v[136:137], v[8:9], -v[6:7]
	s_waitcnt vmcnt(0) lgkmcnt(0)
	v_mul_f64 v[230:231], v[224:225], v[222:223]
	v_fmac_f64_e32 v[230:231], v[226:227], v[220:221]
	v_add_f64 v[248:249], v[228:229], v[230:231]
	v_add_f64 v[228:229], v[242:243], 0
	;; [unrolled: 1-line block ×6, first 2 shown]
	scratch_load_dwordx4 v[228:231], off, off offset:224
	v_add_f64 v[232:233], v[246:247], v[234:235]
	v_add_f64 v[232:233], v[232:233], v[236:237]
	;; [unrolled: 1-line block ×6, first 2 shown]
	v_mul_f64 v[6:7], v[130:131], v[14:15]
	v_fma_f64 v[6:7], v[128:129], v[12:13], -v[6:7]
	v_add_f64 v[4:5], v[4:5], v[6:7]
	v_mul_f64 v[6:7], v[126:127], v[18:19]
	v_fma_f64 v[6:7], v[124:125], v[16:17], -v[6:7]
	v_add_f64 v[4:5], v[4:5], v[6:7]
	;; [unrolled: 3-line block ×26, first 2 shown]
	s_waitcnt vmcnt(0)
	v_add_f64 v[4:5], v[228:229], -v[4:5]
	v_add_f64 v[6:7], v[230:231], -v[248:249]
	scratch_store_dwordx4 off, v[4:7], off offset:224
	s_and_saveexec_b64 s[0:1], vcc
	s_cbranch_execz .LBB114_295
; %bb.294:
	scratch_load_dwordx4 v[6:9], off, s55
	v_mov_b32_e32 v3, v2
	v_mov_b32_e32 v4, v2
	;; [unrolled: 1-line block ×3, first 2 shown]
	v_accvgpr_read_b32 v0, a103
	scratch_store_dwordx4 off, v[2:5], off offset:208
	s_waitcnt vmcnt(1)
	ds_write_b128 v0, v[6:9]
.LBB114_295:
	s_or_b64 exec, exec, s[0:1]
	s_waitcnt lgkmcnt(0)
	; wave barrier
	scratch_load_dwordx4 v[168:171], off, off offset:224
	scratch_load_dwordx4 v[172:175], off, off offset:240
	;; [unrolled: 1-line block ×16, first 2 shown]
	ds_read_b128 v[232:235], v2 offset:1024
	ds_read_b128 v[176:179], v2 offset:1040
	scratch_load_dwordx4 v[32:35], off, off offset:480
	ds_read_b128 v[236:239], v2 offset:1056
	ds_read_b128 v[188:191], v2 offset:1072
	;; [unrolled: 1-line block ×5, first 2 shown]
	scratch_load_dwordx4 v[36:39], off, off offset:496
	ds_read_b128 v[224:227], v2 offset:1136
	ds_read_b128 v[220:223], v2 offset:1152
	;; [unrolled: 1-line block ×3, first 2 shown]
	scratch_load_dwordx4 v[40:43], off, off offset:512
	ds_read_b128 v[64:67], v2 offset:1184
	ds_read_b128 v[60:63], v2 offset:1200
	;; [unrolled: 1-line block ×4, first 2 shown]
	scratch_load_dwordx4 v[48:51], off, off offset:528
	ds_read_b128 v[80:83], v2 offset:1248
	ds_read_b128 v[72:75], v2 offset:1264
	;; [unrolled: 1-line block ×3, first 2 shown]
	scratch_load_dwordx4 v[76:79], off, off offset:544
	scratch_load_dwordx4 v[84:87], off, off offset:560
	;; [unrolled: 1-line block ×12, first 2 shown]
	v_accvgpr_read_b32 v0, a102
	v_cmp_lt_u32_e32 vcc, 11, v0
	s_waitcnt vmcnt(31) lgkmcnt(14)
	v_mul_f64 v[128:129], v[232:233], v[170:171]
	s_waitcnt vmcnt(30)
	v_mul_f64 v[130:131], v[176:177], v[174:175]
	v_fmac_f64_e32 v[128:129], v[234:235], v[168:169]
	s_waitcnt vmcnt(29)
	v_mul_f64 v[132:133], v[236:237], v[182:183]
	v_fmac_f64_e32 v[130:131], v[178:179], v[172:173]
	v_add_f64 v[128:129], v[128:129], 0
	s_waitcnt vmcnt(28) lgkmcnt(13)
	v_mul_f64 v[134:135], v[188:189], v[186:187]
	v_fmac_f64_e32 v[132:133], v[238:239], v[180:181]
	v_add_f64 v[128:129], v[128:129], v[130:131]
	s_waitcnt vmcnt(27) lgkmcnt(12)
	;; [unrolled: 4-line block ×13, first 2 shown]
	v_mul_f64 v[158:159], v[72:73], v[30:31]
	v_fmac_f64_e32 v[156:157], v[82:83], v[24:25]
	v_add_f64 v[128:129], v[128:129], v[154:155]
	v_add_f64 v[128:129], v[128:129], v[156:157]
	v_fmac_f64_e32 v[158:159], v[74:75], v[28:29]
	v_add_f64 v[132:133], v[128:129], v[158:159]
	ds_read_b128 v[144:147], v2 offset:1296
	ds_read_b128 v[148:151], v2 offset:1312
	scratch_load_dwordx4 v[128:131], off, off offset:736
	s_waitcnt vmcnt(16) lgkmcnt(2)
	v_mul_f64 v[134:135], v[68:69], v[34:35]
	v_fmac_f64_e32 v[134:135], v[70:71], v[32:33]
	s_waitcnt vmcnt(15) lgkmcnt(1)
	v_mul_f64 v[138:139], v[144:145], v[38:39]
	v_add_f64 v[136:137], v[132:133], v[134:135]
	scratch_load_dwordx4 v[132:135], off, off offset:752
	v_fmac_f64_e32 v[138:139], v[146:147], v[36:37]
	v_add_f64 v[140:141], v[136:137], v[138:139]
	s_waitcnt vmcnt(15) lgkmcnt(0)
	v_mul_f64 v[142:143], v[148:149], v[42:43]
	scratch_load_dwordx4 v[136:139], off, off offset:768
	v_fmac_f64_e32 v[142:143], v[150:151], v[40:41]
	v_add_f64 v[160:161], v[140:141], v[142:143]
	scratch_load_dwordx4 v[140:143], off, off offset:784
	ds_read_b128 v[152:155], v2 offset:1328
	ds_read_b128 v[156:159], v2 offset:1344
	v_mul_f64 v[170:171], v[234:235], v[170:171]
	v_mul_f64 v[174:175], v[178:179], v[174:175]
	;; [unrolled: 1-line block ×3, first 2 shown]
	s_waitcnt vmcnt(16) lgkmcnt(1)
	v_mul_f64 v[162:163], v[152:153], v[50:51]
	v_fmac_f64_e32 v[162:163], v[154:155], v[48:49]
	v_add_f64 v[164:165], v[160:161], v[162:163]
	ds_read_b128 v[160:163], v2 offset:1360
	s_waitcnt vmcnt(15) lgkmcnt(1)
	v_mul_f64 v[166:167], v[156:157], v[78:79]
	v_fmac_f64_e32 v[166:167], v[158:159], v[76:77]
	v_add_f64 v[240:241], v[164:165], v[166:167]
	ds_read_b128 v[164:167], v2 offset:1376
	s_waitcnt vmcnt(14) lgkmcnt(1)
	v_mul_f64 v[242:243], v[160:161], v[86:87]
	v_fmac_f64_e32 v[242:243], v[162:163], v[84:85]
	v_add_f64 v[240:241], v[240:241], v[242:243]
	v_fma_f64 v[242:243], v[232:233], v[168:169], -v[170:171]
	ds_read_b128 v[168:171], v2 offset:1392
	s_waitcnt vmcnt(13) lgkmcnt(1)
	v_mul_f64 v[232:233], v[164:165], v[90:91]
	v_fmac_f64_e32 v[232:233], v[166:167], v[88:89]
	v_add_f64 v[232:233], v[240:241], v[232:233]
	v_fma_f64 v[240:241], v[176:177], v[172:173], -v[174:175]
	ds_read_b128 v[172:175], v2 offset:1408
	s_waitcnt vmcnt(12) lgkmcnt(1)
	v_mul_f64 v[176:177], v[168:169], v[94:95]
	v_fmac_f64_e32 v[176:177], v[170:171], v[92:93]
	v_add_f64 v[232:233], v[232:233], v[176:177]
	ds_read_b128 v[176:179], v2 offset:1424
	v_fma_f64 v[236:237], v[236:237], v[180:181], -v[182:183]
	ds_read_b128 v[180:183], v2 offset:1440
	s_waitcnt vmcnt(11) lgkmcnt(2)
	v_mul_f64 v[234:235], v[172:173], v[98:99]
	v_fmac_f64_e32 v[234:235], v[174:175], v[96:97]
	v_add_f64 v[232:233], v[232:233], v[234:235]
	s_waitcnt vmcnt(10) lgkmcnt(1)
	v_mul_f64 v[234:235], v[176:177], v[102:103]
	v_fmac_f64_e32 v[234:235], v[178:179], v[100:101]
	v_mul_f64 v[186:187], v[190:191], v[186:187]
	s_waitcnt vmcnt(9) lgkmcnt(0)
	v_mul_f64 v[190:191], v[180:181], v[106:107]
	v_fma_f64 v[238:239], v[188:189], v[184:185], -v[186:187]
	ds_read_b128 v[184:187], v2 offset:1456
	v_add_f64 v[188:189], v[232:233], v[234:235]
	v_fmac_f64_e32 v[190:191], v[182:183], v[104:105]
	v_add_f64 v[232:233], v[188:189], v[190:191]
	ds_read_b128 v[188:191], v2 offset:1472
	v_mul_f64 v[194:195], v[230:231], v[194:195]
	v_fma_f64 v[248:249], v[228:229], v[192:193], -v[194:195]
	ds_read_b128 v[192:195], v2 offset:1488
	s_waitcnt vmcnt(8) lgkmcnt(2)
	v_mul_f64 v[234:235], v[184:185], v[110:111]
	v_fmac_f64_e32 v[234:235], v[186:187], v[108:109]
	s_waitcnt vmcnt(7) lgkmcnt(1)
	v_mul_f64 v[228:229], v[188:189], v[114:115]
	v_mul_f64 v[198:199], v[202:203], v[198:199]
	v_add_f64 v[232:233], v[232:233], v[234:235]
	v_fmac_f64_e32 v[228:229], v[190:191], v[112:113]
	v_fma_f64 v[250:251], v[200:201], v[196:197], -v[198:199]
	ds_read_b128 v[196:199], v2 offset:1504
	s_waitcnt vmcnt(6) lgkmcnt(1)
	v_mul_f64 v[200:201], v[192:193], v[118:119]
	v_add_f64 v[228:229], v[232:233], v[228:229]
	v_fmac_f64_e32 v[200:201], v[194:195], v[116:117]
	v_add_f64 v[228:229], v[228:229], v[200:201]
	ds_read_b128 v[200:203], v2 offset:1520
	v_mul_f64 v[206:207], v[214:215], v[206:207]
	v_add_f64 v[242:243], v[242:243], 0
	v_fma_f64 v[252:253], v[212:213], v[204:205], -v[206:207]
	ds_read_b128 v[204:207], v2 offset:1536
	v_add_f64 v[240:241], v[242:243], v[240:241]
	v_add_f64 v[236:237], v[240:241], v[236:237]
	;; [unrolled: 1-line block ×3, first 2 shown]
	s_waitcnt vmcnt(5) lgkmcnt(2)
	v_mul_f64 v[230:231], v[196:197], v[126:127]
	v_add_f64 v[236:237], v[236:237], v[248:249]
	v_fmac_f64_e32 v[230:231], v[198:199], v[124:125]
	s_waitcnt vmcnt(4) lgkmcnt(1)
	v_mul_f64 v[212:213], v[200:201], v[122:123]
	v_add_f64 v[236:237], v[236:237], v[250:251]
	v_add_f64 v[228:229], v[228:229], v[230:231]
	v_fmac_f64_e32 v[212:213], v[202:203], v[120:121]
	v_mul_f64 v[210:211], v[226:227], v[210:211]
	v_add_f64 v[248:249], v[236:237], v[252:253]
	scratch_load_dwordx4 v[236:239], off, off offset:208
	s_waitcnt vmcnt(4) lgkmcnt(0)
	v_mul_f64 v[214:215], v[204:205], v[130:131]
	v_fma_f64 v[244:245], v[224:225], v[208:209], -v[210:211]
	ds_read_b128 v[208:211], v2 offset:1552
	v_add_f64 v[212:213], v[228:229], v[212:213]
	v_fmac_f64_e32 v[214:215], v[206:207], v[128:129]
	v_add_f64 v[224:225], v[212:213], v[214:215]
	ds_read_b128 v[212:215], v2 offset:1568
	v_mul_f64 v[218:219], v[222:223], v[218:219]
	v_fma_f64 v[246:247], v[220:221], v[216:217], -v[218:219]
	ds_read_b128 v[216:219], v2 offset:1584
	s_waitcnt vmcnt(3) lgkmcnt(2)
	v_mul_f64 v[220:221], v[208:209], v[134:135]
	v_fmac_f64_e32 v[220:221], v[210:211], v[132:133]
	s_waitcnt vmcnt(2) lgkmcnt(1)
	v_mul_f64 v[222:223], v[212:213], v[138:139]
	v_add_f64 v[220:221], v[224:225], v[220:221]
	v_fmac_f64_e32 v[222:223], v[214:215], v[136:137]
	v_add_f64 v[220:221], v[220:221], v[222:223]
	ds_read_b128 v[224:227], v2 offset:1600
	scratch_load_dwordx4 v[232:235], off, off offset:816
	s_waitcnt vmcnt(2) lgkmcnt(1)
	v_mul_f64 v[222:223], v[216:217], v[142:143]
	v_fmac_f64_e32 v[222:223], v[218:219], v[140:141]
	v_add_f64 v[228:229], v[220:221], v[222:223]
	scratch_load_dwordx4 v[220:223], off, off offset:800
	v_add_f64 v[240:241], v[248:249], v[244:245]
	v_mul_f64 v[6:7], v[46:47], v[6:7]
	v_add_f64 v[240:241], v[240:241], v[246:247]
	v_fma_f64 v[4:5], v[44:45], v[4:5], -v[6:7]
	v_mul_f64 v[6:7], v[66:67], v[10:11]
	v_add_f64 v[4:5], v[240:241], v[4:5]
	v_fma_f64 v[6:7], v[64:65], v[8:9], -v[6:7]
	v_add_f64 v[4:5], v[4:5], v[6:7]
	v_mul_f64 v[6:7], v[62:63], v[14:15]
	v_fma_f64 v[6:7], v[60:61], v[12:13], -v[6:7]
	v_add_f64 v[4:5], v[4:5], v[6:7]
	v_mul_f64 v[6:7], v[58:59], v[18:19]
	;; [unrolled: 3-line block ×24, first 2 shown]
	v_fma_f64 v[6:7], v[212:213], v[136:137], -v[6:7]
	s_waitcnt vmcnt(0) lgkmcnt(0)
	v_mul_f64 v[230:231], v[224:225], v[222:223]
	v_fmac_f64_e32 v[230:231], v[226:227], v[220:221]
	v_add_f64 v[254:255], v[228:229], v[230:231]
	ds_read_b128 v[228:231], v2 offset:1616
	v_add_f64 v[4:5], v[4:5], v[6:7]
	v_mul_f64 v[6:7], v[218:219], v[142:143]
	v_fma_f64 v[6:7], v[216:217], v[140:141], -v[6:7]
	v_add_f64 v[4:5], v[4:5], v[6:7]
	v_mul_f64 v[6:7], v[226:227], v[222:223]
	v_fma_f64 v[6:7], v[224:225], v[220:221], -v[6:7]
	s_waitcnt lgkmcnt(0)
	v_mul_f64 v[2:3], v[228:229], v[234:235]
	v_add_f64 v[4:5], v[4:5], v[6:7]
	v_mul_f64 v[6:7], v[230:231], v[234:235]
	v_fmac_f64_e32 v[2:3], v[230:231], v[232:233]
	v_fma_f64 v[6:7], v[228:229], v[232:233], -v[6:7]
	v_add_f64 v[2:3], v[254:255], v[2:3]
	v_add_f64 v[4:5], v[4:5], v[6:7]
	v_add_f64 v[4:5], v[236:237], -v[4:5]
	v_add_f64 v[6:7], v[238:239], -v[2:3]
	scratch_store_dwordx4 off, v[4:7], off offset:208
	s_and_saveexec_b64 s[0:1], vcc
	s_cbranch_execz .LBB114_297
; %bb.296:
	scratch_load_dwordx4 v[2:5], off, s56
	v_mov_b32_e32 v6, 0
	v_mov_b32_e32 v7, v6
	;; [unrolled: 1-line block ×4, first 2 shown]
	v_accvgpr_read_b32 v0, a103
	scratch_store_dwordx4 off, v[6:9], off offset:192
	s_waitcnt vmcnt(1)
	ds_write_b128 v0, v[2:5]
.LBB114_297:
	s_or_b64 exec, exec, s[0:1]
	s_waitcnt lgkmcnt(0)
	; wave barrier
	scratch_load_dwordx4 v[80:83], off, off offset:208
	scratch_load_dwordx4 v[84:87], off, off offset:224
	scratch_load_dwordx4 v[88:91], off, off offset:240
	scratch_load_dwordx4 v[92:95], off, off offset:256
	scratch_load_dwordx4 v[96:99], off, off offset:272
	scratch_load_dwordx4 v[100:103], off, off offset:288
	scratch_load_dwordx4 v[104:107], off, off offset:304
	scratch_load_dwordx4 v[108:111], off, off offset:320
	scratch_load_dwordx4 v[112:115], off, off offset:336
	scratch_load_dwordx4 v[116:119], off, off offset:352
	scratch_load_dwordx4 v[120:123], off, off offset:368
	scratch_load_dwordx4 v[234:237], off, off offset:384
	scratch_load_dwordx4 v[8:11], off, off offset:400
	scratch_load_dwordx4 v[12:15], off, off offset:416
	scratch_load_dwordx4 v[16:19], off, off offset:432
	scratch_load_dwordx4 v[20:23], off, off offset:448
	scratch_load_dwordx4 v[24:27], off, off offset:464
	scratch_load_dwordx4 v[28:31], off, off offset:480
	scratch_load_dwordx4 v[32:35], off, off offset:496
	scratch_load_dwordx4 v[36:39], off, off offset:512
	scratch_load_dwordx4 v[40:43], off, off offset:528
	scratch_load_dwordx4 v[44:47], off, off offset:544
	scratch_load_dwordx4 v[48:51], off, off offset:560
	scratch_load_dwordx4 v[52:55], off, off offset:576
	scratch_load_dwordx4 v[56:59], off, off offset:592
	scratch_load_dwordx4 v[60:63], off, off offset:608
	scratch_load_dwordx4 v[64:67], off, off offset:624
	scratch_load_dwordx4 v[68:71], off, off offset:640
	scratch_load_dwordx4 v[72:75], off, off offset:656
	scratch_load_dwordx4 v[76:79], off, off offset:672
	scratch_load_dwordx4 v[124:127], off, off offset:688
	v_mov_b32_e32 v2, 0
	ds_read_b128 v[196:199], v2 offset:1008
	ds_read_b128 v[200:203], v2 offset:1024
	;; [unrolled: 1-line block ×20, first 2 shown]
	s_waitcnt vmcnt(30) lgkmcnt(14)
	v_mul_f64 v[140:141], v[196:197], v[82:83]
	s_waitcnt vmcnt(29)
	v_mul_f64 v[142:143], v[200:201], v[86:87]
	v_fmac_f64_e32 v[140:141], v[198:199], v[80:81]
	s_waitcnt vmcnt(28)
	v_mul_f64 v[152:153], v[204:205], v[90:91]
	v_fmac_f64_e32 v[142:143], v[202:203], v[84:85]
	v_add_f64 v[140:141], v[140:141], 0
	s_waitcnt vmcnt(27)
	v_mul_f64 v[154:155], v[208:209], v[94:95]
	v_fmac_f64_e32 v[152:153], v[206:207], v[88:89]
	v_add_f64 v[140:141], v[140:141], v[142:143]
	;; [unrolled: 4-line block ×4, first 2 shown]
	s_waitcnt vmcnt(24) lgkmcnt(13)
	v_mul_f64 v[164:165], v[220:221], v[106:107]
	v_fmac_f64_e32 v[162:163], v[218:219], v[100:101]
	v_add_f64 v[140:141], v[140:141], v[160:161]
	s_waitcnt vmcnt(23) lgkmcnt(12)
	v_mul_f64 v[166:167], v[224:225], v[110:111]
	v_fmac_f64_e32 v[164:165], v[222:223], v[104:105]
	v_add_f64 v[140:141], v[140:141], v[162:163]
	;; [unrolled: 4-line block ×8, first 2 shown]
	v_fmac_f64_e32 v[178:179], v[146:147], v[12:13]
	v_add_f64 v[140:141], v[140:141], v[176:177]
	v_add_f64 v[140:141], v[140:141], v[178:179]
	ds_read_b128 v[176:179], v2 offset:1280
	s_waitcnt vmcnt(16) lgkmcnt(6)
	v_mul_f64 v[180:181], v[136:137], v[18:19]
	s_waitcnt vmcnt(15) lgkmcnt(5)
	v_mul_f64 v[182:183], v[132:133], v[22:23]
	v_fmac_f64_e32 v[180:181], v[138:139], v[16:17]
	v_add_f64 v[152:153], v[140:141], v[180:181]
	v_fmac_f64_e32 v[182:183], v[134:135], v[20:21]
	scratch_load_dwordx4 v[140:143], off, off offset:704
	s_waitcnt vmcnt(15) lgkmcnt(4)
	v_mul_f64 v[154:155], v[128:129], v[26:27]
	v_add_f64 v[152:153], v[152:153], v[182:183]
	v_fmac_f64_e32 v[154:155], v[130:131], v[24:25]
	v_add_f64 v[160:161], v[152:153], v[154:155]
	ds_read_b128 v[180:183], v2 offset:1296
	s_waitcnt vmcnt(14) lgkmcnt(1)
	v_mul_f64 v[162:163], v[176:177], v[30:31]
	scratch_load_dwordx4 v[152:155], off, off offset:720
	v_fmac_f64_e32 v[162:163], v[178:179], v[28:29]
	v_add_f64 v[164:165], v[160:161], v[162:163]
	scratch_load_dwordx4 v[160:163], off, off offset:736
	s_waitcnt vmcnt(15) lgkmcnt(0)
	v_mul_f64 v[166:167], v[180:181], v[34:35]
	v_fmac_f64_e32 v[166:167], v[182:183], v[32:33]
	v_add_f64 v[168:169], v[164:165], v[166:167]
	s_waitcnt vmcnt(14)
	v_mul_f64 v[170:171], v[184:185], v[38:39]
	scratch_load_dwordx4 v[164:167], off, off offset:752
	v_fmac_f64_e32 v[170:171], v[186:187], v[36:37]
	v_add_f64 v[168:169], v[168:169], v[170:171]
	s_waitcnt vmcnt(14)
	v_mul_f64 v[170:171], v[188:189], v[42:43]
	scratch_load_dwordx4 v[172:175], off, off offset:768
	v_fmac_f64_e32 v[170:171], v[190:191], v[40:41]
	v_add_f64 v[232:233], v[168:169], v[170:171]
	scratch_load_dwordx4 v[168:171], off, off offset:784
	v_mul_f64 v[82:83], v[198:199], v[82:83]
	v_fma_f64 v[240:241], v[196:197], v[80:81], -v[82:83]
	ds_read_b128 v[196:199], v2 offset:1360
	s_waitcnt vmcnt(15)
	v_mul_f64 v[80:81], v[192:193], v[46:47]
	v_fmac_f64_e32 v[80:81], v[194:195], v[44:45]
	v_add_f64 v[232:233], v[232:233], v[80:81]
	v_mul_f64 v[80:81], v[202:203], v[86:87]
	v_fma_f64 v[242:243], v[200:201], v[84:85], -v[80:81]
	scratch_load_dwordx4 v[80:83], off, off offset:800
	ds_read_b128 v[84:87], v2 offset:1376
	v_mul_f64 v[90:91], v[206:207], v[90:91]
	v_fma_f64 v[252:253], v[204:205], v[88:89], -v[90:91]
	ds_read_b128 v[88:91], v2 offset:1392
	s_waitcnt vmcnt(15) lgkmcnt(2)
	v_mul_f64 v[200:201], v[196:197], v[50:51]
	v_fmac_f64_e32 v[200:201], v[198:199], v[48:49]
	s_waitcnt vmcnt(14) lgkmcnt(1)
	v_mul_f64 v[202:203], v[84:85], v[54:55]
	v_add_f64 v[200:201], v[232:233], v[200:201]
	v_fmac_f64_e32 v[202:203], v[86:87], v[52:53]
	v_mul_f64 v[94:95], v[210:211], v[94:95]
	v_fma_f64 v[254:255], v[208:209], v[92:93], -v[94:95]
	ds_read_b128 v[92:95], v2 offset:1408
	v_add_f64 v[200:201], v[200:201], v[202:203]
	s_waitcnt vmcnt(13) lgkmcnt(1)
	v_mul_f64 v[202:203], v[88:89], v[58:59]
	v_fmac_f64_e32 v[202:203], v[90:91], v[56:57]
	v_add_f64 v[204:205], v[200:201], v[202:203]
	ds_read_b128 v[200:203], v2 offset:1424
	v_mul_f64 v[98:99], v[214:215], v[98:99]
	v_fma_f64 v[232:233], v[212:213], v[96:97], -v[98:99]
	ds_read_b128 v[96:99], v2 offset:1440
	s_waitcnt vmcnt(12) lgkmcnt(2)
	v_mul_f64 v[206:207], v[92:93], v[62:63]
	v_fmac_f64_e32 v[206:207], v[94:95], v[60:61]
	v_add_f64 v[204:205], v[204:205], v[206:207]
	s_waitcnt vmcnt(11) lgkmcnt(1)
	v_mul_f64 v[206:207], v[200:201], v[66:67]
	v_fmac_f64_e32 v[206:207], v[202:203], v[64:65]
	v_mul_f64 v[102:103], v[218:219], v[102:103]
	v_add_f64 v[204:205], v[204:205], v[206:207]
	v_fma_f64 v[4:5], v[216:217], v[100:101], -v[102:103]
	ds_read_b128 v[100:103], v2 offset:1456
	s_waitcnt vmcnt(10) lgkmcnt(1)
	v_mul_f64 v[206:207], v[96:97], v[70:71]
	v_fmac_f64_e32 v[206:207], v[98:99], v[68:69]
	v_add_f64 v[208:209], v[204:205], v[206:207]
	ds_read_b128 v[204:207], v2 offset:1472
	v_mul_f64 v[106:107], v[222:223], v[106:107]
	v_fma_f64 v[0:1], v[220:221], v[104:105], -v[106:107]
	ds_read_b128 v[104:107], v2 offset:1488
	s_waitcnt vmcnt(9) lgkmcnt(2)
	v_mul_f64 v[210:211], v[100:101], v[74:75]
	v_fmac_f64_e32 v[210:211], v[102:103], v[72:73]
	v_add_f64 v[208:209], v[208:209], v[210:211]
	s_waitcnt vmcnt(8) lgkmcnt(1)
	v_mul_f64 v[210:211], v[204:205], v[78:79]
	v_fmac_f64_e32 v[210:211], v[206:207], v[76:77]
	v_mul_f64 v[6:7], v[226:227], v[110:111]
	v_fma_f64 v[6:7], v[224:225], v[108:109], -v[6:7]
	ds_read_b128 v[108:111], v2 offset:1504
	v_add_f64 v[208:209], v[208:209], v[210:211]
	s_waitcnt vmcnt(7) lgkmcnt(1)
	v_mul_f64 v[210:211], v[104:105], v[126:127]
	v_fmac_f64_e32 v[210:211], v[106:107], v[124:125]
	v_mul_f64 v[114:115], v[230:231], v[114:115]
	v_add_f64 v[212:213], v[208:209], v[210:211]
	ds_read_b128 v[208:211], v2 offset:1520
	v_fma_f64 v[112:113], v[228:229], v[112:113], -v[114:115]
	v_accvgpr_write_b32 a104, v112
	v_accvgpr_write_b32 a105, v113
	ds_read_b128 v[112:115], v2 offset:1536
	s_waitcnt vmcnt(6) lgkmcnt(2)
	v_mul_f64 v[214:215], v[108:109], v[142:143]
	v_fmac_f64_e32 v[214:215], v[110:111], v[140:141]
	v_add_f64 v[212:213], v[212:213], v[214:215]
	s_waitcnt vmcnt(5) lgkmcnt(1)
	v_mul_f64 v[214:215], v[208:209], v[154:155]
	v_fmac_f64_e32 v[214:215], v[210:211], v[152:153]
	v_mul_f64 v[118:119], v[246:247], v[118:119]
	v_add_f64 v[212:213], v[212:213], v[214:215]
	v_fma_f64 v[238:239], v[244:245], v[116:117], -v[118:119]
	ds_read_b128 v[116:119], v2 offset:1552
	s_waitcnt vmcnt(4) lgkmcnt(1)
	v_mul_f64 v[214:215], v[112:113], v[162:163]
	v_fmac_f64_e32 v[214:215], v[114:115], v[160:161]
	v_add_f64 v[216:217], v[212:213], v[214:215]
	ds_read_b128 v[212:215], v2 offset:1568
	v_mul_f64 v[122:123], v[250:251], v[122:123]
	v_fma_f64 v[244:245], v[248:249], v[120:121], -v[122:123]
	ds_read_b128 v[120:123], v2 offset:1584
	s_waitcnt vmcnt(3) lgkmcnt(2)
	v_mul_f64 v[218:219], v[116:117], v[166:167]
	v_fmac_f64_e32 v[218:219], v[118:119], v[164:165]
	v_add_f64 v[216:217], v[216:217], v[218:219]
	s_waitcnt vmcnt(2) lgkmcnt(1)
	v_mul_f64 v[218:219], v[212:213], v[174:175]
	v_fmac_f64_e32 v[218:219], v[214:215], v[172:173]
	v_add_f64 v[216:217], v[216:217], v[218:219]
	;; [unrolled: 4-line block ×3, first 2 shown]
	ds_read_b128 v[216:219], v2 offset:1600
	ds_read_b128 v[224:227], v2 offset:1616
	s_waitcnt vmcnt(0) lgkmcnt(1)
	v_mul_f64 v[222:223], v[216:217], v[82:83]
	v_fmac_f64_e32 v[222:223], v[218:219], v[80:81]
	v_add_f64 v[228:229], v[220:221], v[222:223]
	scratch_load_dwordx4 v[220:223], off, off offset:816
	s_waitcnt vmcnt(0) lgkmcnt(0)
	v_mul_f64 v[230:231], v[224:225], v[222:223]
	v_fmac_f64_e32 v[230:231], v[226:227], v[220:221]
	v_add_f64 v[248:249], v[228:229], v[230:231]
	v_add_f64 v[228:229], v[240:241], 0
	;; [unrolled: 1-line block ×7, first 2 shown]
	scratch_load_dwordx4 v[228:231], off, off offset:192
	v_add_f64 v[246:247], v[4:5], v[0:1]
	v_accvgpr_read_b32 v4, a104
	v_add_f64 v[0:1], v[246:247], v[6:7]
	v_accvgpr_read_b32 v5, a105
	v_add_f64 v[0:1], v[0:1], v[4:5]
	v_add_f64 v[0:1], v[0:1], v[238:239]
	v_mul_f64 v[4:5], v[158:159], v[236:237]
	v_add_f64 v[0:1], v[0:1], v[244:245]
	v_fma_f64 v[4:5], v[156:157], v[234:235], -v[4:5]
	v_add_f64 v[0:1], v[0:1], v[4:5]
	v_mul_f64 v[4:5], v[150:151], v[10:11]
	v_fma_f64 v[4:5], v[148:149], v[8:9], -v[4:5]
	v_add_f64 v[0:1], v[0:1], v[4:5]
	v_mul_f64 v[4:5], v[146:147], v[14:15]
	;; [unrolled: 3-line block ×27, first 2 shown]
	v_fma_f64 v[4:5], v[224:225], v[220:221], -v[4:5]
	v_add_f64 v[0:1], v[0:1], v[4:5]
	s_waitcnt vmcnt(0)
	v_add_f64 v[4:5], v[228:229], -v[0:1]
	v_accvgpr_read_b32 v0, a102
	v_add_f64 v[6:7], v[230:231], -v[248:249]
	v_cmp_lt_u32_e32 vcc, 10, v0
	scratch_store_dwordx4 off, v[4:7], off offset:192
	s_and_saveexec_b64 s[0:1], vcc
	s_cbranch_execz .LBB114_299
; %bb.298:
	scratch_load_dwordx4 v[6:9], off, s57
	v_mov_b32_e32 v3, v2
	v_mov_b32_e32 v4, v2
	;; [unrolled: 1-line block ×3, first 2 shown]
	v_accvgpr_read_b32 v0, a103
	scratch_store_dwordx4 off, v[2:5], off offset:176
	s_waitcnt vmcnt(1)
	ds_write_b128 v0, v[6:9]
.LBB114_299:
	s_or_b64 exec, exec, s[0:1]
	s_waitcnt lgkmcnt(0)
	; wave barrier
	scratch_load_dwordx4 v[132:135], off, off offset:192
	scratch_load_dwordx4 v[160:163], off, off offset:208
	;; [unrolled: 1-line block ×16, first 2 shown]
	ds_read_b128 v[156:159], v2 offset:992
	ds_read_b128 v[172:175], v2 offset:1008
	scratch_load_dwordx4 v[24:27], off, off offset:448
	ds_read_b128 v[232:235], v2 offset:1024
	ds_read_b128 v[228:231], v2 offset:1040
	scratch_load_dwordx4 v[28:31], off, off offset:464
	ds_read_b128 v[236:239], v2 offset:1056
	ds_read_b128 v[184:187], v2 offset:1072
	;; [unrolled: 1-line block ×5, first 2 shown]
	scratch_load_dwordx4 v[32:35], off, off offset:480
	ds_read_b128 v[220:223], v2 offset:1136
	ds_read_b128 v[216:219], v2 offset:1152
	;; [unrolled: 1-line block ×3, first 2 shown]
	scratch_load_dwordx4 v[36:39], off, off offset:496
	ds_read_b128 v[64:67], v2 offset:1184
	ds_read_b128 v[60:63], v2 offset:1200
	;; [unrolled: 1-line block ×5, first 2 shown]
	scratch_load_dwordx4 v[52:55], off, off offset:512
	scratch_load_dwordx4 v[68:71], off, off offset:528
	scratch_load_dwordx4 v[72:75], off, off offset:544
	scratch_load_dwordx4 v[76:79], off, off offset:560
	scratch_load_dwordx4 v[80:83], off, off offset:576
	scratch_load_dwordx4 v[84:87], off, off offset:592
	scratch_load_dwordx4 v[88:91], off, off offset:608
	scratch_load_dwordx4 v[92:95], off, off offset:624
	scratch_load_dwordx4 v[96:99], off, off offset:640
	scratch_load_dwordx4 v[100:103], off, off offset:656
	scratch_load_dwordx4 v[104:107], off, off offset:672
	ds_read_b128 v[144:147], v2 offset:1296
	ds_read_b128 v[148:151], v2 offset:1312
	;; [unrolled: 1-line block ×3, first 2 shown]
	s_waitcnt vmcnt(30) lgkmcnt(14)
	v_mul_f64 v[0:1], v[156:157], v[134:135]
	s_waitcnt vmcnt(29)
	v_mul_f64 v[108:109], v[172:173], v[162:163]
	v_fmac_f64_e32 v[0:1], v[158:159], v[132:133]
	s_waitcnt vmcnt(28)
	v_mul_f64 v[110:111], v[232:233], v[166:167]
	v_fmac_f64_e32 v[108:109], v[174:175], v[160:161]
	v_add_f64 v[0:1], v[0:1], 0
	s_waitcnt vmcnt(27)
	v_mul_f64 v[112:113], v[228:229], v[170:171]
	v_fmac_f64_e32 v[110:111], v[234:235], v[164:165]
	v_add_f64 v[0:1], v[0:1], v[108:109]
	;; [unrolled: 4-line block ×4, first 2 shown]
	s_waitcnt vmcnt(24) lgkmcnt(13)
	v_mul_f64 v[118:119], v[224:225], v[190:191]
	v_fmac_f64_e32 v[116:117], v[186:187], v[180:181]
	v_add_f64 v[0:1], v[0:1], v[114:115]
	s_waitcnt vmcnt(23) lgkmcnt(12)
	v_mul_f64 v[120:121], v[196:197], v[194:195]
	v_fmac_f64_e32 v[118:119], v[226:227], v[188:189]
	v_add_f64 v[0:1], v[0:1], v[116:117]
	;; [unrolled: 4-line block ×9, first 2 shown]
	v_fmac_f64_e32 v[138:139], v[58:59], v[16:17]
	v_add_f64 v[0:1], v[0:1], v[136:137]
	v_add_f64 v[0:1], v[0:1], v[138:139]
	ds_read_b128 v[136:139], v2 offset:1264
	s_waitcnt vmcnt(15) lgkmcnt(5)
	v_mul_f64 v[140:141], v[48:49], v[22:23]
	v_fmac_f64_e32 v[140:141], v[50:51], v[20:21]
	s_waitcnt vmcnt(14) lgkmcnt(4)
	v_mul_f64 v[112:113], v[44:45], v[26:27]
	scratch_load_dwordx4 v[108:111], off, off offset:688
	v_add_f64 v[0:1], v[0:1], v[140:141]
	v_fmac_f64_e32 v[112:113], v[46:47], v[24:25]
	v_add_f64 v[0:1], v[0:1], v[112:113]
	scratch_load_dwordx4 v[112:115], off, off offset:704
	ds_read_b128 v[140:143], v2 offset:1280
	s_waitcnt vmcnt(15) lgkmcnt(1)
	v_mul_f64 v[116:117], v[136:137], v[30:31]
	v_fmac_f64_e32 v[116:117], v[138:139], v[28:29]
	v_add_f64 v[0:1], v[0:1], v[116:117]
	scratch_load_dwordx4 v[116:119], off, off offset:720
	s_waitcnt vmcnt(15) lgkmcnt(0)
	v_mul_f64 v[120:121], v[140:141], v[34:35]
	v_fmac_f64_e32 v[120:121], v[142:143], v[32:33]
	s_waitcnt vmcnt(14)
	v_mul_f64 v[124:125], v[144:145], v[38:39]
	v_add_f64 v[0:1], v[0:1], v[120:121]
	scratch_load_dwordx4 v[120:123], off, off offset:736
	v_fmac_f64_e32 v[124:125], v[146:147], v[36:37]
	v_add_f64 v[0:1], v[0:1], v[124:125]
	s_waitcnt vmcnt(14)
	v_mul_f64 v[124:125], v[148:149], v[54:55]
	scratch_load_dwordx4 v[128:131], off, off offset:752
	v_fmac_f64_e32 v[124:125], v[150:151], v[52:53]
	v_add_f64 v[0:1], v[0:1], v[124:125]
	scratch_load_dwordx4 v[124:127], off, off offset:768
	v_mul_f64 v[134:135], v[158:159], v[134:135]
	v_fma_f64 v[240:241], v[156:157], v[132:133], -v[134:135]
	ds_read_b128 v[156:159], v2 offset:1344
	s_waitcnt vmcnt(15)
	v_mul_f64 v[132:133], v[152:153], v[70:71]
	v_fmac_f64_e32 v[132:133], v[154:155], v[68:69]
	v_add_f64 v[0:1], v[0:1], v[132:133]
	v_mul_f64 v[132:133], v[174:175], v[162:163]
	v_fma_f64 v[242:243], v[172:173], v[160:161], -v[132:133]
	scratch_load_dwordx4 v[132:135], off, off offset:784
	ds_read_b128 v[160:163], v2 offset:1360
	v_mul_f64 v[166:167], v[234:235], v[166:167]
	v_fma_f64 v[248:249], v[232:233], v[164:165], -v[166:167]
	ds_read_b128 v[164:167], v2 offset:1376
	s_waitcnt vmcnt(15) lgkmcnt(2)
	v_mul_f64 v[172:173], v[156:157], v[74:75]
	v_fmac_f64_e32 v[172:173], v[158:159], v[72:73]
	v_add_f64 v[0:1], v[0:1], v[172:173]
	s_waitcnt vmcnt(14) lgkmcnt(1)
	v_mul_f64 v[172:173], v[160:161], v[78:79]
	v_fmac_f64_e32 v[172:173], v[162:163], v[76:77]
	v_mul_f64 v[170:171], v[230:231], v[170:171]
	v_fma_f64 v[250:251], v[228:229], v[168:169], -v[170:171]
	ds_read_b128 v[168:171], v2 offset:1392
	v_add_f64 v[0:1], v[0:1], v[172:173]
	s_waitcnt vmcnt(13) lgkmcnt(1)
	v_mul_f64 v[172:173], v[164:165], v[82:83]
	v_fmac_f64_e32 v[172:173], v[166:167], v[80:81]
	v_add_f64 v[0:1], v[0:1], v[172:173]
	ds_read_b128 v[172:175], v2 offset:1408
	v_mul_f64 v[178:179], v[238:239], v[178:179]
	v_fma_f64 v[236:237], v[236:237], v[176:177], -v[178:179]
	ds_read_b128 v[176:179], v2 offset:1424
	s_waitcnt vmcnt(12) lgkmcnt(2)
	v_mul_f64 v[228:229], v[168:169], v[86:87]
	v_fmac_f64_e32 v[228:229], v[170:171], v[84:85]
	v_add_f64 v[0:1], v[0:1], v[228:229]
	s_waitcnt vmcnt(11) lgkmcnt(1)
	v_mul_f64 v[228:229], v[172:173], v[90:91]
	v_mul_f64 v[182:183], v[186:187], v[182:183]
	v_fmac_f64_e32 v[228:229], v[174:175], v[88:89]
	v_fma_f64 v[238:239], v[184:185], v[180:181], -v[182:183]
	ds_read_b128 v[180:183], v2 offset:1440
	s_waitcnt vmcnt(10) lgkmcnt(1)
	v_mul_f64 v[184:185], v[176:177], v[94:95]
	v_add_f64 v[0:1], v[0:1], v[228:229]
	v_fmac_f64_e32 v[184:185], v[178:179], v[92:93]
	v_add_f64 v[0:1], v[0:1], v[184:185]
	ds_read_b128 v[184:187], v2 offset:1456
	v_mul_f64 v[190:191], v[226:227], v[190:191]
	v_fma_f64 v[252:253], v[224:225], v[188:189], -v[190:191]
	ds_read_b128 v[188:191], v2 offset:1472
	s_waitcnt vmcnt(9) lgkmcnt(2)
	v_mul_f64 v[228:229], v[180:181], v[98:99]
	v_fmac_f64_e32 v[228:229], v[182:183], v[96:97]
	s_waitcnt vmcnt(8) lgkmcnt(1)
	v_mul_f64 v[224:225], v[184:185], v[102:103]
	v_mul_f64 v[194:195], v[198:199], v[194:195]
	v_add_f64 v[0:1], v[0:1], v[228:229]
	v_fmac_f64_e32 v[224:225], v[186:187], v[100:101]
	v_fma_f64 v[254:255], v[196:197], v[192:193], -v[194:195]
	s_waitcnt vmcnt(7) lgkmcnt(0)
	v_mul_f64 v[196:197], v[188:189], v[106:107]
	ds_read_b128 v[192:195], v2 offset:1488
	v_add_f64 v[0:1], v[0:1], v[224:225]
	v_fmac_f64_e32 v[196:197], v[190:191], v[104:105]
	v_add_f64 v[0:1], v[0:1], v[196:197]
	ds_read_b128 v[196:199], v2 offset:1504
	v_mul_f64 v[202:203], v[210:211], v[202:203]
	v_fma_f64 v[244:245], v[208:209], v[200:201], -v[202:203]
	ds_read_b128 v[200:203], v2 offset:1520
	s_waitcnt vmcnt(6) lgkmcnt(2)
	v_mul_f64 v[224:225], v[192:193], v[110:111]
	v_fmac_f64_e32 v[224:225], v[194:195], v[108:109]
	s_waitcnt vmcnt(5) lgkmcnt(1)
	v_mul_f64 v[208:209], v[196:197], v[114:115]
	v_add_f64 v[0:1], v[0:1], v[224:225]
	v_fmac_f64_e32 v[208:209], v[198:199], v[112:113]
	v_add_f64 v[208:209], v[0:1], v[208:209]
	v_mul_f64 v[0:1], v[222:223], v[206:207]
	v_fma_f64 v[0:1], v[220:221], v[204:205], -v[0:1]
	ds_read_b128 v[204:207], v2 offset:1536
	s_waitcnt vmcnt(4) lgkmcnt(1)
	v_mul_f64 v[210:211], v[200:201], v[118:119]
	v_fmac_f64_e32 v[210:211], v[202:203], v[116:117]
	v_add_f64 v[220:221], v[208:209], v[210:211]
	ds_read_b128 v[208:211], v2 offset:1552
	v_mul_f64 v[214:215], v[218:219], v[214:215]
	v_fma_f64 v[246:247], v[216:217], v[212:213], -v[214:215]
	ds_read_b128 v[212:215], v2 offset:1568
	s_waitcnt vmcnt(3) lgkmcnt(2)
	v_mul_f64 v[216:217], v[204:205], v[122:123]
	v_fmac_f64_e32 v[216:217], v[206:207], v[120:121]
	s_waitcnt vmcnt(2) lgkmcnt(1)
	v_mul_f64 v[218:219], v[208:209], v[130:131]
	v_add_f64 v[216:217], v[220:221], v[216:217]
	v_fmac_f64_e32 v[218:219], v[210:211], v[128:129]
	v_add_f64 v[216:217], v[216:217], v[218:219]
	s_waitcnt vmcnt(1) lgkmcnt(0)
	v_mul_f64 v[218:219], v[212:213], v[126:127]
	v_fmac_f64_e32 v[218:219], v[214:215], v[124:125]
	v_add_f64 v[220:221], v[216:217], v[218:219]
	ds_read_b128 v[216:219], v2 offset:1584
	ds_read_b128 v[224:227], v2 offset:1600
	scratch_load_dwordx4 v[232:235], off, off offset:816
	v_accvgpr_write_b32 a105, v1
	v_accvgpr_write_b32 a104, v0
	s_waitcnt vmcnt(1) lgkmcnt(1)
	v_mul_f64 v[222:223], v[216:217], v[134:135]
	v_fmac_f64_e32 v[222:223], v[218:219], v[132:133]
	v_add_f64 v[228:229], v[220:221], v[222:223]
	scratch_load_dwordx4 v[220:223], off, off offset:800
	v_mul_f64 v[6:7], v[42:43], v[6:7]
	v_fma_f64 v[4:5], v[40:41], v[4:5], -v[6:7]
	s_waitcnt vmcnt(0) lgkmcnt(0)
	v_mul_f64 v[230:231], v[224:225], v[222:223]
	v_fmac_f64_e32 v[230:231], v[226:227], v[220:221]
	v_add_f64 v[0:1], v[228:229], v[230:231]
	ds_read_b128 v[228:231], v2 offset:1616
	s_waitcnt lgkmcnt(0)
	v_mul_f64 v[2:3], v[228:229], v[234:235]
	v_fmac_f64_e32 v[2:3], v[230:231], v[232:233]
	v_add_f64 v[2:3], v[0:1], v[2:3]
	v_add_f64 v[0:1], v[240:241], 0
	;; [unrolled: 1-line block ×7, first 2 shown]
	scratch_load_dwordx4 v[236:239], off, off offset:176
	v_add_f64 v[0:1], v[0:1], v[252:253]
	v_add_f64 v[0:1], v[0:1], v[254:255]
	;; [unrolled: 1-line block ×3, first 2 shown]
	v_accvgpr_read_b32 v0, a104
	v_accvgpr_read_b32 v1, a105
	v_add_f64 v[0:1], v[248:249], v[0:1]
	v_add_f64 v[0:1], v[0:1], v[246:247]
	;; [unrolled: 1-line block ×3, first 2 shown]
	v_mul_f64 v[4:5], v[66:67], v[10:11]
	v_fma_f64 v[4:5], v[64:65], v[8:9], -v[4:5]
	v_add_f64 v[0:1], v[0:1], v[4:5]
	v_mul_f64 v[4:5], v[62:63], v[14:15]
	v_fma_f64 v[4:5], v[60:61], v[12:13], -v[4:5]
	v_add_f64 v[0:1], v[0:1], v[4:5]
	;; [unrolled: 3-line block ×28, first 2 shown]
	s_waitcnt vmcnt(0)
	v_add_f64 v[4:5], v[236:237], -v[0:1]
	v_accvgpr_read_b32 v0, a102
	v_add_f64 v[6:7], v[238:239], -v[2:3]
	v_cmp_lt_u32_e32 vcc, 9, v0
	scratch_store_dwordx4 off, v[4:7], off offset:176
	s_and_saveexec_b64 s[0:1], vcc
	s_cbranch_execz .LBB114_301
; %bb.300:
	scratch_load_dwordx4 v[2:5], off, s58
	v_mov_b32_e32 v6, 0
	v_mov_b32_e32 v7, v6
	;; [unrolled: 1-line block ×4, first 2 shown]
	v_accvgpr_read_b32 v0, a103
	scratch_store_dwordx4 off, v[6:9], off offset:160
	s_waitcnt vmcnt(1)
	ds_write_b128 v0, v[2:5]
.LBB114_301:
	s_or_b64 exec, exec, s[0:1]
	s_waitcnt lgkmcnt(0)
	; wave barrier
	scratch_load_dwordx4 v[112:115], off, off offset:176
	scratch_load_dwordx4 v[116:119], off, off offset:192
	scratch_load_dwordx4 v[120:123], off, off offset:208
	scratch_load_dwordx4 v[152:155], off, off offset:224
	scratch_load_dwordx4 v[160:163], off, off offset:240
	scratch_load_dwordx4 v[164:167], off, off offset:256
	scratch_load_dwordx4 v[172:175], off, off offset:272
	scratch_load_dwordx4 v[176:179], off, off offset:288
	scratch_load_dwordx4 v[184:187], off, off offset:304
	scratch_load_dwordx4 v[188:191], off, off offset:320
	scratch_load_dwordx4 v[196:199], off, off offset:336
	scratch_load_dwordx4 v[200:203], off, off offset:352
	scratch_load_dwordx4 v[208:211], off, off offset:368
	scratch_load_dwordx4 v[4:7], off, off offset:384
	scratch_load_dwordx4 v[8:11], off, off offset:400
	scratch_load_dwordx4 v[234:237], off, off offset:416
	scratch_load_dwordx4 v[16:19], off, off offset:432
	scratch_load_dwordx4 v[20:23], off, off offset:448
	scratch_load_dwordx4 v[24:27], off, off offset:464
	scratch_load_dwordx4 v[28:31], off, off offset:480
	scratch_load_dwordx4 v[32:35], off, off offset:496
	scratch_load_dwordx4 v[36:39], off, off offset:512
	scratch_load_dwordx4 v[40:43], off, off offset:528
	scratch_load_dwordx4 v[44:47], off, off offset:544
	scratch_load_dwordx4 v[48:51], off, off offset:560
	scratch_load_dwordx4 v[52:55], off, off offset:576
	scratch_load_dwordx4 v[56:59], off, off offset:592
	scratch_load_dwordx4 v[60:63], off, off offset:608
	scratch_load_dwordx4 v[64:67], off, off offset:624
	scratch_load_dwordx4 v[68:71], off, off offset:640
	v_mov_b32_e32 v2, 0
	ds_read_b128 v[144:147], v2 offset:976
	ds_read_b128 v[156:159], v2 offset:992
	;; [unrolled: 1-line block ×20, first 2 shown]
	s_waitcnt vmcnt(29) lgkmcnt(14)
	v_mul_f64 v[0:1], v[144:145], v[114:115]
	s_waitcnt vmcnt(28)
	v_mul_f64 v[88:89], v[156:157], v[118:119]
	v_fmac_f64_e32 v[0:1], v[146:147], v[112:113]
	s_waitcnt vmcnt(27)
	v_mul_f64 v[90:91], v[168:169], v[122:123]
	v_fmac_f64_e32 v[88:89], v[158:159], v[116:117]
	v_add_f64 v[0:1], v[0:1], 0
	s_waitcnt vmcnt(26)
	v_mul_f64 v[92:93], v[180:181], v[154:155]
	v_fmac_f64_e32 v[90:91], v[170:171], v[120:121]
	v_add_f64 v[0:1], v[0:1], v[88:89]
	;; [unrolled: 4-line block ×4, first 2 shown]
	s_waitcnt vmcnt(23) lgkmcnt(13)
	v_mul_f64 v[98:99], v[212:213], v[174:175]
	v_fmac_f64_e32 v[96:97], v[206:207], v[164:165]
	v_add_f64 v[0:1], v[0:1], v[94:95]
	s_waitcnt vmcnt(22) lgkmcnt(12)
	v_mul_f64 v[100:101], v[216:217], v[178:179]
	v_fmac_f64_e32 v[98:99], v[214:215], v[172:173]
	v_add_f64 v[0:1], v[0:1], v[96:97]
	;; [unrolled: 4-line block ×9, first 2 shown]
	v_fmac_f64_e32 v[126:127], v[82:83], v[8:9]
	v_add_f64 v[0:1], v[0:1], v[124:125]
	scratch_load_dwordx4 v[88:91], off, off offset:656
	s_waitcnt vmcnt(15) lgkmcnt(4)
	v_mul_f64 v[128:129], v[76:77], v[236:237]
	v_add_f64 v[0:1], v[0:1], v[126:127]
	ds_read_b128 v[124:127], v2 offset:1248
	v_fmac_f64_e32 v[128:129], v[78:79], v[234:235]
	v_add_f64 v[0:1], v[0:1], v[128:129]
	ds_read_b128 v[128:131], v2 offset:1264
	s_waitcnt vmcnt(14) lgkmcnt(5)
	v_mul_f64 v[92:93], v[72:73], v[18:19]
	v_fmac_f64_e32 v[92:93], v[74:75], v[16:17]
	v_add_f64 v[0:1], v[0:1], v[92:93]
	s_waitcnt vmcnt(13) lgkmcnt(1)
	v_mul_f64 v[96:97], v[124:125], v[22:23]
	scratch_load_dwordx4 v[92:95], off, off offset:672
	v_fmac_f64_e32 v[96:97], v[126:127], v[20:21]
	v_add_f64 v[0:1], v[0:1], v[96:97]
	s_waitcnt vmcnt(13) lgkmcnt(0)
	v_mul_f64 v[100:101], v[128:129], v[26:27]
	scratch_load_dwordx4 v[96:99], off, off offset:688
	v_fmac_f64_e32 v[100:101], v[130:131], v[24:25]
	v_add_f64 v[0:1], v[0:1], v[100:101]
	scratch_load_dwordx4 v[100:103], off, off offset:704
	s_waitcnt vmcnt(14)
	v_mul_f64 v[104:105], v[132:133], v[30:31]
	v_fmac_f64_e32 v[104:105], v[134:135], v[28:29]
	v_add_f64 v[0:1], v[0:1], v[104:105]
	s_waitcnt vmcnt(13)
	v_mul_f64 v[104:105], v[136:137], v[34:35]
	v_fmac_f64_e32 v[104:105], v[138:139], v[32:33]
	v_add_f64 v[0:1], v[0:1], v[104:105]
	scratch_load_dwordx4 v[104:107], off, off offset:720
	s_waitcnt vmcnt(13)
	v_mul_f64 v[108:109], v[140:141], v[38:39]
	v_fmac_f64_e32 v[108:109], v[142:143], v[36:37]
	v_add_f64 v[0:1], v[0:1], v[108:109]
	scratch_load_dwordx4 v[108:111], off, off offset:736
	v_mul_f64 v[114:115], v[146:147], v[114:115]
	v_fma_f64 v[240:241], v[144:145], v[112:113], -v[114:115]
	v_mul_f64 v[112:113], v[158:159], v[118:119]
	ds_read_b128 v[148:151], v2 offset:1328
	ds_read_b128 v[144:147], v2 offset:1344
	v_fma_f64 v[242:243], v[156:157], v[116:117], -v[112:113]
	scratch_load_dwordx4 v[116:119], off, off offset:752
	scratch_load_dwordx4 v[112:115], off, off offset:768
	v_mul_f64 v[122:123], v[170:171], v[122:123]
	v_fma_f64 v[252:253], v[168:169], v[120:121], -v[122:123]
	scratch_load_dwordx4 v[120:123], off, off offset:784
	s_waitcnt vmcnt(16) lgkmcnt(1)
	v_mul_f64 v[156:157], v[148:149], v[42:43]
	v_fmac_f64_e32 v[156:157], v[150:151], v[40:41]
	v_mul_f64 v[154:155], v[182:183], v[154:155]
	v_add_f64 v[0:1], v[0:1], v[156:157]
	v_fma_f64 v[254:255], v[180:181], v[152:153], -v[154:155]
	ds_read_b128 v[152:155], v2 offset:1360
	s_waitcnt vmcnt(15) lgkmcnt(1)
	v_mul_f64 v[156:157], v[144:145], v[46:47]
	v_fmac_f64_e32 v[156:157], v[146:147], v[44:45]
	v_add_f64 v[0:1], v[0:1], v[156:157]
	ds_read_b128 v[156:159], v2 offset:1376
	v_mul_f64 v[162:163], v[194:195], v[162:163]
	v_fma_f64 v[232:233], v[192:193], v[160:161], -v[162:163]
	ds_read_b128 v[160:163], v2 offset:1392
	s_waitcnt vmcnt(14) lgkmcnt(2)
	v_mul_f64 v[168:169], v[152:153], v[50:51]
	v_fmac_f64_e32 v[168:169], v[154:155], v[48:49]
	v_mul_f64 v[166:167], v[206:207], v[166:167]
	v_add_f64 v[0:1], v[0:1], v[168:169]
	s_waitcnt vmcnt(13) lgkmcnt(1)
	v_mul_f64 v[168:169], v[156:157], v[54:55]
	v_fma_f64 v[12:13], v[204:205], v[164:165], -v[166:167]
	ds_read_b128 v[164:167], v2 offset:1408
	v_accvgpr_write_b32 a107, v7
	v_fmac_f64_e32 v[168:169], v[158:159], v[52:53]
	v_accvgpr_write_b32 a106, v6
	v_accvgpr_write_b32 a105, v5
	;; [unrolled: 1-line block ×3, first 2 shown]
	v_add_f64 v[0:1], v[0:1], v[168:169]
	s_waitcnt vmcnt(12) lgkmcnt(1)
	v_mul_f64 v[6:7], v[160:161], v[58:59]
	ds_read_b128 v[168:171], v2 offset:1424
	v_fmac_f64_e32 v[6:7], v[162:163], v[56:57]
	v_accvgpr_write_b32 a111, v11
	v_add_f64 v[0:1], v[0:1], v[6:7]
	v_mul_f64 v[6:7], v[214:215], v[174:175]
	v_accvgpr_write_b32 a110, v10
	v_accvgpr_write_b32 a109, v9
	;; [unrolled: 1-line block ×3, first 2 shown]
	v_fma_f64 v[8:9], v[212:213], v[172:173], -v[6:7]
	s_waitcnt vmcnt(11) lgkmcnt(1)
	v_mul_f64 v[6:7], v[164:165], v[62:63]
	v_fmac_f64_e32 v[6:7], v[166:167], v[60:61]
	ds_read_b128 v[172:175], v2 offset:1440
	v_add_f64 v[0:1], v[0:1], v[6:7]
	s_waitcnt vmcnt(10) lgkmcnt(1)
	v_mul_f64 v[6:7], v[168:169], v[66:67]
	v_fmac_f64_e32 v[6:7], v[170:171], v[64:65]
	v_add_f64 v[0:1], v[0:1], v[6:7]
	v_mul_f64 v[6:7], v[218:219], v[178:179]
	v_fma_f64 v[10:11], v[216:217], v[176:177], -v[6:7]
	ds_read_b128 v[176:179], v2 offset:1456
	ds_read_b128 v[180:183], v2 offset:1472
	s_waitcnt vmcnt(9) lgkmcnt(2)
	v_mul_f64 v[6:7], v[172:173], v[70:71]
	v_fmac_f64_e32 v[6:7], v[174:175], v[68:69]
	v_add_f64 v[0:1], v[0:1], v[6:7]
	s_waitcnt vmcnt(8) lgkmcnt(1)
	v_mul_f64 v[6:7], v[176:177], v[90:91]
	v_fmac_f64_e32 v[6:7], v[178:179], v[88:89]
	v_add_f64 v[0:1], v[0:1], v[6:7]
	v_mul_f64 v[6:7], v[222:223], v[186:187]
	v_fma_f64 v[4:5], v[220:221], v[184:185], -v[6:7]
	ds_read_b128 v[184:187], v2 offset:1488
	v_mul_f64 v[6:7], v[226:227], v[190:191]
	v_fma_f64 v[6:7], v[224:225], v[188:189], -v[6:7]
	ds_read_b128 v[188:191], v2 offset:1504
	s_waitcnt vmcnt(7) lgkmcnt(2)
	v_mul_f64 v[14:15], v[180:181], v[94:95]
	v_fmac_f64_e32 v[14:15], v[182:183], v[92:93]
	v_add_f64 v[0:1], v[0:1], v[14:15]
	s_waitcnt vmcnt(6) lgkmcnt(1)
	v_mul_f64 v[14:15], v[184:185], v[98:99]
	v_fmac_f64_e32 v[14:15], v[186:187], v[96:97]
	v_add_f64 v[0:1], v[0:1], v[14:15]
	s_waitcnt vmcnt(5) lgkmcnt(0)
	v_mul_f64 v[14:15], v[188:189], v[102:103]
	ds_read_b128 v[192:195], v2 offset:1520
	v_fmac_f64_e32 v[14:15], v[190:191], v[100:101]
	v_add_f64 v[14:15], v[0:1], v[14:15]
	v_mul_f64 v[0:1], v[230:231], v[198:199]
	v_fma_f64 v[0:1], v[228:229], v[196:197], -v[0:1]
	ds_read_b128 v[196:199], v2 offset:1536
	v_mul_f64 v[202:203], v[246:247], v[202:203]
	s_waitcnt vmcnt(4) lgkmcnt(1)
	v_mul_f64 v[204:205], v[192:193], v[106:107]
	v_fma_f64 v[238:239], v[244:245], v[200:201], -v[202:203]
	ds_read_b128 v[200:203], v2 offset:1552
	v_fmac_f64_e32 v[204:205], v[194:195], v[104:105]
	v_add_f64 v[14:15], v[14:15], v[204:205]
	ds_read_b128 v[204:207], v2 offset:1568
	s_waitcnt vmcnt(3) lgkmcnt(2)
	v_mul_f64 v[212:213], v[196:197], v[110:111]
	v_mul_f64 v[210:211], v[250:251], v[210:211]
	v_fmac_f64_e32 v[212:213], v[198:199], v[108:109]
	v_fma_f64 v[244:245], v[248:249], v[208:209], -v[210:211]
	ds_read_b128 v[208:211], v2 offset:1584
	ds_read_b128 v[216:219], v2 offset:1600
	v_add_f64 v[14:15], v[14:15], v[212:213]
	s_waitcnt vmcnt(2) lgkmcnt(3)
	v_mul_f64 v[212:213], v[200:201], v[118:119]
	v_fmac_f64_e32 v[212:213], v[202:203], v[116:117]
	v_add_f64 v[14:15], v[14:15], v[212:213]
	s_waitcnt vmcnt(1) lgkmcnt(2)
	v_mul_f64 v[212:213], v[204:205], v[114:115]
	v_fmac_f64_e32 v[212:213], v[206:207], v[112:113]
	;; [unrolled: 4-line block ×3, first 2 shown]
	v_add_f64 v[14:15], v[14:15], v[212:213]
	scratch_load_dwordx4 v[212:215], off, off offset:800
	ds_read_b128 v[224:227], v2 offset:1616
	s_waitcnt vmcnt(0) lgkmcnt(1)
	v_mul_f64 v[220:221], v[216:217], v[214:215]
	v_fmac_f64_e32 v[220:221], v[218:219], v[212:213]
	v_add_f64 v[14:15], v[14:15], v[220:221]
	scratch_load_dwordx4 v[220:223], off, off offset:816
	s_waitcnt vmcnt(0) lgkmcnt(0)
	v_mul_f64 v[228:229], v[224:225], v[222:223]
	v_fmac_f64_e32 v[228:229], v[226:227], v[220:221]
	v_add_f64 v[248:249], v[14:15], v[228:229]
	scratch_load_dwordx4 v[228:231], off, off offset:160
	v_add_f64 v[14:15], v[240:241], 0
	v_add_f64 v[14:15], v[14:15], v[242:243]
	;; [unrolled: 1-line block ×10, first 2 shown]
	v_accvgpr_read_b32 v6, a104
	v_accvgpr_read_b32 v8, a106
	;; [unrolled: 1-line block ×3, first 2 shown]
	v_add_f64 v[0:1], v[4:5], v[0:1]
	v_accvgpr_read_b32 v7, a105
	v_mul_f64 v[4:5], v[86:87], v[8:9]
	v_add_f64 v[0:1], v[0:1], v[238:239]
	v_fma_f64 v[4:5], v[84:85], v[6:7], -v[4:5]
	v_accvgpr_read_b32 v6, a108
	v_add_f64 v[0:1], v[0:1], v[244:245]
	v_accvgpr_read_b32 v8, a110
	v_accvgpr_read_b32 v9, a111
	v_add_f64 v[0:1], v[0:1], v[4:5]
	v_accvgpr_read_b32 v7, a109
	v_mul_f64 v[4:5], v[82:83], v[8:9]
	v_fma_f64 v[4:5], v[80:81], v[6:7], -v[4:5]
	v_add_f64 v[0:1], v[0:1], v[4:5]
	v_mul_f64 v[4:5], v[78:79], v[236:237]
	v_fma_f64 v[4:5], v[76:77], v[234:235], -v[4:5]
	v_add_f64 v[0:1], v[0:1], v[4:5]
	;; [unrolled: 3-line block ×27, first 2 shown]
	s_waitcnt vmcnt(0)
	v_add_f64 v[4:5], v[228:229], -v[0:1]
	v_accvgpr_read_b32 v0, a102
	v_add_f64 v[6:7], v[230:231], -v[248:249]
	v_cmp_lt_u32_e32 vcc, 8, v0
	scratch_store_dwordx4 off, v[4:7], off offset:160
	s_and_saveexec_b64 s[0:1], vcc
	s_cbranch_execz .LBB114_303
; %bb.302:
	scratch_load_dwordx4 v[6:9], off, s59
	v_mov_b32_e32 v3, v2
	v_mov_b32_e32 v4, v2
	;; [unrolled: 1-line block ×3, first 2 shown]
	v_accvgpr_read_b32 v0, a103
	scratch_store_dwordx4 off, v[2:5], off offset:144
	s_waitcnt vmcnt(1)
	ds_write_b128 v0, v[6:9]
.LBB114_303:
	s_or_b64 exec, exec, s[0:1]
	s_waitcnt lgkmcnt(0)
	; wave barrier
	scratch_load_dwordx4 v[88:91], off, off offset:160
	scratch_load_dwordx4 v[92:95], off, off offset:176
	;; [unrolled: 1-line block ×17, first 2 shown]
	ds_read_b128 v[212:215], v2 offset:960
	ds_read_b128 v[204:207], v2 offset:976
	;; [unrolled: 1-line block ×3, first 2 shown]
	scratch_load_dwordx4 v[20:23], off, off offset:432
	ds_read_b128 v[216:219], v2 offset:1008
	ds_read_b128 v[208:211], v2 offset:1024
	;; [unrolled: 1-line block ×5, first 2 shown]
	scratch_load_dwordx4 v[24:27], off, off offset:448
	ds_read_b128 v[180:183], v2 offset:1088
	ds_read_b128 v[160:163], v2 offset:1104
	;; [unrolled: 1-line block ×3, first 2 shown]
	scratch_load_dwordx4 v[28:31], off, off offset:464
	ds_read_b128 v[172:175], v2 offset:1136
	ds_read_b128 v[148:151], v2 offset:1152
	;; [unrolled: 1-line block ×5, first 2 shown]
	scratch_load_dwordx4 v[36:39], off, off offset:480
	ds_read_b128 v[48:51], v2 offset:1216
	scratch_load_dwordx4 v[52:55], off, off offset:496
	scratch_load_dwordx4 v[56:59], off, off offset:512
	;; [unrolled: 1-line block ×9, first 2 shown]
	ds_read_b128 v[140:143], v2 offset:1232
	ds_read_b128 v[232:235], v2 offset:1296
	;; [unrolled: 1-line block ×3, first 2 shown]
	s_waitcnt vmcnt(29) lgkmcnt(14)
	v_mul_f64 v[0:1], v[212:213], v[90:91]
	s_waitcnt vmcnt(28)
	v_mul_f64 v[152:153], v[204:205], v[94:95]
	v_fmac_f64_e32 v[0:1], v[214:215], v[88:89]
	s_waitcnt vmcnt(27)
	v_mul_f64 v[154:155], v[196:197], v[98:99]
	v_fmac_f64_e32 v[152:153], v[206:207], v[92:93]
	v_add_f64 v[0:1], v[0:1], 0
	s_waitcnt vmcnt(26)
	v_mul_f64 v[164:165], v[216:217], v[102:103]
	v_fmac_f64_e32 v[154:155], v[198:199], v[96:97]
	v_add_f64 v[0:1], v[0:1], v[152:153]
	;; [unrolled: 4-line block ×4, first 2 shown]
	s_waitcnt vmcnt(23) lgkmcnt(13)
	v_mul_f64 v[170:171], v[184:185], v[114:115]
	v_fmac_f64_e32 v[168:169], v[202:203], v[108:109]
	v_add_f64 v[0:1], v[0:1], v[166:167]
	s_waitcnt vmcnt(22) lgkmcnt(12)
	v_mul_f64 v[176:177], v[156:157], v[118:119]
	v_fmac_f64_e32 v[170:171], v[186:187], v[112:113]
	v_add_f64 v[0:1], v[0:1], v[168:169]
	;; [unrolled: 4-line block ×10, first 2 shown]
	v_fmac_f64_e32 v[224:225], v[34:35], v[12:13]
	v_add_f64 v[0:1], v[0:1], v[222:223]
	ds_read_b128 v[220:223], v2 offset:1248
	v_add_f64 v[0:1], v[0:1], v[224:225]
	ds_read_b128 v[224:227], v2 offset:1264
	s_waitcnt vmcnt(13) lgkmcnt(5)
	v_mul_f64 v[164:165], v[48:49], v[18:19]
	scratch_load_dwordx4 v[152:155], off, off offset:640
	v_fmac_f64_e32 v[164:165], v[50:51], v[16:17]
	s_waitcnt vmcnt(13) lgkmcnt(4)
	v_mul_f64 v[168:169], v[140:141], v[22:23]
	v_add_f64 v[0:1], v[0:1], v[164:165]
	v_fmac_f64_e32 v[168:169], v[142:143], v[20:21]
	scratch_load_dwordx4 v[164:167], off, off offset:656
	v_add_f64 v[0:1], v[0:1], v[168:169]
	s_waitcnt vmcnt(13) lgkmcnt(1)
	v_mul_f64 v[176:177], v[220:221], v[26:27]
	scratch_load_dwordx4 v[168:171], off, off offset:672
	v_fmac_f64_e32 v[176:177], v[222:223], v[24:25]
	s_waitcnt vmcnt(13) lgkmcnt(0)
	v_mul_f64 v[188:189], v[224:225], v[30:31]
	v_add_f64 v[0:1], v[0:1], v[176:177]
	scratch_load_dwordx4 v[176:179], off, off offset:688
	v_fmac_f64_e32 v[188:189], v[226:227], v[28:29]
	v_add_f64 v[0:1], v[0:1], v[188:189]
	s_waitcnt vmcnt(13)
	v_mul_f64 v[188:189], v[228:229], v[38:39]
	v_fmac_f64_e32 v[188:189], v[230:231], v[36:37]
	v_add_f64 v[0:1], v[0:1], v[188:189]
	scratch_load_dwordx4 v[188:191], off, off offset:704
	s_waitcnt vmcnt(13)
	v_mul_f64 v[192:193], v[232:233], v[54:55]
	v_fmac_f64_e32 v[192:193], v[234:235], v[52:53]
	v_mul_f64 v[90:91], v[214:215], v[90:91]
	v_add_f64 v[0:1], v[0:1], v[192:193]
	scratch_load_dwordx4 v[192:195], off, off offset:720
	v_fma_f64 v[240:241], v[212:213], v[88:89], -v[90:91]
	v_mul_f64 v[88:89], v[206:207], v[94:95]
	ds_read_b128 v[236:239], v2 offset:1312
	ds_read_b128 v[212:215], v2 offset:1328
	v_fma_f64 v[242:243], v[204:205], v[92:93], -v[88:89]
	scratch_load_dwordx4 v[92:95], off, off offset:736
	scratch_load_dwordx4 v[88:91], off, off offset:752
	v_mul_f64 v[98:99], v[198:199], v[98:99]
	v_fma_f64 v[248:249], v[196:197], v[96:97], -v[98:99]
	scratch_load_dwordx4 v[96:99], off, off offset:768
	s_waitcnt vmcnt(16) lgkmcnt(1)
	v_mul_f64 v[204:205], v[236:237], v[58:59]
	v_mul_f64 v[102:103], v[218:219], v[102:103]
	v_fmac_f64_e32 v[204:205], v[238:239], v[56:57]
	v_fma_f64 v[216:217], v[216:217], v[100:101], -v[102:103]
	ds_read_b128 v[100:103], v2 offset:1344
	s_waitcnt vmcnt(15) lgkmcnt(1)
	v_mul_f64 v[196:197], v[212:213], v[62:63]
	v_add_f64 v[0:1], v[0:1], v[204:205]
	v_fmac_f64_e32 v[196:197], v[214:215], v[60:61]
	v_add_f64 v[0:1], v[0:1], v[196:197]
	ds_read_b128 v[196:199], v2 offset:1360
	v_mul_f64 v[106:107], v[210:211], v[106:107]
	v_fma_f64 v[218:219], v[208:209], v[104:105], -v[106:107]
	ds_read_b128 v[104:107], v2 offset:1376
	s_waitcnt vmcnt(14) lgkmcnt(2)
	v_mul_f64 v[204:205], v[100:101], v[66:67]
	v_fmac_f64_e32 v[204:205], v[102:103], v[64:65]
	v_add_f64 v[0:1], v[0:1], v[204:205]
	s_waitcnt vmcnt(13) lgkmcnt(1)
	v_mul_f64 v[204:205], v[196:197], v[70:71]
	v_mul_f64 v[110:111], v[202:203], v[110:111]
	v_fmac_f64_e32 v[204:205], v[198:199], v[68:69]
	v_fma_f64 v[250:251], v[200:201], v[108:109], -v[110:111]
	ds_read_b128 v[108:111], v2 offset:1392
	s_waitcnt vmcnt(12) lgkmcnt(1)
	v_mul_f64 v[200:201], v[104:105], v[74:75]
	v_add_f64 v[0:1], v[0:1], v[204:205]
	v_fmac_f64_e32 v[200:201], v[106:107], v[72:73]
	v_add_f64 v[0:1], v[0:1], v[200:201]
	ds_read_b128 v[200:203], v2 offset:1408
	v_mul_f64 v[114:115], v[186:187], v[114:115]
	v_fma_f64 v[252:253], v[184:185], v[112:113], -v[114:115]
	ds_read_b128 v[112:115], v2 offset:1424
	s_waitcnt vmcnt(11) lgkmcnt(2)
	v_mul_f64 v[184:185], v[108:109], v[78:79]
	v_fmac_f64_e32 v[184:185], v[110:111], v[76:77]
	v_add_f64 v[0:1], v[0:1], v[184:185]
	s_waitcnt vmcnt(10) lgkmcnt(1)
	v_mul_f64 v[184:185], v[200:201], v[82:83]
	v_mul_f64 v[118:119], v[158:159], v[118:119]
	v_fmac_f64_e32 v[184:185], v[202:203], v[80:81]
	v_fma_f64 v[254:255], v[156:157], v[116:117], -v[118:119]
	s_waitcnt vmcnt(9) lgkmcnt(0)
	v_mul_f64 v[156:157], v[112:113], v[86:87]
	v_add_f64 v[0:1], v[0:1], v[184:185]
	ds_read_b128 v[116:119], v2 offset:1440
	v_fmac_f64_e32 v[156:157], v[114:115], v[84:85]
	v_add_f64 v[0:1], v[0:1], v[156:157]
	ds_read_b128 v[156:159], v2 offset:1456
	v_mul_f64 v[122:123], v[182:183], v[122:123]
	v_fma_f64 v[244:245], v[180:181], v[120:121], -v[122:123]
	ds_read_b128 v[120:123], v2 offset:1472
	v_accvgpr_write_b32 a107, v7
	v_mul_f64 v[126:127], v[162:163], v[126:127]
	v_accvgpr_write_b32 a106, v6
	v_accvgpr_write_b32 a105, v5
	;; [unrolled: 1-line block ×3, first 2 shown]
	v_fma_f64 v[4:5], v[160:161], v[124:125], -v[126:127]
	ds_read_b128 v[124:127], v2 offset:1488
	s_waitcnt vmcnt(8) lgkmcnt(3)
	v_mul_f64 v[184:185], v[116:117], v[154:155]
	v_fmac_f64_e32 v[184:185], v[118:119], v[152:153]
	s_waitcnt vmcnt(7) lgkmcnt(2)
	v_mul_f64 v[180:181], v[156:157], v[166:167]
	v_add_f64 v[0:1], v[0:1], v[184:185]
	v_fmac_f64_e32 v[180:181], v[158:159], v[164:165]
	s_waitcnt vmcnt(6) lgkmcnt(1)
	v_mul_f64 v[6:7], v[120:121], v[170:171]
	ds_read_b128 v[160:163], v2 offset:1504
	v_add_f64 v[0:1], v[0:1], v[180:181]
	v_fmac_f64_e32 v[6:7], v[122:123], v[168:169]
	v_add_f64 v[0:1], v[0:1], v[6:7]
	s_waitcnt vmcnt(5) lgkmcnt(1)
	v_mul_f64 v[6:7], v[124:125], v[178:179]
	v_fmac_f64_e32 v[6:7], v[126:127], v[176:177]
	v_add_f64 v[0:1], v[0:1], v[6:7]
	v_mul_f64 v[6:7], v[146:147], v[130:131]
	v_fma_f64 v[6:7], v[144:145], v[128:129], -v[6:7]
	ds_read_b128 v[128:131], v2 offset:1520
	s_waitcnt vmcnt(4) lgkmcnt(1)
	v_mul_f64 v[144:145], v[160:161], v[190:191]
	v_fmac_f64_e32 v[144:145], v[162:163], v[188:189]
	v_add_f64 v[180:181], v[0:1], v[144:145]
	v_mul_f64 v[0:1], v[174:175], v[134:135]
	v_fma_f64 v[0:1], v[172:173], v[132:133], -v[0:1]
	ds_read_b128 v[132:135], v2 offset:1536
	ds_read_b128 v[144:147], v2 offset:1552
	v_mul_f64 v[138:139], v[150:151], v[138:139]
	v_fma_f64 v[246:247], v[148:149], v[136:137], -v[138:139]
	ds_read_b128 v[136:139], v2 offset:1568
	s_waitcnt vmcnt(3) lgkmcnt(3)
	v_mul_f64 v[172:173], v[128:129], v[194:195]
	v_fmac_f64_e32 v[172:173], v[130:131], v[192:193]
	s_waitcnt vmcnt(2) lgkmcnt(2)
	v_mul_f64 v[148:149], v[132:133], v[94:95]
	v_add_f64 v[172:173], v[180:181], v[172:173]
	v_fmac_f64_e32 v[148:149], v[134:135], v[92:93]
	s_waitcnt vmcnt(1) lgkmcnt(1)
	v_mul_f64 v[150:151], v[144:145], v[90:91]
	v_add_f64 v[148:149], v[172:173], v[148:149]
	v_fmac_f64_e32 v[150:151], v[146:147], v[88:89]
	v_add_f64 v[148:149], v[148:149], v[150:151]
	ds_read_b128 v[172:175], v2 offset:1584
	scratch_load_dwordx4 v[208:211], off, off offset:816
	s_waitcnt vmcnt(1) lgkmcnt(1)
	v_mul_f64 v[150:151], v[136:137], v[98:99]
	v_fmac_f64_e32 v[150:151], v[138:139], v[96:97]
	v_add_f64 v[180:181], v[148:149], v[150:151]
	scratch_load_dwordx4 v[148:151], off, off offset:784
	ds_read_b128 v[184:187], v2 offset:1600
	v_accvgpr_write_b32 a109, v1
	v_accvgpr_write_b32 a108, v0
	s_waitcnt vmcnt(0) lgkmcnt(1)
	v_mul_f64 v[182:183], v[172:173], v[150:151]
	v_fmac_f64_e32 v[182:183], v[174:175], v[148:149]
	v_add_f64 v[204:205], v[180:181], v[182:183]
	scratch_load_dwordx4 v[180:183], off, off offset:800
	s_waitcnt vmcnt(0) lgkmcnt(0)
	v_mul_f64 v[206:207], v[184:185], v[182:183]
	v_fmac_f64_e32 v[206:207], v[186:187], v[180:181]
	v_add_f64 v[0:1], v[204:205], v[206:207]
	ds_read_b128 v[204:207], v2 offset:1616
	s_waitcnt lgkmcnt(0)
	v_mul_f64 v[2:3], v[204:205], v[210:211]
	v_fmac_f64_e32 v[2:3], v[206:207], v[208:209]
	v_add_f64 v[2:3], v[0:1], v[2:3]
	v_add_f64 v[0:1], v[240:241], 0
	;; [unrolled: 1-line block ×6, first 2 shown]
	scratch_load_dwordx4 v[216:219], off, off offset:144
	v_add_f64 v[0:1], v[0:1], v[250:251]
	v_add_f64 v[0:1], v[0:1], v[252:253]
	;; [unrolled: 1-line block ×6, first 2 shown]
	v_accvgpr_read_b32 v0, a108
	v_accvgpr_read_b32 v243, a107
	;; [unrolled: 1-line block ×4, first 2 shown]
	v_add_f64 v[0:1], v[248:249], v[0:1]
	v_accvgpr_read_b32 v241, a105
	v_accvgpr_read_b32 v240, a104
	v_mul_f64 v[4:5], v[46:47], v[242:243]
	v_add_f64 v[0:1], v[0:1], v[246:247]
	v_fma_f64 v[4:5], v[44:45], v[240:241], -v[4:5]
	v_add_f64 v[0:1], v[0:1], v[4:5]
	v_mul_f64 v[4:5], v[42:43], v[10:11]
	v_fma_f64 v[4:5], v[40:41], v[8:9], -v[4:5]
	v_add_f64 v[0:1], v[0:1], v[4:5]
	v_mul_f64 v[4:5], v[34:35], v[14:15]
	;; [unrolled: 3-line block ×28, first 2 shown]
	v_fma_f64 v[4:5], v[204:205], v[208:209], -v[4:5]
	v_add_f64 v[0:1], v[0:1], v[4:5]
	s_waitcnt vmcnt(0)
	v_add_f64 v[4:5], v[216:217], -v[0:1]
	v_accvgpr_read_b32 v0, a102
	v_add_f64 v[6:7], v[218:219], -v[2:3]
	v_cmp_lt_u32_e32 vcc, 7, v0
	scratch_store_dwordx4 off, v[4:7], off offset:144
	s_and_saveexec_b64 s[0:1], vcc
	s_cbranch_execz .LBB114_305
; %bb.304:
	scratch_load_dwordx4 v[2:5], off, s60
	v_mov_b32_e32 v6, 0
	v_mov_b32_e32 v7, v6
	;; [unrolled: 1-line block ×4, first 2 shown]
	v_accvgpr_read_b32 v0, a103
	scratch_store_dwordx4 off, v[6:9], off offset:128
	s_waitcnt vmcnt(1)
	ds_write_b128 v0, v[2:5]
.LBB114_305:
	s_or_b64 exec, exec, s[0:1]
	s_waitcnt lgkmcnt(0)
	; wave barrier
	scratch_load_dwordx4 v[96:99], off, off offset:144
	scratch_load_dwordx4 v[100:103], off, off offset:160
	;; [unrolled: 1-line block ×30, first 2 shown]
	v_mov_b32_e32 v2, 0
	ds_read_b128 v[136:139], v2 offset:944
	ds_read_b128 v[144:147], v2 offset:960
	;; [unrolled: 1-line block ×20, first 2 shown]
	s_waitcnt vmcnt(29) lgkmcnt(14)
	v_mul_f64 v[0:1], v[136:137], v[98:99]
	s_waitcnt vmcnt(28)
	v_mul_f64 v[72:73], v[144:145], v[102:103]
	v_fmac_f64_e32 v[0:1], v[138:139], v[96:97]
	s_waitcnt vmcnt(27)
	v_mul_f64 v[74:75], v[148:149], v[106:107]
	v_fmac_f64_e32 v[72:73], v[146:147], v[100:101]
	v_add_f64 v[0:1], v[0:1], 0
	s_waitcnt vmcnt(26)
	v_mul_f64 v[76:77], v[164:165], v[110:111]
	v_fmac_f64_e32 v[74:75], v[150:151], v[104:105]
	v_add_f64 v[0:1], v[0:1], v[72:73]
	s_waitcnt vmcnt(25)
	v_mul_f64 v[78:79], v[176:177], v[114:115]
	v_fmac_f64_e32 v[76:77], v[166:167], v[108:109]
	v_add_f64 v[0:1], v[0:1], v[74:75]
	s_waitcnt vmcnt(24)
	v_mul_f64 v[80:81], v[188:189], v[154:155]
	v_fmac_f64_e32 v[78:79], v[178:179], v[112:113]
	v_add_f64 v[0:1], v[0:1], v[76:77]
	s_waitcnt vmcnt(23) lgkmcnt(13)
	v_mul_f64 v[82:83], v[200:201], v[158:159]
	v_fmac_f64_e32 v[80:81], v[190:191], v[152:153]
	v_add_f64 v[0:1], v[0:1], v[78:79]
	s_waitcnt vmcnt(22) lgkmcnt(12)
	v_mul_f64 v[84:85], v[208:209], v[162:163]
	v_fmac_f64_e32 v[82:83], v[202:203], v[156:157]
	v_add_f64 v[0:1], v[0:1], v[80:81]
	;; [unrolled: 4-line block ×9, first 2 shown]
	s_waitcnt vmcnt(14) lgkmcnt(4)
	v_mul_f64 v[120:121], v[68:69], v[6:7]
	v_fmac_f64_e32 v[118:119], v[250:251], v[204:205]
	v_accvgpr_write_b32 a107, v7
	v_add_f64 v[0:1], v[0:1], v[116:117]
	v_fmac_f64_e32 v[120:121], v[70:71], v[4:5]
	v_accvgpr_write_b32 a106, v6
	v_accvgpr_write_b32 a105, v5
	;; [unrolled: 1-line block ×3, first 2 shown]
	v_add_f64 v[0:1], v[0:1], v[118:119]
	ds_read_b128 v[116:119], v2 offset:1216
	s_waitcnt vmcnt(13)
	v_mov_b64_e32 v[4:5], v[8:9]
	v_mov_b64_e32 v[6:7], v[10:11]
	s_waitcnt lgkmcnt(4)
	v_mul_f64 v[76:77], v[64:65], v[6:7]
	scratch_load_dwordx4 v[72:75], off, off offset:624
	v_add_f64 v[0:1], v[0:1], v[120:121]
	v_fmac_f64_e32 v[76:77], v[66:67], v[4:5]
	s_waitcnt vmcnt(13)
	v_mov_b64_e32 v[4:5], v[12:13]
	v_add_f64 v[0:1], v[0:1], v[76:77]
	v_mov_b64_e32 v[6:7], v[14:15]
	scratch_load_dwordx4 v[76:79], off, off offset:640
	ds_read_b128 v[120:123], v2 offset:1232
	s_waitcnt lgkmcnt(1)
	v_mul_f64 v[80:81], v[116:117], v[6:7]
	v_fmac_f64_e32 v[80:81], v[118:119], v[4:5]
	v_add_f64 v[0:1], v[0:1], v[80:81]
	scratch_load_dwordx4 v[80:83], off, off offset:656
	s_waitcnt vmcnt(14) lgkmcnt(0)
	v_mul_f64 v[84:85], v[120:121], v[236:237]
	v_fmac_f64_e32 v[84:85], v[122:123], v[234:235]
	s_waitcnt vmcnt(13)
	v_mul_f64 v[88:89], v[124:125], v[22:23]
	v_add_f64 v[0:1], v[0:1], v[84:85]
	v_fmac_f64_e32 v[88:89], v[126:127], v[20:21]
	scratch_load_dwordx4 v[84:87], off, off offset:672
	v_add_f64 v[0:1], v[0:1], v[88:89]
	s_waitcnt vmcnt(13)
	v_mul_f64 v[88:89], v[128:129], v[26:27]
	v_fmac_f64_e32 v[88:89], v[130:131], v[24:25]
	v_add_f64 v[0:1], v[0:1], v[88:89]
	scratch_load_dwordx4 v[88:91], off, off offset:688
	s_waitcnt vmcnt(13)
	v_mul_f64 v[92:93], v[132:133], v[30:31]
	v_fmac_f64_e32 v[92:93], v[134:135], v[28:29]
	v_add_f64 v[0:1], v[0:1], v[92:93]
	scratch_load_dwordx4 v[92:95], off, off offset:704
	v_mul_f64 v[98:99], v[138:139], v[98:99]
	v_fma_f64 v[240:241], v[136:137], v[96:97], -v[98:99]
	v_mul_f64 v[96:97], v[146:147], v[102:103]
	ds_read_b128 v[140:143], v2 offset:1296
	ds_read_b128 v[136:139], v2 offset:1312
	v_fma_f64 v[242:243], v[144:145], v[100:101], -v[96:97]
	scratch_load_dwordx4 v[100:103], off, off offset:720
	scratch_load_dwordx4 v[96:99], off, off offset:736
	s_waitcnt vmcnt(15) lgkmcnt(1)
	v_mul_f64 v[144:145], v[140:141], v[34:35]
	v_fmac_f64_e32 v[144:145], v[142:143], v[32:33]
	v_mul_f64 v[106:107], v[150:151], v[106:107]
	v_add_f64 v[0:1], v[0:1], v[144:145]
	s_waitcnt vmcnt(14) lgkmcnt(0)
	v_mul_f64 v[144:145], v[136:137], v[38:39]
	v_fma_f64 v[252:253], v[148:149], v[104:105], -v[106:107]
	v_mul_f64 v[104:105], v[166:167], v[110:111]
	v_fmac_f64_e32 v[144:145], v[138:139], v[36:37]
	v_fma_f64 v[254:255], v[164:165], v[108:109], -v[104:105]
	scratch_load_dwordx4 v[104:107], off, off offset:752
	v_add_f64 v[0:1], v[0:1], v[144:145]
	ds_read_b128 v[144:147], v2 offset:1328
	ds_read_b128 v[148:151], v2 offset:1344
	v_mul_f64 v[108:109], v[178:179], v[114:115]
	v_fma_f64 v[232:233], v[176:177], v[112:113], -v[108:109]
	scratch_load_dwordx4 v[108:111], off, off offset:768
	s_waitcnt vmcnt(15) lgkmcnt(1)
	v_mul_f64 v[112:113], v[144:145], v[42:43]
	v_fmac_f64_e32 v[112:113], v[146:147], v[40:41]
	v_add_f64 v[0:1], v[0:1], v[112:113]
	v_mul_f64 v[112:113], v[190:191], v[154:155]
	v_fma_f64 v[16:17], v[188:189], v[152:153], -v[112:113]
	scratch_load_dwordx4 v[112:115], off, off offset:784
	ds_read_b128 v[152:155], v2 offset:1360
	s_waitcnt vmcnt(15) lgkmcnt(1)
	v_mul_f64 v[6:7], v[148:149], v[46:47]
	v_fmac_f64_e32 v[6:7], v[150:151], v[44:45]
	v_accvgpr_write_b32 a115, v15
	v_add_f64 v[0:1], v[0:1], v[6:7]
	v_mul_f64 v[6:7], v[202:203], v[158:159]
	v_accvgpr_write_b32 a114, v14
	v_accvgpr_write_b32 a113, v13
	;; [unrolled: 1-line block ×3, first 2 shown]
	v_fma_f64 v[12:13], v[200:201], v[156:157], -v[6:7]
	ds_read_b128 v[156:159], v2 offset:1376
	s_waitcnt vmcnt(14) lgkmcnt(1)
	v_mul_f64 v[6:7], v[152:153], v[50:51]
	v_fmac_f64_e32 v[6:7], v[154:155], v[48:49]
	v_accvgpr_write_b32 a111, v11
	v_add_f64 v[0:1], v[0:1], v[6:7]
	v_mul_f64 v[6:7], v[210:211], v[162:163]
	v_accvgpr_write_b32 a110, v10
	v_accvgpr_write_b32 a109, v9
	;; [unrolled: 1-line block ×3, first 2 shown]
	v_fma_f64 v[10:11], v[208:209], v[160:161], -v[6:7]
	ds_read_b128 v[160:163], v2 offset:1392
	ds_read_b128 v[164:167], v2 offset:1408
	s_waitcnt vmcnt(13) lgkmcnt(2)
	v_mul_f64 v[6:7], v[156:157], v[54:55]
	v_fmac_f64_e32 v[6:7], v[158:159], v[52:53]
	v_add_f64 v[0:1], v[0:1], v[6:7]
	s_waitcnt vmcnt(12) lgkmcnt(1)
	v_mul_f64 v[6:7], v[160:161], v[62:63]
	v_fmac_f64_e32 v[6:7], v[162:163], v[60:61]
	v_add_f64 v[0:1], v[0:1], v[6:7]
	v_mul_f64 v[6:7], v[214:215], v[170:171]
	v_fma_f64 v[8:9], v[212:213], v[168:169], -v[6:7]
	s_waitcnt vmcnt(11) lgkmcnt(0)
	v_mul_f64 v[6:7], v[164:165], v[58:59]
	v_fmac_f64_e32 v[6:7], v[166:167], v[56:57]
	ds_read_b128 v[168:171], v2 offset:1424
	v_add_f64 v[0:1], v[0:1], v[6:7]
	v_mul_f64 v[6:7], v[218:219], v[174:175]
	v_fma_f64 v[14:15], v[216:217], v[172:173], -v[6:7]
	ds_read_b128 v[172:175], v2 offset:1440
	s_waitcnt vmcnt(10) lgkmcnt(1)
	v_mul_f64 v[6:7], v[168:169], v[74:75]
	ds_read_b128 v[176:179], v2 offset:1456
	v_fmac_f64_e32 v[6:7], v[170:171], v[72:73]
	v_add_f64 v[0:1], v[0:1], v[6:7]
	s_waitcnt vmcnt(9) lgkmcnt(1)
	v_mul_f64 v[6:7], v[172:173], v[78:79]
	v_fmac_f64_e32 v[6:7], v[174:175], v[76:77]
	v_add_f64 v[0:1], v[0:1], v[6:7]
	v_mul_f64 v[6:7], v[222:223], v[182:183]
	v_fma_f64 v[4:5], v[220:221], v[180:181], -v[6:7]
	ds_read_b128 v[180:183], v2 offset:1472
	s_waitcnt vmcnt(8) lgkmcnt(1)
	v_mul_f64 v[6:7], v[176:177], v[82:83]
	v_fmac_f64_e32 v[6:7], v[178:179], v[80:81]
	v_add_f64 v[0:1], v[0:1], v[6:7]
	v_mul_f64 v[6:7], v[226:227], v[186:187]
	v_fma_f64 v[6:7], v[224:225], v[184:185], -v[6:7]
	ds_read_b128 v[184:187], v2 offset:1488
	ds_read_b128 v[188:191], v2 offset:1504
	s_waitcnt vmcnt(7) lgkmcnt(2)
	v_mul_f64 v[18:19], v[180:181], v[86:87]
	v_fmac_f64_e32 v[18:19], v[182:183], v[84:85]
	v_add_f64 v[0:1], v[0:1], v[18:19]
	s_waitcnt vmcnt(6) lgkmcnt(1)
	v_mul_f64 v[18:19], v[184:185], v[90:91]
	v_fmac_f64_e32 v[18:19], v[186:187], v[88:89]
	v_add_f64 v[18:19], v[0:1], v[18:19]
	v_mul_f64 v[0:1], v[230:231], v[194:195]
	v_fma_f64 v[0:1], v[228:229], v[192:193], -v[0:1]
	ds_read_b128 v[192:195], v2 offset:1520
	s_waitcnt vmcnt(5) lgkmcnt(1)
	v_mul_f64 v[200:201], v[188:189], v[94:95]
	v_fmac_f64_e32 v[200:201], v[190:191], v[92:93]
	v_mul_f64 v[198:199], v[246:247], v[198:199]
	v_fma_f64 v[238:239], v[244:245], v[196:197], -v[198:199]
	ds_read_b128 v[196:199], v2 offset:1536
	v_add_f64 v[18:19], v[18:19], v[200:201]
	s_waitcnt vmcnt(4) lgkmcnt(1)
	v_mul_f64 v[200:201], v[192:193], v[102:103]
	v_fmac_f64_e32 v[200:201], v[194:195], v[100:101]
	v_add_f64 v[18:19], v[18:19], v[200:201]
	ds_read_b128 v[200:203], v2 offset:1552
	v_mul_f64 v[206:207], v[250:251], v[206:207]
	v_fma_f64 v[244:245], v[248:249], v[204:205], -v[206:207]
	ds_read_b128 v[204:207], v2 offset:1568
	s_waitcnt vmcnt(3) lgkmcnt(2)
	v_mul_f64 v[208:209], v[196:197], v[98:99]
	v_fmac_f64_e32 v[208:209], v[198:199], v[96:97]
	v_add_f64 v[18:19], v[18:19], v[208:209]
	s_waitcnt vmcnt(2) lgkmcnt(1)
	v_mul_f64 v[208:209], v[200:201], v[106:107]
	v_fmac_f64_e32 v[208:209], v[202:203], v[104:105]
	v_add_f64 v[18:19], v[18:19], v[208:209]
	;; [unrolled: 4-line block ×3, first 2 shown]
	ds_read_b128 v[208:211], v2 offset:1584
	ds_read_b128 v[216:219], v2 offset:1600
	;; [unrolled: 1-line block ×3, first 2 shown]
	s_waitcnt vmcnt(0) lgkmcnt(2)
	v_mul_f64 v[212:213], v[208:209], v[114:115]
	v_fmac_f64_e32 v[212:213], v[210:211], v[112:113]
	v_add_f64 v[18:19], v[18:19], v[212:213]
	scratch_load_dwordx4 v[212:215], off, off offset:800
	s_waitcnt vmcnt(0) lgkmcnt(1)
	v_mul_f64 v[220:221], v[216:217], v[214:215]
	v_fmac_f64_e32 v[220:221], v[218:219], v[212:213]
	v_add_f64 v[18:19], v[18:19], v[220:221]
	scratch_load_dwordx4 v[220:223], off, off offset:816
	;; [unrolled: 5-line block ×3, first 2 shown]
	v_add_f64 v[18:19], v[240:241], 0
	v_add_f64 v[18:19], v[18:19], v[242:243]
	;; [unrolled: 1-line block ×12, first 2 shown]
	v_accvgpr_read_b32 v6, a104
	v_accvgpr_read_b32 v8, a106
	;; [unrolled: 1-line block ×3, first 2 shown]
	v_add_f64 v[0:1], v[4:5], v[0:1]
	v_accvgpr_read_b32 v7, a105
	v_mul_f64 v[4:5], v[70:71], v[8:9]
	v_add_f64 v[0:1], v[0:1], v[238:239]
	v_fma_f64 v[4:5], v[68:69], v[6:7], -v[4:5]
	v_accvgpr_read_b32 v6, a108
	v_add_f64 v[0:1], v[0:1], v[244:245]
	v_accvgpr_read_b32 v8, a110
	v_accvgpr_read_b32 v9, a111
	v_add_f64 v[0:1], v[0:1], v[4:5]
	v_accvgpr_read_b32 v7, a109
	v_mul_f64 v[4:5], v[66:67], v[8:9]
	v_fma_f64 v[4:5], v[64:65], v[6:7], -v[4:5]
	v_accvgpr_read_b32 v6, a112
	v_accvgpr_read_b32 v8, a114
	;; [unrolled: 1-line block ×3, first 2 shown]
	v_add_f64 v[0:1], v[0:1], v[4:5]
	v_accvgpr_read_b32 v7, a113
	v_mul_f64 v[4:5], v[118:119], v[8:9]
	v_fma_f64 v[4:5], v[116:117], v[6:7], -v[4:5]
	v_add_f64 v[0:1], v[0:1], v[4:5]
	v_mul_f64 v[4:5], v[122:123], v[236:237]
	v_fma_f64 v[4:5], v[120:121], v[234:235], -v[4:5]
	v_add_f64 v[0:1], v[0:1], v[4:5]
	v_mul_f64 v[4:5], v[126:127], v[22:23]
	v_fma_f64 v[4:5], v[124:125], v[20:21], -v[4:5]
	v_add_f64 v[0:1], v[0:1], v[4:5]
	v_mul_f64 v[4:5], v[130:131], v[26:27]
	v_fma_f64 v[4:5], v[128:129], v[24:25], -v[4:5]
	v_add_f64 v[0:1], v[0:1], v[4:5]
	v_mul_f64 v[4:5], v[134:135], v[30:31]
	v_fma_f64 v[4:5], v[132:133], v[28:29], -v[4:5]
	v_add_f64 v[0:1], v[0:1], v[4:5]
	v_mul_f64 v[4:5], v[142:143], v[34:35]
	v_fma_f64 v[4:5], v[140:141], v[32:33], -v[4:5]
	v_add_f64 v[0:1], v[0:1], v[4:5]
	v_mul_f64 v[4:5], v[138:139], v[38:39]
	v_fma_f64 v[4:5], v[136:137], v[36:37], -v[4:5]
	v_add_f64 v[0:1], v[0:1], v[4:5]
	v_mul_f64 v[4:5], v[146:147], v[42:43]
	v_fma_f64 v[4:5], v[144:145], v[40:41], -v[4:5]
	v_add_f64 v[0:1], v[0:1], v[4:5]
	v_mul_f64 v[4:5], v[150:151], v[46:47]
	v_fma_f64 v[4:5], v[148:149], v[44:45], -v[4:5]
	v_add_f64 v[0:1], v[0:1], v[4:5]
	v_mul_f64 v[4:5], v[154:155], v[50:51]
	v_fma_f64 v[4:5], v[152:153], v[48:49], -v[4:5]
	v_add_f64 v[0:1], v[0:1], v[4:5]
	v_mul_f64 v[4:5], v[158:159], v[54:55]
	v_fma_f64 v[4:5], v[156:157], v[52:53], -v[4:5]
	v_add_f64 v[0:1], v[0:1], v[4:5]
	v_mul_f64 v[4:5], v[162:163], v[62:63]
	v_fma_f64 v[4:5], v[160:161], v[60:61], -v[4:5]
	v_add_f64 v[0:1], v[0:1], v[4:5]
	v_mul_f64 v[4:5], v[166:167], v[58:59]
	v_fma_f64 v[4:5], v[164:165], v[56:57], -v[4:5]
	v_add_f64 v[0:1], v[0:1], v[4:5]
	v_mul_f64 v[4:5], v[170:171], v[74:75]
	v_fma_f64 v[4:5], v[168:169], v[72:73], -v[4:5]
	v_add_f64 v[0:1], v[0:1], v[4:5]
	v_mul_f64 v[4:5], v[174:175], v[78:79]
	v_fma_f64 v[4:5], v[172:173], v[76:77], -v[4:5]
	v_add_f64 v[0:1], v[0:1], v[4:5]
	v_mul_f64 v[4:5], v[178:179], v[82:83]
	v_fma_f64 v[4:5], v[176:177], v[80:81], -v[4:5]
	v_add_f64 v[0:1], v[0:1], v[4:5]
	v_mul_f64 v[4:5], v[182:183], v[86:87]
	v_fma_f64 v[4:5], v[180:181], v[84:85], -v[4:5]
	v_add_f64 v[0:1], v[0:1], v[4:5]
	v_mul_f64 v[4:5], v[186:187], v[90:91]
	v_fma_f64 v[4:5], v[184:185], v[88:89], -v[4:5]
	v_add_f64 v[0:1], v[0:1], v[4:5]
	v_mul_f64 v[4:5], v[190:191], v[94:95]
	v_fma_f64 v[4:5], v[188:189], v[92:93], -v[4:5]
	v_add_f64 v[0:1], v[0:1], v[4:5]
	v_mul_f64 v[4:5], v[194:195], v[102:103]
	v_fma_f64 v[4:5], v[192:193], v[100:101], -v[4:5]
	v_add_f64 v[0:1], v[0:1], v[4:5]
	v_mul_f64 v[4:5], v[198:199], v[98:99]
	v_fma_f64 v[4:5], v[196:197], v[96:97], -v[4:5]
	v_add_f64 v[0:1], v[0:1], v[4:5]
	v_mul_f64 v[4:5], v[202:203], v[106:107]
	v_fma_f64 v[4:5], v[200:201], v[104:105], -v[4:5]
	v_add_f64 v[0:1], v[0:1], v[4:5]
	v_mul_f64 v[4:5], v[206:207], v[110:111]
	v_fma_f64 v[4:5], v[204:205], v[108:109], -v[4:5]
	v_add_f64 v[0:1], v[0:1], v[4:5]
	v_mul_f64 v[4:5], v[210:211], v[114:115]
	v_fma_f64 v[4:5], v[208:209], v[112:113], -v[4:5]
	v_add_f64 v[0:1], v[0:1], v[4:5]
	v_mul_f64 v[4:5], v[218:219], v[214:215]
	v_fma_f64 v[4:5], v[216:217], v[212:213], -v[4:5]
	v_add_f64 v[0:1], v[0:1], v[4:5]
	v_mul_f64 v[4:5], v[226:227], v[222:223]
	v_fma_f64 v[4:5], v[224:225], v[220:221], -v[4:5]
	v_add_f64 v[0:1], v[0:1], v[4:5]
	s_waitcnt vmcnt(0)
	v_add_f64 v[4:5], v[228:229], -v[0:1]
	v_accvgpr_read_b32 v0, a102
	v_add_f64 v[6:7], v[230:231], -v[248:249]
	v_cmp_lt_u32_e32 vcc, 6, v0
	scratch_store_dwordx4 off, v[4:7], off offset:128
	s_and_saveexec_b64 s[0:1], vcc
	s_cbranch_execz .LBB114_307
; %bb.306:
	scratch_load_dwordx4 v[6:9], off, s61
	v_mov_b32_e32 v3, v2
	v_mov_b32_e32 v4, v2
	v_mov_b32_e32 v5, v2
	v_accvgpr_read_b32 v0, a103
	scratch_store_dwordx4 off, v[2:5], off offset:112
	s_waitcnt vmcnt(1)
	ds_write_b128 v0, v[6:9]
.LBB114_307:
	s_or_b64 exec, exec, s[0:1]
	s_waitcnt lgkmcnt(0)
	; wave barrier
	scratch_load_dwordx4 v[72:75], off, off offset:128
	scratch_load_dwordx4 v[76:79], off, off offset:144
	;; [unrolled: 1-line block ×17, first 2 shown]
	ds_read_b128 v[176:179], v2 offset:928
	ds_read_b128 v[192:195], v2 offset:944
	;; [unrolled: 1-line block ×3, first 2 shown]
	scratch_load_dwordx4 v[20:23], off, off offset:400
	ds_read_b128 v[236:239], v2 offset:976
	ds_read_b128 v[232:235], v2 offset:992
	;; [unrolled: 1-line block ×5, first 2 shown]
	scratch_load_dwordx4 v[168:171], off, off offset:416
	ds_read_b128 v[224:227], v2 offset:1056
	ds_read_b128 v[212:215], v2 offset:1072
	;; [unrolled: 1-line block ×3, first 2 shown]
	scratch_load_dwordx4 v[12:15], off, off offset:432
	ds_read_b128 v[216:219], v2 offset:1104
	ds_read_b128 v[204:207], v2 offset:1120
	;; [unrolled: 1-line block ×5, first 2 shown]
	scratch_load_dwordx4 v[28:31], off, off offset:448
	ds_read_b128 v[32:35], v2 offset:1184
	scratch_load_dwordx4 v[36:39], off, off offset:464
	scratch_load_dwordx4 v[40:43], off, off offset:480
	;; [unrolled: 1-line block ×9, first 2 shown]
	ds_read_b128 v[132:135], v2 offset:1200
	s_waitcnt lgkmcnt(2)
	v_accvgpr_write_b32 a111, v19
	v_accvgpr_write_b32 a110, v18
	;; [unrolled: 1-line block ×4, first 2 shown]
	ds_read_b128 v[172:175], v2 offset:1264
	s_waitcnt vmcnt(29)
	v_mul_f64 v[0:1], v[176:177], v[74:75]
	s_waitcnt vmcnt(28)
	v_mul_f64 v[136:137], v[192:193], v[78:79]
	v_fmac_f64_e32 v[0:1], v[178:179], v[72:73]
	s_waitcnt vmcnt(27)
	v_mul_f64 v[138:139], v[188:189], v[82:83]
	v_fmac_f64_e32 v[136:137], v[194:195], v[76:77]
	v_add_f64 v[0:1], v[0:1], 0
	s_waitcnt vmcnt(26)
	v_mul_f64 v[140:141], v[236:237], v[86:87]
	v_fmac_f64_e32 v[138:139], v[190:191], v[80:81]
	v_add_f64 v[0:1], v[0:1], v[136:137]
	s_waitcnt vmcnt(25)
	v_mul_f64 v[142:143], v[232:233], v[90:91]
	v_fmac_f64_e32 v[140:141], v[238:239], v[84:85]
	v_add_f64 v[0:1], v[0:1], v[138:139]
	s_waitcnt vmcnt(24)
	v_mul_f64 v[144:145], v[228:229], v[94:95]
	v_fmac_f64_e32 v[142:143], v[234:235], v[88:89]
	v_add_f64 v[0:1], v[0:1], v[140:141]
	s_waitcnt vmcnt(23)
	v_mul_f64 v[146:147], v[220:221], v[98:99]
	v_fmac_f64_e32 v[144:145], v[230:231], v[92:93]
	v_add_f64 v[0:1], v[0:1], v[142:143]
	s_waitcnt vmcnt(22)
	v_mul_f64 v[148:149], v[208:209], v[102:103]
	v_fmac_f64_e32 v[146:147], v[222:223], v[96:97]
	v_add_f64 v[0:1], v[0:1], v[144:145]
	s_waitcnt vmcnt(21)
	v_mul_f64 v[150:151], v[224:225], v[106:107]
	v_fmac_f64_e32 v[148:149], v[210:211], v[100:101]
	v_add_f64 v[0:1], v[0:1], v[146:147]
	s_waitcnt vmcnt(20)
	v_mul_f64 v[152:153], v[212:213], v[110:111]
	v_fmac_f64_e32 v[150:151], v[226:227], v[104:105]
	v_add_f64 v[0:1], v[0:1], v[148:149]
	s_waitcnt vmcnt(19)
	v_mul_f64 v[154:155], v[200:201], v[114:115]
	v_fmac_f64_e32 v[152:153], v[214:215], v[108:109]
	v_add_f64 v[0:1], v[0:1], v[150:151]
	s_waitcnt vmcnt(18)
	v_mul_f64 v[156:157], v[216:217], v[118:119]
	v_fmac_f64_e32 v[154:155], v[202:203], v[112:113]
	v_add_f64 v[0:1], v[0:1], v[152:153]
	s_waitcnt vmcnt(17)
	v_mul_f64 v[158:159], v[204:205], v[122:123]
	v_fmac_f64_e32 v[156:157], v[218:219], v[116:117]
	v_add_f64 v[0:1], v[0:1], v[154:155]
	s_waitcnt vmcnt(16)
	v_mul_f64 v[160:161], v[196:197], v[126:127]
	v_fmac_f64_e32 v[158:159], v[206:207], v[120:121]
	v_add_f64 v[0:1], v[0:1], v[156:157]
	s_waitcnt vmcnt(15)
	v_mul_f64 v[162:163], v[184:185], v[130:131]
	v_fmac_f64_e32 v[160:161], v[198:199], v[124:125]
	v_add_f64 v[0:1], v[0:1], v[158:159]
	s_waitcnt vmcnt(14)
	v_mul_f64 v[164:165], v[16:17], v[6:7]
	v_fmac_f64_e32 v[162:163], v[186:187], v[128:129]
	v_add_f64 v[0:1], v[0:1], v[160:161]
	v_fmac_f64_e32 v[164:165], v[18:19], v[4:5]
	v_add_f64 v[0:1], v[0:1], v[162:163]
	s_waitcnt vmcnt(13) lgkmcnt(2)
	v_mul_f64 v[140:141], v[32:33], v[26:27]
	scratch_load_dwordx4 v[136:139], off, off offset:608
	v_add_f64 v[0:1], v[0:1], v[164:165]
	v_fmac_f64_e32 v[140:141], v[34:35], v[24:25]
	v_add_f64 v[0:1], v[0:1], v[140:141]
	ds_read_b128 v[160:163], v2 offset:1216
	scratch_load_dwordx4 v[140:143], off, off offset:624
	ds_read_b128 v[164:167], v2 offset:1232
	s_waitcnt vmcnt(13)
	v_mov_b64_e32 v[16:17], v[168:169]
	v_mov_b64_e32 v[18:19], v[170:171]
	ds_read_b128 v[168:171], v2 offset:1248
	s_waitcnt lgkmcnt(4)
	v_mul_f64 v[144:145], v[132:133], v[22:23]
	v_fmac_f64_e32 v[144:145], v[134:135], v[20:21]
	s_waitcnt lgkmcnt(2)
	v_mul_f64 v[148:149], v[160:161], v[18:19]
	v_add_f64 v[0:1], v[0:1], v[144:145]
	v_fmac_f64_e32 v[148:149], v[162:163], v[16:17]
	s_waitcnt vmcnt(12) lgkmcnt(1)
	v_mul_f64 v[152:153], v[164:165], v[14:15]
	scratch_load_dwordx4 v[144:147], off, off offset:640
	v_add_f64 v[0:1], v[0:1], v[148:149]
	v_fmac_f64_e32 v[152:153], v[166:167], v[12:13]
	scratch_load_dwordx4 v[148:151], off, off offset:656
	v_add_f64 v[0:1], v[0:1], v[152:153]
	s_waitcnt vmcnt(13) lgkmcnt(0)
	v_mul_f64 v[152:153], v[168:169], v[30:31]
	v_fmac_f64_e32 v[152:153], v[170:171], v[28:29]
	v_add_f64 v[0:1], v[0:1], v[152:153]
	scratch_load_dwordx4 v[152:155], off, off offset:672
	s_waitcnt vmcnt(13)
	v_mul_f64 v[156:157], v[172:173], v[38:39]
	v_fmac_f64_e32 v[156:157], v[174:175], v[36:37]
	v_mul_f64 v[74:75], v[178:179], v[74:75]
	v_add_f64 v[0:1], v[0:1], v[156:157]
	scratch_load_dwordx4 v[156:159], off, off offset:688
	v_fma_f64 v[240:241], v[176:177], v[72:73], -v[74:75]
	v_mul_f64 v[72:73], v[194:195], v[78:79]
	ds_read_b128 v[180:183], v2 offset:1280
	ds_read_b128 v[176:179], v2 offset:1296
	v_fma_f64 v[242:243], v[192:193], v[76:77], -v[72:73]
	scratch_load_dwordx4 v[76:79], off, off offset:704
	scratch_load_dwordx4 v[72:75], off, off offset:720
	v_mul_f64 v[82:83], v[190:191], v[82:83]
	v_fma_f64 v[248:249], v[188:189], v[80:81], -v[82:83]
	v_mul_f64 v[80:81], v[238:239], v[86:87]
	v_fma_f64 v[236:237], v[236:237], v[84:85], -v[80:81]
	scratch_load_dwordx4 v[80:83], off, off offset:736
	ds_read_b128 v[188:191], v2 offset:1312
	v_mul_f64 v[84:85], v[234:235], v[90:91]
	s_waitcnt vmcnt(16) lgkmcnt(2)
	v_mul_f64 v[192:193], v[180:181], v[42:43]
	v_fma_f64 v[238:239], v[232:233], v[88:89], -v[84:85]
	scratch_load_dwordx4 v[84:87], off, off offset:752
	v_fmac_f64_e32 v[192:193], v[182:183], v[40:41]
	v_add_f64 v[0:1], v[0:1], v[192:193]
	s_waitcnt vmcnt(16) lgkmcnt(1)
	v_mul_f64 v[192:193], v[176:177], v[46:47]
	v_fmac_f64_e32 v[192:193], v[178:179], v[44:45]
	v_add_f64 v[0:1], v[0:1], v[192:193]
	ds_read_b128 v[192:195], v2 offset:1328
	s_waitcnt vmcnt(15) lgkmcnt(1)
	v_mul_f64 v[88:89], v[188:189], v[50:51]
	v_fmac_f64_e32 v[88:89], v[190:191], v[48:49]
	v_add_f64 v[0:1], v[0:1], v[88:89]
	v_mul_f64 v[88:89], v[230:231], v[94:95]
	v_fma_f64 v[250:251], v[228:229], v[92:93], -v[88:89]
	scratch_load_dwordx4 v[88:91], off, off offset:768
	scratch_load_dwordx4 v[232:235], off, off offset:816
	ds_read_b128 v[92:95], v2 offset:1344
	v_mul_f64 v[98:99], v[222:223], v[98:99]
	v_fma_f64 v[252:253], v[220:221], v[96:97], -v[98:99]
	ds_read_b128 v[96:99], v2 offset:1360
	v_mul_f64 v[102:103], v[210:211], v[102:103]
	s_waitcnt vmcnt(16) lgkmcnt(2)
	v_mul_f64 v[228:229], v[192:193], v[54:55]
	v_fma_f64 v[254:255], v[208:209], v[100:101], -v[102:103]
	ds_read_b128 v[100:103], v2 offset:1376
	ds_read_b128 v[208:211], v2 offset:1392
	v_fmac_f64_e32 v[228:229], v[194:195], v[52:53]
	s_waitcnt vmcnt(15) lgkmcnt(3)
	v_mul_f64 v[220:221], v[92:93], v[58:59]
	v_add_f64 v[0:1], v[0:1], v[228:229]
	v_fmac_f64_e32 v[220:221], v[94:95], v[56:57]
	v_mul_f64 v[106:107], v[226:227], v[106:107]
	v_add_f64 v[0:1], v[0:1], v[220:221]
	s_waitcnt vmcnt(14) lgkmcnt(2)
	v_mul_f64 v[220:221], v[96:97], v[62:63]
	v_fma_f64 v[244:245], v[224:225], v[104:105], -v[106:107]
	ds_read_b128 v[104:107], v2 offset:1408
	v_fmac_f64_e32 v[220:221], v[98:99], v[60:61]
	v_mul_f64 v[110:111], v[214:215], v[110:111]
	v_add_f64 v[0:1], v[0:1], v[220:221]
	s_waitcnt vmcnt(13) lgkmcnt(2)
	v_mul_f64 v[220:221], v[100:101], v[70:71]
	v_fma_f64 v[8:9], v[212:213], v[108:109], -v[110:111]
	ds_read_b128 v[108:111], v2 offset:1424
	v_fmac_f64_e32 v[220:221], v[102:103], v[68:69]
	v_accvgpr_write_b32 a107, v7
	v_add_f64 v[0:1], v[0:1], v[220:221]
	s_waitcnt vmcnt(12) lgkmcnt(2)
	v_mul_f64 v[220:221], v[208:209], v[66:67]
	v_accvgpr_write_b32 a106, v6
	v_accvgpr_write_b32 a105, v5
	;; [unrolled: 1-line block ×3, first 2 shown]
	v_fmac_f64_e32 v[220:221], v[210:211], v[64:65]
	s_waitcnt vmcnt(11) lgkmcnt(1)
	v_mul_f64 v[6:7], v[104:105], v[138:139]
	v_add_f64 v[0:1], v[0:1], v[220:221]
	v_fmac_f64_e32 v[6:7], v[106:107], v[136:137]
	v_add_f64 v[0:1], v[0:1], v[6:7]
	s_waitcnt vmcnt(10) lgkmcnt(0)
	v_mul_f64 v[6:7], v[108:109], v[142:143]
	v_fmac_f64_e32 v[6:7], v[110:111], v[140:141]
	ds_read_b128 v[212:215], v2 offset:1440
	v_add_f64 v[0:1], v[0:1], v[6:7]
	v_mul_f64 v[6:7], v[202:203], v[114:115]
	v_fma_f64 v[6:7], v[200:201], v[112:113], -v[6:7]
	ds_read_b128 v[112:115], v2 offset:1456
	v_mul_f64 v[118:119], v[218:219], v[118:119]
	v_fma_f64 v[4:5], v[216:217], v[116:117], -v[118:119]
	ds_read_b128 v[116:119], v2 offset:1472
	s_waitcnt vmcnt(9) lgkmcnt(2)
	v_mul_f64 v[200:201], v[212:213], v[146:147]
	v_fmac_f64_e32 v[200:201], v[214:215], v[144:145]
	s_waitcnt vmcnt(8) lgkmcnt(1)
	v_mul_f64 v[10:11], v[112:113], v[150:151]
	v_add_f64 v[0:1], v[0:1], v[200:201]
	v_fmac_f64_e32 v[10:11], v[114:115], v[148:149]
	v_add_f64 v[0:1], v[0:1], v[10:11]
	ds_read_b128 v[200:203], v2 offset:1488
	s_waitcnt vmcnt(7) lgkmcnt(1)
	v_mul_f64 v[10:11], v[116:117], v[154:155]
	v_fmac_f64_e32 v[10:11], v[118:119], v[152:153]
	v_add_f64 v[10:11], v[0:1], v[10:11]
	v_mul_f64 v[0:1], v[206:207], v[122:123]
	v_fma_f64 v[0:1], v[204:205], v[120:121], -v[0:1]
	ds_read_b128 v[120:123], v2 offset:1504
	v_mul_f64 v[126:127], v[198:199], v[126:127]
	v_fma_f64 v[124:125], v[196:197], v[124:125], -v[126:127]
	s_waitcnt vmcnt(6) lgkmcnt(1)
	v_mul_f64 v[204:205], v[200:201], v[158:159]
	v_accvgpr_write_b32 a112, v124
	v_fmac_f64_e32 v[204:205], v[202:203], v[156:157]
	v_accvgpr_write_b32 a113, v125
	ds_read_b128 v[124:127], v2 offset:1520
	s_waitcnt vmcnt(5) lgkmcnt(1)
	v_mul_f64 v[196:197], v[120:121], v[78:79]
	v_add_f64 v[10:11], v[10:11], v[204:205]
	v_fmac_f64_e32 v[196:197], v[122:123], v[76:77]
	v_add_f64 v[10:11], v[10:11], v[196:197]
	ds_read_b128 v[196:199], v2 offset:1536
	v_mul_f64 v[130:131], v[186:187], v[130:131]
	v_fma_f64 v[246:247], v[184:185], v[128:129], -v[130:131]
	ds_read_b128 v[128:131], v2 offset:1552
	s_waitcnt vmcnt(4) lgkmcnt(2)
	v_mul_f64 v[184:185], v[124:125], v[74:75]
	v_fmac_f64_e32 v[184:185], v[126:127], v[72:73]
	v_add_f64 v[10:11], v[10:11], v[184:185]
	s_waitcnt vmcnt(3) lgkmcnt(1)
	v_mul_f64 v[184:185], v[196:197], v[82:83]
	v_fmac_f64_e32 v[184:185], v[198:199], v[80:81]
	v_add_f64 v[10:11], v[10:11], v[184:185]
	;; [unrolled: 4-line block ×3, first 2 shown]
	ds_read_b128 v[184:187], v2 offset:1568
	ds_read_b128 v[216:219], v2 offset:1584
	;; [unrolled: 1-line block ×3, first 2 shown]
	s_waitcnt vmcnt(1) lgkmcnt(2)
	v_mul_f64 v[204:205], v[184:185], v[90:91]
	v_fmac_f64_e32 v[204:205], v[186:187], v[88:89]
	v_add_f64 v[10:11], v[10:11], v[204:205]
	scratch_load_dwordx4 v[204:207], off, off offset:784
	s_waitcnt vmcnt(0) lgkmcnt(1)
	v_mul_f64 v[220:221], v[216:217], v[206:207]
	v_fmac_f64_e32 v[220:221], v[218:219], v[204:205]
	v_add_f64 v[10:11], v[10:11], v[220:221]
	scratch_load_dwordx4 v[220:223], off, off offset:800
	s_waitcnt vmcnt(0) lgkmcnt(0)
	v_mul_f64 v[228:229], v[224:225], v[222:223]
	v_fmac_f64_e32 v[228:229], v[226:227], v[220:221]
	v_add_f64 v[10:11], v[10:11], v[228:229]
	ds_read_b128 v[228:231], v2 offset:1616
	s_waitcnt lgkmcnt(0)
	v_mul_f64 v[2:3], v[228:229], v[234:235]
	v_fmac_f64_e32 v[2:3], v[230:231], v[232:233]
	v_add_f64 v[2:3], v[10:11], v[2:3]
	v_add_f64 v[10:11], v[240:241], 0
	;; [unrolled: 1-line block ×6, first 2 shown]
	scratch_load_dwordx4 v[236:239], off, off offset:112
	v_add_f64 v[10:11], v[10:11], v[250:251]
	v_add_f64 v[10:11], v[10:11], v[252:253]
	;; [unrolled: 1-line block ×8, first 2 shown]
	v_accvgpr_read_b32 v0, a112
	v_accvgpr_read_b32 v6, a104
	;; [unrolled: 1-line block ×7, first 2 shown]
	v_add_f64 v[0:1], v[248:249], v[0:1]
	v_accvgpr_read_b32 v7, a105
	v_accvgpr_read_b32 v241, a109
	;; [unrolled: 1-line block ×3, first 2 shown]
	v_mul_f64 v[4:5], v[242:243], v[8:9]
	v_add_f64 v[0:1], v[0:1], v[246:247]
	v_fma_f64 v[4:5], v[240:241], v[6:7], -v[4:5]
	v_add_f64 v[0:1], v[0:1], v[4:5]
	v_mul_f64 v[4:5], v[34:35], v[26:27]
	v_fma_f64 v[4:5], v[32:33], v[24:25], -v[4:5]
	v_add_f64 v[0:1], v[0:1], v[4:5]
	v_mul_f64 v[4:5], v[134:135], v[22:23]
	;; [unrolled: 3-line block ×28, first 2 shown]
	v_fma_f64 v[4:5], v[228:229], v[232:233], -v[4:5]
	v_add_f64 v[0:1], v[0:1], v[4:5]
	s_waitcnt vmcnt(0)
	v_add_f64 v[4:5], v[236:237], -v[0:1]
	v_accvgpr_read_b32 v0, a102
	v_add_f64 v[6:7], v[238:239], -v[2:3]
	v_cmp_lt_u32_e32 vcc, 5, v0
	scratch_store_dwordx4 off, v[4:7], off offset:112
	s_and_saveexec_b64 s[0:1], vcc
	s_cbranch_execz .LBB114_309
; %bb.308:
	scratch_load_dwordx4 v[2:5], off, s62
	v_mov_b32_e32 v6, 0
	v_mov_b32_e32 v7, v6
	;; [unrolled: 1-line block ×4, first 2 shown]
	v_accvgpr_read_b32 v0, a103
	scratch_store_dwordx4 off, v[6:9], off offset:96
	s_waitcnt vmcnt(1)
	ds_write_b128 v0, v[2:5]
.LBB114_309:
	s_or_b64 exec, exec, s[0:1]
	s_waitcnt lgkmcnt(0)
	; wave barrier
	scratch_load_dwordx4 v[80:83], off, off offset:112
	scratch_load_dwordx4 v[84:87], off, off offset:128
	;; [unrolled: 1-line block ×29, first 2 shown]
	v_mov_b32_e32 v2, 0
	ds_read_b128 v[132:135], v2 offset:912
	ds_read_b128 v[136:139], v2 offset:928
	;; [unrolled: 1-line block ×22, first 2 shown]
	s_waitcnt vmcnt(28) lgkmcnt(14)
	v_mul_f64 v[0:1], v[132:133], v[82:83]
	s_waitcnt vmcnt(27)
	v_mul_f64 v[56:57], v[136:137], v[86:87]
	v_fmac_f64_e32 v[0:1], v[134:135], v[80:81]
	s_waitcnt vmcnt(26)
	v_mul_f64 v[58:59], v[140:141], v[90:91]
	v_fmac_f64_e32 v[56:57], v[138:139], v[84:85]
	v_add_f64 v[0:1], v[0:1], 0
	s_waitcnt vmcnt(25)
	v_mul_f64 v[60:61], v[148:149], v[94:95]
	v_fmac_f64_e32 v[58:59], v[142:143], v[88:89]
	v_add_f64 v[0:1], v[0:1], v[56:57]
	;; [unrolled: 4-line block ×6, first 2 shown]
	s_waitcnt vmcnt(20) lgkmcnt(13)
	v_mul_f64 v[70:71], v[204:205], v[154:155]
	v_fmac_f64_e32 v[68:69], v[198:199], v[144:145]
	v_add_f64 v[0:1], v[0:1], v[66:67]
	s_waitcnt vmcnt(19) lgkmcnt(12)
	v_mul_f64 v[72:73], v[208:209], v[158:159]
	v_fmac_f64_e32 v[70:71], v[206:207], v[152:153]
	v_add_f64 v[0:1], v[0:1], v[68:69]
	;; [unrolled: 4-line block ×8, first 2 shown]
	v_fmac_f64_e32 v[112:113], v[246:247], v[192:193]
	v_add_f64 v[0:1], v[0:1], v[110:111]
	s_waitcnt vmcnt(12) lgkmcnt(5)
	v_mul_f64 v[60:61], v[248:249], v[202:203]
	scratch_load_dwordx4 v[56:59], off, off offset:576
	ds_read_b128 v[108:111], v2 offset:1200
	v_add_f64 v[0:1], v[0:1], v[112:113]
	v_fmac_f64_e32 v[60:61], v[250:251], v[200:201]
	v_add_f64 v[0:1], v[0:1], v[60:61]
	s_waitcnt vmcnt(12) lgkmcnt(5)
	v_mul_f64 v[64:65], v[52:53], v[6:7]
	scratch_load_dwordx4 v[60:63], off, off offset:592
	v_accvgpr_write_b32 a107, v7
	v_fmac_f64_e32 v[64:65], v[54:55], v[4:5]
	v_accvgpr_write_b32 a106, v6
	v_accvgpr_write_b32 a105, v5
	v_accvgpr_write_b32 a104, v4
	ds_read_b128 v[112:115], v2 offset:1216
	s_waitcnt vmcnt(12)
	v_mov_b64_e32 v[4:5], v[8:9]
	v_mov_b64_e32 v[6:7], v[10:11]
	s_waitcnt lgkmcnt(1)
	v_mul_f64 v[68:69], v[108:109], v[6:7]
	v_fmac_f64_e32 v[68:69], v[110:111], v[4:5]
	s_waitcnt vmcnt(11)
	v_mov_b64_e32 v[4:5], v[12:13]
	v_add_f64 v[0:1], v[0:1], v[64:65]
	v_mov_b64_e32 v[6:7], v[14:15]
	scratch_load_dwordx4 v[64:67], off, off offset:608
	v_add_f64 v[0:1], v[0:1], v[68:69]
	s_waitcnt lgkmcnt(0)
	v_mul_f64 v[68:69], v[112:113], v[6:7]
	v_fmac_f64_e32 v[68:69], v[114:115], v[4:5]
	s_waitcnt vmcnt(11)
	v_mov_b64_e32 v[4:5], v[16:17]
	v_add_f64 v[0:1], v[0:1], v[68:69]
	scratch_load_dwordx4 v[68:71], off, off offset:624
	v_mov_b64_e32 v[6:7], v[18:19]
	v_mul_f64 v[76:77], v[116:117], v[6:7]
	scratch_load_dwordx4 v[72:75], off, off offset:640
	v_fmac_f64_e32 v[76:77], v[118:119], v[4:5]
	v_add_f64 v[0:1], v[0:1], v[76:77]
	s_waitcnt vmcnt(12)
	v_mul_f64 v[76:77], v[120:121], v[236:237]
	v_fmac_f64_e32 v[76:77], v[122:123], v[234:235]
	v_add_f64 v[0:1], v[0:1], v[76:77]
	scratch_load_dwordx4 v[76:79], off, off offset:656
	v_mul_f64 v[82:83], v[134:135], v[82:83]
	v_fma_f64 v[240:241], v[132:133], v[80:81], -v[82:83]
	scratch_load_dwordx4 v[80:83], off, off offset:672
	v_mul_f64 v[86:87], v[138:139], v[86:87]
	v_fma_f64 v[242:243], v[136:137], v[84:85], -v[86:87]
	scratch_load_dwordx4 v[84:87], off, off offset:688
	v_mul_f64 v[90:91], v[142:143], v[90:91]
	s_waitcnt vmcnt(14)
	v_mul_f64 v[132:133], v[124:125], v[26:27]
	v_fma_f64 v[252:253], v[140:141], v[88:89], -v[90:91]
	scratch_load_dwordx4 v[88:91], off, off offset:704
	v_fmac_f64_e32 v[132:133], v[126:127], v[24:25]
	s_waitcnt vmcnt(14)
	v_mul_f64 v[136:137], v[128:129], v[30:31]
	v_mul_f64 v[94:95], v[150:151], v[94:95]
	v_add_f64 v[0:1], v[0:1], v[132:133]
	v_fmac_f64_e32 v[136:137], v[130:131], v[28:29]
	v_fma_f64 v[254:255], v[148:149], v[92:93], -v[94:95]
	v_mul_f64 v[92:93], v[162:163], v[98:99]
	ds_read_b128 v[132:135], v2 offset:1296
	v_add_f64 v[0:1], v[0:1], v[136:137]
	ds_read_b128 v[136:139], v2 offset:1312
	v_fma_f64 v[232:233], v[160:161], v[96:97], -v[92:93]
	scratch_load_dwordx4 v[96:99], off, off offset:720
	scratch_load_dwordx4 v[92:95], off, off offset:736
	v_mul_f64 v[102:103], v[174:175], v[102:103]
	v_fma_f64 v[20:21], v[172:173], v[100:101], -v[102:103]
	scratch_load_dwordx4 v[100:103], off, off offset:752
	v_accvgpr_write_b32 a119, v19
	v_mul_f64 v[6:7], v[186:187], v[106:107]
	v_accvgpr_write_b32 a118, v18
	v_accvgpr_write_b32 a117, v17
	;; [unrolled: 1-line block ×3, first 2 shown]
	v_fma_f64 v[16:17], v[184:185], v[104:105], -v[6:7]
	scratch_load_dwordx4 v[104:107], off, off offset:768
	s_waitcnt vmcnt(17) lgkmcnt(1)
	v_mul_f64 v[140:141], v[132:133], v[34:35]
	v_fmac_f64_e32 v[140:141], v[134:135], v[32:33]
	v_add_f64 v[0:1], v[0:1], v[140:141]
	ds_read_b128 v[140:143], v2 offset:1328
	v_accvgpr_write_b32 a115, v15
	v_mul_f64 v[6:7], v[198:199], v[146:147]
	v_accvgpr_write_b32 a114, v14
	v_accvgpr_write_b32 a113, v13
	;; [unrolled: 1-line block ×3, first 2 shown]
	v_fma_f64 v[12:13], v[196:197], v[144:145], -v[6:7]
	ds_read_b128 v[144:147], v2 offset:1344
	s_waitcnt vmcnt(16) lgkmcnt(2)
	v_mul_f64 v[148:149], v[136:137], v[38:39]
	v_fmac_f64_e32 v[148:149], v[138:139], v[36:37]
	v_add_f64 v[0:1], v[0:1], v[148:149]
	s_waitcnt vmcnt(15) lgkmcnt(1)
	v_mul_f64 v[6:7], v[140:141], v[42:43]
	ds_read_b128 v[148:151], v2 offset:1360
	v_fmac_f64_e32 v[6:7], v[142:143], v[40:41]
	v_add_f64 v[0:1], v[0:1], v[6:7]
	s_waitcnt vmcnt(14) lgkmcnt(1)
	v_mul_f64 v[6:7], v[144:145], v[46:47]
	v_fmac_f64_e32 v[6:7], v[146:147], v[44:45]
	v_accvgpr_write_b32 a111, v11
	v_add_f64 v[0:1], v[0:1], v[6:7]
	v_mul_f64 v[6:7], v[206:207], v[154:155]
	v_accvgpr_write_b32 a110, v10
	v_accvgpr_write_b32 a109, v9
	;; [unrolled: 1-line block ×3, first 2 shown]
	v_fma_f64 v[10:11], v[204:205], v[152:153], -v[6:7]
	ds_read_b128 v[152:155], v2 offset:1376
	s_waitcnt vmcnt(13) lgkmcnt(1)
	v_mul_f64 v[6:7], v[148:149], v[50:51]
	v_fmac_f64_e32 v[6:7], v[150:151], v[48:49]
	v_add_f64 v[0:1], v[0:1], v[6:7]
	v_mul_f64 v[6:7], v[210:211], v[158:159]
	v_fma_f64 v[14:15], v[208:209], v[156:157], -v[6:7]
	ds_read_b128 v[156:159], v2 offset:1392
	ds_read_b128 v[160:163], v2 offset:1408
	s_waitcnt vmcnt(12) lgkmcnt(2)
	v_mul_f64 v[6:7], v[152:153], v[58:59]
	v_fmac_f64_e32 v[6:7], v[154:155], v[56:57]
	v_add_f64 v[0:1], v[0:1], v[6:7]
	s_waitcnt vmcnt(11) lgkmcnt(1)
	v_mul_f64 v[6:7], v[156:157], v[62:63]
	v_fmac_f64_e32 v[6:7], v[158:159], v[60:61]
	v_add_f64 v[0:1], v[0:1], v[6:7]
	v_mul_f64 v[6:7], v[214:215], v[166:167]
	v_fma_f64 v[8:9], v[212:213], v[164:165], -v[6:7]
	ds_read_b128 v[164:167], v2 offset:1424
	v_mul_f64 v[18:19], v[218:219], v[170:171]
	v_fma_f64 v[18:19], v[216:217], v[168:169], -v[18:19]
	ds_read_b128 v[168:171], v2 offset:1440
	s_waitcnt vmcnt(10) lgkmcnt(2)
	v_mul_f64 v[6:7], v[160:161], v[66:67]
	v_fmac_f64_e32 v[6:7], v[162:163], v[64:65]
	v_add_f64 v[0:1], v[0:1], v[6:7]
	s_waitcnt vmcnt(9) lgkmcnt(1)
	v_mul_f64 v[6:7], v[164:165], v[70:71]
	ds_read_b128 v[172:175], v2 offset:1456
	v_fmac_f64_e32 v[6:7], v[166:167], v[68:69]
	v_add_f64 v[0:1], v[0:1], v[6:7]
	s_waitcnt vmcnt(8) lgkmcnt(1)
	v_mul_f64 v[6:7], v[168:169], v[74:75]
	v_fmac_f64_e32 v[6:7], v[170:171], v[72:73]
	v_add_f64 v[0:1], v[0:1], v[6:7]
	v_mul_f64 v[6:7], v[222:223], v[178:179]
	v_fma_f64 v[4:5], v[220:221], v[176:177], -v[6:7]
	ds_read_b128 v[176:179], v2 offset:1472
	s_waitcnt vmcnt(7) lgkmcnt(1)
	v_mul_f64 v[6:7], v[172:173], v[78:79]
	v_fmac_f64_e32 v[6:7], v[174:175], v[76:77]
	v_add_f64 v[0:1], v[0:1], v[6:7]
	v_mul_f64 v[6:7], v[226:227], v[182:183]
	v_fma_f64 v[6:7], v[224:225], v[180:181], -v[6:7]
	ds_read_b128 v[180:183], v2 offset:1488
	ds_read_b128 v[184:187], v2 offset:1504
	s_waitcnt vmcnt(6) lgkmcnt(2)
	v_mul_f64 v[22:23], v[176:177], v[82:83]
	v_fmac_f64_e32 v[22:23], v[178:179], v[80:81]
	v_add_f64 v[0:1], v[0:1], v[22:23]
	s_waitcnt vmcnt(5) lgkmcnt(1)
	v_mul_f64 v[22:23], v[180:181], v[86:87]
	v_fmac_f64_e32 v[22:23], v[182:183], v[84:85]
	v_add_f64 v[22:23], v[0:1], v[22:23]
	v_mul_f64 v[0:1], v[230:231], v[190:191]
	v_fma_f64 v[0:1], v[228:229], v[188:189], -v[0:1]
	ds_read_b128 v[188:191], v2 offset:1520
	s_waitcnt vmcnt(4) lgkmcnt(1)
	v_mul_f64 v[196:197], v[184:185], v[90:91]
	v_fmac_f64_e32 v[196:197], v[186:187], v[88:89]
	v_mul_f64 v[194:195], v[246:247], v[194:195]
	v_fma_f64 v[238:239], v[244:245], v[192:193], -v[194:195]
	ds_read_b128 v[192:195], v2 offset:1536
	v_add_f64 v[22:23], v[22:23], v[196:197]
	s_waitcnt vmcnt(3) lgkmcnt(1)
	v_mul_f64 v[196:197], v[188:189], v[98:99]
	v_fmac_f64_e32 v[196:197], v[190:191], v[96:97]
	v_add_f64 v[22:23], v[22:23], v[196:197]
	ds_read_b128 v[196:199], v2 offset:1552
	v_mul_f64 v[202:203], v[250:251], v[202:203]
	v_fma_f64 v[244:245], v[248:249], v[200:201], -v[202:203]
	ds_read_b128 v[200:203], v2 offset:1568
	s_waitcnt vmcnt(2) lgkmcnt(2)
	v_mul_f64 v[204:205], v[192:193], v[94:95]
	v_fmac_f64_e32 v[204:205], v[194:195], v[92:93]
	v_add_f64 v[22:23], v[22:23], v[204:205]
	s_waitcnt vmcnt(1) lgkmcnt(1)
	v_mul_f64 v[204:205], v[196:197], v[102:103]
	v_fmac_f64_e32 v[204:205], v[198:199], v[100:101]
	v_add_f64 v[22:23], v[22:23], v[204:205]
	;; [unrolled: 4-line block ×3, first 2 shown]
	scratch_load_dwordx4 v[204:207], off, off offset:784
	ds_read_b128 v[208:211], v2 offset:1584
	ds_read_b128 v[216:219], v2 offset:1600
	;; [unrolled: 1-line block ×3, first 2 shown]
	s_waitcnt vmcnt(0) lgkmcnt(2)
	v_mul_f64 v[212:213], v[208:209], v[206:207]
	v_fmac_f64_e32 v[212:213], v[210:211], v[204:205]
	v_add_f64 v[22:23], v[22:23], v[212:213]
	scratch_load_dwordx4 v[212:215], off, off offset:800
	s_waitcnt vmcnt(0) lgkmcnt(1)
	v_mul_f64 v[220:221], v[216:217], v[214:215]
	v_fmac_f64_e32 v[220:221], v[218:219], v[212:213]
	v_add_f64 v[22:23], v[22:23], v[220:221]
	scratch_load_dwordx4 v[220:223], off, off offset:816
	;; [unrolled: 5-line block ×3, first 2 shown]
	v_add_f64 v[22:23], v[240:241], 0
	v_add_f64 v[22:23], v[22:23], v[242:243]
	;; [unrolled: 1-line block ×14, first 2 shown]
	v_accvgpr_read_b32 v6, a104
	v_accvgpr_read_b32 v8, a106
	;; [unrolled: 1-line block ×3, first 2 shown]
	v_add_f64 v[0:1], v[4:5], v[0:1]
	v_accvgpr_read_b32 v7, a105
	v_mul_f64 v[4:5], v[54:55], v[8:9]
	v_add_f64 v[0:1], v[0:1], v[238:239]
	v_fma_f64 v[4:5], v[52:53], v[6:7], -v[4:5]
	v_accvgpr_read_b32 v6, a108
	v_add_f64 v[0:1], v[0:1], v[244:245]
	v_accvgpr_read_b32 v8, a110
	v_accvgpr_read_b32 v9, a111
	v_add_f64 v[0:1], v[0:1], v[4:5]
	v_accvgpr_read_b32 v7, a109
	v_mul_f64 v[4:5], v[110:111], v[8:9]
	v_fma_f64 v[4:5], v[108:109], v[6:7], -v[4:5]
	v_accvgpr_read_b32 v6, a112
	v_accvgpr_read_b32 v8, a114
	;; [unrolled: 1-line block ×3, first 2 shown]
	v_add_f64 v[0:1], v[0:1], v[4:5]
	v_accvgpr_read_b32 v7, a113
	v_mul_f64 v[4:5], v[114:115], v[8:9]
	v_fma_f64 v[4:5], v[112:113], v[6:7], -v[4:5]
	v_accvgpr_read_b32 v6, a116
	v_accvgpr_read_b32 v8, a118
	;; [unrolled: 1-line block ×3, first 2 shown]
	v_add_f64 v[0:1], v[0:1], v[4:5]
	v_accvgpr_read_b32 v7, a117
	v_mul_f64 v[4:5], v[118:119], v[8:9]
	v_fma_f64 v[4:5], v[116:117], v[6:7], -v[4:5]
	v_add_f64 v[0:1], v[0:1], v[4:5]
	v_mul_f64 v[4:5], v[122:123], v[236:237]
	v_fma_f64 v[4:5], v[120:121], v[234:235], -v[4:5]
	v_add_f64 v[0:1], v[0:1], v[4:5]
	;; [unrolled: 3-line block ×25, first 2 shown]
	s_waitcnt vmcnt(0)
	v_add_f64 v[4:5], v[228:229], -v[0:1]
	v_accvgpr_read_b32 v0, a102
	v_add_f64 v[6:7], v[230:231], -v[248:249]
	v_cmp_lt_u32_e32 vcc, 4, v0
	scratch_store_dwordx4 off, v[4:7], off offset:96
	s_and_saveexec_b64 s[0:1], vcc
	s_cbranch_execz .LBB114_311
; %bb.310:
	scratch_load_dwordx4 v[6:9], off, s63
	v_mov_b32_e32 v3, v2
	v_mov_b32_e32 v4, v2
	;; [unrolled: 1-line block ×3, first 2 shown]
	v_accvgpr_read_b32 v0, a103
	scratch_store_dwordx4 off, v[2:5], off offset:80
	s_waitcnt vmcnt(1)
	ds_write_b128 v0, v[6:9]
.LBB114_311:
	s_or_b64 exec, exec, s[0:1]
	s_waitcnt lgkmcnt(0)
	; wave barrier
	scratch_load_dwordx4 v[80:83], off, off offset:96
	scratch_load_dwordx4 v[84:87], off, off offset:112
	;; [unrolled: 1-line block ×17, first 2 shown]
	ds_read_b128 v[136:139], v2 offset:896
	ds_read_b128 v[132:135], v2 offset:912
	scratch_load_dwordx4 v[4:7], off, off offset:368
	ds_read_b128 v[236:239], v2 offset:928
	ds_read_b128 v[228:231], v2 offset:944
	;; [unrolled: 1-line block ×5, first 2 shown]
	scratch_load_dwordx4 v[8:11], off, off offset:384
	ds_read_b128 v[232:235], v2 offset:1008
	ds_read_b128 v[216:219], v2 offset:1024
	;; [unrolled: 1-line block ×3, first 2 shown]
	scratch_load_dwordx4 v[12:15], off, off offset:400
	ds_read_b128 v[220:223], v2 offset:1056
	ds_read_b128 v[172:175], v2 offset:1072
	;; [unrolled: 1-line block ×5, first 2 shown]
	scratch_load_dwordx4 v[16:19], off, off offset:416
	ds_read_b128 v[208:211], v2 offset:1136
	ds_read_b128 v[204:207], v2 offset:1152
	;; [unrolled: 1-line block ×3, first 2 shown]
	scratch_load_dwordx4 v[24:27], off, off offset:432
	scratch_load_dwordx4 v[28:31], off, off offset:448
	;; [unrolled: 1-line block ×8, first 2 shown]
	ds_read_b128 v[116:119], v2 offset:1216
	ds_read_b128 v[120:123], v2 offset:1232
	;; [unrolled: 1-line block ×4, first 2 shown]
	s_waitcnt vmcnt(28) lgkmcnt(14)
	v_mul_f64 v[0:1], v[136:137], v[82:83]
	s_waitcnt vmcnt(27)
	v_mul_f64 v[56:57], v[132:133], v[86:87]
	v_fmac_f64_e32 v[0:1], v[138:139], v[80:81]
	s_waitcnt vmcnt(26)
	v_mul_f64 v[58:59], v[236:237], v[90:91]
	v_fmac_f64_e32 v[56:57], v[134:135], v[84:85]
	v_add_f64 v[0:1], v[0:1], 0
	s_waitcnt vmcnt(25)
	v_mul_f64 v[60:61], v[228:229], v[94:95]
	v_fmac_f64_e32 v[58:59], v[238:239], v[88:89]
	v_add_f64 v[0:1], v[0:1], v[56:57]
	;; [unrolled: 4-line block ×6, first 2 shown]
	s_waitcnt vmcnt(20) lgkmcnt(13)
	v_mul_f64 v[70:71], v[216:217], v[154:155]
	v_fmac_f64_e32 v[68:69], v[234:235], v[144:145]
	v_add_f64 v[0:1], v[0:1], v[66:67]
	s_waitcnt vmcnt(19) lgkmcnt(12)
	v_mul_f64 v[72:73], v[160:161], v[158:159]
	v_fmac_f64_e32 v[70:71], v[218:219], v[152:153]
	v_add_f64 v[0:1], v[0:1], v[68:69]
	s_waitcnt vmcnt(18) lgkmcnt(11)
	v_mul_f64 v[74:75], v[220:221], v[166:167]
	v_fmac_f64_e32 v[72:73], v[162:163], v[156:157]
	v_add_f64 v[0:1], v[0:1], v[70:71]
	s_waitcnt vmcnt(17) lgkmcnt(10)
	v_mul_f64 v[76:77], v[172:173], v[170:171]
	v_fmac_f64_e32 v[74:75], v[222:223], v[164:165]
	v_add_f64 v[0:1], v[0:1], v[72:73]
	s_waitcnt vmcnt(16) lgkmcnt(9)
	v_mul_f64 v[78:79], v[212:213], v[178:179]
	v_fmac_f64_e32 v[76:77], v[174:175], v[168:169]
	v_add_f64 v[0:1], v[0:1], v[74:75]
	s_waitcnt vmcnt(15) lgkmcnt(8)
	v_mul_f64 v[108:109], v[184:185], v[182:183]
	v_fmac_f64_e32 v[78:79], v[214:215], v[176:177]
	v_add_f64 v[0:1], v[0:1], v[76:77]
	s_waitcnt vmcnt(14) lgkmcnt(7)
	v_mul_f64 v[110:111], v[196:197], v[190:191]
	v_fmac_f64_e32 v[108:109], v[186:187], v[180:181]
	v_add_f64 v[0:1], v[0:1], v[78:79]
	v_fmac_f64_e32 v[110:111], v[198:199], v[188:189]
	v_add_f64 v[0:1], v[0:1], v[108:109]
	s_waitcnt vmcnt(13) lgkmcnt(6)
	v_mul_f64 v[112:113], v[208:209], v[194:195]
	v_add_f64 v[0:1], v[0:1], v[110:111]
	scratch_load_dwordx4 v[56:59], off, off offset:560
	scratch_load_dwordx4 v[60:63], off, off offset:576
	ds_read_b128 v[108:111], v2 offset:1184
	s_waitcnt vmcnt(14) lgkmcnt(6)
	v_mul_f64 v[114:115], v[204:205], v[202:203]
	v_fmac_f64_e32 v[112:113], v[210:211], v[192:193]
	v_add_f64 v[0:1], v[0:1], v[112:113]
	v_fmac_f64_e32 v[114:115], v[206:207], v[200:201]
	s_waitcnt vmcnt(13) lgkmcnt(5)
	v_mul_f64 v[64:65], v[20:21], v[6:7]
	v_accvgpr_write_b32 a107, v7
	v_add_f64 v[0:1], v[0:1], v[114:115]
	v_fmac_f64_e32 v[64:65], v[22:23], v[4:5]
	v_accvgpr_write_b32 a106, v6
	v_accvgpr_write_b32 a105, v5
	;; [unrolled: 1-line block ×3, first 2 shown]
	ds_read_b128 v[112:115], v2 offset:1200
	s_waitcnt vmcnt(12)
	v_mov_b64_e32 v[4:5], v[8:9]
	v_mov_b64_e32 v[6:7], v[10:11]
	s_waitcnt lgkmcnt(1)
	v_mul_f64 v[68:69], v[108:109], v[6:7]
	v_fmac_f64_e32 v[68:69], v[110:111], v[4:5]
	s_waitcnt vmcnt(11)
	v_mov_b64_e32 v[4:5], v[12:13]
	v_add_f64 v[0:1], v[0:1], v[64:65]
	v_mov_b64_e32 v[6:7], v[14:15]
	v_add_f64 v[0:1], v[0:1], v[68:69]
	s_waitcnt lgkmcnt(0)
	v_mul_f64 v[68:69], v[112:113], v[6:7]
	scratch_load_dwordx4 v[64:67], off, off offset:592
	v_fmac_f64_e32 v[68:69], v[114:115], v[4:5]
	v_add_f64 v[0:1], v[0:1], v[68:69]
	scratch_load_dwordx4 v[68:71], off, off offset:608
	scratch_load_dwordx4 v[72:75], off, off offset:624
	s_waitcnt vmcnt(13)
	v_mul_f64 v[76:77], v[116:117], v[18:19]
	v_fmac_f64_e32 v[76:77], v[118:119], v[16:17]
	v_add_f64 v[0:1], v[0:1], v[76:77]
	s_waitcnt vmcnt(12)
	v_mul_f64 v[76:77], v[120:121], v[26:27]
	v_fmac_f64_e32 v[76:77], v[122:123], v[24:25]
	v_add_f64 v[0:1], v[0:1], v[76:77]
	scratch_load_dwordx4 v[76:79], off, off offset:640
	v_mul_f64 v[82:83], v[138:139], v[82:83]
	v_fma_f64 v[240:241], v[136:137], v[80:81], -v[82:83]
	scratch_load_dwordx4 v[80:83], off, off offset:656
	v_mul_f64 v[86:87], v[134:135], v[86:87]
	v_fma_f64 v[242:243], v[132:133], v[84:85], -v[86:87]
	scratch_load_dwordx4 v[84:87], off, off offset:672
	s_waitcnt vmcnt(14)
	v_mul_f64 v[136:137], v[124:125], v[30:31]
	v_mul_f64 v[90:91], v[238:239], v[90:91]
	v_fmac_f64_e32 v[136:137], v[126:127], v[28:29]
	v_fma_f64 v[236:237], v[236:237], v[88:89], -v[90:91]
	scratch_load_dwordx4 v[88:91], off, off offset:688
	v_add_f64 v[0:1], v[0:1], v[136:137]
	s_waitcnt vmcnt(14)
	v_mul_f64 v[136:137], v[128:129], v[34:35]
	v_mul_f64 v[94:95], v[230:231], v[94:95]
	v_fmac_f64_e32 v[136:137], v[130:131], v[32:33]
	v_fma_f64 v[238:239], v[228:229], v[92:93], -v[94:95]
	v_mul_f64 v[92:93], v[226:227], v[98:99]
	ds_read_b128 v[132:135], v2 offset:1280
	v_add_f64 v[0:1], v[0:1], v[136:137]
	ds_read_b128 v[136:139], v2 offset:1296
	v_fma_f64 v[248:249], v[224:225], v[96:97], -v[92:93]
	scratch_load_dwordx4 v[96:99], off, off offset:704
	scratch_load_dwordx4 v[92:95], off, off offset:720
	v_mul_f64 v[102:103], v[150:151], v[102:103]
	v_fma_f64 v[250:251], v[148:149], v[100:101], -v[102:103]
	scratch_load_dwordx4 v[100:103], off, off offset:736
	v_mul_f64 v[106:107], v[142:143], v[106:107]
	v_fma_f64 v[252:253], v[140:141], v[104:105], -v[106:107]
	v_mul_f64 v[104:105], v[234:235], v[146:147]
	v_fma_f64 v[254:255], v[232:233], v[144:145], -v[104:105]
	scratch_load_dwordx4 v[104:107], off, off offset:752
	ds_read_b128 v[140:143], v2 offset:1312
	ds_read_b128 v[144:147], v2 offset:1328
	s_waitcnt vmcnt(17) lgkmcnt(3)
	v_mul_f64 v[228:229], v[132:133], v[38:39]
	v_fmac_f64_e32 v[228:229], v[134:135], v[36:37]
	s_waitcnt vmcnt(16) lgkmcnt(2)
	v_mul_f64 v[224:225], v[136:137], v[42:43]
	v_add_f64 v[0:1], v[0:1], v[228:229]
	v_fmac_f64_e32 v[224:225], v[138:139], v[40:41]
	s_waitcnt vmcnt(15) lgkmcnt(1)
	v_mul_f64 v[148:149], v[140:141], v[46:47]
	v_add_f64 v[0:1], v[0:1], v[224:225]
	v_fmac_f64_e32 v[148:149], v[142:143], v[44:45]
	v_add_f64 v[0:1], v[0:1], v[148:149]
	ds_read_b128 v[148:151], v2 offset:1344
	v_mul_f64 v[154:155], v[218:219], v[154:155]
	v_fma_f64 v[244:245], v[216:217], v[152:153], -v[154:155]
	ds_read_b128 v[152:155], v2 offset:1360
	v_accvgpr_write_b32 a115, v15
	v_mul_f64 v[158:159], v[162:163], v[158:159]
	v_accvgpr_write_b32 a114, v14
	v_accvgpr_write_b32 a113, v13
	;; [unrolled: 1-line block ×3, first 2 shown]
	v_fma_f64 v[12:13], v[160:161], v[156:157], -v[158:159]
	ds_read_b128 v[156:159], v2 offset:1376
	ds_read_b128 v[160:163], v2 offset:1392
	s_waitcnt vmcnt(14) lgkmcnt(4)
	v_mul_f64 v[224:225], v[144:145], v[50:51]
	v_fmac_f64_e32 v[224:225], v[146:147], v[48:49]
	s_waitcnt vmcnt(13) lgkmcnt(3)
	v_mul_f64 v[216:217], v[148:149], v[54:55]
	v_add_f64 v[0:1], v[0:1], v[224:225]
	v_fmac_f64_e32 v[216:217], v[150:151], v[52:53]
	s_waitcnt vmcnt(12) lgkmcnt(2)
	v_mul_f64 v[6:7], v[152:153], v[58:59]
	v_add_f64 v[0:1], v[0:1], v[216:217]
	v_fmac_f64_e32 v[6:7], v[154:155], v[56:57]
	v_add_f64 v[0:1], v[0:1], v[6:7]
	s_waitcnt vmcnt(11) lgkmcnt(1)
	v_mul_f64 v[6:7], v[156:157], v[62:63]
	v_fmac_f64_e32 v[6:7], v[158:159], v[60:61]
	v_accvgpr_write_b32 a111, v11
	v_add_f64 v[0:1], v[0:1], v[6:7]
	v_mul_f64 v[6:7], v[222:223], v[166:167]
	v_accvgpr_write_b32 a110, v10
	v_accvgpr_write_b32 a109, v9
	;; [unrolled: 1-line block ×3, first 2 shown]
	v_fma_f64 v[8:9], v[220:221], v[164:165], -v[6:7]
	ds_read_b128 v[164:167], v2 offset:1408
	v_mul_f64 v[170:171], v[174:175], v[170:171]
	v_fma_f64 v[6:7], v[172:173], v[168:169], -v[170:171]
	ds_read_b128 v[168:171], v2 offset:1424
	s_waitcnt vmcnt(10) lgkmcnt(2)
	v_mul_f64 v[216:217], v[160:161], v[66:67]
	v_fmac_f64_e32 v[216:217], v[162:163], v[64:65]
	s_waitcnt vmcnt(9) lgkmcnt(1)
	v_mul_f64 v[10:11], v[164:165], v[70:71]
	v_add_f64 v[0:1], v[0:1], v[216:217]
	v_fmac_f64_e32 v[10:11], v[166:167], v[68:69]
	v_add_f64 v[0:1], v[0:1], v[10:11]
	s_waitcnt vmcnt(8) lgkmcnt(0)
	v_mul_f64 v[10:11], v[168:169], v[74:75]
	v_fmac_f64_e32 v[10:11], v[170:171], v[72:73]
	ds_read_b128 v[172:175], v2 offset:1440
	v_add_f64 v[0:1], v[0:1], v[10:11]
	v_mul_f64 v[10:11], v[214:215], v[178:179]
	v_fma_f64 v[10:11], v[212:213], v[176:177], -v[10:11]
	ds_read_b128 v[176:179], v2 offset:1456
	v_mul_f64 v[182:183], v[186:187], v[182:183]
	v_fma_f64 v[4:5], v[184:185], v[180:181], -v[182:183]
	ds_read_b128 v[180:183], v2 offset:1472
	ds_read_b128 v[184:187], v2 offset:1488
	s_waitcnt vmcnt(7) lgkmcnt(3)
	v_mul_f64 v[212:213], v[172:173], v[78:79]
	v_fmac_f64_e32 v[212:213], v[174:175], v[76:77]
	s_waitcnt vmcnt(6) lgkmcnt(2)
	v_mul_f64 v[14:15], v[176:177], v[82:83]
	v_add_f64 v[0:1], v[0:1], v[212:213]
	v_fmac_f64_e32 v[14:15], v[178:179], v[80:81]
	v_add_f64 v[0:1], v[0:1], v[14:15]
	s_waitcnt vmcnt(5) lgkmcnt(1)
	v_mul_f64 v[14:15], v[180:181], v[86:87]
	v_fmac_f64_e32 v[14:15], v[182:183], v[84:85]
	v_add_f64 v[14:15], v[0:1], v[14:15]
	v_mul_f64 v[0:1], v[198:199], v[190:191]
	v_fma_f64 v[0:1], v[196:197], v[188:189], -v[0:1]
	ds_read_b128 v[188:191], v2 offset:1504
	v_mul_f64 v[194:195], v[210:211], v[194:195]
	s_waitcnt vmcnt(4) lgkmcnt(1)
	v_mul_f64 v[196:197], v[184:185], v[90:91]
	v_fma_f64 v[192:193], v[208:209], v[192:193], -v[194:195]
	v_fmac_f64_e32 v[196:197], v[186:187], v[88:89]
	v_accvgpr_write_b32 a116, v192
	v_accvgpr_write_b32 a117, v193
	ds_read_b128 v[192:195], v2 offset:1520
	v_add_f64 v[14:15], v[14:15], v[196:197]
	s_waitcnt vmcnt(3) lgkmcnt(1)
	v_mul_f64 v[196:197], v[188:189], v[98:99]
	v_fmac_f64_e32 v[196:197], v[190:191], v[96:97]
	v_add_f64 v[14:15], v[14:15], v[196:197]
	ds_read_b128 v[196:199], v2 offset:1536
	v_mul_f64 v[202:203], v[206:207], v[202:203]
	v_fma_f64 v[246:247], v[204:205], v[200:201], -v[202:203]
	ds_read_b128 v[200:203], v2 offset:1552
	s_waitcnt vmcnt(2) lgkmcnt(2)
	v_mul_f64 v[204:205], v[192:193], v[94:95]
	v_fmac_f64_e32 v[204:205], v[194:195], v[92:93]
	v_add_f64 v[14:15], v[14:15], v[204:205]
	s_waitcnt vmcnt(1) lgkmcnt(1)
	v_mul_f64 v[204:205], v[196:197], v[102:103]
	v_fmac_f64_e32 v[204:205], v[198:199], v[100:101]
	v_add_f64 v[14:15], v[14:15], v[204:205]
	;; [unrolled: 4-line block ×3, first 2 shown]
	scratch_load_dwordx4 v[204:207], off, off offset:768
	scratch_load_dwordx4 v[232:235], off, off offset:816
	ds_read_b128 v[208:211], v2 offset:1568
	ds_read_b128 v[216:219], v2 offset:1584
	;; [unrolled: 1-line block ×3, first 2 shown]
	s_waitcnt vmcnt(1) lgkmcnt(2)
	v_mul_f64 v[212:213], v[208:209], v[206:207]
	v_fmac_f64_e32 v[212:213], v[210:211], v[204:205]
	v_add_f64 v[14:15], v[14:15], v[212:213]
	scratch_load_dwordx4 v[212:215], off, off offset:784
	s_waitcnt vmcnt(0) lgkmcnt(1)
	v_mul_f64 v[220:221], v[216:217], v[214:215]
	v_fmac_f64_e32 v[220:221], v[218:219], v[212:213]
	v_add_f64 v[14:15], v[14:15], v[220:221]
	scratch_load_dwordx4 v[220:223], off, off offset:800
	s_waitcnt vmcnt(0) lgkmcnt(0)
	v_mul_f64 v[228:229], v[224:225], v[222:223]
	v_fmac_f64_e32 v[228:229], v[226:227], v[220:221]
	v_add_f64 v[14:15], v[14:15], v[228:229]
	ds_read_b128 v[228:231], v2 offset:1616
	s_waitcnt lgkmcnt(0)
	v_mul_f64 v[2:3], v[228:229], v[234:235]
	v_fmac_f64_e32 v[2:3], v[230:231], v[232:233]
	v_add_f64 v[2:3], v[14:15], v[2:3]
	v_add_f64 v[14:15], v[240:241], 0
	;; [unrolled: 1-line block ×5, first 2 shown]
	scratch_load_dwordx4 v[236:239], off, off offset:80
	v_add_f64 v[14:15], v[14:15], v[248:249]
	v_add_f64 v[14:15], v[14:15], v[250:251]
	v_add_f64 v[14:15], v[14:15], v[252:253]
	v_add_f64 v[14:15], v[14:15], v[254:255]
	v_add_f64 v[14:15], v[14:15], v[244:245]
	v_add_f64 v[12:13], v[14:15], v[12:13]
	v_add_f64 v[8:9], v[12:13], v[8:9]
	v_add_f64 v[6:7], v[8:9], v[6:7]
	v_add_f64 v[6:7], v[6:7], v[10:11]
	v_add_f64 v[4:5], v[6:7], v[4:5]
	v_accvgpr_read_b32 v6, a104
	v_add_f64 v[248:249], v[4:5], v[0:1]
	v_accvgpr_read_b32 v0, a116
	v_accvgpr_read_b32 v8, a106
	v_accvgpr_read_b32 v9, a107
	v_accvgpr_read_b32 v1, a117
	v_accvgpr_read_b32 v7, a105
	v_mul_f64 v[4:5], v[22:23], v[8:9]
	v_add_f64 v[0:1], v[248:249], v[0:1]
	v_fma_f64 v[4:5], v[20:21], v[6:7], -v[4:5]
	v_accvgpr_read_b32 v6, a108
	v_add_f64 v[0:1], v[0:1], v[246:247]
	v_accvgpr_read_b32 v8, a110
	v_accvgpr_read_b32 v9, a111
	v_add_f64 v[0:1], v[0:1], v[4:5]
	v_accvgpr_read_b32 v7, a109
	v_mul_f64 v[4:5], v[110:111], v[8:9]
	v_fma_f64 v[4:5], v[108:109], v[6:7], -v[4:5]
	v_accvgpr_read_b32 v6, a112
	v_accvgpr_read_b32 v8, a114
	;; [unrolled: 1-line block ×3, first 2 shown]
	v_add_f64 v[0:1], v[0:1], v[4:5]
	v_accvgpr_read_b32 v7, a113
	v_mul_f64 v[4:5], v[114:115], v[8:9]
	v_fma_f64 v[4:5], v[112:113], v[6:7], -v[4:5]
	v_add_f64 v[0:1], v[0:1], v[4:5]
	v_mul_f64 v[4:5], v[118:119], v[18:19]
	v_fma_f64 v[4:5], v[116:117], v[16:17], -v[4:5]
	v_add_f64 v[0:1], v[0:1], v[4:5]
	;; [unrolled: 3-line block ×27, first 2 shown]
	s_waitcnt vmcnt(0)
	v_add_f64 v[4:5], v[236:237], -v[0:1]
	v_accvgpr_read_b32 v0, a102
	v_add_f64 v[6:7], v[238:239], -v[2:3]
	v_cmp_lt_u32_e32 vcc, 3, v0
	scratch_store_dwordx4 off, v[4:7], off offset:80
	s_and_saveexec_b64 s[0:1], vcc
	s_cbranch_execz .LBB114_313
; %bb.312:
	scratch_load_dwordx4 v[2:5], off, s64
	v_mov_b32_e32 v6, 0
	v_mov_b32_e32 v7, v6
	;; [unrolled: 1-line block ×4, first 2 shown]
	v_accvgpr_read_b32 v0, a103
	scratch_store_dwordx4 off, v[6:9], off offset:64
	s_waitcnt vmcnt(1)
	ds_write_b128 v0, v[2:5]
.LBB114_313:
	s_or_b64 exec, exec, s[0:1]
	s_waitcnt lgkmcnt(0)
	; wave barrier
	scratch_load_dwordx4 v[68:71], off, off offset:80
	scratch_load_dwordx4 v[72:75], off, off offset:96
	scratch_load_dwordx4 v[76:79], off, off offset:112
	scratch_load_dwordx4 v[80:83], off, off offset:128
	scratch_load_dwordx4 v[84:87], off, off offset:144
	scratch_load_dwordx4 v[88:91], off, off offset:160
	scratch_load_dwordx4 v[92:95], off, off offset:176
	scratch_load_dwordx4 v[96:99], off, off offset:192
	scratch_load_dwordx4 v[112:115], off, off offset:208
	scratch_load_dwordx4 v[144:147], off, off offset:224
	scratch_load_dwordx4 v[148:151], off, off offset:240
	scratch_load_dwordx4 v[152:155], off, off offset:256
	scratch_load_dwordx4 v[160:163], off, off offset:272
	scratch_load_dwordx4 v[164:167], off, off offset:288
	scratch_load_dwordx4 v[172:175], off, off offset:304
	scratch_load_dwordx4 v[176:179], off, off offset:320
	scratch_load_dwordx4 v[184:187], off, off offset:336
	scratch_load_dwordx4 v[188:191], off, off offset:352
	scratch_load_dwordx4 v[196:199], off, off offset:368
	scratch_load_dwordx4 v[4:7], off, off offset:384
	scratch_load_dwordx4 v[8:11], off, off offset:400
	scratch_load_dwordx4 v[12:15], off, off offset:416
	scratch_load_dwordx4 v[16:19], off, off offset:432
	scratch_load_dwordx4 v[20:23], off, off offset:448
	scratch_load_dwordx4 v[234:237], off, off offset:464
	scratch_load_dwordx4 v[28:31], off, off offset:480
	scratch_load_dwordx4 v[32:35], off, off offset:496
	scratch_load_dwordx4 v[36:39], off, off offset:512
	v_mov_b32_e32 v2, 0
	ds_read_b128 v[124:127], v2 offset:880
	ds_read_b128 v[128:131], v2 offset:896
	;; [unrolled: 1-line block ×23, first 2 shown]
	s_waitcnt vmcnt(27) lgkmcnt(14)
	v_mul_f64 v[0:1], v[124:125], v[70:71]
	s_waitcnt vmcnt(26)
	v_mul_f64 v[40:41], v[128:129], v[74:75]
	v_fmac_f64_e32 v[0:1], v[126:127], v[68:69]
	s_waitcnt vmcnt(25)
	v_mul_f64 v[42:43], v[132:133], v[78:79]
	v_fmac_f64_e32 v[40:41], v[130:131], v[72:73]
	v_add_f64 v[0:1], v[0:1], 0
	s_waitcnt vmcnt(24)
	v_mul_f64 v[44:45], v[136:137], v[82:83]
	v_fmac_f64_e32 v[42:43], v[134:135], v[76:77]
	v_add_f64 v[0:1], v[0:1], v[40:41]
	;; [unrolled: 4-line block ×7, first 2 shown]
	s_waitcnt vmcnt(18) lgkmcnt(13)
	v_mul_f64 v[56:57], v[200:201], v[146:147]
	v_fmac_f64_e32 v[54:55], v[194:195], v[112:113]
	v_add_f64 v[0:1], v[0:1], v[52:53]
	s_waitcnt vmcnt(17) lgkmcnt(12)
	v_mul_f64 v[58:59], v[204:205], v[150:151]
	v_fmac_f64_e32 v[56:57], v[202:203], v[144:145]
	v_add_f64 v[0:1], v[0:1], v[54:55]
	;; [unrolled: 4-line block ×7, first 2 shown]
	scratch_load_dwordx4 v[40:43], off, off offset:528
	scratch_load_dwordx4 v[44:47], off, off offset:544
	s_waitcnt vmcnt(13) lgkmcnt(6)
	v_mul_f64 v[102:103], v[228:229], v[186:187]
	v_fmac_f64_e32 v[100:101], v[226:227], v[176:177]
	v_add_f64 v[0:1], v[0:1], v[66:67]
	v_add_f64 v[0:1], v[0:1], v[100:101]
	v_fmac_f64_e32 v[102:103], v[230:231], v[184:185]
	v_add_f64 v[0:1], v[0:1], v[102:103]
	ds_read_b128 v[100:103], v2 offset:1184
	s_waitcnt vmcnt(12) lgkmcnt(6)
	v_mul_f64 v[48:49], v[244:245], v[190:191]
	v_fmac_f64_e32 v[48:49], v[246:247], v[188:189]
	v_add_f64 v[0:1], v[0:1], v[48:49]
	s_waitcnt vmcnt(11) lgkmcnt(5)
	v_mul_f64 v[48:49], v[248:249], v[198:199]
	v_fmac_f64_e32 v[48:49], v[250:251], v[196:197]
	v_add_f64 v[0:1], v[0:1], v[48:49]
	scratch_load_dwordx4 v[48:51], off, off offset:560
	scratch_load_dwordx4 v[52:55], off, off offset:576
	s_waitcnt vmcnt(12) lgkmcnt(0)
	v_mul_f64 v[56:57], v[100:101], v[6:7]
	v_accvgpr_write_b32 a107, v7
	v_fmac_f64_e32 v[56:57], v[102:103], v[4:5]
	v_accvgpr_write_b32 a106, v6
	v_accvgpr_write_b32 a105, v5
	v_accvgpr_write_b32 a104, v4
	s_waitcnt vmcnt(11)
	v_mov_b64_e32 v[4:5], v[8:9]
	v_mov_b64_e32 v[6:7], v[10:11]
	v_add_f64 v[0:1], v[0:1], v[56:57]
	v_mul_f64 v[56:57], v[104:105], v[6:7]
	v_fmac_f64_e32 v[56:57], v[106:107], v[4:5]
	v_add_f64 v[0:1], v[0:1], v[56:57]
	scratch_load_dwordx4 v[56:59], off, off offset:592
	s_waitcnt vmcnt(11)
	v_mov_b64_e32 v[4:5], v[12:13]
	v_mov_b64_e32 v[6:7], v[14:15]
	v_mul_f64 v[60:61], v[108:109], v[6:7]
	v_fmac_f64_e32 v[60:61], v[110:111], v[4:5]
	s_waitcnt vmcnt(10)
	v_mov_b64_e32 v[4:5], v[16:17]
	v_mov_b64_e32 v[6:7], v[18:19]
	v_add_f64 v[0:1], v[0:1], v[60:61]
	scratch_load_dwordx4 v[60:63], off, off offset:608
	v_mul_f64 v[64:65], v[116:117], v[6:7]
	v_fmac_f64_e32 v[64:65], v[118:119], v[4:5]
	v_add_f64 v[0:1], v[0:1], v[64:65]
	scratch_load_dwordx4 v[64:67], off, off offset:624
	v_mul_f64 v[70:71], v[126:127], v[70:71]
	s_waitcnt vmcnt(11)
	v_mov_b64_e32 v[4:5], v[20:21]
	v_fma_f64 v[240:241], v[124:125], v[68:69], -v[70:71]
	v_mov_b64_e32 v[6:7], v[22:23]
	scratch_load_dwordx4 v[68:71], off, off offset:640
	v_mul_f64 v[124:125], v[120:121], v[6:7]
	v_mul_f64 v[74:75], v[130:131], v[74:75]
	v_fmac_f64_e32 v[124:125], v[122:123], v[4:5]
	v_fma_f64 v[242:243], v[128:129], v[72:73], -v[74:75]
	scratch_load_dwordx4 v[72:75], off, off offset:656
	v_mul_f64 v[78:79], v[134:135], v[78:79]
	v_add_f64 v[0:1], v[0:1], v[124:125]
	ds_read_b128 v[124:127], v2 offset:1264
	ds_read_b128 v[128:131], v2 offset:1280
	v_fma_f64 v[252:253], v[132:133], v[76:77], -v[78:79]
	v_mul_f64 v[76:77], v[138:139], v[82:83]
	v_fma_f64 v[254:255], v[136:137], v[80:81], -v[76:77]
	scratch_load_dwordx4 v[76:79], off, off offset:672
	s_waitcnt vmcnt(13) lgkmcnt(1)
	v_mul_f64 v[132:133], v[124:125], v[236:237]
	v_fmac_f64_e32 v[132:133], v[126:127], v[234:235]
	v_add_f64 v[0:1], v[0:1], v[132:133]
	s_waitcnt vmcnt(12) lgkmcnt(0)
	v_mul_f64 v[132:133], v[128:129], v[30:31]
	scratch_load_dwordx4 v[80:83], off, off offset:688
	v_fmac_f64_e32 v[132:133], v[130:131], v[28:29]
	v_mul_f64 v[86:87], v[142:143], v[86:87]
	v_add_f64 v[0:1], v[0:1], v[132:133]
	v_fma_f64 v[232:233], v[140:141], v[84:85], -v[86:87]
	ds_read_b128 v[132:135], v2 offset:1296
	v_mul_f64 v[84:85], v[158:159], v[90:91]
	v_fma_f64 v[24:25], v[156:157], v[88:89], -v[84:85]
	scratch_load_dwordx4 v[88:91], off, off offset:704
	scratch_load_dwordx4 v[84:87], off, off offset:720
	v_accvgpr_write_b32 a123, v23
	v_mul_f64 v[6:7], v[170:171], v[94:95]
	v_accvgpr_write_b32 a122, v22
	v_accvgpr_write_b32 a121, v21
	v_accvgpr_write_b32 a120, v20
	v_fma_f64 v[20:21], v[168:169], v[92:93], -v[6:7]
	s_waitcnt vmcnt(14) lgkmcnt(0)
	v_mul_f64 v[6:7], v[132:133], v[34:35]
	v_fmac_f64_e32 v[6:7], v[134:135], v[32:33]
	v_accvgpr_write_b32 a119, v19
	v_add_f64 v[0:1], v[0:1], v[6:7]
	v_mul_f64 v[6:7], v[182:183], v[98:99]
	v_accvgpr_write_b32 a118, v18
	v_accvgpr_write_b32 a117, v17
	;; [unrolled: 1-line block ×3, first 2 shown]
	ds_read_b128 v[136:139], v2 offset:1312
	v_fma_f64 v[16:17], v[180:181], v[96:97], -v[6:7]
	scratch_load_dwordx4 v[96:99], off, off offset:736
	scratch_load_dwordx4 v[92:95], off, off offset:752
	v_accvgpr_write_b32 a115, v15
	v_mul_f64 v[6:7], v[194:195], v[114:115]
	v_accvgpr_write_b32 a114, v14
	v_accvgpr_write_b32 a113, v13
	v_accvgpr_write_b32 a112, v12
	v_fma_f64 v[12:13], v[192:193], v[112:113], -v[6:7]
	scratch_load_dwordx4 v[112:115], off, off offset:768
	ds_read_b128 v[140:143], v2 offset:1328
	s_waitcnt vmcnt(16) lgkmcnt(1)
	v_mul_f64 v[6:7], v[136:137], v[38:39]
	v_fmac_f64_e32 v[6:7], v[138:139], v[36:37]
	v_add_f64 v[0:1], v[0:1], v[6:7]
	v_mul_f64 v[6:7], v[202:203], v[146:147]
	v_fma_f64 v[14:15], v[200:201], v[144:145], -v[6:7]
	ds_read_b128 v[144:147], v2 offset:1344
	s_waitcnt vmcnt(15) lgkmcnt(1)
	v_mul_f64 v[6:7], v[140:141], v[42:43]
	v_fmac_f64_e32 v[6:7], v[142:143], v[40:41]
	v_accvgpr_write_b32 a111, v11
	v_add_f64 v[0:1], v[0:1], v[6:7]
	v_mul_f64 v[6:7], v[206:207], v[150:151]
	v_accvgpr_write_b32 a110, v10
	v_accvgpr_write_b32 a109, v9
	;; [unrolled: 1-line block ×3, first 2 shown]
	v_fma_f64 v[10:11], v[204:205], v[148:149], -v[6:7]
	ds_read_b128 v[148:151], v2 offset:1360
	v_mul_f64 v[18:19], v[210:211], v[154:155]
	v_fma_f64 v[18:19], v[208:209], v[152:153], -v[18:19]
	ds_read_b128 v[152:155], v2 offset:1376
	s_waitcnt vmcnt(14) lgkmcnt(2)
	v_mul_f64 v[6:7], v[144:145], v[46:47]
	v_fmac_f64_e32 v[6:7], v[146:147], v[44:45]
	v_add_f64 v[0:1], v[0:1], v[6:7]
	s_waitcnt vmcnt(13) lgkmcnt(1)
	v_mul_f64 v[6:7], v[148:149], v[50:51]
	ds_read_b128 v[156:159], v2 offset:1392
	v_fmac_f64_e32 v[6:7], v[150:151], v[48:49]
	v_add_f64 v[0:1], v[0:1], v[6:7]
	s_waitcnt vmcnt(12) lgkmcnt(1)
	v_mul_f64 v[6:7], v[152:153], v[54:55]
	v_fmac_f64_e32 v[6:7], v[154:155], v[52:53]
	v_add_f64 v[0:1], v[0:1], v[6:7]
	v_mul_f64 v[6:7], v[214:215], v[162:163]
	v_fma_f64 v[8:9], v[212:213], v[160:161], -v[6:7]
	ds_read_b128 v[160:163], v2 offset:1408
	s_waitcnt vmcnt(11) lgkmcnt(1)
	v_mul_f64 v[6:7], v[156:157], v[58:59]
	v_fmac_f64_e32 v[6:7], v[158:159], v[56:57]
	v_add_f64 v[0:1], v[0:1], v[6:7]
	v_mul_f64 v[6:7], v[218:219], v[166:167]
	v_fma_f64 v[22:23], v[216:217], v[164:165], -v[6:7]
	ds_read_b128 v[164:167], v2 offset:1424
	ds_read_b128 v[168:171], v2 offset:1440
	s_waitcnt vmcnt(10) lgkmcnt(2)
	v_mul_f64 v[6:7], v[160:161], v[62:63]
	v_fmac_f64_e32 v[6:7], v[162:163], v[60:61]
	v_add_f64 v[0:1], v[0:1], v[6:7]
	s_waitcnt vmcnt(9) lgkmcnt(1)
	v_mul_f64 v[6:7], v[164:165], v[66:67]
	v_fmac_f64_e32 v[6:7], v[166:167], v[64:65]
	v_add_f64 v[0:1], v[0:1], v[6:7]
	v_mul_f64 v[6:7], v[222:223], v[174:175]
	v_fma_f64 v[4:5], v[220:221], v[172:173], -v[6:7]
	ds_read_b128 v[172:175], v2 offset:1456
	v_mul_f64 v[6:7], v[226:227], v[178:179]
	v_fma_f64 v[6:7], v[224:225], v[176:177], -v[6:7]
	ds_read_b128 v[176:179], v2 offset:1472
	s_waitcnt vmcnt(8) lgkmcnt(2)
	v_mul_f64 v[26:27], v[168:169], v[70:71]
	v_fmac_f64_e32 v[26:27], v[170:171], v[68:69]
	v_add_f64 v[0:1], v[0:1], v[26:27]
	s_waitcnt vmcnt(7) lgkmcnt(1)
	v_mul_f64 v[26:27], v[172:173], v[74:75]
	v_fmac_f64_e32 v[26:27], v[174:175], v[72:73]
	v_add_f64 v[0:1], v[0:1], v[26:27]
	s_waitcnt vmcnt(6) lgkmcnt(0)
	v_mul_f64 v[26:27], v[176:177], v[78:79]
	v_fmac_f64_e32 v[26:27], v[178:179], v[76:77]
	ds_read_b128 v[180:183], v2 offset:1488
	v_add_f64 v[26:27], v[0:1], v[26:27]
	v_mul_f64 v[0:1], v[230:231], v[186:187]
	v_fma_f64 v[0:1], v[228:229], v[184:185], -v[0:1]
	ds_read_b128 v[184:187], v2 offset:1504
	s_waitcnt vmcnt(5) lgkmcnt(1)
	v_mul_f64 v[192:193], v[180:181], v[82:83]
	v_fmac_f64_e32 v[192:193], v[182:183], v[80:81]
	v_mul_f64 v[190:191], v[246:247], v[190:191]
	v_add_f64 v[26:27], v[26:27], v[192:193]
	v_fma_f64 v[238:239], v[244:245], v[188:189], -v[190:191]
	ds_read_b128 v[188:191], v2 offset:1520
	s_waitcnt vmcnt(4) lgkmcnt(1)
	v_mul_f64 v[192:193], v[184:185], v[90:91]
	v_fmac_f64_e32 v[192:193], v[186:187], v[88:89]
	v_add_f64 v[26:27], v[26:27], v[192:193]
	ds_read_b128 v[192:195], v2 offset:1536
	v_mul_f64 v[198:199], v[250:251], v[198:199]
	v_fma_f64 v[244:245], v[248:249], v[196:197], -v[198:199]
	ds_read_b128 v[196:199], v2 offset:1552
	ds_read_b128 v[208:211], v2 offset:1584
	s_waitcnt vmcnt(3) lgkmcnt(3)
	v_mul_f64 v[200:201], v[188:189], v[86:87]
	v_fmac_f64_e32 v[200:201], v[190:191], v[84:85]
	v_add_f64 v[26:27], v[26:27], v[200:201]
	s_waitcnt vmcnt(2) lgkmcnt(2)
	v_mul_f64 v[200:201], v[192:193], v[98:99]
	v_fmac_f64_e32 v[200:201], v[194:195], v[96:97]
	v_add_f64 v[26:27], v[26:27], v[200:201]
	;; [unrolled: 4-line block ×3, first 2 shown]
	ds_read_b128 v[200:203], v2 offset:1568
	ds_read_b128 v[216:219], v2 offset:1600
	;; [unrolled: 1-line block ×3, first 2 shown]
	s_waitcnt vmcnt(0) lgkmcnt(2)
	v_mul_f64 v[204:205], v[200:201], v[114:115]
	v_fmac_f64_e32 v[204:205], v[202:203], v[112:113]
	v_add_f64 v[26:27], v[26:27], v[204:205]
	scratch_load_dwordx4 v[204:207], off, off offset:784
	s_waitcnt vmcnt(0)
	v_mul_f64 v[212:213], v[208:209], v[206:207]
	v_fmac_f64_e32 v[212:213], v[210:211], v[204:205]
	v_add_f64 v[26:27], v[26:27], v[212:213]
	scratch_load_dwordx4 v[212:215], off, off offset:800
	s_waitcnt vmcnt(0) lgkmcnt(1)
	v_mul_f64 v[220:221], v[216:217], v[214:215]
	v_fmac_f64_e32 v[220:221], v[218:219], v[212:213]
	v_add_f64 v[26:27], v[26:27], v[220:221]
	scratch_load_dwordx4 v[220:223], off, off offset:816
	s_waitcnt vmcnt(0) lgkmcnt(0)
	v_mul_f64 v[228:229], v[224:225], v[222:223]
	v_fmac_f64_e32 v[228:229], v[226:227], v[220:221]
	v_add_f64 v[248:249], v[26:27], v[228:229]
	scratch_load_dwordx4 v[228:231], off, off offset:64
	v_add_f64 v[26:27], v[240:241], 0
	v_add_f64 v[26:27], v[26:27], v[242:243]
	;; [unrolled: 1-line block ×16, first 2 shown]
	v_accvgpr_read_b32 v6, a104
	v_accvgpr_read_b32 v8, a106
	;; [unrolled: 1-line block ×3, first 2 shown]
	v_add_f64 v[0:1], v[4:5], v[0:1]
	v_accvgpr_read_b32 v7, a105
	v_mul_f64 v[4:5], v[102:103], v[8:9]
	v_add_f64 v[0:1], v[0:1], v[238:239]
	v_fma_f64 v[4:5], v[100:101], v[6:7], -v[4:5]
	v_accvgpr_read_b32 v6, a108
	v_add_f64 v[0:1], v[0:1], v[244:245]
	v_accvgpr_read_b32 v8, a110
	v_accvgpr_read_b32 v9, a111
	v_add_f64 v[0:1], v[0:1], v[4:5]
	v_accvgpr_read_b32 v7, a109
	v_mul_f64 v[4:5], v[106:107], v[8:9]
	v_fma_f64 v[4:5], v[104:105], v[6:7], -v[4:5]
	v_accvgpr_read_b32 v6, a112
	v_accvgpr_read_b32 v8, a114
	v_accvgpr_read_b32 v9, a115
	v_add_f64 v[0:1], v[0:1], v[4:5]
	v_accvgpr_read_b32 v7, a113
	v_mul_f64 v[4:5], v[110:111], v[8:9]
	v_fma_f64 v[4:5], v[108:109], v[6:7], -v[4:5]
	v_accvgpr_read_b32 v6, a116
	;; [unrolled: 7-line block ×3, first 2 shown]
	v_accvgpr_read_b32 v8, a122
	v_accvgpr_read_b32 v9, a123
	v_add_f64 v[0:1], v[0:1], v[4:5]
	v_accvgpr_read_b32 v7, a121
	v_mul_f64 v[4:5], v[122:123], v[8:9]
	v_fma_f64 v[4:5], v[120:121], v[6:7], -v[4:5]
	v_add_f64 v[0:1], v[0:1], v[4:5]
	v_mul_f64 v[4:5], v[126:127], v[236:237]
	v_fma_f64 v[4:5], v[124:125], v[234:235], -v[4:5]
	v_add_f64 v[0:1], v[0:1], v[4:5]
	;; [unrolled: 3-line block ×24, first 2 shown]
	s_waitcnt vmcnt(0)
	v_add_f64 v[4:5], v[228:229], -v[0:1]
	v_accvgpr_read_b32 v0, a102
	v_add_f64 v[6:7], v[230:231], -v[248:249]
	v_cmp_lt_u32_e32 vcc, 2, v0
	scratch_store_dwordx4 off, v[4:7], off offset:64
	s_and_saveexec_b64 s[0:1], vcc
	s_cbranch_execz .LBB114_315
; %bb.314:
	scratch_load_dwordx4 v[6:9], off, s65
	v_mov_b32_e32 v3, v2
	v_mov_b32_e32 v4, v2
	;; [unrolled: 1-line block ×3, first 2 shown]
	v_accvgpr_read_b32 v0, a103
	scratch_store_dwordx4 off, v[2:5], off offset:48
	s_waitcnt vmcnt(1)
	ds_write_b128 v0, v[6:9]
.LBB114_315:
	s_or_b64 exec, exec, s[0:1]
	s_waitcnt lgkmcnt(0)
	; wave barrier
	scratch_load_dwordx4 v[40:43], off, off offset:64
	scratch_load_dwordx4 v[44:47], off, off offset:80
	;; [unrolled: 1-line block ×18, first 2 shown]
	ds_read_b128 v[164:167], v2 offset:864
	ds_read_b128 v[232:235], v2 offset:880
	ds_read_b128 v[168:171], v2 offset:896
	ds_read_b128 v[220:223], v2 offset:912
	ds_read_b128 v[172:175], v2 offset:928
	ds_read_b128 v[176:179], v2 offset:944
	scratch_load_dwordx4 v[140:143], off, off offset:352
	ds_read_b128 v[224:227], v2 offset:960
	ds_read_b128 v[212:215], v2 offset:976
	;; [unrolled: 1-line block ×3, first 2 shown]
	scratch_load_dwordx4 v[4:7], off, off offset:368
	ds_read_b128 v[228:231], v2 offset:1008
	ds_read_b128 v[216:219], v2 offset:1024
	;; [unrolled: 1-line block ×5, first 2 shown]
	scratch_load_dwordx4 v[8:11], off, off offset:384
	ds_read_b128 v[208:211], v2 offset:1088
	ds_read_b128 v[196:199], v2 offset:1104
	;; [unrolled: 1-line block ×3, first 2 shown]
	scratch_load_dwordx4 v[12:15], off, off offset:400
	ds_read_b128 v[200:203], v2 offset:1136
	scratch_load_dwordx4 v[16:19], off, off offset:416
	scratch_load_dwordx4 v[20:23], off, off offset:432
	;; [unrolled: 1-line block ×7, first 2 shown]
	ds_read_b128 v[236:239], v2 offset:1152
	ds_read_b128 v[156:159], v2 offset:1216
	ds_read_b128 v[160:163], v2 offset:1232
	ds_read_b128 v[152:155], v2 offset:1200
	s_waitcnt vmcnt(28) lgkmcnt(14)
	v_mul_f64 v[0:1], v[164:165], v[42:43]
	s_waitcnt vmcnt(27)
	v_mul_f64 v[108:109], v[232:233], v[46:47]
	v_fmac_f64_e32 v[0:1], v[166:167], v[40:41]
	s_waitcnt vmcnt(26)
	v_mul_f64 v[110:111], v[168:169], v[50:51]
	v_fmac_f64_e32 v[108:109], v[234:235], v[44:45]
	v_add_f64 v[0:1], v[0:1], 0
	s_waitcnt vmcnt(25)
	v_mul_f64 v[116:117], v[220:221], v[54:55]
	v_fmac_f64_e32 v[110:111], v[170:171], v[48:49]
	v_add_f64 v[0:1], v[0:1], v[108:109]
	;; [unrolled: 4-line block ×6, first 2 shown]
	s_waitcnt vmcnt(20) lgkmcnt(13)
	v_mul_f64 v[126:127], v[180:181], v[78:79]
	v_fmac_f64_e32 v[124:125], v[214:215], v[68:69]
	v_add_f64 v[0:1], v[0:1], v[122:123]
	s_waitcnt vmcnt(19) lgkmcnt(12)
	v_mul_f64 v[128:129], v[228:229], v[82:83]
	v_fmac_f64_e32 v[126:127], v[182:183], v[76:77]
	v_add_f64 v[0:1], v[0:1], v[124:125]
	;; [unrolled: 4-line block ×9, first 2 shown]
	v_add_f64 v[0:1], v[0:1], v[148:149]
	v_fmac_f64_e32 v[150:151], v[186:187], v[112:113]
	s_waitcnt vmcnt(11) lgkmcnt(4)
	v_mul_f64 v[116:117], v[200:201], v[138:139]
	v_add_f64 v[0:1], v[0:1], v[150:151]
	v_fmac_f64_e32 v[116:117], v[202:203], v[136:137]
	v_add_f64 v[0:1], v[0:1], v[116:117]
	ds_read_b128 v[144:147], v2 offset:1168
	s_waitcnt vmcnt(10) lgkmcnt(4)
	v_mul_f64 v[116:117], v[236:237], v[142:143]
	scratch_load_dwordx4 v[108:111], off, off offset:528
	v_fmac_f64_e32 v[116:117], v[238:239], v[140:141]
	v_add_f64 v[0:1], v[0:1], v[116:117]
	scratch_load_dwordx4 v[116:119], off, off offset:544
	ds_read_b128 v[148:151], v2 offset:1184
	scratch_load_dwordx4 v[120:123], off, off offset:560
	s_waitcnt vmcnt(12) lgkmcnt(1)
	v_mul_f64 v[124:125], v[144:145], v[6:7]
	v_fmac_f64_e32 v[124:125], v[146:147], v[4:5]
	v_add_f64 v[0:1], v[0:1], v[124:125]
	s_waitcnt vmcnt(11) lgkmcnt(0)
	v_mul_f64 v[124:125], v[148:149], v[10:11]
	v_fmac_f64_e32 v[124:125], v[150:151], v[8:9]
	s_waitcnt vmcnt(10)
	v_mul_f64 v[128:129], v[152:153], v[14:15]
	v_add_f64 v[0:1], v[0:1], v[124:125]
	scratch_load_dwordx4 v[124:127], off, off offset:576
	v_fmac_f64_e32 v[128:129], v[154:155], v[12:13]
	v_add_f64 v[0:1], v[0:1], v[128:129]
	scratch_load_dwordx4 v[128:131], off, off offset:592
	s_waitcnt vmcnt(11)
	v_mul_f64 v[132:133], v[156:157], v[18:19]
	v_fmac_f64_e32 v[132:133], v[158:159], v[16:17]
	v_add_f64 v[0:1], v[0:1], v[132:133]
	scratch_load_dwordx4 v[132:135], off, off offset:608
	v_mul_f64 v[42:43], v[166:167], v[42:43]
	v_fma_f64 v[240:241], v[164:165], v[40:41], -v[42:43]
	scratch_load_dwordx4 v[40:43], off, off offset:624
	v_mul_f64 v[46:47], v[234:235], v[46:47]
	v_fma_f64 v[242:243], v[232:233], v[44:45], -v[46:47]
	;; [unrolled: 3-line block ×3, first 2 shown]
	v_mul_f64 v[48:49], v[222:223], v[54:55]
	v_fma_f64 v[250:251], v[220:221], v[52:53], -v[48:49]
	scratch_load_dwordx4 v[48:51], off, off offset:656
	scratch_load_dwordx4 v[52:55], off, off offset:672
	s_waitcnt vmcnt(15)
	v_mul_f64 v[164:165], v[160:161], v[22:23]
	v_fmac_f64_e32 v[164:165], v[162:163], v[20:21]
	v_add_f64 v[0:1], v[0:1], v[164:165]
	ds_read_b128 v[164:167], v2 offset:1248
	ds_read_b128 v[168:171], v2 offset:1264
	v_mul_f64 v[58:59], v[174:175], v[58:59]
	v_fma_f64 v[252:253], v[172:173], v[56:57], -v[58:59]
	ds_read_b128 v[172:175], v2 offset:1280
	v_mul_f64 v[56:57], v[178:179], v[62:63]
	v_fma_f64 v[254:255], v[176:177], v[60:61], -v[56:57]
	scratch_load_dwordx4 v[60:63], off, off offset:688
	scratch_load_dwordx4 v[56:59], off, off offset:704
	s_waitcnt vmcnt(16) lgkmcnt(2)
	v_mul_f64 v[232:233], v[164:165], v[34:35]
	v_fmac_f64_e32 v[232:233], v[166:167], v[32:33]
	s_waitcnt vmcnt(15) lgkmcnt(1)
	v_mul_f64 v[220:221], v[168:169], v[38:39]
	v_mul_f64 v[66:67], v[226:227], v[66:67]
	v_add_f64 v[0:1], v[0:1], v[232:233]
	v_fmac_f64_e32 v[220:221], v[170:171], v[36:37]
	v_fma_f64 v[244:245], v[224:225], v[64:65], -v[66:67]
	s_waitcnt vmcnt(14) lgkmcnt(0)
	v_mul_f64 v[64:65], v[172:173], v[30:31]
	v_add_f64 v[0:1], v[0:1], v[220:221]
	v_fmac_f64_e32 v[64:65], v[174:175], v[28:29]
	v_accvgpr_write_b32 a131, v23
	v_add_f64 v[0:1], v[0:1], v[64:65]
	v_mul_f64 v[64:65], v[214:215], v[70:71]
	v_accvgpr_write_b32 a130, v22
	v_accvgpr_write_b32 a129, v21
	;; [unrolled: 1-line block ×3, first 2 shown]
	ds_read_b128 v[176:179], v2 offset:1296
	v_fma_f64 v[20:21], v[212:213], v[68:69], -v[64:65]
	scratch_load_dwordx4 v[68:71], off, off offset:720
	scratch_load_dwordx4 v[64:67], off, off offset:736
	v_accvgpr_write_b32 a115, v7
	v_accvgpr_write_b32 a114, v6
	;; [unrolled: 1-line block ×5, first 2 shown]
	v_mul_f64 v[6:7], v[182:183], v[78:79]
	v_accvgpr_write_b32 a126, v18
	v_accvgpr_write_b32 a125, v17
	;; [unrolled: 1-line block ×3, first 2 shown]
	v_fma_f64 v[16:17], v[180:181], v[76:77], -v[6:7]
	s_waitcnt vmcnt(15) lgkmcnt(0)
	v_mul_f64 v[76:77], v[176:177], v[26:27]
	v_fmac_f64_e32 v[76:77], v[178:179], v[24:25]
	v_accvgpr_write_b32 a123, v15
	v_add_f64 v[0:1], v[0:1], v[76:77]
	v_mul_f64 v[76:77], v[230:231], v[82:83]
	v_accvgpr_write_b32 a122, v14
	v_accvgpr_write_b32 a121, v13
	;; [unrolled: 1-line block ×3, first 2 shown]
	v_fma_f64 v[12:13], v[228:229], v[80:81], -v[76:77]
	scratch_load_dwordx4 v[76:79], off, off offset:752
	scratch_load_dwordx4 v[232:235], off, off offset:816
	ds_read_b128 v[180:183], v2 offset:1312
	ds_read_b128 v[80:83], v2 offset:1328
	v_accvgpr_write_b32 a119, v11
	v_accvgpr_write_b32 a118, v10
	;; [unrolled: 1-line block ×4, first 2 shown]
	s_waitcnt vmcnt(16) lgkmcnt(1)
	v_mul_f64 v[10:11], v[180:181], v[74:75]
	v_fmac_f64_e32 v[10:11], v[182:183], v[72:73]
	v_add_f64 v[0:1], v[0:1], v[10:11]
	v_mul_f64 v[10:11], v[218:219], v[86:87]
	v_fma_f64 v[10:11], v[216:217], v[84:85], -v[10:11]
	ds_read_b128 v[84:87], v2 offset:1344
	v_mul_f64 v[90:91], v[190:191], v[90:91]
	v_fma_f64 v[8:9], v[188:189], v[88:89], -v[90:91]
	ds_read_b128 v[88:91], v2 offset:1360
	s_waitcnt vmcnt(15) lgkmcnt(2)
	v_mul_f64 v[212:213], v[80:81], v[110:111]
	v_fmac_f64_e32 v[212:213], v[82:83], v[108:109]
	s_waitcnt vmcnt(14) lgkmcnt(1)
	v_mul_f64 v[14:15], v[84:85], v[118:119]
	v_add_f64 v[0:1], v[0:1], v[212:213]
	v_fmac_f64_e32 v[14:15], v[86:87], v[116:117]
	v_add_f64 v[0:1], v[0:1], v[14:15]
	s_waitcnt vmcnt(13) lgkmcnt(0)
	v_mul_f64 v[14:15], v[88:89], v[122:123]
	v_fmac_f64_e32 v[14:15], v[90:91], v[120:121]
	ds_read_b128 v[188:191], v2 offset:1376
	v_add_f64 v[0:1], v[0:1], v[14:15]
	v_mul_f64 v[14:15], v[206:207], v[94:95]
	v_fma_f64 v[14:15], v[204:205], v[92:93], -v[14:15]
	ds_read_b128 v[92:95], v2 offset:1392
	v_mul_f64 v[98:99], v[194:195], v[98:99]
	v_fma_f64 v[6:7], v[192:193], v[96:97], -v[98:99]
	ds_read_b128 v[96:99], v2 offset:1408
	ds_read_b128 v[192:195], v2 offset:1424
	s_waitcnt vmcnt(12) lgkmcnt(3)
	v_mul_f64 v[204:205], v[188:189], v[126:127]
	v_fmac_f64_e32 v[204:205], v[190:191], v[124:125]
	s_waitcnt vmcnt(11) lgkmcnt(2)
	v_mul_f64 v[18:19], v[92:93], v[130:131]
	v_add_f64 v[0:1], v[0:1], v[204:205]
	v_fmac_f64_e32 v[18:19], v[94:95], v[128:129]
	v_add_f64 v[0:1], v[0:1], v[18:19]
	s_waitcnt vmcnt(10) lgkmcnt(1)
	v_mul_f64 v[18:19], v[96:97], v[134:135]
	v_fmac_f64_e32 v[18:19], v[98:99], v[132:133]
	v_add_f64 v[0:1], v[0:1], v[18:19]
	v_mul_f64 v[18:19], v[210:211], v[102:103]
	v_fma_f64 v[18:19], v[208:209], v[100:101], -v[18:19]
	ds_read_b128 v[100:103], v2 offset:1440
	v_mul_f64 v[106:107], v[198:199], v[106:107]
	v_fma_f64 v[4:5], v[196:197], v[104:105], -v[106:107]
	ds_read_b128 v[104:107], v2 offset:1456
	s_waitcnt vmcnt(9) lgkmcnt(2)
	v_mul_f64 v[204:205], v[192:193], v[42:43]
	v_fmac_f64_e32 v[204:205], v[194:195], v[40:41]
	s_waitcnt vmcnt(8) lgkmcnt(1)
	v_mul_f64 v[22:23], v[100:101], v[46:47]
	v_add_f64 v[0:1], v[0:1], v[204:205]
	v_fmac_f64_e32 v[22:23], v[102:103], v[44:45]
	v_add_f64 v[0:1], v[0:1], v[22:23]
	s_waitcnt vmcnt(7) lgkmcnt(0)
	v_mul_f64 v[22:23], v[104:105], v[50:51]
	ds_read_b128 v[196:199], v2 offset:1472
	v_fmac_f64_e32 v[22:23], v[106:107], v[48:49]
	v_add_f64 v[0:1], v[0:1], v[22:23]
	v_mul_f64 v[22:23], v[186:187], v[114:115]
	v_fma_f64 v[22:23], v[184:185], v[112:113], -v[22:23]
	ds_read_b128 v[112:115], v2 offset:1488
	s_waitcnt vmcnt(6) lgkmcnt(1)
	v_mul_f64 v[184:185], v[196:197], v[54:55]
	v_fmac_f64_e32 v[184:185], v[198:199], v[52:53]
	v_add_f64 v[184:185], v[0:1], v[184:185]
	v_mul_f64 v[0:1], v[202:203], v[138:139]
	v_fma_f64 v[0:1], v[200:201], v[136:137], -v[0:1]
	ds_read_b128 v[136:139], v2 offset:1504
	s_waitcnt vmcnt(5) lgkmcnt(1)
	v_mul_f64 v[186:187], v[112:113], v[62:63]
	v_fmac_f64_e32 v[186:187], v[114:115], v[60:61]
	v_add_f64 v[200:201], v[184:185], v[186:187]
	ds_read_b128 v[184:187], v2 offset:1520
	v_mul_f64 v[142:143], v[238:239], v[142:143]
	v_fma_f64 v[246:247], v[236:237], v[140:141], -v[142:143]
	ds_read_b128 v[140:143], v2 offset:1536
	ds_read_b128 v[208:211], v2 offset:1568
	s_waitcnt vmcnt(4) lgkmcnt(3)
	v_mul_f64 v[202:203], v[136:137], v[58:59]
	v_fmac_f64_e32 v[202:203], v[138:139], v[56:57]
	v_add_f64 v[200:201], v[200:201], v[202:203]
	s_waitcnt vmcnt(3) lgkmcnt(2)
	v_mul_f64 v[202:203], v[184:185], v[70:71]
	v_fmac_f64_e32 v[202:203], v[186:187], v[68:69]
	v_add_f64 v[200:201], v[200:201], v[202:203]
	;; [unrolled: 4-line block ×3, first 2 shown]
	ds_read_b128 v[200:203], v2 offset:1552
	ds_read_b128 v[216:219], v2 offset:1584
	;; [unrolled: 1-line block ×3, first 2 shown]
	s_waitcnt vmcnt(1) lgkmcnt(2)
	v_mul_f64 v[206:207], v[200:201], v[78:79]
	v_fmac_f64_e32 v[206:207], v[202:203], v[76:77]
	v_add_f64 v[212:213], v[204:205], v[206:207]
	scratch_load_dwordx4 v[204:207], off, off offset:768
	s_waitcnt vmcnt(0)
	v_mul_f64 v[214:215], v[208:209], v[206:207]
	v_fmac_f64_e32 v[214:215], v[210:211], v[204:205]
	v_add_f64 v[220:221], v[212:213], v[214:215]
	scratch_load_dwordx4 v[212:215], off, off offset:784
	s_waitcnt vmcnt(0) lgkmcnt(1)
	v_mul_f64 v[222:223], v[216:217], v[214:215]
	v_fmac_f64_e32 v[222:223], v[218:219], v[212:213]
	v_add_f64 v[228:229], v[220:221], v[222:223]
	scratch_load_dwordx4 v[220:223], off, off offset:800
	s_waitcnt vmcnt(0) lgkmcnt(0)
	v_mul_f64 v[230:231], v[224:225], v[222:223]
	v_fmac_f64_e32 v[230:231], v[226:227], v[220:221]
	v_add_f64 v[236:237], v[228:229], v[230:231]
	ds_read_b128 v[228:231], v2 offset:1616
	s_waitcnt lgkmcnt(0)
	v_mul_f64 v[2:3], v[228:229], v[234:235]
	v_fmac_f64_e32 v[2:3], v[230:231], v[232:233]
	v_add_f64 v[2:3], v[236:237], v[2:3]
	v_add_f64 v[236:237], v[240:241], 0
	;; [unrolled: 1-line block ×9, first 2 shown]
	scratch_load_dwordx4 v[236:239], off, off offset:48
	v_add_f64 v[16:17], v[20:21], v[16:17]
	v_add_f64 v[12:13], v[16:17], v[12:13]
	;; [unrolled: 1-line block ×8, first 2 shown]
	v_accvgpr_read_b32 v6, a112
	v_accvgpr_read_b32 v8, a114
	;; [unrolled: 1-line block ×3, first 2 shown]
	v_add_f64 v[248:249], v[4:5], v[22:23]
	v_accvgpr_read_b32 v7, a113
	v_mul_f64 v[4:5], v[146:147], v[8:9]
	v_add_f64 v[0:1], v[248:249], v[0:1]
	v_fma_f64 v[4:5], v[144:145], v[6:7], -v[4:5]
	v_accvgpr_read_b32 v6, a116
	v_add_f64 v[0:1], v[0:1], v[246:247]
	v_accvgpr_read_b32 v8, a118
	v_accvgpr_read_b32 v9, a119
	v_add_f64 v[0:1], v[0:1], v[4:5]
	v_accvgpr_read_b32 v7, a117
	v_mul_f64 v[4:5], v[150:151], v[8:9]
	v_fma_f64 v[4:5], v[148:149], v[6:7], -v[4:5]
	v_accvgpr_read_b32 v6, a120
	v_accvgpr_read_b32 v8, a122
	v_accvgpr_read_b32 v9, a123
	v_add_f64 v[0:1], v[0:1], v[4:5]
	v_accvgpr_read_b32 v7, a121
	v_mul_f64 v[4:5], v[154:155], v[8:9]
	v_fma_f64 v[4:5], v[152:153], v[6:7], -v[4:5]
	v_accvgpr_read_b32 v6, a124
	;; [unrolled: 7-line block ×3, first 2 shown]
	v_accvgpr_read_b32 v8, a130
	v_accvgpr_read_b32 v9, a131
	v_add_f64 v[0:1], v[0:1], v[4:5]
	v_accvgpr_read_b32 v7, a129
	v_mul_f64 v[4:5], v[162:163], v[8:9]
	v_fma_f64 v[4:5], v[160:161], v[6:7], -v[4:5]
	v_add_f64 v[0:1], v[0:1], v[4:5]
	v_mul_f64 v[4:5], v[166:167], v[34:35]
	v_fma_f64 v[4:5], v[164:165], v[32:33], -v[4:5]
	v_add_f64 v[0:1], v[0:1], v[4:5]
	;; [unrolled: 3-line block ×25, first 2 shown]
	s_waitcnt vmcnt(0)
	v_add_f64 v[4:5], v[236:237], -v[0:1]
	v_accvgpr_read_b32 v0, a102
	v_add_f64 v[6:7], v[238:239], -v[2:3]
	v_cmp_lt_u32_e32 vcc, 1, v0
	scratch_store_dwordx4 off, v[4:7], off offset:48
	s_and_saveexec_b64 s[0:1], vcc
	s_cbranch_execz .LBB114_317
; %bb.316:
	scratch_load_dwordx4 v[2:5], off, s66
	v_mov_b32_e32 v6, 0
	v_mov_b32_e32 v7, v6
	;; [unrolled: 1-line block ×4, first 2 shown]
	v_accvgpr_read_b32 v0, a103
	scratch_store_dwordx4 off, v[6:9], off offset:32
	s_waitcnt vmcnt(1)
	ds_write_b128 v0, v[2:5]
.LBB114_317:
	s_or_b64 exec, exec, s[0:1]
	s_waitcnt lgkmcnt(0)
	; wave barrier
	scratch_load_dwordx4 v[56:59], off, off offset:48
	scratch_load_dwordx4 v[60:63], off, off offset:64
	;; [unrolled: 1-line block ×28, first 2 shown]
	v_mov_b32_e32 v2, 0
	ds_read_b128 v[116:119], v2 offset:848
	ds_read_b128 v[120:123], v2 offset:864
	;; [unrolled: 1-line block ×22, first 2 shown]
	s_waitcnt vmcnt(27) lgkmcnt(14)
	v_mul_f64 v[0:1], v[116:117], v[58:59]
	s_waitcnt vmcnt(26)
	v_mul_f64 v[32:33], v[120:121], v[62:63]
	v_fmac_f64_e32 v[0:1], v[118:119], v[56:57]
	s_waitcnt vmcnt(25)
	v_mul_f64 v[34:35], v[124:125], v[66:67]
	v_fmac_f64_e32 v[32:33], v[122:123], v[60:61]
	v_add_f64 v[0:1], v[0:1], 0
	v_fmac_f64_e32 v[34:35], v[126:127], v[64:65]
	v_add_f64 v[0:1], v[0:1], v[32:33]
	v_add_f64 v[0:1], v[0:1], v[34:35]
	scratch_load_dwordx4 v[32:35], off, off offset:496
	s_waitcnt vmcnt(25)
	v_mul_f64 v[36:37], v[128:129], v[70:71]
	s_waitcnt vmcnt(24)
	v_mul_f64 v[38:39], v[132:133], v[74:75]
	v_fmac_f64_e32 v[36:37], v[130:131], v[68:69]
	s_waitcnt vmcnt(23)
	v_mul_f64 v[40:41], v[140:141], v[78:79]
	v_fmac_f64_e32 v[38:39], v[134:135], v[72:73]
	v_add_f64 v[0:1], v[0:1], v[36:37]
	s_waitcnt vmcnt(22)
	v_mul_f64 v[42:43], v[152:153], v[82:83]
	v_fmac_f64_e32 v[40:41], v[142:143], v[76:77]
	v_add_f64 v[0:1], v[0:1], v[38:39]
	;; [unrolled: 4-line block ×3, first 2 shown]
	s_waitcnt vmcnt(20) lgkmcnt(13)
	v_mul_f64 v[46:47], v[176:177], v[94:95]
	v_fmac_f64_e32 v[44:45], v[166:167], v[84:85]
	v_add_f64 v[0:1], v[0:1], v[42:43]
	s_waitcnt vmcnt(19) lgkmcnt(12)
	v_mul_f64 v[48:49], v[188:189], v[98:99]
	v_fmac_f64_e32 v[46:47], v[178:179], v[92:93]
	v_add_f64 v[0:1], v[0:1], v[44:45]
	;; [unrolled: 4-line block ×9, first 2 shown]
	v_add_f64 v[0:1], v[0:1], v[104:105]
	v_fmac_f64_e32 v[106:107], v[222:223], v[168:169]
	s_waitcnt vmcnt(11) lgkmcnt(4)
	v_mul_f64 v[40:41], v[224:225], v[174:175]
	v_add_f64 v[0:1], v[0:1], v[106:107]
	v_fmac_f64_e32 v[40:41], v[226:227], v[172:173]
	scratch_load_dwordx4 v[36:39], off, off offset:512
	v_add_f64 v[0:1], v[0:1], v[40:41]
	s_waitcnt vmcnt(11) lgkmcnt(3)
	v_mul_f64 v[40:41], v[228:229], v[182:183]
	v_fmac_f64_e32 v[40:41], v[230:231], v[180:181]
	s_waitcnt vmcnt(10) lgkmcnt(2)
	v_mul_f64 v[44:45], v[244:245], v[186:187]
	v_add_f64 v[0:1], v[0:1], v[40:41]
	v_fmac_f64_e32 v[44:45], v[246:247], v[184:185]
	scratch_load_dwordx4 v[40:43], off, off offset:528
	ds_read_b128 v[88:91], v2 offset:1184
	v_add_f64 v[0:1], v[0:1], v[44:45]
	s_waitcnt vmcnt(10) lgkmcnt(2)
	v_mul_f64 v[44:45], v[248:249], v[194:195]
	v_fmac_f64_e32 v[44:45], v[250:251], v[192:193]
	v_add_f64 v[0:1], v[0:1], v[44:45]
	scratch_load_dwordx4 v[44:47], off, off offset:544
	ds_read_b128 v[104:107], v2 offset:1200
	s_waitcnt vmcnt(10) lgkmcnt(1)
	v_mul_f64 v[48:49], v[88:89], v[6:7]
	v_accvgpr_write_b32 a107, v7
	v_fmac_f64_e32 v[48:49], v[90:91], v[4:5]
	v_accvgpr_write_b32 a106, v6
	v_accvgpr_write_b32 a105, v5
	;; [unrolled: 1-line block ×3, first 2 shown]
	s_waitcnt vmcnt(9)
	v_mov_b64_e32 v[4:5], v[8:9]
	v_add_f64 v[0:1], v[0:1], v[48:49]
	scratch_load_dwordx4 v[48:51], off, off offset:560
	v_mov_b64_e32 v[6:7], v[10:11]
	s_waitcnt lgkmcnt(0)
	v_mul_f64 v[52:53], v[104:105], v[6:7]
	v_fmac_f64_e32 v[52:53], v[106:107], v[4:5]
	v_add_f64 v[0:1], v[0:1], v[52:53]
	scratch_load_dwordx4 v[52:55], off, off offset:576
	v_mul_f64 v[58:59], v[118:119], v[58:59]
	s_waitcnt vmcnt(10)
	v_mov_b64_e32 v[4:5], v[12:13]
	v_fma_f64 v[240:241], v[116:117], v[56:57], -v[58:59]
	scratch_load_dwordx4 v[56:59], off, off offset:592
	v_mov_b64_e32 v[6:7], v[14:15]
	v_mul_f64 v[112:113], v[108:109], v[6:7]
	v_fmac_f64_e32 v[112:113], v[110:111], v[4:5]
	v_add_f64 v[0:1], v[0:1], v[112:113]
	ds_read_b128 v[112:115], v2 offset:1232
	ds_read_b128 v[116:119], v2 offset:1248
	v_mul_f64 v[62:63], v[122:123], v[62:63]
	v_fma_f64 v[242:243], v[120:121], v[60:61], -v[62:63]
	scratch_load_dwordx4 v[60:63], off, off offset:608
	s_waitcnt vmcnt(11)
	v_mov_b64_e32 v[4:5], v[16:17]
	v_mul_f64 v[66:67], v[126:127], v[66:67]
	v_mov_b64_e32 v[6:7], v[18:19]
	v_fma_f64 v[252:253], v[124:125], v[64:65], -v[66:67]
	scratch_load_dwordx4 v[64:67], off, off offset:624
	s_waitcnt lgkmcnt(1)
	v_mul_f64 v[120:121], v[112:113], v[6:7]
	v_fmac_f64_e32 v[120:121], v[114:115], v[4:5]
	s_waitcnt vmcnt(11)
	v_mov_b64_e32 v[4:5], v[20:21]
	v_mov_b64_e32 v[6:7], v[22:23]
	v_add_f64 v[0:1], v[0:1], v[120:121]
	s_waitcnt lgkmcnt(0)
	v_mul_f64 v[120:121], v[116:117], v[6:7]
	v_fmac_f64_e32 v[120:121], v[118:119], v[4:5]
	v_mul_f64 v[70:71], v[130:131], v[70:71]
	v_add_f64 v[0:1], v[0:1], v[120:121]
	v_fma_f64 v[254:255], v[128:129], v[68:69], -v[70:71]
	scratch_load_dwordx4 v[68:71], off, off offset:640
	ds_read_b128 v[120:123], v2 offset:1264
	ds_read_b128 v[124:127], v2 offset:1280
	v_mul_f64 v[74:75], v[134:135], v[74:75]
	v_accvgpr_write_b32 a111, v11
	v_fma_f64 v[232:233], v[132:133], v[72:73], -v[74:75]
	scratch_load_dwordx4 v[72:75], off, off offset:656
	v_accvgpr_write_b32 a110, v10
	v_accvgpr_write_b32 a109, v9
	v_accvgpr_write_b32 a108, v8
	v_mul_f64 v[78:79], v[142:143], v[78:79]
	s_waitcnt vmcnt(12)
	v_mov_b64_e32 v[8:9], v[24:25]
	v_fma_f64 v[28:29], v[140:141], v[76:77], -v[78:79]
	v_mov_b64_e32 v[10:11], v[26:27]
	scratch_load_dwordx4 v[76:79], off, off offset:672
	s_waitcnt lgkmcnt(1)
	v_mul_f64 v[6:7], v[120:121], v[10:11]
	v_fmac_f64_e32 v[6:7], v[122:123], v[8:9]
	v_accvgpr_write_b32 a127, v27
	v_add_f64 v[0:1], v[0:1], v[6:7]
	v_mul_f64 v[6:7], v[154:155], v[82:83]
	v_accvgpr_write_b32 a126, v26
	v_accvgpr_write_b32 a125, v25
	v_accvgpr_write_b32 a124, v24
	v_fma_f64 v[24:25], v[152:153], v[80:81], -v[6:7]
	s_waitcnt vmcnt(12) lgkmcnt(0)
	v_mul_f64 v[6:7], v[124:125], v[236:237]
	v_fmac_f64_e32 v[6:7], v[126:127], v[234:235]
	scratch_load_dwordx4 v[80:83], off, off offset:688
	v_accvgpr_write_b32 a123, v23
	v_add_f64 v[0:1], v[0:1], v[6:7]
	v_mul_f64 v[6:7], v[166:167], v[86:87]
	v_accvgpr_write_b32 a122, v22
	v_accvgpr_write_b32 a121, v21
	;; [unrolled: 1-line block ×3, first 2 shown]
	v_fma_f64 v[20:21], v[164:165], v[84:85], -v[6:7]
	scratch_load_dwordx4 v[84:87], off, off offset:704
	ds_read_b128 v[132:135], v2 offset:1296
	ds_read_b128 v[128:131], v2 offset:1312
	v_accvgpr_write_b32 a119, v19
	v_mul_f64 v[6:7], v[178:179], v[94:95]
	v_accvgpr_write_b32 a115, v15
	v_accvgpr_write_b32 a118, v18
	;; [unrolled: 1-line block ×4, first 2 shown]
	v_fma_f64 v[16:17], v[176:177], v[92:93], -v[6:7]
	v_mul_f64 v[6:7], v[190:191], v[98:99]
	v_accvgpr_write_b32 a114, v14
	v_accvgpr_write_b32 a113, v13
	;; [unrolled: 1-line block ×3, first 2 shown]
	v_fma_f64 v[14:15], v[188:189], v[96:97], -v[6:7]
	scratch_load_dwordx4 v[96:99], off, off offset:720
	scratch_load_dwordx4 v[92:95], off, off offset:736
	s_waitcnt vmcnt(15) lgkmcnt(1)
	v_mul_f64 v[6:7], v[132:133], v[34:35]
	v_fmac_f64_e32 v[6:7], v[134:135], v[32:33]
	v_add_f64 v[0:1], v[0:1], v[6:7]
	v_mul_f64 v[6:7], v[198:199], v[102:103]
	v_fma_f64 v[12:13], v[196:197], v[100:101], -v[6:7]
	scratch_load_dwordx4 v[100:103], off, off offset:752
	v_mul_f64 v[6:7], v[202:203], v[138:139]
	v_fma_f64 v[18:19], v[200:201], v[136:137], -v[6:7]
	ds_read_b128 v[136:139], v2 offset:1328
	ds_read_b128 v[140:143], v2 offset:1344
	s_waitcnt vmcnt(15) lgkmcnt(2)
	v_mul_f64 v[6:7], v[128:129], v[38:39]
	v_fmac_f64_e32 v[6:7], v[130:131], v[36:37]
	v_add_f64 v[0:1], v[0:1], v[6:7]
	s_waitcnt vmcnt(14) lgkmcnt(1)
	v_mul_f64 v[6:7], v[136:137], v[42:43]
	v_fmac_f64_e32 v[6:7], v[138:139], v[40:41]
	v_add_f64 v[0:1], v[0:1], v[6:7]
	v_mul_f64 v[6:7], v[206:207], v[146:147]
	v_fma_f64 v[10:11], v[204:205], v[144:145], -v[6:7]
	ds_read_b128 v[144:147], v2 offset:1360
	s_waitcnt vmcnt(13) lgkmcnt(1)
	v_mul_f64 v[6:7], v[140:141], v[46:47]
	v_fmac_f64_e32 v[6:7], v[142:143], v[44:45]
	v_add_f64 v[0:1], v[0:1], v[6:7]
	v_mul_f64 v[6:7], v[210:211], v[150:151]
	v_fma_f64 v[22:23], v[208:209], v[148:149], -v[6:7]
	ds_read_b128 v[148:151], v2 offset:1376
	s_waitcnt vmcnt(12) lgkmcnt(1)
	v_mul_f64 v[6:7], v[144:145], v[50:51]
	ds_read_b128 v[152:155], v2 offset:1392
	v_fmac_f64_e32 v[6:7], v[146:147], v[48:49]
	v_add_f64 v[0:1], v[0:1], v[6:7]
	v_mul_f64 v[6:7], v[214:215], v[158:159]
	v_fma_f64 v[8:9], v[212:213], v[156:157], -v[6:7]
	s_waitcnt vmcnt(11) lgkmcnt(1)
	v_mul_f64 v[6:7], v[148:149], v[54:55]
	v_fmac_f64_e32 v[6:7], v[150:151], v[52:53]
	ds_read_b128 v[156:159], v2 offset:1408
	v_add_f64 v[0:1], v[0:1], v[6:7]
	s_waitcnt vmcnt(10) lgkmcnt(1)
	v_mul_f64 v[6:7], v[152:153], v[58:59]
	v_fmac_f64_e32 v[6:7], v[154:155], v[56:57]
	v_add_f64 v[0:1], v[0:1], v[6:7]
	v_mul_f64 v[6:7], v[218:219], v[162:163]
	v_fma_f64 v[26:27], v[216:217], v[160:161], -v[6:7]
	ds_read_b128 v[160:163], v2 offset:1424
	ds_read_b128 v[164:167], v2 offset:1440
	s_waitcnt vmcnt(9) lgkmcnt(2)
	v_mul_f64 v[6:7], v[156:157], v[62:63]
	v_fmac_f64_e32 v[6:7], v[158:159], v[60:61]
	v_add_f64 v[0:1], v[0:1], v[6:7]
	s_waitcnt vmcnt(8) lgkmcnt(1)
	v_mul_f64 v[6:7], v[160:161], v[66:67]
	v_fmac_f64_e32 v[6:7], v[162:163], v[64:65]
	v_add_f64 v[0:1], v[0:1], v[6:7]
	v_mul_f64 v[6:7], v[222:223], v[170:171]
	v_fma_f64 v[4:5], v[220:221], v[168:169], -v[6:7]
	ds_read_b128 v[168:171], v2 offset:1456
	v_mul_f64 v[6:7], v[226:227], v[174:175]
	v_fma_f64 v[6:7], v[224:225], v[172:173], -v[6:7]
	ds_read_b128 v[172:175], v2 offset:1472
	s_waitcnt vmcnt(7) lgkmcnt(2)
	v_mul_f64 v[30:31], v[164:165], v[70:71]
	v_fmac_f64_e32 v[30:31], v[166:167], v[68:69]
	v_add_f64 v[0:1], v[0:1], v[30:31]
	s_waitcnt vmcnt(6) lgkmcnt(1)
	v_mul_f64 v[30:31], v[168:169], v[74:75]
	v_fmac_f64_e32 v[30:31], v[170:171], v[72:73]
	v_add_f64 v[0:1], v[0:1], v[30:31]
	s_waitcnt vmcnt(5) lgkmcnt(0)
	v_mul_f64 v[30:31], v[172:173], v[78:79]
	ds_read_b128 v[176:179], v2 offset:1488
	v_fmac_f64_e32 v[30:31], v[174:175], v[76:77]
	v_add_f64 v[30:31], v[0:1], v[30:31]
	v_mul_f64 v[0:1], v[230:231], v[182:183]
	v_fma_f64 v[0:1], v[228:229], v[180:181], -v[0:1]
	ds_read_b128 v[180:183], v2 offset:1504
	v_mul_f64 v[186:187], v[246:247], v[186:187]
	s_waitcnt vmcnt(4) lgkmcnt(1)
	v_mul_f64 v[188:189], v[176:177], v[82:83]
	v_fma_f64 v[238:239], v[244:245], v[184:185], -v[186:187]
	ds_read_b128 v[184:187], v2 offset:1520
	v_fmac_f64_e32 v[188:189], v[178:179], v[80:81]
	v_add_f64 v[30:31], v[30:31], v[188:189]
	ds_read_b128 v[188:191], v2 offset:1536
	s_waitcnt vmcnt(3) lgkmcnt(2)
	v_mul_f64 v[196:197], v[180:181], v[86:87]
	v_mul_f64 v[194:195], v[250:251], v[194:195]
	v_fmac_f64_e32 v[196:197], v[182:183], v[84:85]
	v_fma_f64 v[244:245], v[248:249], v[192:193], -v[194:195]
	ds_read_b128 v[192:195], v2 offset:1552
	ds_read_b128 v[200:203], v2 offset:1568
	v_add_f64 v[30:31], v[30:31], v[196:197]
	s_waitcnt vmcnt(2) lgkmcnt(3)
	v_mul_f64 v[196:197], v[184:185], v[98:99]
	v_fmac_f64_e32 v[196:197], v[186:187], v[96:97]
	v_add_f64 v[30:31], v[30:31], v[196:197]
	s_waitcnt vmcnt(1) lgkmcnt(2)
	v_mul_f64 v[196:197], v[188:189], v[94:95]
	v_fmac_f64_e32 v[196:197], v[190:191], v[92:93]
	;; [unrolled: 4-line block ×3, first 2 shown]
	v_add_f64 v[30:31], v[30:31], v[196:197]
	scratch_load_dwordx4 v[196:199], off, off offset:768
	ds_read_b128 v[208:211], v2 offset:1584
	ds_read_b128 v[216:219], v2 offset:1600
	;; [unrolled: 1-line block ×3, first 2 shown]
	s_waitcnt vmcnt(0) lgkmcnt(3)
	v_mul_f64 v[204:205], v[200:201], v[198:199]
	v_fmac_f64_e32 v[204:205], v[202:203], v[196:197]
	v_add_f64 v[30:31], v[30:31], v[204:205]
	scratch_load_dwordx4 v[204:207], off, off offset:784
	s_waitcnt vmcnt(0) lgkmcnt(2)
	v_mul_f64 v[212:213], v[208:209], v[206:207]
	v_fmac_f64_e32 v[212:213], v[210:211], v[204:205]
	v_add_f64 v[30:31], v[30:31], v[212:213]
	scratch_load_dwordx4 v[212:215], off, off offset:800
	;; [unrolled: 5-line block ×3, first 2 shown]
	s_waitcnt vmcnt(0) lgkmcnt(0)
	v_mul_f64 v[228:229], v[224:225], v[222:223]
	v_fmac_f64_e32 v[228:229], v[226:227], v[220:221]
	v_add_f64 v[248:249], v[30:31], v[228:229]
	v_add_f64 v[30:31], v[240:241], 0
	v_add_f64 v[30:31], v[30:31], v[242:243]
	scratch_load_dwordx4 v[228:231], off, off offset:32
	v_add_f64 v[30:31], v[30:31], v[252:253]
	v_add_f64 v[30:31], v[30:31], v[254:255]
	;; [unrolled: 1-line block ×16, first 2 shown]
	v_accvgpr_read_b32 v6, a104
	v_accvgpr_read_b32 v8, a106
	v_accvgpr_read_b32 v9, a107
	v_add_f64 v[0:1], v[4:5], v[0:1]
	v_accvgpr_read_b32 v7, a105
	v_mul_f64 v[4:5], v[90:91], v[8:9]
	v_add_f64 v[0:1], v[0:1], v[238:239]
	v_fma_f64 v[4:5], v[88:89], v[6:7], -v[4:5]
	v_accvgpr_read_b32 v6, a108
	v_add_f64 v[0:1], v[0:1], v[244:245]
	v_accvgpr_read_b32 v8, a110
	v_accvgpr_read_b32 v9, a111
	v_add_f64 v[0:1], v[0:1], v[4:5]
	v_accvgpr_read_b32 v7, a109
	v_mul_f64 v[4:5], v[106:107], v[8:9]
	v_fma_f64 v[4:5], v[104:105], v[6:7], -v[4:5]
	v_accvgpr_read_b32 v6, a112
	v_accvgpr_read_b32 v8, a114
	v_accvgpr_read_b32 v9, a115
	v_add_f64 v[0:1], v[0:1], v[4:5]
	v_accvgpr_read_b32 v7, a113
	v_mul_f64 v[4:5], v[110:111], v[8:9]
	v_fma_f64 v[4:5], v[108:109], v[6:7], -v[4:5]
	v_accvgpr_read_b32 v6, a116
	;; [unrolled: 7-line block ×4, first 2 shown]
	v_accvgpr_read_b32 v8, a126
	v_accvgpr_read_b32 v9, a127
	v_add_f64 v[0:1], v[0:1], v[4:5]
	v_accvgpr_read_b32 v7, a125
	v_mul_f64 v[4:5], v[122:123], v[8:9]
	v_fma_f64 v[4:5], v[120:121], v[6:7], -v[4:5]
	v_add_f64 v[0:1], v[0:1], v[4:5]
	v_mul_f64 v[4:5], v[126:127], v[236:237]
	v_fma_f64 v[4:5], v[124:125], v[234:235], -v[4:5]
	v_add_f64 v[0:1], v[0:1], v[4:5]
	;; [unrolled: 3-line block ×23, first 2 shown]
	s_waitcnt vmcnt(0)
	v_add_f64 v[4:5], v[228:229], -v[0:1]
	v_accvgpr_read_b32 v0, a102
	v_add_f64 v[6:7], v[230:231], -v[248:249]
	v_cmp_ne_u32_e32 vcc, 0, v0
	scratch_store_dwordx4 off, v[4:7], off offset:32
	s_and_saveexec_b64 s[0:1], vcc
	s_cbranch_execz .LBB114_319
; %bb.318:
	scratch_load_dwordx4 v[6:9], off, off offset:16
	v_mov_b32_e32 v3, v2
	v_mov_b32_e32 v4, v2
	v_mov_b32_e32 v5, v2
	v_accvgpr_read_b32 v0, a103
	scratch_store_dwordx4 off, v[2:5], off offset:16
	s_waitcnt vmcnt(1)
	ds_write_b128 v0, v[6:9]
.LBB114_319:
	s_or_b64 exec, exec, s[0:1]
	s_waitcnt lgkmcnt(0)
	; wave barrier
	scratch_load_dwordx4 v[56:59], off, off offset:32
	scratch_load_dwordx4 v[60:63], off, off offset:48
	;; [unrolled: 1-line block ×17, first 2 shown]
	ds_read_b128 v[120:123], v2 offset:832
	ds_read_b128 v[116:119], v2 offset:848
	scratch_load_dwordx4 v[172:175], off, off offset:304
	ds_read_b128 v[204:207], v2 offset:864
	ds_read_b128 v[128:131], v2 offset:880
	ds_read_b128 v[124:127], v2 offset:896
	scratch_load_dwordx4 v[180:183], off, off offset:320
	ds_read_b128 v[220:223], v2 offset:912
	;; [unrolled: 4-line block ×3, first 2 shown]
	ds_read_b128 v[216:219], v2 offset:976
	ds_read_b128 v[200:203], v2 offset:992
	;; [unrolled: 1-line block ×4, first 2 shown]
	scratch_load_dwordx4 v[192:195], off, off offset:352
	ds_read_b128 v[208:211], v2 offset:1040
	ds_read_b128 v[188:191], v2 offset:1056
	;; [unrolled: 1-line block ×3, first 2 shown]
	scratch_load_dwordx4 v[4:7], off, off offset:368
	ds_read_b128 v[196:199], v2 offset:1088
	ds_read_b128 v[176:179], v2 offset:1104
	scratch_load_dwordx4 v[8:11], off, off offset:384
	scratch_load_dwordx4 v[12:15], off, off offset:400
	;; [unrolled: 1-line block ×7, first 2 shown]
	ds_read_b128 v[228:231], v2 offset:1120
	ds_read_b128 v[232:235], v2 offset:1136
	;; [unrolled: 1-line block ×3, first 2 shown]
	s_and_b64 vcc, exec, s[10:11]
	s_waitcnt vmcnt(28) lgkmcnt(14)
	v_mul_f64 v[0:1], v[120:121], v[58:59]
	s_waitcnt vmcnt(27)
	v_mul_f64 v[36:37], v[116:117], v[62:63]
	v_fmac_f64_e32 v[0:1], v[122:123], v[56:57]
	s_waitcnt vmcnt(26)
	v_mul_f64 v[38:39], v[204:205], v[66:67]
	v_fmac_f64_e32 v[36:37], v[118:119], v[60:61]
	v_add_f64 v[0:1], v[0:1], 0
	s_waitcnt vmcnt(25)
	v_mul_f64 v[40:41], v[128:129], v[70:71]
	v_fmac_f64_e32 v[38:39], v[206:207], v[64:65]
	v_add_f64 v[0:1], v[0:1], v[36:37]
	;; [unrolled: 4-line block ×5, first 2 shown]
	s_waitcnt vmcnt(21) lgkmcnt(13)
	v_mul_f64 v[48:49], v[132:133], v[86:87]
	v_fmac_f64_e32 v[46:47], v[214:215], v[80:81]
	v_add_f64 v[0:1], v[0:1], v[44:45]
	s_waitcnt vmcnt(20) lgkmcnt(12)
	v_mul_f64 v[50:51], v[224:225], v[94:95]
	v_fmac_f64_e32 v[48:49], v[134:135], v[84:85]
	v_add_f64 v[0:1], v[0:1], v[46:47]
	;; [unrolled: 4-line block ×10, first 2 shown]
	v_add_f64 v[0:1], v[0:1], v[108:109]
	v_fmac_f64_e32 v[110:111], v[198:199], v[168:169]
	s_waitcnt vmcnt(11) lgkmcnt(3)
	v_mul_f64 v[36:37], v[176:177], v[174:175]
	v_add_f64 v[0:1], v[0:1], v[110:111]
	v_fmac_f64_e32 v[36:37], v[178:179], v[172:173]
	s_waitcnt vmcnt(10) lgkmcnt(2)
	v_mul_f64 v[40:41], v[228:229], v[182:183]
	v_add_f64 v[0:1], v[0:1], v[36:37]
	v_fmac_f64_e32 v[40:41], v[230:231], v[180:181]
	scratch_load_dwordx4 v[36:39], off, off offset:496
	v_add_f64 v[0:1], v[0:1], v[40:41]
	s_waitcnt vmcnt(10) lgkmcnt(1)
	v_mul_f64 v[40:41], v[232:233], v[186:187]
	v_fmac_f64_e32 v[40:41], v[234:235], v[184:185]
	v_add_f64 v[0:1], v[0:1], v[40:41]
	scratch_load_dwordx4 v[40:43], off, off offset:512
	ds_read_b128 v[88:91], v2 offset:1168
	scratch_load_dwordx4 v[44:47], off, off offset:528
	ds_read_b128 v[108:111], v2 offset:1184
	ds_read_b128 v[96:99], v2 offset:1200
	s_waitcnt vmcnt(11) lgkmcnt(3)
	v_mul_f64 v[48:49], v[244:245], v[194:195]
	s_waitcnt vmcnt(10) lgkmcnt(2)
	v_mul_f64 v[52:53], v[88:89], v[6:7]
	v_accvgpr_write_b32 a105, v7
	v_fmac_f64_e32 v[48:49], v[246:247], v[192:193]
	v_fmac_f64_e32 v[52:53], v[90:91], v[4:5]
	v_accvgpr_write_b32 a104, v6
	v_accvgpr_write_b32 a103, v5
	;; [unrolled: 1-line block ×3, first 2 shown]
	s_waitcnt vmcnt(9)
	v_mov_b64_e32 v[4:5], v[8:9]
	v_add_f64 v[0:1], v[0:1], v[48:49]
	v_mov_b64_e32 v[6:7], v[10:11]
	scratch_load_dwordx4 v[48:51], off, off offset:544
	v_add_f64 v[0:1], v[0:1], v[52:53]
	s_waitcnt lgkmcnt(1)
	v_mul_f64 v[52:53], v[108:109], v[6:7]
	v_fmac_f64_e32 v[52:53], v[110:111], v[4:5]
	v_add_f64 v[0:1], v[0:1], v[52:53]
	scratch_load_dwordx4 v[52:55], off, off offset:560
	v_mul_f64 v[58:59], v[122:123], v[58:59]
	v_fma_f64 v[240:241], v[120:121], v[56:57], -v[58:59]
	scratch_load_dwordx4 v[56:59], off, off offset:576
	v_mul_f64 v[62:63], v[118:119], v[62:63]
	v_fma_f64 v[242:243], v[116:117], v[60:61], -v[62:63]
	;; [unrolled: 3-line block ×5, first 2 shown]
	scratch_load_dwordx4 v[72:75], off, off offset:640
	s_waitcnt vmcnt(15)
	v_mov_b64_e32 v[4:5], v[12:13]
	v_mov_b64_e32 v[6:7], v[14:15]
	s_waitcnt lgkmcnt(0)
	v_mul_f64 v[112:113], v[96:97], v[6:7]
	v_fmac_f64_e32 v[112:113], v[98:99], v[4:5]
	v_add_f64 v[0:1], v[0:1], v[112:113]
	ds_read_b128 v[112:115], v2 offset:1216
	ds_read_b128 v[116:119], v2 offset:1232
	s_waitcnt vmcnt(14)
	v_mov_b64_e32 v[4:5], v[16:17]
	v_mov_b64_e32 v[6:7], v[18:19]
	ds_read_b128 v[124:127], v2 offset:1264
	s_waitcnt lgkmcnt(2)
	v_mul_f64 v[120:121], v[112:113], v[6:7]
	v_fmac_f64_e32 v[120:121], v[114:115], v[4:5]
	s_waitcnt vmcnt(13)
	v_mov_b64_e32 v[4:5], v[20:21]
	v_mov_b64_e32 v[6:7], v[22:23]
	v_add_f64 v[0:1], v[0:1], v[120:121]
	s_waitcnt lgkmcnt(1)
	v_mul_f64 v[120:121], v[116:117], v[6:7]
	v_fmac_f64_e32 v[120:121], v[118:119], v[4:5]
	v_add_f64 v[0:1], v[0:1], v[120:121]
	ds_read_b128 v[120:123], v2 offset:1248
	s_waitcnt vmcnt(12)
	v_mov_b64_e32 v[4:5], v[24:25]
	v_mov_b64_e32 v[6:7], v[26:27]
	v_accvgpr_write_b32 a121, v23
	v_accvgpr_write_b32 a125, v27
	s_waitcnt lgkmcnt(0)
	v_mul_f64 v[128:129], v[120:121], v[6:7]
	v_fmac_f64_e32 v[128:129], v[122:123], v[4:5]
	v_add_f64 v[0:1], v[0:1], v[128:129]
	ds_read_b128 v[128:131], v2 offset:1280
	s_waitcnt vmcnt(11)
	v_mul_f64 v[6:7], v[124:125], v[238:239]
	v_fmac_f64_e32 v[6:7], v[126:127], v[236:237]
	v_mul_f64 v[86:87], v[134:135], v[86:87]
	v_add_f64 v[0:1], v[0:1], v[6:7]
	v_mul_f64 v[6:7], v[226:227], v[94:95]
	v_accvgpr_write_b32 a120, v22
	v_accvgpr_write_b32 a119, v21
	;; [unrolled: 1-line block ×6, first 2 shown]
	v_fma_f64 v[24:25], v[132:133], v[84:85], -v[86:87]
	v_fma_f64 v[20:21], v[224:225], v[92:93], -v[6:7]
	ds_read_b128 v[132:135], v2 offset:1296
	s_waitcnt vmcnt(10) lgkmcnt(1)
	v_mul_f64 v[6:7], v[128:129], v[34:35]
	v_fmac_f64_e32 v[6:7], v[130:131], v[32:33]
	v_accvgpr_write_b32 a113, v15
	v_add_f64 v[0:1], v[0:1], v[6:7]
	v_mul_f64 v[6:7], v[202:203], v[106:107]
	v_accvgpr_write_b32 a112, v14
	v_accvgpr_write_b32 a111, v13
	v_accvgpr_write_b32 a110, v12
	v_fma_f64 v[14:15], v[200:201], v[104:105], -v[6:7]
	v_mul_f64 v[6:7], v[142:143], v[138:139]
	v_fma_f64 v[12:13], v[140:141], v[136:137], -v[6:7]
	ds_read_b128 v[136:139], v2 offset:1312
	ds_read_b128 v[140:143], v2 offset:1328
	s_waitcnt vmcnt(9) lgkmcnt(2)
	v_mul_f64 v[6:7], v[132:133], v[38:39]
	v_fmac_f64_e32 v[6:7], v[134:135], v[36:37]
	v_add_f64 v[0:1], v[0:1], v[6:7]
	s_waitcnt vmcnt(8) lgkmcnt(1)
	v_mul_f64 v[6:7], v[136:137], v[42:43]
	v_fmac_f64_e32 v[6:7], v[138:139], v[40:41]
	v_accvgpr_write_b32 a117, v19
	v_add_f64 v[0:1], v[0:1], v[6:7]
	v_mul_f64 v[6:7], v[154:155], v[146:147]
	v_accvgpr_write_b32 a116, v18
	v_accvgpr_write_b32 a115, v17
	;; [unrolled: 1-line block ×3, first 2 shown]
	v_fma_f64 v[18:19], v[152:153], v[144:145], -v[6:7]
	s_waitcnt vmcnt(7) lgkmcnt(0)
	v_mul_f64 v[6:7], v[140:141], v[46:47]
	v_fmac_f64_e32 v[6:7], v[142:143], v[44:45]
	ds_read_b128 v[144:147], v2 offset:1344
	v_accvgpr_write_b32 a109, v11
	v_add_f64 v[0:1], v[0:1], v[6:7]
	v_mul_f64 v[6:7], v[210:211], v[150:151]
	v_accvgpr_write_b32 a108, v10
	v_accvgpr_write_b32 a107, v9
	;; [unrolled: 1-line block ×3, first 2 shown]
	v_fma_f64 v[10:11], v[208:209], v[148:149], -v[6:7]
	ds_read_b128 v[148:151], v2 offset:1360
	s_waitcnt vmcnt(6) lgkmcnt(1)
	v_mul_f64 v[6:7], v[144:145], v[50:51]
	ds_read_b128 v[152:155], v2 offset:1376
	v_mul_f64 v[78:79], v[222:223], v[78:79]
	v_fmac_f64_e32 v[6:7], v[146:147], v[48:49]
	v_fma_f64 v[254:255], v[220:221], v[76:77], -v[78:79]
	scratch_load_dwordx4 v[76:79], off, off offset:656
	v_add_f64 v[0:1], v[0:1], v[6:7]
	s_waitcnt vmcnt(6) lgkmcnt(1)
	v_mul_f64 v[6:7], v[148:149], v[54:55]
	v_mul_f64 v[82:83], v[214:215], v[82:83]
	v_fmac_f64_e32 v[6:7], v[150:151], v[52:53]
	v_fma_f64 v[28:29], v[212:213], v[80:81], -v[82:83]
	scratch_load_dwordx4 v[80:83], off, off offset:672
	v_add_f64 v[0:1], v[0:1], v[6:7]
	v_mul_f64 v[6:7], v[190:191], v[158:159]
	v_fma_f64 v[22:23], v[188:189], v[156:157], -v[6:7]
	ds_read_b128 v[156:159], v2 offset:1392
	s_waitcnt vmcnt(6) lgkmcnt(1)
	v_mul_f64 v[6:7], v[152:153], v[58:59]
	scratch_load_dwordx4 v[84:87], off, off offset:688
	v_fmac_f64_e32 v[6:7], v[154:155], v[56:57]
	v_add_f64 v[0:1], v[0:1], v[6:7]
	v_mul_f64 v[6:7], v[166:167], v[162:163]
	v_fma_f64 v[8:9], v[164:165], v[160:161], -v[6:7]
	ds_read_b128 v[160:163], v2 offset:1408
	ds_read_b128 v[164:167], v2 offset:1424
	v_mul_f64 v[92:93], v[218:219], v[102:103]
	v_fma_f64 v[16:17], v[216:217], v[100:101], -v[92:93]
	scratch_load_dwordx4 v[100:103], off, off offset:704
	s_waitcnt vmcnt(7) lgkmcnt(2)
	v_mul_f64 v[6:7], v[156:157], v[62:63]
	scratch_load_dwordx4 v[92:95], off, off offset:720
	scratch_load_dwordx4 v[104:107], off, off offset:736
	v_fmac_f64_e32 v[6:7], v[158:159], v[60:61]
	v_add_f64 v[0:1], v[0:1], v[6:7]
	s_waitcnt vmcnt(8) lgkmcnt(1)
	v_mul_f64 v[6:7], v[160:161], v[66:67]
	v_fmac_f64_e32 v[6:7], v[162:163], v[64:65]
	v_add_f64 v[0:1], v[0:1], v[6:7]
	v_mul_f64 v[6:7], v[198:199], v[170:171]
	v_fma_f64 v[26:27], v[196:197], v[168:169], -v[6:7]
	scratch_load_dwordx4 v[196:199], off, off offset:752
	scratch_load_dwordx4 v[204:207], off, off offset:768
	;; [unrolled: 1-line block ×4, first 2 shown]
	ds_read_b128 v[168:171], v2 offset:1440
	s_waitcnt vmcnt(11) lgkmcnt(1)
	v_mul_f64 v[6:7], v[164:165], v[70:71]
	v_fmac_f64_e32 v[6:7], v[166:167], v[68:69]
	v_add_f64 v[0:1], v[0:1], v[6:7]
	v_mul_f64 v[6:7], v[178:179], v[174:175]
	v_fma_f64 v[4:5], v[176:177], v[172:173], -v[6:7]
	ds_read_b128 v[172:175], v2 offset:1456
	s_waitcnt vmcnt(10) lgkmcnt(1)
	v_mul_f64 v[6:7], v[168:169], v[74:75]
	v_fmac_f64_e32 v[6:7], v[170:171], v[72:73]
	v_add_f64 v[0:1], v[0:1], v[6:7]
	v_mul_f64 v[6:7], v[230:231], v[182:183]
	v_fma_f64 v[30:31], v[228:229], v[180:181], -v[6:7]
	scratch_load_dwordx4 v[228:231], off, off offset:816
	ds_read_b128 v[176:179], v2 offset:1472
	ds_read_b128 v[180:183], v2 offset:1488
	v_mul_f64 v[186:187], v[234:235], v[186:187]
	v_fma_f64 v[184:185], v[232:233], v[184:185], -v[186:187]
	ds_read_b128 v[188:191], v2 offset:1504
	v_accvgpr_write_b32 a126, v184
	v_accvgpr_write_b32 a127, v185
	ds_read_b128 v[184:187], v2 offset:1520
	ds_read_b128 v[200:203], v2 offset:1552
	;; [unrolled: 1-line block ×5, first 2 shown]
	s_waitcnt vmcnt(10) lgkmcnt(8)
	v_mul_f64 v[6:7], v[172:173], v[78:79]
	v_fmac_f64_e32 v[6:7], v[174:175], v[76:77]
	v_add_f64 v[0:1], v[0:1], v[6:7]
	s_waitcnt vmcnt(9) lgkmcnt(7)
	v_mul_f64 v[6:7], v[176:177], v[82:83]
	v_fmac_f64_e32 v[6:7], v[178:179], v[80:81]
	v_add_f64 v[0:1], v[0:1], v[6:7]
	;; [unrolled: 4-line block ×3, first 2 shown]
	v_mul_f64 v[6:7], v[246:247], v[194:195]
	v_fma_f64 v[244:245], v[244:245], v[192:193], -v[6:7]
	ds_read_b128 v[192:195], v2 offset:1536
	s_waitcnt vmcnt(7) lgkmcnt(6)
	v_mul_f64 v[6:7], v[188:189], v[102:103]
	v_fmac_f64_e32 v[6:7], v[190:191], v[100:101]
	v_add_f64 v[0:1], v[0:1], v[6:7]
	s_waitcnt vmcnt(6) lgkmcnt(5)
	v_mul_f64 v[6:7], v[184:185], v[94:95]
	v_fmac_f64_e32 v[6:7], v[186:187], v[92:93]
	v_add_f64 v[0:1], v[0:1], v[6:7]
	;; [unrolled: 4-line block ×3, first 2 shown]
	s_waitcnt vmcnt(4)
	v_mul_f64 v[6:7], v[200:201], v[198:199]
	v_fmac_f64_e32 v[6:7], v[202:203], v[196:197]
	v_add_f64 v[0:1], v[0:1], v[6:7]
	s_waitcnt vmcnt(3)
	v_mul_f64 v[6:7], v[208:209], v[206:207]
	v_fmac_f64_e32 v[6:7], v[210:211], v[204:205]
	v_add_f64 v[0:1], v[0:1], v[6:7]
	;; [unrolled: 4-line block ×4, first 2 shown]
	ds_read_b128 v[0:3], v2 offset:1616
	s_waitcnt vmcnt(0) lgkmcnt(0)
	v_mul_f64 v[232:233], v[0:1], v[230:231]
	v_fmac_f64_e32 v[232:233], v[2:3], v[228:229]
	v_add_f64 v[6:7], v[6:7], v[232:233]
	v_add_f64 v[232:233], v[240:241], 0
	;; [unrolled: 1-line block ×8, first 2 shown]
	scratch_load_dwordx4 v[232:235], off, off offset:16
	v_add_f64 v[24:25], v[28:29], v[24:25]
	v_add_f64 v[20:21], v[24:25], v[20:21]
	;; [unrolled: 1-line block ×11, first 2 shown]
	v_accvgpr_read_b32 v10, a102
	v_add_f64 v[246:247], v[4:5], v[30:31]
	v_accvgpr_read_b32 v4, a126
	v_accvgpr_read_b32 v12, a104
	;; [unrolled: 1-line block ×5, first 2 shown]
	v_mul_f64 v[8:9], v[90:91], v[12:13]
	v_add_f64 v[4:5], v[246:247], v[4:5]
	v_fma_f64 v[8:9], v[88:89], v[10:11], -v[8:9]
	v_accvgpr_read_b32 v10, a106
	v_add_f64 v[4:5], v[4:5], v[244:245]
	v_accvgpr_read_b32 v12, a108
	v_accvgpr_read_b32 v13, a109
	v_add_f64 v[4:5], v[4:5], v[8:9]
	v_accvgpr_read_b32 v11, a107
	v_mul_f64 v[8:9], v[110:111], v[12:13]
	v_fma_f64 v[8:9], v[108:109], v[10:11], -v[8:9]
	v_accvgpr_read_b32 v10, a110
	v_accvgpr_read_b32 v12, a112
	v_accvgpr_read_b32 v13, a113
	v_add_f64 v[4:5], v[4:5], v[8:9]
	v_accvgpr_read_b32 v11, a111
	v_mul_f64 v[8:9], v[98:99], v[12:13]
	v_fma_f64 v[8:9], v[96:97], v[10:11], -v[8:9]
	v_accvgpr_read_b32 v10, a114
	;; [unrolled: 7-line block ×4, first 2 shown]
	v_accvgpr_read_b32 v12, a124
	v_accvgpr_read_b32 v13, a125
	v_add_f64 v[4:5], v[4:5], v[8:9]
	v_accvgpr_read_b32 v11, a123
	v_mul_f64 v[8:9], v[122:123], v[12:13]
	v_fma_f64 v[8:9], v[120:121], v[10:11], -v[8:9]
	v_add_f64 v[4:5], v[4:5], v[8:9]
	v_mul_f64 v[8:9], v[126:127], v[238:239]
	v_fma_f64 v[8:9], v[124:125], v[236:237], -v[8:9]
	v_add_f64 v[4:5], v[4:5], v[8:9]
	;; [unrolled: 3-line block ×22, first 2 shown]
	v_mul_f64 v[8:9], v[226:227], v[222:223]
	v_fma_f64 v[8:9], v[224:225], v[220:221], -v[8:9]
	v_mul_f64 v[2:3], v[2:3], v[230:231]
	v_add_f64 v[4:5], v[4:5], v[8:9]
	v_fma_f64 v[0:1], v[0:1], v[228:229], -v[2:3]
	v_add_f64 v[0:1], v[4:5], v[0:1]
	s_waitcnt vmcnt(0)
	v_add_f64 v[0:1], v[232:233], -v[0:1]
	v_add_f64 v[2:3], v[234:235], -v[6:7]
	scratch_store_dwordx4 off, v[0:3], off offset:16
	s_cbranch_vccz .LBB114_420
; %bb.320:
	s_nop 0
	v_mov_b32_e32 v0, 0
	global_load_dword v1, v0, s[8:9] offset:196
	s_waitcnt vmcnt(0)
	v_readfirstlane_b32 s0, v1
	s_add_i32 s0, s0, -1
	s_cmp_lg_u32 s0, 49
	s_cbranch_scc0 .LBB114_322
; %bb.321:
	s_lshl_b32 s0, s0, 4
	s_add_i32 s0, s0, 16
	scratch_load_dwordx4 v[2:5], off, s0
	scratch_load_dwordx4 v[6:9], off, s17
	s_waitcnt vmcnt(1)
	scratch_store_dwordx4 off, v[2:5], s17
	s_waitcnt vmcnt(1)
	scratch_store_dwordx4 off, v[6:9], s0
.LBB114_322:
	global_load_dword v0, v0, s[8:9] offset:192
	s_waitcnt vmcnt(0)
	v_readfirstlane_b32 s0, v0
	s_add_i32 s0, s0, -1
	s_cmp_eq_u32 s0, 48
	s_cbranch_scc1 .LBB114_324
; %bb.323:
	s_lshl_b32 s0, s0, 4
	s_add_i32 s0, s0, 16
	scratch_load_dwordx4 v[0:3], off, s0
	scratch_load_dwordx4 v[4:7], off, s18
	s_waitcnt vmcnt(1)
	scratch_store_dwordx4 off, v[0:3], s18
	s_waitcnt vmcnt(1)
	scratch_store_dwordx4 off, v[4:7], s0
.LBB114_324:
	v_mov_b32_e32 v0, 0
	global_load_dword v1, v0, s[8:9] offset:188
	s_waitcnt vmcnt(0)
	v_readfirstlane_b32 s0, v1
	s_add_i32 s0, s0, -1
	s_cmp_eq_u32 s0, 47
	s_cbranch_scc1 .LBB114_326
; %bb.325:
	s_lshl_b32 s0, s0, 4
	s_add_i32 s0, s0, 16
	scratch_load_dwordx4 v[2:5], off, s0
	scratch_load_dwordx4 v[6:9], off, s19
	s_waitcnt vmcnt(1)
	scratch_store_dwordx4 off, v[2:5], s19
	s_waitcnt vmcnt(1)
	scratch_store_dwordx4 off, v[6:9], s0
.LBB114_326:
	global_load_dword v0, v0, s[8:9] offset:184
	s_waitcnt vmcnt(0)
	v_readfirstlane_b32 s0, v0
	s_add_i32 s0, s0, -1
	s_cmp_eq_u32 s0, 46
	s_cbranch_scc1 .LBB114_328
; %bb.327:
	s_lshl_b32 s0, s0, 4
	s_add_i32 s0, s0, 16
	scratch_load_dwordx4 v[0:3], off, s0
	scratch_load_dwordx4 v[4:7], off, s20
	s_waitcnt vmcnt(1)
	scratch_store_dwordx4 off, v[0:3], s20
	s_waitcnt vmcnt(1)
	scratch_store_dwordx4 off, v[4:7], s0
.LBB114_328:
	v_mov_b32_e32 v0, 0
	global_load_dword v1, v0, s[8:9] offset:180
	s_waitcnt vmcnt(0)
	v_readfirstlane_b32 s0, v1
	s_add_i32 s0, s0, -1
	s_cmp_eq_u32 s0, 45
	s_cbranch_scc1 .LBB114_330
; %bb.329:
	s_lshl_b32 s0, s0, 4
	s_add_i32 s0, s0, 16
	scratch_load_dwordx4 v[2:5], off, s0
	scratch_load_dwordx4 v[6:9], off, s21
	s_waitcnt vmcnt(1)
	scratch_store_dwordx4 off, v[2:5], s21
	s_waitcnt vmcnt(1)
	scratch_store_dwordx4 off, v[6:9], s0
.LBB114_330:
	;; [unrolled: 33-line block ×24, first 2 shown]
	global_load_dword v0, v0, s[8:9]
	s_waitcnt vmcnt(0)
	v_readfirstlane_b32 s0, v0
	s_add_i32 s0, s0, -1
	s_cmp_eq_u32 s0, 0
	s_cbranch_scc1 .LBB114_420
; %bb.419:
	s_lshl_b32 s0, s0, 4
	s_add_i32 s0, s0, 16
	scratch_load_dwordx4 v[0:3], off, s0
	scratch_load_dwordx4 v[4:7], off, off offset:16
	s_waitcnt vmcnt(1)
	scratch_store_dwordx4 off, v[0:3], off offset:16
	s_waitcnt vmcnt(1)
	scratch_store_dwordx4 off, v[4:7], s0
.LBB114_420:
	scratch_load_dwordx4 v[0:3], off, off offset:16
	s_nop 0
	v_accvgpr_read_b32 v5, a1
	v_accvgpr_read_b32 v4, a0
	s_waitcnt vmcnt(0)
	flat_store_dwordx4 v[4:5], v[0:3]
	scratch_load_dwordx4 v[0:3], off, s66
	v_accvgpr_read_b32 v5, a3
	v_accvgpr_read_b32 v4, a2
	s_waitcnt vmcnt(0)
	flat_store_dwordx4 v[4:5], v[0:3]
	scratch_load_dwordx4 v[0:3], off, s65
	v_accvgpr_read_b32 v4, a4
	v_accvgpr_read_b32 v5, a5
	s_waitcnt vmcnt(0)
	flat_store_dwordx4 v[4:5], v[0:3]
	scratch_load_dwordx4 v[0:3], off, s64
	v_accvgpr_read_b32 v4, a6
	v_accvgpr_read_b32 v5, a7
	s_waitcnt vmcnt(0)
	flat_store_dwordx4 v[4:5], v[0:3]
	scratch_load_dwordx4 v[0:3], off, s63
	v_accvgpr_read_b32 v4, a8
	v_accvgpr_read_b32 v5, a9
	s_waitcnt vmcnt(0)
	flat_store_dwordx4 v[4:5], v[0:3]
	scratch_load_dwordx4 v[0:3], off, s62
	v_accvgpr_read_b32 v4, a10
	v_accvgpr_read_b32 v5, a11
	s_waitcnt vmcnt(0)
	flat_store_dwordx4 v[4:5], v[0:3]
	scratch_load_dwordx4 v[0:3], off, s61
	v_accvgpr_read_b32 v4, a12
	v_accvgpr_read_b32 v5, a13
	s_waitcnt vmcnt(0)
	flat_store_dwordx4 v[4:5], v[0:3]
	scratch_load_dwordx4 v[0:3], off, s60
	v_accvgpr_read_b32 v4, a14
	v_accvgpr_read_b32 v5, a15
	s_waitcnt vmcnt(0)
	flat_store_dwordx4 v[4:5], v[0:3]
	scratch_load_dwordx4 v[0:3], off, s59
	v_accvgpr_read_b32 v4, a16
	v_accvgpr_read_b32 v5, a17
	s_waitcnt vmcnt(0)
	flat_store_dwordx4 v[4:5], v[0:3]
	scratch_load_dwordx4 v[0:3], off, s58
	v_accvgpr_read_b32 v4, a18
	v_accvgpr_read_b32 v5, a19
	s_waitcnt vmcnt(0)
	flat_store_dwordx4 v[4:5], v[0:3]
	scratch_load_dwordx4 v[0:3], off, s57
	v_accvgpr_read_b32 v4, a20
	v_accvgpr_read_b32 v5, a21
	s_waitcnt vmcnt(0)
	flat_store_dwordx4 v[4:5], v[0:3]
	scratch_load_dwordx4 v[0:3], off, s56
	v_accvgpr_read_b32 v4, a22
	v_accvgpr_read_b32 v5, a23
	s_waitcnt vmcnt(0)
	flat_store_dwordx4 v[4:5], v[0:3]
	scratch_load_dwordx4 v[0:3], off, s55
	v_accvgpr_read_b32 v4, a24
	v_accvgpr_read_b32 v5, a25
	s_waitcnt vmcnt(0)
	flat_store_dwordx4 v[4:5], v[0:3]
	scratch_load_dwordx4 v[0:3], off, s54
	v_accvgpr_read_b32 v4, a26
	v_accvgpr_read_b32 v5, a27
	s_waitcnt vmcnt(0)
	flat_store_dwordx4 v[4:5], v[0:3]
	scratch_load_dwordx4 v[0:3], off, s53
	v_accvgpr_read_b32 v4, a28
	v_accvgpr_read_b32 v5, a29
	s_waitcnt vmcnt(0)
	flat_store_dwordx4 v[4:5], v[0:3]
	scratch_load_dwordx4 v[0:3], off, s52
	v_accvgpr_read_b32 v4, a30
	v_accvgpr_read_b32 v5, a31
	s_waitcnt vmcnt(0)
	flat_store_dwordx4 v[4:5], v[0:3]
	scratch_load_dwordx4 v[0:3], off, s51
	v_accvgpr_read_b32 v4, a32
	v_accvgpr_read_b32 v5, a33
	s_waitcnt vmcnt(0)
	flat_store_dwordx4 v[4:5], v[0:3]
	scratch_load_dwordx4 v[0:3], off, s50
	v_accvgpr_read_b32 v4, a34
	v_accvgpr_read_b32 v5, a35
	s_waitcnt vmcnt(0)
	flat_store_dwordx4 v[4:5], v[0:3]
	scratch_load_dwordx4 v[0:3], off, s49
	v_accvgpr_read_b32 v4, a36
	v_accvgpr_read_b32 v5, a37
	s_waitcnt vmcnt(0)
	flat_store_dwordx4 v[4:5], v[0:3]
	scratch_load_dwordx4 v[0:3], off, s48
	v_accvgpr_read_b32 v4, a38
	v_accvgpr_read_b32 v5, a39
	s_waitcnt vmcnt(0)
	flat_store_dwordx4 v[4:5], v[0:3]
	scratch_load_dwordx4 v[0:3], off, s47
	v_accvgpr_read_b32 v4, a40
	v_accvgpr_read_b32 v5, a41
	s_waitcnt vmcnt(0)
	flat_store_dwordx4 v[4:5], v[0:3]
	scratch_load_dwordx4 v[0:3], off, s46
	v_accvgpr_read_b32 v4, a42
	v_accvgpr_read_b32 v5, a43
	s_waitcnt vmcnt(0)
	flat_store_dwordx4 v[4:5], v[0:3]
	scratch_load_dwordx4 v[0:3], off, s45
	v_accvgpr_read_b32 v4, a44
	v_accvgpr_read_b32 v5, a45
	s_waitcnt vmcnt(0)
	flat_store_dwordx4 v[4:5], v[0:3]
	scratch_load_dwordx4 v[0:3], off, s44
	v_accvgpr_read_b32 v4, a46
	v_accvgpr_read_b32 v5, a47
	s_waitcnt vmcnt(0)
	flat_store_dwordx4 v[4:5], v[0:3]
	scratch_load_dwordx4 v[0:3], off, s43
	v_accvgpr_read_b32 v4, a48
	v_accvgpr_read_b32 v5, a49
	s_waitcnt vmcnt(0)
	flat_store_dwordx4 v[4:5], v[0:3]
	scratch_load_dwordx4 v[0:3], off, s42
	v_accvgpr_read_b32 v4, a50
	v_accvgpr_read_b32 v5, a51
	s_waitcnt vmcnt(0)
	flat_store_dwordx4 v[4:5], v[0:3]
	scratch_load_dwordx4 v[0:3], off, s41
	v_accvgpr_read_b32 v4, a52
	v_accvgpr_read_b32 v5, a53
	s_waitcnt vmcnt(0)
	flat_store_dwordx4 v[4:5], v[0:3]
	scratch_load_dwordx4 v[0:3], off, s40
	v_accvgpr_read_b32 v4, a54
	v_accvgpr_read_b32 v5, a55
	s_waitcnt vmcnt(0)
	flat_store_dwordx4 v[4:5], v[0:3]
	scratch_load_dwordx4 v[0:3], off, s39
	v_accvgpr_read_b32 v4, a56
	v_accvgpr_read_b32 v5, a57
	s_waitcnt vmcnt(0)
	flat_store_dwordx4 v[4:5], v[0:3]
	scratch_load_dwordx4 v[0:3], off, s38
	v_accvgpr_read_b32 v4, a58
	v_accvgpr_read_b32 v5, a59
	s_waitcnt vmcnt(0)
	flat_store_dwordx4 v[4:5], v[0:3]
	scratch_load_dwordx4 v[0:3], off, s37
	v_accvgpr_read_b32 v4, a60
	v_accvgpr_read_b32 v5, a61
	s_waitcnt vmcnt(0)
	flat_store_dwordx4 v[4:5], v[0:3]
	scratch_load_dwordx4 v[0:3], off, s36
	v_accvgpr_read_b32 v4, a62
	v_accvgpr_read_b32 v5, a63
	s_waitcnt vmcnt(0)
	flat_store_dwordx4 v[4:5], v[0:3]
	scratch_load_dwordx4 v[0:3], off, s35
	v_accvgpr_read_b32 v4, a64
	v_accvgpr_read_b32 v5, a65
	s_waitcnt vmcnt(0)
	flat_store_dwordx4 v[4:5], v[0:3]
	scratch_load_dwordx4 v[0:3], off, s34
	v_accvgpr_read_b32 v4, a66
	v_accvgpr_read_b32 v5, a67
	s_waitcnt vmcnt(0)
	flat_store_dwordx4 v[4:5], v[0:3]
	scratch_load_dwordx4 v[0:3], off, s33
	v_accvgpr_read_b32 v4, a68
	v_accvgpr_read_b32 v5, a69
	s_waitcnt vmcnt(0)
	flat_store_dwordx4 v[4:5], v[0:3]
	scratch_load_dwordx4 v[0:3], off, s31
	v_accvgpr_read_b32 v4, a70
	v_accvgpr_read_b32 v5, a71
	s_waitcnt vmcnt(0)
	flat_store_dwordx4 v[4:5], v[0:3]
	scratch_load_dwordx4 v[0:3], off, s30
	v_accvgpr_read_b32 v4, a72
	v_accvgpr_read_b32 v5, a73
	s_waitcnt vmcnt(0)
	flat_store_dwordx4 v[4:5], v[0:3]
	scratch_load_dwordx4 v[0:3], off, s29
	v_accvgpr_read_b32 v4, a74
	v_accvgpr_read_b32 v5, a75
	s_waitcnt vmcnt(0)
	flat_store_dwordx4 v[4:5], v[0:3]
	scratch_load_dwordx4 v[0:3], off, s28
	v_accvgpr_read_b32 v4, a76
	v_accvgpr_read_b32 v5, a77
	s_waitcnt vmcnt(0)
	flat_store_dwordx4 v[4:5], v[0:3]
	scratch_load_dwordx4 v[0:3], off, s27
	v_accvgpr_read_b32 v4, a78
	v_accvgpr_read_b32 v5, a79
	s_waitcnt vmcnt(0)
	flat_store_dwordx4 v[4:5], v[0:3]
	scratch_load_dwordx4 v[0:3], off, s26
	v_accvgpr_read_b32 v4, a80
	v_accvgpr_read_b32 v5, a81
	s_waitcnt vmcnt(0)
	flat_store_dwordx4 v[4:5], v[0:3]
	scratch_load_dwordx4 v[0:3], off, s25
	v_accvgpr_read_b32 v4, a82
	v_accvgpr_read_b32 v5, a83
	s_waitcnt vmcnt(0)
	flat_store_dwordx4 v[4:5], v[0:3]
	scratch_load_dwordx4 v[0:3], off, s24
	v_accvgpr_read_b32 v4, a84
	v_accvgpr_read_b32 v5, a85
	s_waitcnt vmcnt(0)
	flat_store_dwordx4 v[4:5], v[0:3]
	scratch_load_dwordx4 v[0:3], off, s23
	v_accvgpr_read_b32 v4, a86
	v_accvgpr_read_b32 v5, a87
	s_waitcnt vmcnt(0)
	flat_store_dwordx4 v[4:5], v[0:3]
	scratch_load_dwordx4 v[0:3], off, s22
	v_accvgpr_read_b32 v4, a88
	v_accvgpr_read_b32 v5, a89
	s_waitcnt vmcnt(0)
	flat_store_dwordx4 v[4:5], v[0:3]
	scratch_load_dwordx4 v[0:3], off, s21
	v_accvgpr_read_b32 v4, a90
	v_accvgpr_read_b32 v5, a91
	s_waitcnt vmcnt(0)
	flat_store_dwordx4 v[4:5], v[0:3]
	scratch_load_dwordx4 v[0:3], off, s20
	v_accvgpr_read_b32 v4, a92
	v_accvgpr_read_b32 v5, a93
	s_waitcnt vmcnt(0)
	flat_store_dwordx4 v[4:5], v[0:3]
	scratch_load_dwordx4 v[0:3], off, s19
	v_accvgpr_read_b32 v4, a94
	v_accvgpr_read_b32 v5, a95
	s_waitcnt vmcnt(0)
	flat_store_dwordx4 v[4:5], v[0:3]
	scratch_load_dwordx4 v[0:3], off, s18
	v_accvgpr_read_b32 v4, a96
	v_accvgpr_read_b32 v5, a97
	s_waitcnt vmcnt(0)
	flat_store_dwordx4 v[4:5], v[0:3]
	scratch_load_dwordx4 v[0:3], off, s17
	v_accvgpr_read_b32 v4, a98
	v_accvgpr_read_b32 v5, a99
	s_waitcnt vmcnt(0)
	flat_store_dwordx4 v[4:5], v[0:3]
	scratch_load_dwordx4 v[0:3], off, s16
	v_accvgpr_read_b32 v4, a100
	v_accvgpr_read_b32 v5, a101
	s_waitcnt vmcnt(0)
	flat_store_dwordx4 v[4:5], v[0:3]
	s_endpgm
	.section	.rodata,"a",@progbits
	.p2align	6, 0x0
	.amdhsa_kernel _ZN9rocsolver6v33100L18getri_kernel_smallILi51E19rocblas_complex_numIdEPKPS3_EEvT1_iilPiilS8_bb
		.amdhsa_group_segment_fixed_size 1640
		.amdhsa_private_segment_fixed_size 848
		.amdhsa_kernarg_size 60
		.amdhsa_user_sgpr_count 2
		.amdhsa_user_sgpr_dispatch_ptr 0
		.amdhsa_user_sgpr_queue_ptr 0
		.amdhsa_user_sgpr_kernarg_segment_ptr 1
		.amdhsa_user_sgpr_dispatch_id 0
		.amdhsa_user_sgpr_kernarg_preload_length 0
		.amdhsa_user_sgpr_kernarg_preload_offset 0
		.amdhsa_user_sgpr_private_segment_size 0
		.amdhsa_uses_dynamic_stack 0
		.amdhsa_enable_private_segment 1
		.amdhsa_system_sgpr_workgroup_id_x 1
		.amdhsa_system_sgpr_workgroup_id_y 0
		.amdhsa_system_sgpr_workgroup_id_z 0
		.amdhsa_system_sgpr_workgroup_info 0
		.amdhsa_system_vgpr_workitem_id 0
		.amdhsa_next_free_vgpr 388
		.amdhsa_next_free_sgpr 86
		.amdhsa_accum_offset 256
		.amdhsa_reserve_vcc 1
		.amdhsa_float_round_mode_32 0
		.amdhsa_float_round_mode_16_64 0
		.amdhsa_float_denorm_mode_32 3
		.amdhsa_float_denorm_mode_16_64 3
		.amdhsa_dx10_clamp 1
		.amdhsa_ieee_mode 1
		.amdhsa_fp16_overflow 0
		.amdhsa_tg_split 0
		.amdhsa_exception_fp_ieee_invalid_op 0
		.amdhsa_exception_fp_denorm_src 0
		.amdhsa_exception_fp_ieee_div_zero 0
		.amdhsa_exception_fp_ieee_overflow 0
		.amdhsa_exception_fp_ieee_underflow 0
		.amdhsa_exception_fp_ieee_inexact 0
		.amdhsa_exception_int_div_zero 0
	.end_amdhsa_kernel
	.section	.text._ZN9rocsolver6v33100L18getri_kernel_smallILi51E19rocblas_complex_numIdEPKPS3_EEvT1_iilPiilS8_bb,"axG",@progbits,_ZN9rocsolver6v33100L18getri_kernel_smallILi51E19rocblas_complex_numIdEPKPS3_EEvT1_iilPiilS8_bb,comdat
.Lfunc_end114:
	.size	_ZN9rocsolver6v33100L18getri_kernel_smallILi51E19rocblas_complex_numIdEPKPS3_EEvT1_iilPiilS8_bb, .Lfunc_end114-_ZN9rocsolver6v33100L18getri_kernel_smallILi51E19rocblas_complex_numIdEPKPS3_EEvT1_iilPiilS8_bb
                                        ; -- End function
	.set _ZN9rocsolver6v33100L18getri_kernel_smallILi51E19rocblas_complex_numIdEPKPS3_EEvT1_iilPiilS8_bb.num_vgpr, 256
	.set _ZN9rocsolver6v33100L18getri_kernel_smallILi51E19rocblas_complex_numIdEPKPS3_EEvT1_iilPiilS8_bb.num_agpr, 132
	.set _ZN9rocsolver6v33100L18getri_kernel_smallILi51E19rocblas_complex_numIdEPKPS3_EEvT1_iilPiilS8_bb.numbered_sgpr, 86
	.set _ZN9rocsolver6v33100L18getri_kernel_smallILi51E19rocblas_complex_numIdEPKPS3_EEvT1_iilPiilS8_bb.num_named_barrier, 0
	.set _ZN9rocsolver6v33100L18getri_kernel_smallILi51E19rocblas_complex_numIdEPKPS3_EEvT1_iilPiilS8_bb.private_seg_size, 848
	.set _ZN9rocsolver6v33100L18getri_kernel_smallILi51E19rocblas_complex_numIdEPKPS3_EEvT1_iilPiilS8_bb.uses_vcc, 1
	.set _ZN9rocsolver6v33100L18getri_kernel_smallILi51E19rocblas_complex_numIdEPKPS3_EEvT1_iilPiilS8_bb.uses_flat_scratch, 0
	.set _ZN9rocsolver6v33100L18getri_kernel_smallILi51E19rocblas_complex_numIdEPKPS3_EEvT1_iilPiilS8_bb.has_dyn_sized_stack, 0
	.set _ZN9rocsolver6v33100L18getri_kernel_smallILi51E19rocblas_complex_numIdEPKPS3_EEvT1_iilPiilS8_bb.has_recursion, 0
	.set _ZN9rocsolver6v33100L18getri_kernel_smallILi51E19rocblas_complex_numIdEPKPS3_EEvT1_iilPiilS8_bb.has_indirect_call, 0
	.section	.AMDGPU.csdata,"",@progbits
; Kernel info:
; codeLenInByte = 110436
; TotalNumSgprs: 92
; NumVgprs: 256
; NumAgprs: 132
; TotalNumVgprs: 388
; ScratchSize: 848
; MemoryBound: 0
; FloatMode: 240
; IeeeMode: 1
; LDSByteSize: 1640 bytes/workgroup (compile time only)
; SGPRBlocks: 11
; VGPRBlocks: 48
; NumSGPRsForWavesPerEU: 92
; NumVGPRsForWavesPerEU: 388
; AccumOffset: 256
; Occupancy: 1
; WaveLimiterHint : 1
; COMPUTE_PGM_RSRC2:SCRATCH_EN: 1
; COMPUTE_PGM_RSRC2:USER_SGPR: 2
; COMPUTE_PGM_RSRC2:TRAP_HANDLER: 0
; COMPUTE_PGM_RSRC2:TGID_X_EN: 1
; COMPUTE_PGM_RSRC2:TGID_Y_EN: 0
; COMPUTE_PGM_RSRC2:TGID_Z_EN: 0
; COMPUTE_PGM_RSRC2:TIDIG_COMP_CNT: 0
; COMPUTE_PGM_RSRC3_GFX90A:ACCUM_OFFSET: 63
; COMPUTE_PGM_RSRC3_GFX90A:TG_SPLIT: 0
	.section	.text._ZN9rocsolver6v33100L18getri_kernel_smallILi52E19rocblas_complex_numIdEPKPS3_EEvT1_iilPiilS8_bb,"axG",@progbits,_ZN9rocsolver6v33100L18getri_kernel_smallILi52E19rocblas_complex_numIdEPKPS3_EEvT1_iilPiilS8_bb,comdat
	.globl	_ZN9rocsolver6v33100L18getri_kernel_smallILi52E19rocblas_complex_numIdEPKPS3_EEvT1_iilPiilS8_bb ; -- Begin function _ZN9rocsolver6v33100L18getri_kernel_smallILi52E19rocblas_complex_numIdEPKPS3_EEvT1_iilPiilS8_bb
	.p2align	8
	.type	_ZN9rocsolver6v33100L18getri_kernel_smallILi52E19rocblas_complex_numIdEPKPS3_EEvT1_iilPiilS8_bb,@function
_ZN9rocsolver6v33100L18getri_kernel_smallILi52E19rocblas_complex_numIdEPKPS3_EEvT1_iilPiilS8_bb: ; @_ZN9rocsolver6v33100L18getri_kernel_smallILi52E19rocblas_complex_numIdEPKPS3_EEvT1_iilPiilS8_bb
; %bb.0:
	v_mov_b32_e32 v240, v0
	v_cmp_gt_u32_e32 vcc, 52, v240
	s_and_saveexec_b64 s[4:5], vcc
	s_cbranch_execz .LBB115_222
; %bb.1:
	s_load_dword s14, s[0:1], 0x38
	s_load_dwordx2 s[8:9], s[0:1], 0x0
	s_load_dwordx4 s[4:7], s[0:1], 0x28
	s_waitcnt lgkmcnt(0)
	s_bitcmp1_b32 s14, 8
	s_cselect_b64 s[10:11], -1, 0
	s_ashr_i32 s3, s2, 31
	s_lshl_b64 s[12:13], s[2:3], 3
	s_add_u32 s8, s8, s12
	s_addc_u32 s9, s9, s13
	s_load_dwordx2 s[12:13], s[8:9], 0x0
	s_bfe_u32 s8, s14, 0x10008
	s_cmp_eq_u32 s8, 0
                                        ; implicit-def: $sgpr8_sgpr9
	s_cbranch_scc1 .LBB115_3
; %bb.2:
	s_load_dword s8, s[0:1], 0x20
	s_load_dwordx2 s[14:15], s[0:1], 0x18
	s_mul_i32 s9, s4, s3
	s_mul_hi_u32 s16, s4, s2
	s_add_i32 s16, s16, s9
	s_mul_i32 s5, s5, s2
	s_add_i32 s5, s16, s5
	s_mul_i32 s4, s4, s2
	s_waitcnt lgkmcnt(0)
	s_ashr_i32 s9, s8, 31
	s_lshl_b64 s[4:5], s[4:5], 2
	s_add_u32 s14, s14, s4
	s_addc_u32 s15, s15, s5
	s_lshl_b64 s[4:5], s[8:9], 2
	s_add_u32 s8, s14, s4
	s_addc_u32 s9, s15, s5
.LBB115_3:
	s_load_dwordx2 s[4:5], s[0:1], 0x8
	s_load_dword s14, s[0:1], 0x38
	v_lshlrev_b32_e32 v14, 4, v240
	v_mov_b32_e32 v15, 0
	s_movk_i32 s15, 0x80
	s_waitcnt lgkmcnt(0)
	s_ashr_i32 s1, s4, 31
	s_mov_b32 s0, s4
	s_lshl_b64 s[0:1], s[0:1], 4
	s_add_u32 s0, s12, s0
	s_addc_u32 s1, s13, s1
	v_lshl_add_u64 v[0:1], s[0:1], 0, v[14:15]
	flat_load_dwordx4 v[2:5], v[0:1]
	s_mov_b32 s12, s5
	s_ashr_i32 s13, s5, 31
	v_accvgpr_write_b32 a0, v0
	v_accvgpr_write_b32 a1, v1
	v_lshl_add_u64 v[0:1], s[12:13], 4, v[0:1]
	s_add_i32 s4, s5, s5
	v_add_u32_e32 v6, s4, v240
	v_accvgpr_write_b32 a3, v1
	v_ashrrev_i32_e32 v7, 31, v6
	v_accvgpr_write_b32 a2, v0
	s_movk_i32 s4, 0x50
	s_movk_i32 s12, 0x60
	;; [unrolled: 1-line block ×43, first 2 shown]
	s_add_i32 s63, s4, 16
	s_add_i32 s62, s12, 16
	;; [unrolled: 1-line block ×26, first 2 shown]
	s_waitcnt vmcnt(0) lgkmcnt(0)
	scratch_store_dwordx4 off, v[2:5], off offset:16
	flat_load_dwordx4 v[2:5], v[0:1]
	v_lshl_add_u64 v[0:1], v[6:7], 4, s[0:1]
	v_add_u32_e32 v6, s5, v6
	v_accvgpr_write_b32 a5, v1
	v_ashrrev_i32_e32 v7, 31, v6
	v_accvgpr_write_b32 a4, v0
	s_add_i32 s34, s70, 16
	s_add_i32 s33, s71, 16
	s_add_i32 s31, s72, 16
	s_add_i32 s30, s73, 16
	s_add_i32 s29, s74, 16
	s_add_i32 s28, s75, 16
	s_add_i32 s27, s76, 16
	s_add_i32 s26, s77, 16
	s_add_i32 s25, s78, 16
	s_add_i32 s24, s79, 16
	s_add_i32 s23, s80, 16
	s_add_i32 s22, s81, 16
	s_add_i32 s21, s82, 16
	s_add_i32 s20, s83, 16
	s_add_i32 s19, s84, 16
	s_add_i32 s18, s85, 16
	s_add_i32 s17, s86, 16
	s_add_i32 s16, s87, 16
	s_mov_b32 s67, 32
	s_mov_b32 s66, 48
	;; [unrolled: 1-line block ×3, first 2 shown]
	s_movk_i32 s64, 0x50
	s_waitcnt vmcnt(0) lgkmcnt(0)
	scratch_store_dwordx4 off, v[2:5], off offset:32
	flat_load_dwordx4 v[2:5], v[0:1]
	v_lshl_add_u64 v[0:1], v[6:7], 4, s[0:1]
	v_add_u32_e32 v6, s5, v6
	v_accvgpr_write_b32 a7, v1
	v_ashrrev_i32_e32 v7, 31, v6
	v_accvgpr_write_b32 a6, v0
	s_waitcnt vmcnt(0) lgkmcnt(0)
	scratch_store_dwordx4 off, v[2:5], off offset:48
	flat_load_dwordx4 v[2:5], v[0:1]
	v_lshl_add_u64 v[0:1], v[6:7], 4, s[0:1]
	v_add_u32_e32 v6, s5, v6
	v_accvgpr_write_b32 a9, v1
	v_ashrrev_i32_e32 v7, 31, v6
	v_accvgpr_write_b32 a8, v0
	;; [unrolled: 8-line block ×48, first 2 shown]
	s_movk_i32 s5, 0x1b0
	s_add_i32 s41, s5, 16
	s_mov_b64 s[4:5], -1
	s_waitcnt vmcnt(0) lgkmcnt(0)
	scratch_store_dwordx4 off, v[2:5], off offset:800
	flat_load_dwordx4 v[2:5], v[0:1]
	v_lshl_add_u64 v[0:1], v[6:7], 4, s[0:1]
	s_movk_i32 s0, 0x190
	s_movk_i32 s1, 0x1a0
	v_accvgpr_write_b32 a103, v1
	s_add_i32 s43, s0, 16
	s_add_i32 s42, s1, 16
	v_accvgpr_write_b32 a102, v0
	s_bitcmp0_b32 s14, 0
	s_waitcnt vmcnt(0) lgkmcnt(0)
	scratch_store_dwordx4 off, v[2:5], off offset:816
	flat_load_dwordx4 v[2:5], v[0:1]
	s_waitcnt vmcnt(0) lgkmcnt(0)
	scratch_store_dwordx4 off, v[2:5], off offset:832
	s_cbranch_scc1 .LBB115_220
; %bb.4:
	v_cmp_eq_u32_e64 s[0:1], 0, v240
	s_and_saveexec_b64 s[4:5], s[0:1]
; %bb.5:
	v_mov_b32_e32 v0, 0
	ds_write_b32 v0, v0 offset:1664
; %bb.6:
	s_or_b64 exec, exec, s[4:5]
	s_waitcnt lgkmcnt(0)
	; wave barrier
	scratch_load_dwordx4 v[2:5], v14, off offset:16
	s_waitcnt vmcnt(0)
	v_cmp_eq_f64_e32 vcc, 0, v[2:3]
	v_cmp_eq_f64_e64 s[4:5], 0, v[4:5]
	s_and_b64 s[4:5], vcc, s[4:5]
	s_and_saveexec_b64 s[12:13], s[4:5]
	s_cbranch_execz .LBB115_10
; %bb.7:
	v_mov_b32_e32 v1, 0
	ds_read_b32 v0, v1 offset:1664
	v_add_u32_e32 v2, 1, v240
	s_waitcnt lgkmcnt(0)
	v_readfirstlane_b32 s4, v0
	s_cmp_eq_u32 s4, 0
	s_cselect_b64 s[14:15], -1, 0
	v_cmp_gt_i32_e32 vcc, s4, v2
	s_or_b64 s[14:15], s[14:15], vcc
	s_and_b64 exec, exec, s[14:15]
	s_cbranch_execz .LBB115_10
; %bb.8:
	s_mov_b64 s[14:15], 0
	v_mov_b32_e32 v3, s4
.LBB115_9:                              ; =>This Inner Loop Header: Depth=1
	ds_cmpst_rtn_b32 v3, v1, v3, v2 offset:1664
	s_waitcnt lgkmcnt(0)
	v_cmp_ne_u32_e32 vcc, 0, v3
	v_cmp_le_i32_e64 s[4:5], v3, v2
	s_and_b64 s[4:5], vcc, s[4:5]
	s_and_b64 s[4:5], exec, s[4:5]
	s_or_b64 s[14:15], s[4:5], s[14:15]
	s_andn2_b64 exec, exec, s[14:15]
	s_cbranch_execnz .LBB115_9
.LBB115_10:
	s_or_b64 exec, exec, s[12:13]
	v_mov_b32_e32 v2, 0
	; wave barrier
	ds_read_b32 v1, v2 offset:1664
	s_and_saveexec_b64 s[4:5], s[0:1]
	s_cbranch_execz .LBB115_12
; %bb.11:
	s_lshl_b64 s[12:13], s[2:3], 2
	s_add_u32 s12, s6, s12
	s_addc_u32 s13, s7, s13
	s_waitcnt lgkmcnt(0)
	global_store_dword v2, v1, s[12:13]
.LBB115_12:
	s_or_b64 exec, exec, s[4:5]
	s_waitcnt lgkmcnt(0)
	v_cmp_ne_u32_e32 vcc, 0, v1
	s_mov_b64 s[4:5], 0
	s_cbranch_vccnz .LBB115_220
; %bb.13:
	v_add_u32_e32 v15, 16, v14
	scratch_load_dwordx4 v[2:5], v15, off
                                        ; implicit-def: $vgpr6_vgpr7
                                        ; implicit-def: $vgpr10_vgpr11
	s_waitcnt vmcnt(0)
	v_cmp_ngt_f64_e64 s[4:5], |v[2:3]|, |v[4:5]|
	s_and_saveexec_b64 s[12:13], s[4:5]
	s_xor_b64 s[4:5], exec, s[12:13]
	s_cbranch_execz .LBB115_15
; %bb.14:
	v_div_scale_f64 v[6:7], s[12:13], v[4:5], v[4:5], v[2:3]
	v_rcp_f64_e32 v[8:9], v[6:7]
	v_div_scale_f64 v[10:11], vcc, v[2:3], v[4:5], v[2:3]
	v_fma_f64 v[12:13], -v[6:7], v[8:9], 1.0
	v_fmac_f64_e32 v[8:9], v[8:9], v[12:13]
	v_fma_f64 v[12:13], -v[6:7], v[8:9], 1.0
	v_fmac_f64_e32 v[8:9], v[8:9], v[12:13]
	v_mul_f64 v[12:13], v[10:11], v[8:9]
	v_fma_f64 v[6:7], -v[6:7], v[12:13], v[10:11]
	v_div_fmas_f64 v[6:7], v[6:7], v[8:9], v[12:13]
	v_div_fixup_f64 v[6:7], v[6:7], v[4:5], v[2:3]
	v_fmac_f64_e32 v[4:5], v[2:3], v[6:7]
	v_div_scale_f64 v[2:3], s[12:13], v[4:5], v[4:5], 1.0
	v_rcp_f64_e32 v[8:9], v[2:3]
	s_nop 0
	v_fma_f64 v[10:11], -v[2:3], v[8:9], 1.0
	v_fmac_f64_e32 v[8:9], v[8:9], v[10:11]
	v_fma_f64 v[10:11], -v[2:3], v[8:9], 1.0
	v_fmac_f64_e32 v[8:9], v[8:9], v[10:11]
	v_div_scale_f64 v[10:11], vcc, 1.0, v[4:5], 1.0
	v_mul_f64 v[12:13], v[10:11], v[8:9]
	v_fma_f64 v[2:3], -v[2:3], v[12:13], v[10:11]
	s_nop 1
	v_div_fmas_f64 v[2:3], v[2:3], v[8:9], v[12:13]
	v_div_fixup_f64 v[8:9], v[2:3], v[4:5], 1.0
	v_mul_f64 v[6:7], v[6:7], v[8:9]
	v_xor_b32_e32 v9, 0x80000000, v9
	v_xor_b32_e32 v11, 0x80000000, v7
	v_mov_b32_e32 v10, v6
                                        ; implicit-def: $vgpr2_vgpr3
.LBB115_15:
	s_andn2_saveexec_b64 s[4:5], s[4:5]
	s_cbranch_execz .LBB115_17
; %bb.16:
	v_div_scale_f64 v[6:7], s[12:13], v[2:3], v[2:3], v[4:5]
	v_rcp_f64_e32 v[8:9], v[6:7]
	v_div_scale_f64 v[10:11], vcc, v[4:5], v[2:3], v[4:5]
	v_fma_f64 v[12:13], -v[6:7], v[8:9], 1.0
	v_fmac_f64_e32 v[8:9], v[8:9], v[12:13]
	v_fma_f64 v[12:13], -v[6:7], v[8:9], 1.0
	v_fmac_f64_e32 v[8:9], v[8:9], v[12:13]
	v_mul_f64 v[12:13], v[10:11], v[8:9]
	v_fma_f64 v[6:7], -v[6:7], v[12:13], v[10:11]
	v_div_fmas_f64 v[6:7], v[6:7], v[8:9], v[12:13]
	v_div_fixup_f64 v[8:9], v[6:7], v[2:3], v[4:5]
	v_fmac_f64_e32 v[2:3], v[4:5], v[8:9]
	v_div_scale_f64 v[4:5], s[12:13], v[2:3], v[2:3], 1.0
	v_rcp_f64_e32 v[6:7], v[4:5]
	s_nop 0
	v_fma_f64 v[10:11], -v[4:5], v[6:7], 1.0
	v_fmac_f64_e32 v[6:7], v[6:7], v[10:11]
	v_fma_f64 v[10:11], -v[4:5], v[6:7], 1.0
	v_fmac_f64_e32 v[6:7], v[6:7], v[10:11]
	v_div_scale_f64 v[10:11], vcc, 1.0, v[2:3], 1.0
	v_mul_f64 v[12:13], v[10:11], v[6:7]
	v_fma_f64 v[4:5], -v[4:5], v[12:13], v[10:11]
	s_nop 1
	v_div_fmas_f64 v[4:5], v[4:5], v[6:7], v[12:13]
	v_div_fixup_f64 v[6:7], v[4:5], v[2:3], 1.0
	v_xor_b32_e32 v11, 0x80000000, v7
	v_mov_b32_e32 v10, v6
	v_mul_f64 v[8:9], v[8:9], -v[6:7]
.LBB115_17:
	s_or_b64 exec, exec, s[4:5]
	scratch_store_dwordx4 v15, v[6:9], off
	scratch_load_dwordx4 v[2:5], off, s67
	v_xor_b32_e32 v13, 0x80000000, v9
	v_mov_b32_e32 v12, v8
	v_add_u32_e32 v1, 0x340, v14
	ds_write_b128 v14, v[10:13]
	s_waitcnt vmcnt(0)
	ds_write_b128 v14, v[2:5] offset:832
	s_waitcnt lgkmcnt(0)
	; wave barrier
	s_and_saveexec_b64 s[4:5], s[0:1]
	s_cbranch_execz .LBB115_19
; %bb.18:
	scratch_load_dwordx4 v[2:5], v15, off
	ds_read_b128 v[6:9], v1
	v_mov_b32_e32 v0, 0
	ds_read_b128 v[10:13], v0 offset:16
	s_waitcnt vmcnt(0) lgkmcnt(1)
	v_mul_f64 v[16:17], v[8:9], v[4:5]
	v_mul_f64 v[4:5], v[6:7], v[4:5]
	v_fma_f64 v[6:7], v[6:7], v[2:3], -v[16:17]
	v_fmac_f64_e32 v[4:5], v[8:9], v[2:3]
	v_add_f64 v[2:3], v[6:7], 0
	v_add_f64 v[6:7], v[4:5], 0
	s_waitcnt lgkmcnt(0)
	v_mul_f64 v[8:9], v[6:7], v[12:13]
	v_mul_f64 v[4:5], v[2:3], v[12:13]
	v_fma_f64 v[2:3], v[2:3], v[10:11], -v[8:9]
	v_fmac_f64_e32 v[4:5], v[6:7], v[10:11]
	scratch_store_dwordx4 off, v[2:5], off offset:32
.LBB115_19:
	s_or_b64 exec, exec, s[4:5]
	; wave barrier
	scratch_load_dwordx4 v[2:5], off, s66
	v_cmp_gt_u32_e32 vcc, 2, v240
	s_waitcnt vmcnt(0)
	ds_write_b128 v1, v[2:5]
	s_waitcnt lgkmcnt(0)
	; wave barrier
	s_and_saveexec_b64 s[4:5], vcc
	s_cbranch_execz .LBB115_23
; %bb.20:
	scratch_load_dwordx4 v[2:5], v15, off
	ds_read_b128 v[6:9], v1
	s_waitcnt vmcnt(0) lgkmcnt(0)
	v_mul_f64 v[10:11], v[8:9], v[4:5]
	v_mul_f64 v[12:13], v[6:7], v[4:5]
	v_fma_f64 v[4:5], v[6:7], v[2:3], -v[10:11]
	v_fmac_f64_e32 v[12:13], v[8:9], v[2:3]
	v_add_f64 v[4:5], v[4:5], 0
	v_add_f64 v[2:3], v[12:13], 0
	s_and_saveexec_b64 s[12:13], s[0:1]
	s_cbranch_execz .LBB115_22
; %bb.21:
	scratch_load_dwordx4 v[6:9], off, off offset:32
	v_mov_b32_e32 v0, 0
	ds_read_b128 v[10:13], v0 offset:848
	s_waitcnt vmcnt(0) lgkmcnt(0)
	v_mul_f64 v[16:17], v[10:11], v[8:9]
	v_mul_f64 v[8:9], v[12:13], v[8:9]
	v_fmac_f64_e32 v[16:17], v[12:13], v[6:7]
	v_fma_f64 v[6:7], v[10:11], v[6:7], -v[8:9]
	v_add_f64 v[2:3], v[2:3], v[16:17]
	v_add_f64 v[4:5], v[4:5], v[6:7]
.LBB115_22:
	s_or_b64 exec, exec, s[12:13]
	v_mov_b32_e32 v0, 0
	ds_read_b128 v[6:9], v0 offset:32
	s_waitcnt lgkmcnt(0)
	v_mul_f64 v[12:13], v[2:3], v[8:9]
	v_mul_f64 v[10:11], v[4:5], v[8:9]
	v_fma_f64 v[8:9], v[4:5], v[6:7], -v[12:13]
	v_fmac_f64_e32 v[10:11], v[2:3], v[6:7]
	scratch_store_dwordx4 off, v[8:11], off offset:48
.LBB115_23:
	s_or_b64 exec, exec, s[4:5]
	; wave barrier
	scratch_load_dwordx4 v[2:5], off, s65
	v_cmp_gt_u32_e32 vcc, 3, v240
	v_add_u32_e32 v6, -1, v240
	s_waitcnt vmcnt(0)
	ds_write_b128 v1, v[2:5]
	s_waitcnt lgkmcnt(0)
	; wave barrier
	s_and_saveexec_b64 s[0:1], vcc
	s_cbranch_execz .LBB115_27
; %bb.24:
	v_add_u32_e32 v7, -1, v240
	v_add_u32_e32 v8, 0x340, v14
	v_add_u32_e32 v9, 16, v14
	v_mov_b64_e32 v[2:3], 0
	s_mov_b64 s[4:5], 0
	v_mov_b64_e32 v[4:5], 0
.LBB115_25:                             ; =>This Inner Loop Header: Depth=1
	scratch_load_dwordx4 v[10:13], v9, off
	ds_read_b128 v[16:19], v8
	v_add_u32_e32 v7, 1, v7
	v_cmp_lt_u32_e32 vcc, 1, v7
	v_add_u32_e32 v8, 16, v8
	v_add_u32_e32 v9, 16, v9
	s_or_b64 s[4:5], vcc, s[4:5]
	s_waitcnt vmcnt(0) lgkmcnt(0)
	v_mul_f64 v[20:21], v[18:19], v[12:13]
	v_mul_f64 v[12:13], v[16:17], v[12:13]
	v_fma_f64 v[16:17], v[16:17], v[10:11], -v[20:21]
	v_fmac_f64_e32 v[12:13], v[18:19], v[10:11]
	v_add_f64 v[4:5], v[4:5], v[16:17]
	v_add_f64 v[2:3], v[2:3], v[12:13]
	s_andn2_b64 exec, exec, s[4:5]
	s_cbranch_execnz .LBB115_25
; %bb.26:
	s_or_b64 exec, exec, s[4:5]
	v_mov_b32_e32 v0, 0
	ds_read_b128 v[8:11], v0 offset:48
	s_waitcnt lgkmcnt(0)
	v_mul_f64 v[16:17], v[2:3], v[10:11]
	v_mul_f64 v[12:13], v[4:5], v[10:11]
	v_fma_f64 v[10:11], v[4:5], v[8:9], -v[16:17]
	v_fmac_f64_e32 v[12:13], v[2:3], v[8:9]
	scratch_store_dwordx4 off, v[10:13], off offset:64
.LBB115_27:
	s_or_b64 exec, exec, s[0:1]
	; wave barrier
	scratch_load_dwordx4 v[2:5], off, s64
	v_cmp_gt_u32_e32 vcc, 4, v240
	s_waitcnt vmcnt(0)
	ds_write_b128 v1, v[2:5]
	s_waitcnt lgkmcnt(0)
	; wave barrier
	s_and_saveexec_b64 s[0:1], vcc
	s_cbranch_execz .LBB115_31
; %bb.28:
	v_add_u32_e32 v7, -1, v240
	v_add_u32_e32 v8, 0x340, v14
	v_add_u32_e32 v9, 16, v14
	v_mov_b64_e32 v[2:3], 0
	s_mov_b64 s[4:5], 0
	v_mov_b64_e32 v[4:5], 0
.LBB115_29:                             ; =>This Inner Loop Header: Depth=1
	scratch_load_dwordx4 v[10:13], v9, off
	ds_read_b128 v[16:19], v8
	v_add_u32_e32 v7, 1, v7
	v_cmp_lt_u32_e32 vcc, 2, v7
	v_add_u32_e32 v8, 16, v8
	v_add_u32_e32 v9, 16, v9
	s_or_b64 s[4:5], vcc, s[4:5]
	s_waitcnt vmcnt(0) lgkmcnt(0)
	v_mul_f64 v[20:21], v[18:19], v[12:13]
	v_mul_f64 v[12:13], v[16:17], v[12:13]
	v_fma_f64 v[16:17], v[16:17], v[10:11], -v[20:21]
	v_fmac_f64_e32 v[12:13], v[18:19], v[10:11]
	v_add_f64 v[4:5], v[4:5], v[16:17]
	v_add_f64 v[2:3], v[2:3], v[12:13]
	s_andn2_b64 exec, exec, s[4:5]
	s_cbranch_execnz .LBB115_29
; %bb.30:
	s_or_b64 exec, exec, s[4:5]
	v_mov_b32_e32 v0, 0
	ds_read_b128 v[8:11], v0 offset:64
	s_waitcnt lgkmcnt(0)
	v_mul_f64 v[16:17], v[2:3], v[10:11]
	v_mul_f64 v[12:13], v[4:5], v[10:11]
	v_fma_f64 v[10:11], v[4:5], v[8:9], -v[16:17]
	v_fmac_f64_e32 v[12:13], v[2:3], v[8:9]
	scratch_store_dwordx4 off, v[10:13], off offset:80
.LBB115_31:
	s_or_b64 exec, exec, s[0:1]
	; wave barrier
	scratch_load_dwordx4 v[2:5], off, s63
	v_cmp_gt_u32_e32 vcc, 5, v240
	;; [unrolled: 45-line block ×19, first 2 shown]
	s_waitcnt vmcnt(0)
	ds_write_b128 v1, v[2:5]
	s_waitcnt lgkmcnt(0)
	; wave barrier
	s_and_saveexec_b64 s[0:1], vcc
	s_cbranch_execz .LBB115_103
; %bb.100:
	v_add_u32_e32 v7, -1, v240
	v_add_u32_e32 v8, 0x340, v14
	v_add_u32_e32 v9, 16, v14
	v_mov_b64_e32 v[2:3], 0
	s_mov_b64 s[4:5], 0
	v_mov_b64_e32 v[4:5], 0
.LBB115_101:                            ; =>This Inner Loop Header: Depth=1
	scratch_load_dwordx4 v[10:13], v9, off
	ds_read_b128 v[16:19], v8
	v_add_u32_e32 v7, 1, v7
	v_cmp_lt_u32_e32 vcc, 20, v7
	v_add_u32_e32 v8, 16, v8
	v_add_u32_e32 v9, 16, v9
	s_or_b64 s[4:5], vcc, s[4:5]
	s_waitcnt vmcnt(0) lgkmcnt(0)
	v_mul_f64 v[20:21], v[18:19], v[12:13]
	v_mul_f64 v[12:13], v[16:17], v[12:13]
	v_fma_f64 v[16:17], v[16:17], v[10:11], -v[20:21]
	v_fmac_f64_e32 v[12:13], v[18:19], v[10:11]
	v_add_f64 v[4:5], v[4:5], v[16:17]
	v_add_f64 v[2:3], v[2:3], v[12:13]
	s_andn2_b64 exec, exec, s[4:5]
	s_cbranch_execnz .LBB115_101
; %bb.102:
	s_or_b64 exec, exec, s[4:5]
	v_mov_b32_e32 v0, 0
	ds_read_b128 v[8:11], v0 offset:352
	s_waitcnt lgkmcnt(0)
	v_mul_f64 v[16:17], v[2:3], v[10:11]
	v_mul_f64 v[12:13], v[4:5], v[10:11]
	v_fma_f64 v[10:11], v[4:5], v[8:9], -v[16:17]
	v_fmac_f64_e32 v[12:13], v[2:3], v[8:9]
	scratch_store_dwordx4 off, v[10:13], off offset:368
.LBB115_103:
	s_or_b64 exec, exec, s[0:1]
	; wave barrier
	scratch_load_dwordx4 v[2:5], off, s45
	v_cmp_gt_u32_e32 vcc, 23, v240
	s_waitcnt vmcnt(0)
	ds_write_b128 v1, v[2:5]
	s_waitcnt lgkmcnt(0)
	; wave barrier
	s_and_saveexec_b64 s[0:1], vcc
	s_cbranch_execz .LBB115_107
; %bb.104:
	v_add_u32_e32 v7, -1, v240
	v_add_u32_e32 v8, 0x340, v14
	v_add_u32_e32 v9, 16, v14
	v_mov_b64_e32 v[2:3], 0
	s_mov_b64 s[4:5], 0
	v_mov_b64_e32 v[4:5], 0
.LBB115_105:                            ; =>This Inner Loop Header: Depth=1
	scratch_load_dwordx4 v[10:13], v9, off
	ds_read_b128 v[16:19], v8
	v_add_u32_e32 v7, 1, v7
	v_cmp_lt_u32_e32 vcc, 21, v7
	v_add_u32_e32 v8, 16, v8
	v_add_u32_e32 v9, 16, v9
	s_or_b64 s[4:5], vcc, s[4:5]
	s_waitcnt vmcnt(0) lgkmcnt(0)
	v_mul_f64 v[20:21], v[18:19], v[12:13]
	v_mul_f64 v[12:13], v[16:17], v[12:13]
	v_fma_f64 v[16:17], v[16:17], v[10:11], -v[20:21]
	v_fmac_f64_e32 v[12:13], v[18:19], v[10:11]
	v_add_f64 v[4:5], v[4:5], v[16:17]
	v_add_f64 v[2:3], v[2:3], v[12:13]
	s_andn2_b64 exec, exec, s[4:5]
	s_cbranch_execnz .LBB115_105
; %bb.106:
	s_or_b64 exec, exec, s[4:5]
	v_mov_b32_e32 v0, 0
	ds_read_b128 v[8:11], v0 offset:368
	s_waitcnt lgkmcnt(0)
	v_mul_f64 v[16:17], v[2:3], v[10:11]
	v_mul_f64 v[12:13], v[4:5], v[10:11]
	v_fma_f64 v[10:11], v[4:5], v[8:9], -v[16:17]
	v_fmac_f64_e32 v[12:13], v[2:3], v[8:9]
	scratch_store_dwordx4 off, v[10:13], off offset:384
.LBB115_107:
	s_or_b64 exec, exec, s[0:1]
	; wave barrier
	scratch_load_dwordx4 v[2:5], off, s44
	v_cmp_gt_u32_e32 vcc, 24, v240
	;; [unrolled: 45-line block ×28, first 2 shown]
	s_waitcnt vmcnt(0)
	ds_write_b128 v1, v[2:5]
	s_waitcnt lgkmcnt(0)
	; wave barrier
	s_and_saveexec_b64 s[0:1], vcc
	s_cbranch_execz .LBB115_215
; %bb.212:
	v_add_u32_e32 v7, -1, v240
	v_add_u32_e32 v8, 0x340, v14
	v_add_u32_e32 v9, 16, v14
	v_mov_b64_e32 v[2:3], 0
	s_mov_b64 s[4:5], 0
	v_mov_b64_e32 v[4:5], 0
.LBB115_213:                            ; =>This Inner Loop Header: Depth=1
	scratch_load_dwordx4 v[10:13], v9, off
	ds_read_b128 v[16:19], v8
	v_add_u32_e32 v7, 1, v7
	v_cmp_lt_u32_e32 vcc, 48, v7
	v_add_u32_e32 v8, 16, v8
	v_add_u32_e32 v9, 16, v9
	s_or_b64 s[4:5], vcc, s[4:5]
	s_waitcnt vmcnt(0) lgkmcnt(0)
	v_mul_f64 v[20:21], v[18:19], v[12:13]
	v_mul_f64 v[12:13], v[16:17], v[12:13]
	v_fma_f64 v[16:17], v[16:17], v[10:11], -v[20:21]
	v_fmac_f64_e32 v[12:13], v[18:19], v[10:11]
	v_add_f64 v[4:5], v[4:5], v[16:17]
	v_add_f64 v[2:3], v[2:3], v[12:13]
	s_andn2_b64 exec, exec, s[4:5]
	s_cbranch_execnz .LBB115_213
; %bb.214:
	s_or_b64 exec, exec, s[4:5]
	v_mov_b32_e32 v0, 0
	ds_read_b128 v[8:11], v0 offset:800
	s_waitcnt lgkmcnt(0)
	v_mul_f64 v[16:17], v[2:3], v[10:11]
	v_mul_f64 v[12:13], v[4:5], v[10:11]
	v_fma_f64 v[10:11], v[4:5], v[8:9], -v[16:17]
	v_fmac_f64_e32 v[12:13], v[2:3], v[8:9]
	scratch_store_dwordx4 off, v[10:13], off offset:816
.LBB115_215:
	s_or_b64 exec, exec, s[0:1]
	; wave barrier
	scratch_load_dwordx4 v[2:5], off, s16
	v_cmp_ne_u32_e32 vcc, 51, v240
	s_waitcnt vmcnt(0)
	ds_write_b128 v1, v[2:5]
	s_waitcnt lgkmcnt(0)
	; wave barrier
	s_and_saveexec_b64 s[0:1], vcc
	s_cbranch_execz .LBB115_219
; %bb.216:
	v_add_u32_e32 v1, 0x340, v14
	v_add_u32_e32 v7, 16, v14
	v_mov_b64_e32 v[2:3], 0
	s_mov_b64 s[4:5], 0
	v_mov_b64_e32 v[4:5], 0
.LBB115_217:                            ; =>This Inner Loop Header: Depth=1
	scratch_load_dwordx4 v[8:11], v7, off
	ds_read_b128 v[12:15], v1
	v_add_u32_e32 v6, 1, v6
	v_cmp_lt_u32_e32 vcc, 49, v6
	v_add_u32_e32 v1, 16, v1
	v_add_u32_e32 v7, 16, v7
	s_or_b64 s[4:5], vcc, s[4:5]
	s_waitcnt vmcnt(0) lgkmcnt(0)
	v_mul_f64 v[16:17], v[14:15], v[10:11]
	v_mul_f64 v[10:11], v[12:13], v[10:11]
	v_fma_f64 v[12:13], v[12:13], v[8:9], -v[16:17]
	v_fmac_f64_e32 v[10:11], v[14:15], v[8:9]
	v_add_f64 v[4:5], v[4:5], v[12:13]
	v_add_f64 v[2:3], v[2:3], v[10:11]
	s_andn2_b64 exec, exec, s[4:5]
	s_cbranch_execnz .LBB115_217
; %bb.218:
	s_or_b64 exec, exec, s[4:5]
	v_mov_b32_e32 v0, 0
	ds_read_b128 v[6:9], v0 offset:816
	s_waitcnt lgkmcnt(0)
	v_mul_f64 v[12:13], v[2:3], v[8:9]
	v_mul_f64 v[10:11], v[4:5], v[8:9]
	v_fma_f64 v[8:9], v[4:5], v[6:7], -v[12:13]
	v_fmac_f64_e32 v[10:11], v[2:3], v[6:7]
	scratch_store_dwordx4 off, v[8:11], off offset:832
.LBB115_219:
	s_or_b64 exec, exec, s[0:1]
	s_mov_b64 s[4:5], -1
	; wave barrier
.LBB115_220:
	s_and_b64 vcc, exec, s[4:5]
	s_cbranch_vccz .LBB115_222
; %bb.221:
	s_lshl_b64 s[0:1], s[2:3], 2
	s_add_u32 s0, s6, s0
	s_addc_u32 s1, s7, s1
	v_mov_b32_e32 v0, 0
	global_load_dword v0, v0, s[0:1]
	s_waitcnt vmcnt(0)
	v_cmp_ne_u32_e32 vcc, 0, v0
	s_cbranch_vccz .LBB115_223
.LBB115_222:
	s_endpgm
.LBB115_223:
	v_mov_b32_e32 v0, 0x340
	v_lshl_add_u32 v0, v240, 4, v0
	v_accvgpr_write_b32 a105, v0
	v_cmp_eq_u32_e32 vcc, 51, v240
	s_and_saveexec_b64 s[0:1], vcc
	s_cbranch_execz .LBB115_225
; %bb.224:
	scratch_load_dwordx4 v[2:5], off, s17
	v_mov_b32_e32 v6, 0
	v_mov_b32_e32 v7, v6
	;; [unrolled: 1-line block ×4, first 2 shown]
	v_accvgpr_read_b32 v0, a105
	scratch_store_dwordx4 off, v[6:9], off offset:816
	s_waitcnt vmcnt(1)
	ds_write_b128 v0, v[2:5]
.LBB115_225:
	s_or_b64 exec, exec, s[0:1]
	s_waitcnt lgkmcnt(0)
	; wave barrier
	scratch_load_dwordx4 v[4:7], off, off offset:832
	scratch_load_dwordx4 v[8:11], off, off offset:816
	v_mov_b32_e32 v2, 0
	ds_read_b128 v[12:15], v2 offset:1648
	v_cmp_lt_u32_e32 vcc, 49, v240
	s_waitcnt vmcnt(1) lgkmcnt(0)
	v_mul_f64 v[16:17], v[12:13], v[6:7]
	v_mul_f64 v[6:7], v[14:15], v[6:7]
	v_fmac_f64_e32 v[16:17], v[14:15], v[4:5]
	v_fma_f64 v[4:5], v[12:13], v[4:5], -v[6:7]
	v_add_f64 v[6:7], v[16:17], 0
	v_add_f64 v[4:5], v[4:5], 0
	s_waitcnt vmcnt(0)
	v_add_f64 v[4:5], v[8:9], -v[4:5]
	v_add_f64 v[6:7], v[10:11], -v[6:7]
	scratch_store_dwordx4 off, v[4:7], off offset:816
	s_and_saveexec_b64 s[0:1], vcc
	s_cbranch_execz .LBB115_227
; %bb.226:
	scratch_load_dwordx4 v[6:9], off, s18
	v_mov_b32_e32 v3, v2
	v_mov_b32_e32 v4, v2
	;; [unrolled: 1-line block ×3, first 2 shown]
	v_accvgpr_read_b32 v0, a105
	scratch_store_dwordx4 off, v[2:5], off offset:800
	s_waitcnt vmcnt(1)
	ds_write_b128 v0, v[6:9]
.LBB115_227:
	s_or_b64 exec, exec, s[0:1]
	s_waitcnt lgkmcnt(0)
	; wave barrier
	ds_read_b128 v[4:7], v2 offset:1632
	ds_read_b128 v[8:11], v2 offset:1648
	scratch_load_dwordx4 v[12:15], off, off offset:816
	scratch_load_dwordx4 v[16:19], off, off offset:832
	v_cmp_lt_u32_e32 vcc, 48, v240
	s_waitcnt vmcnt(1) lgkmcnt(1)
	v_mul_f64 v[2:3], v[4:5], v[14:15]
	v_fmac_f64_e32 v[2:3], v[6:7], v[12:13]
	s_waitcnt vmcnt(0) lgkmcnt(0)
	v_mul_f64 v[20:21], v[8:9], v[18:19]
	v_add_f64 v[2:3], v[2:3], 0
	v_fmac_f64_e32 v[20:21], v[10:11], v[16:17]
	v_add_f64 v[20:21], v[2:3], v[20:21]
	v_mul_f64 v[2:3], v[6:7], v[14:15]
	v_fma_f64 v[2:3], v[4:5], v[12:13], -v[2:3]
	v_mul_f64 v[4:5], v[10:11], v[18:19]
	v_add_f64 v[2:3], v[2:3], 0
	v_fma_f64 v[4:5], v[8:9], v[16:17], -v[4:5]
	v_add_f64 v[6:7], v[2:3], v[4:5]
	scratch_load_dwordx4 v[2:5], off, off offset:800
	s_waitcnt vmcnt(0)
	v_add_f64 v[2:3], v[2:3], -v[6:7]
	v_add_f64 v[4:5], v[4:5], -v[20:21]
	scratch_store_dwordx4 off, v[2:5], off offset:800
	s_and_saveexec_b64 s[0:1], vcc
	s_cbranch_execz .LBB115_229
; %bb.228:
	scratch_load_dwordx4 v[2:5], off, s19
	v_mov_b32_e32 v6, 0
	v_mov_b32_e32 v7, v6
	;; [unrolled: 1-line block ×4, first 2 shown]
	v_accvgpr_read_b32 v0, a105
	scratch_store_dwordx4 off, v[6:9], off offset:784
	s_waitcnt vmcnt(1)
	ds_write_b128 v0, v[2:5]
.LBB115_229:
	s_or_b64 exec, exec, s[0:1]
	s_waitcnt lgkmcnt(0)
	; wave barrier
	scratch_load_dwordx4 v[4:7], off, off offset:800
	scratch_load_dwordx4 v[8:11], off, off offset:816
	;; [unrolled: 1-line block ×4, first 2 shown]
	v_mov_b32_e32 v2, 0
	ds_read_b128 v[20:23], v2 offset:1616
	ds_read_b128 v[24:27], v2 offset:1632
	;; [unrolled: 1-line block ×3, first 2 shown]
	v_cmp_lt_u32_e32 vcc, 47, v240
	s_waitcnt vmcnt(3) lgkmcnt(2)
	v_mul_f64 v[32:33], v[20:21], v[6:7]
	v_mul_f64 v[6:7], v[22:23], v[6:7]
	s_waitcnt vmcnt(2) lgkmcnt(1)
	v_mul_f64 v[34:35], v[24:25], v[10:11]
	v_mul_f64 v[10:11], v[26:27], v[10:11]
	v_fmac_f64_e32 v[32:33], v[22:23], v[4:5]
	v_fma_f64 v[4:5], v[20:21], v[4:5], -v[6:7]
	s_waitcnt vmcnt(1) lgkmcnt(0)
	v_mul_f64 v[36:37], v[28:29], v[14:15]
	v_mul_f64 v[14:15], v[30:31], v[14:15]
	v_fmac_f64_e32 v[34:35], v[26:27], v[8:9]
	v_fma_f64 v[6:7], v[24:25], v[8:9], -v[10:11]
	v_add_f64 v[10:11], v[32:33], 0
	v_add_f64 v[4:5], v[4:5], 0
	v_fmac_f64_e32 v[36:37], v[30:31], v[12:13]
	v_fma_f64 v[8:9], v[28:29], v[12:13], -v[14:15]
	v_add_f64 v[10:11], v[10:11], v[34:35]
	v_add_f64 v[4:5], v[4:5], v[6:7]
	;; [unrolled: 1-line block ×4, first 2 shown]
	s_waitcnt vmcnt(0)
	v_add_f64 v[4:5], v[16:17], -v[4:5]
	v_add_f64 v[6:7], v[18:19], -v[6:7]
	scratch_store_dwordx4 off, v[4:7], off offset:784
	s_and_saveexec_b64 s[0:1], vcc
	s_cbranch_execz .LBB115_231
; %bb.230:
	scratch_load_dwordx4 v[6:9], off, s20
	v_mov_b32_e32 v3, v2
	v_mov_b32_e32 v4, v2
	;; [unrolled: 1-line block ×3, first 2 shown]
	v_accvgpr_read_b32 v0, a105
	scratch_store_dwordx4 off, v[2:5], off offset:768
	s_waitcnt vmcnt(1)
	ds_write_b128 v0, v[6:9]
.LBB115_231:
	s_or_b64 exec, exec, s[0:1]
	s_waitcnt lgkmcnt(0)
	; wave barrier
	scratch_load_dwordx4 v[4:7], off, off offset:784
	scratch_load_dwordx4 v[8:11], off, off offset:800
	;; [unrolled: 1-line block ×5, first 2 shown]
	ds_read_b128 v[24:27], v2 offset:1600
	ds_read_b128 v[28:31], v2 offset:1616
	;; [unrolled: 1-line block ×4, first 2 shown]
	v_cmp_lt_u32_e32 vcc, 46, v240
	s_waitcnt vmcnt(4) lgkmcnt(3)
	v_mul_f64 v[2:3], v[24:25], v[6:7]
	v_mul_f64 v[6:7], v[26:27], v[6:7]
	s_waitcnt vmcnt(3) lgkmcnt(2)
	v_mul_f64 v[40:41], v[28:29], v[10:11]
	v_mul_f64 v[10:11], v[30:31], v[10:11]
	v_fmac_f64_e32 v[2:3], v[26:27], v[4:5]
	v_fma_f64 v[4:5], v[24:25], v[4:5], -v[6:7]
	s_waitcnt vmcnt(2) lgkmcnt(1)
	v_mul_f64 v[42:43], v[32:33], v[14:15]
	v_mul_f64 v[14:15], v[34:35], v[14:15]
	v_fmac_f64_e32 v[40:41], v[30:31], v[8:9]
	v_fma_f64 v[6:7], v[28:29], v[8:9], -v[10:11]
	v_add_f64 v[2:3], v[2:3], 0
	v_add_f64 v[4:5], v[4:5], 0
	s_waitcnt vmcnt(1) lgkmcnt(0)
	v_mul_f64 v[44:45], v[36:37], v[18:19]
	v_mul_f64 v[18:19], v[38:39], v[18:19]
	v_fmac_f64_e32 v[42:43], v[34:35], v[12:13]
	v_fma_f64 v[8:9], v[32:33], v[12:13], -v[14:15]
	v_add_f64 v[2:3], v[2:3], v[40:41]
	v_add_f64 v[4:5], v[4:5], v[6:7]
	v_fmac_f64_e32 v[44:45], v[38:39], v[16:17]
	v_fma_f64 v[10:11], v[36:37], v[16:17], -v[18:19]
	v_add_f64 v[2:3], v[2:3], v[42:43]
	v_add_f64 v[4:5], v[4:5], v[8:9]
	;; [unrolled: 1-line block ×4, first 2 shown]
	s_waitcnt vmcnt(0)
	v_add_f64 v[2:3], v[20:21], -v[2:3]
	v_add_f64 v[4:5], v[22:23], -v[6:7]
	scratch_store_dwordx4 off, v[2:5], off offset:768
	s_and_saveexec_b64 s[0:1], vcc
	s_cbranch_execz .LBB115_233
; %bb.232:
	scratch_load_dwordx4 v[2:5], off, s21
	v_mov_b32_e32 v6, 0
	v_mov_b32_e32 v7, v6
	;; [unrolled: 1-line block ×4, first 2 shown]
	v_accvgpr_read_b32 v0, a105
	scratch_store_dwordx4 off, v[6:9], off offset:752
	s_waitcnt vmcnt(1)
	ds_write_b128 v0, v[2:5]
.LBB115_233:
	s_or_b64 exec, exec, s[0:1]
	s_waitcnt lgkmcnt(0)
	; wave barrier
	scratch_load_dwordx4 v[4:7], off, off offset:768
	scratch_load_dwordx4 v[8:11], off, off offset:784
	;; [unrolled: 1-line block ×6, first 2 shown]
	v_mov_b32_e32 v2, 0
	ds_read_b128 v[28:31], v2 offset:1584
	ds_read_b128 v[32:35], v2 offset:1600
	;; [unrolled: 1-line block ×5, first 2 shown]
	v_cmp_lt_u32_e32 vcc, 45, v240
	s_waitcnt vmcnt(5) lgkmcnt(4)
	v_mul_f64 v[48:49], v[28:29], v[6:7]
	v_mul_f64 v[6:7], v[30:31], v[6:7]
	s_waitcnt vmcnt(4) lgkmcnt(3)
	v_mul_f64 v[50:51], v[32:33], v[10:11]
	s_waitcnt vmcnt(3) lgkmcnt(2)
	v_mul_f64 v[52:53], v[36:37], v[14:15]
	v_mul_f64 v[10:11], v[34:35], v[10:11]
	;; [unrolled: 1-line block ×3, first 2 shown]
	v_fmac_f64_e32 v[48:49], v[30:31], v[4:5]
	v_fma_f64 v[4:5], v[28:29], v[4:5], -v[6:7]
	v_fmac_f64_e32 v[50:51], v[34:35], v[8:9]
	v_fma_f64 v[6:7], v[32:33], v[8:9], -v[10:11]
	v_fma_f64 v[8:9], v[36:37], v[12:13], -v[14:15]
	v_add_f64 v[14:15], v[48:49], 0
	v_add_f64 v[4:5], v[4:5], 0
	s_waitcnt vmcnt(2) lgkmcnt(1)
	v_mul_f64 v[54:55], v[40:41], v[18:19]
	v_mul_f64 v[18:19], v[42:43], v[18:19]
	v_fmac_f64_e32 v[52:53], v[38:39], v[12:13]
	v_add_f64 v[14:15], v[14:15], v[50:51]
	v_add_f64 v[4:5], v[4:5], v[6:7]
	s_waitcnt vmcnt(1) lgkmcnt(0)
	v_mul_f64 v[56:57], v[44:45], v[22:23]
	v_mul_f64 v[22:23], v[46:47], v[22:23]
	v_fmac_f64_e32 v[54:55], v[42:43], v[16:17]
	v_fma_f64 v[10:11], v[40:41], v[16:17], -v[18:19]
	v_add_f64 v[6:7], v[14:15], v[52:53]
	v_add_f64 v[4:5], v[4:5], v[8:9]
	v_fmac_f64_e32 v[56:57], v[46:47], v[20:21]
	v_fma_f64 v[12:13], v[44:45], v[20:21], -v[22:23]
	v_add_f64 v[6:7], v[6:7], v[54:55]
	v_add_f64 v[4:5], v[4:5], v[10:11]
	;; [unrolled: 1-line block ×4, first 2 shown]
	s_waitcnt vmcnt(0)
	v_add_f64 v[4:5], v[24:25], -v[4:5]
	v_add_f64 v[6:7], v[26:27], -v[6:7]
	scratch_store_dwordx4 off, v[4:7], off offset:752
	s_and_saveexec_b64 s[0:1], vcc
	s_cbranch_execz .LBB115_235
; %bb.234:
	scratch_load_dwordx4 v[6:9], off, s22
	v_mov_b32_e32 v3, v2
	v_mov_b32_e32 v4, v2
	;; [unrolled: 1-line block ×3, first 2 shown]
	v_accvgpr_read_b32 v0, a105
	scratch_store_dwordx4 off, v[2:5], off offset:736
	s_waitcnt vmcnt(1)
	ds_write_b128 v0, v[6:9]
.LBB115_235:
	s_or_b64 exec, exec, s[0:1]
	s_waitcnt lgkmcnt(0)
	; wave barrier
	ds_read_b128 v[4:7], v2 offset:1568
	ds_read_b128 v[8:11], v2 offset:1584
	;; [unrolled: 1-line block ×4, first 2 shown]
	scratch_load_dwordx4 v[20:23], off, off offset:752
	scratch_load_dwordx4 v[40:43], off, off offset:816
	v_cmp_lt_u32_e32 vcc, 44, v240
	scratch_load_dwordx4 v[48:51], off, off offset:832
	s_waitcnt vmcnt(2) lgkmcnt(3)
	v_mul_f64 v[24:25], v[4:5], v[22:23]
	v_fmac_f64_e32 v[24:25], v[6:7], v[20:21]
	v_add_f64 v[28:29], v[24:25], 0
	scratch_load_dwordx4 v[24:27], off, off offset:768
	s_waitcnt vmcnt(0) lgkmcnt(2)
	v_mul_f64 v[30:31], v[8:9], v[26:27]
	v_fmac_f64_e32 v[30:31], v[10:11], v[24:25]
	v_add_f64 v[32:33], v[28:29], v[30:31]
	;; [unrolled: 5-line block ×4, first 2 shown]
	ds_read_b128 v[36:39], v2 offset:1632
	s_waitcnt lgkmcnt(0)
	v_mul_f64 v[46:47], v[36:37], v[42:43]
	v_fmac_f64_e32 v[46:47], v[38:39], v[40:41]
	v_add_f64 v[52:53], v[44:45], v[46:47]
	ds_read_b128 v[44:47], v2 offset:1648
	s_waitcnt lgkmcnt(0)
	v_mul_f64 v[2:3], v[44:45], v[50:51]
	v_fmac_f64_e32 v[2:3], v[46:47], v[48:49]
	v_add_f64 v[52:53], v[52:53], v[2:3]
	v_mul_f64 v[2:3], v[6:7], v[22:23]
	v_fma_f64 v[2:3], v[4:5], v[20:21], -v[2:3]
	v_mul_f64 v[4:5], v[10:11], v[26:27]
	v_add_f64 v[2:3], v[2:3], 0
	v_fma_f64 v[4:5], v[8:9], v[24:25], -v[4:5]
	v_add_f64 v[2:3], v[2:3], v[4:5]
	v_mul_f64 v[4:5], v[14:15], v[30:31]
	v_fma_f64 v[4:5], v[12:13], v[28:29], -v[4:5]
	v_add_f64 v[2:3], v[2:3], v[4:5]
	v_mul_f64 v[4:5], v[18:19], v[34:35]
	;; [unrolled: 3-line block ×4, first 2 shown]
	v_fma_f64 v[4:5], v[44:45], v[48:49], -v[4:5]
	v_add_f64 v[6:7], v[2:3], v[4:5]
	scratch_load_dwordx4 v[2:5], off, off offset:736
	s_waitcnt vmcnt(0)
	v_add_f64 v[2:3], v[2:3], -v[6:7]
	v_add_f64 v[4:5], v[4:5], -v[52:53]
	scratch_store_dwordx4 off, v[2:5], off offset:736
	s_and_saveexec_b64 s[0:1], vcc
	s_cbranch_execz .LBB115_237
; %bb.236:
	scratch_load_dwordx4 v[2:5], off, s23
	v_mov_b32_e32 v6, 0
	v_mov_b32_e32 v7, v6
	;; [unrolled: 1-line block ×4, first 2 shown]
	v_accvgpr_read_b32 v0, a105
	scratch_store_dwordx4 off, v[6:9], off offset:720
	s_waitcnt vmcnt(1)
	ds_write_b128 v0, v[2:5]
.LBB115_237:
	s_or_b64 exec, exec, s[0:1]
	s_waitcnt lgkmcnt(0)
	; wave barrier
	scratch_load_dwordx4 v[4:7], off, off offset:736
	scratch_load_dwordx4 v[8:11], off, off offset:752
	;; [unrolled: 1-line block ×8, first 2 shown]
	v_mov_b32_e32 v2, 0
	ds_read_b128 v[36:39], v2 offset:1552
	ds_read_b128 v[40:43], v2 offset:1568
	;; [unrolled: 1-line block ×7, first 2 shown]
	v_cmp_lt_u32_e32 vcc, 43, v240
	s_waitcnt vmcnt(7) lgkmcnt(6)
	v_mul_f64 v[64:65], v[36:37], v[6:7]
	v_mul_f64 v[6:7], v[38:39], v[6:7]
	s_waitcnt vmcnt(6) lgkmcnt(5)
	v_mul_f64 v[66:67], v[40:41], v[10:11]
	s_waitcnt vmcnt(4) lgkmcnt(3)
	v_mul_f64 v[70:71], v[48:49], v[18:19]
	v_mul_f64 v[10:11], v[42:43], v[10:11]
	;; [unrolled: 1-line block ×3, first 2 shown]
	v_fmac_f64_e32 v[64:65], v[38:39], v[4:5]
	v_fma_f64 v[4:5], v[36:37], v[4:5], -v[6:7]
	v_mul_f64 v[68:69], v[44:45], v[14:15]
	v_mul_f64 v[14:15], v[46:47], v[14:15]
	v_fmac_f64_e32 v[66:67], v[42:43], v[8:9]
	v_fma_f64 v[6:7], v[40:41], v[8:9], -v[10:11]
	v_fma_f64 v[10:11], v[48:49], v[16:17], -v[18:19]
	v_add_f64 v[18:19], v[64:65], 0
	v_add_f64 v[4:5], v[4:5], 0
	v_fmac_f64_e32 v[68:69], v[46:47], v[12:13]
	v_fma_f64 v[8:9], v[44:45], v[12:13], -v[14:15]
	v_add_f64 v[18:19], v[18:19], v[66:67]
	v_add_f64 v[4:5], v[4:5], v[6:7]
	s_waitcnt vmcnt(3) lgkmcnt(2)
	v_mul_f64 v[72:73], v[52:53], v[22:23]
	v_mul_f64 v[22:23], v[54:55], v[22:23]
	v_fmac_f64_e32 v[70:71], v[50:51], v[16:17]
	v_add_f64 v[6:7], v[18:19], v[68:69]
	v_add_f64 v[4:5], v[4:5], v[8:9]
	s_waitcnt vmcnt(2) lgkmcnt(1)
	v_mul_f64 v[74:75], v[56:57], v[26:27]
	v_mul_f64 v[26:27], v[58:59], v[26:27]
	v_fmac_f64_e32 v[72:73], v[54:55], v[20:21]
	v_fma_f64 v[12:13], v[52:53], v[20:21], -v[22:23]
	v_add_f64 v[6:7], v[6:7], v[70:71]
	v_add_f64 v[4:5], v[4:5], v[10:11]
	s_waitcnt vmcnt(1) lgkmcnt(0)
	v_mul_f64 v[76:77], v[60:61], v[30:31]
	v_mul_f64 v[30:31], v[62:63], v[30:31]
	v_fmac_f64_e32 v[74:75], v[58:59], v[24:25]
	v_fma_f64 v[14:15], v[56:57], v[24:25], -v[26:27]
	v_add_f64 v[6:7], v[6:7], v[72:73]
	v_add_f64 v[4:5], v[4:5], v[12:13]
	v_fmac_f64_e32 v[76:77], v[62:63], v[28:29]
	v_fma_f64 v[16:17], v[60:61], v[28:29], -v[30:31]
	v_add_f64 v[6:7], v[6:7], v[74:75]
	v_add_f64 v[4:5], v[4:5], v[14:15]
	;; [unrolled: 1-line block ×4, first 2 shown]
	s_waitcnt vmcnt(0)
	v_add_f64 v[4:5], v[32:33], -v[4:5]
	v_add_f64 v[6:7], v[34:35], -v[6:7]
	scratch_store_dwordx4 off, v[4:7], off offset:720
	s_and_saveexec_b64 s[0:1], vcc
	s_cbranch_execz .LBB115_239
; %bb.238:
	scratch_load_dwordx4 v[6:9], off, s24
	v_mov_b32_e32 v3, v2
	v_mov_b32_e32 v4, v2
	;; [unrolled: 1-line block ×3, first 2 shown]
	v_accvgpr_read_b32 v0, a105
	scratch_store_dwordx4 off, v[2:5], off offset:704
	s_waitcnt vmcnt(1)
	ds_write_b128 v0, v[6:9]
.LBB115_239:
	s_or_b64 exec, exec, s[0:1]
	s_waitcnt lgkmcnt(0)
	; wave barrier
	scratch_load_dwordx4 v[4:7], off, off offset:720
	scratch_load_dwordx4 v[8:11], off, off offset:736
	scratch_load_dwordx4 v[12:15], off, off offset:752
	scratch_load_dwordx4 v[16:19], off, off offset:768
	scratch_load_dwordx4 v[20:23], off, off offset:784
	scratch_load_dwordx4 v[24:27], off, off offset:800
	scratch_load_dwordx4 v[28:31], off, off offset:816
	scratch_load_dwordx4 v[32:35], off, off offset:832
	scratch_load_dwordx4 v[36:39], off, off offset:704
	ds_read_b128 v[40:43], v2 offset:1536
	ds_read_b128 v[44:47], v2 offset:1552
	;; [unrolled: 1-line block ×8, first 2 shown]
	v_cmp_lt_u32_e32 vcc, 42, v240
	s_waitcnt vmcnt(8) lgkmcnt(7)
	v_mul_f64 v[2:3], v[40:41], v[6:7]
	v_mul_f64 v[6:7], v[42:43], v[6:7]
	s_waitcnt vmcnt(7) lgkmcnt(6)
	v_mul_f64 v[72:73], v[44:45], v[10:11]
	v_mul_f64 v[10:11], v[46:47], v[10:11]
	v_fmac_f64_e32 v[2:3], v[42:43], v[4:5]
	v_fma_f64 v[4:5], v[40:41], v[4:5], -v[6:7]
	s_waitcnt vmcnt(6) lgkmcnt(5)
	v_mul_f64 v[74:75], v[48:49], v[14:15]
	v_mul_f64 v[14:15], v[50:51], v[14:15]
	v_fmac_f64_e32 v[72:73], v[46:47], v[8:9]
	v_fma_f64 v[6:7], v[44:45], v[8:9], -v[10:11]
	v_add_f64 v[2:3], v[2:3], 0
	v_add_f64 v[4:5], v[4:5], 0
	s_waitcnt vmcnt(5) lgkmcnt(4)
	v_mul_f64 v[76:77], v[52:53], v[18:19]
	v_mul_f64 v[18:19], v[54:55], v[18:19]
	v_fmac_f64_e32 v[74:75], v[50:51], v[12:13]
	v_fma_f64 v[8:9], v[48:49], v[12:13], -v[14:15]
	v_add_f64 v[2:3], v[2:3], v[72:73]
	v_add_f64 v[4:5], v[4:5], v[6:7]
	;; [unrolled: 7-line block ×6, first 2 shown]
	v_fmac_f64_e32 v[84:85], v[70:71], v[32:33]
	v_fma_f64 v[18:19], v[68:69], v[32:33], -v[34:35]
	v_add_f64 v[2:3], v[2:3], v[82:83]
	v_add_f64 v[4:5], v[4:5], v[16:17]
	;; [unrolled: 1-line block ×4, first 2 shown]
	s_waitcnt vmcnt(0)
	v_add_f64 v[2:3], v[36:37], -v[2:3]
	v_add_f64 v[4:5], v[38:39], -v[6:7]
	scratch_store_dwordx4 off, v[2:5], off offset:704
	s_and_saveexec_b64 s[0:1], vcc
	s_cbranch_execz .LBB115_241
; %bb.240:
	scratch_load_dwordx4 v[2:5], off, s25
	v_mov_b32_e32 v6, 0
	v_mov_b32_e32 v7, v6
	;; [unrolled: 1-line block ×4, first 2 shown]
	v_accvgpr_read_b32 v0, a105
	scratch_store_dwordx4 off, v[6:9], off offset:688
	s_waitcnt vmcnt(1)
	ds_write_b128 v0, v[2:5]
.LBB115_241:
	s_or_b64 exec, exec, s[0:1]
	s_waitcnt lgkmcnt(0)
	; wave barrier
	scratch_load_dwordx4 v[4:7], off, off offset:704
	scratch_load_dwordx4 v[8:11], off, off offset:720
	scratch_load_dwordx4 v[12:15], off, off offset:736
	scratch_load_dwordx4 v[16:19], off, off offset:752
	scratch_load_dwordx4 v[20:23], off, off offset:768
	scratch_load_dwordx4 v[24:27], off, off offset:784
	scratch_load_dwordx4 v[28:31], off, off offset:800
	scratch_load_dwordx4 v[32:35], off, off offset:816
	scratch_load_dwordx4 v[36:39], off, off offset:832
	scratch_load_dwordx4 v[40:43], off, off offset:688
	v_mov_b32_e32 v2, 0
	ds_read_b128 v[44:47], v2 offset:1520
	ds_read_b128 v[48:51], v2 offset:1536
	ds_read_b128 v[52:55], v2 offset:1552
	ds_read_b128 v[56:59], v2 offset:1568
	ds_read_b128 v[60:63], v2 offset:1584
	ds_read_b128 v[64:67], v2 offset:1600
	ds_read_b128 v[68:71], v2 offset:1616
	ds_read_b128 v[72:75], v2 offset:1632
	ds_read_b128 v[76:79], v2 offset:1648
	v_cmp_lt_u32_e32 vcc, 41, v240
	s_waitcnt vmcnt(9) lgkmcnt(8)
	v_mul_f64 v[80:81], v[44:45], v[6:7]
	v_mul_f64 v[6:7], v[46:47], v[6:7]
	s_waitcnt vmcnt(8) lgkmcnt(7)
	v_mul_f64 v[82:83], v[48:49], v[10:11]
	s_waitcnt vmcnt(7) lgkmcnt(6)
	;; [unrolled: 2-line block ×3, first 2 shown]
	v_mul_f64 v[88:89], v[60:61], v[22:23]
	v_mul_f64 v[10:11], v[50:51], v[10:11]
	;; [unrolled: 1-line block ×4, first 2 shown]
	v_fmac_f64_e32 v[80:81], v[46:47], v[4:5]
	v_fma_f64 v[4:5], v[44:45], v[4:5], -v[6:7]
	v_fmac_f64_e32 v[82:83], v[50:51], v[8:9]
	v_fmac_f64_e32 v[84:85], v[54:55], v[12:13]
	v_fma_f64 v[6:7], v[48:49], v[8:9], -v[10:11]
	v_fma_f64 v[8:9], v[52:53], v[12:13], -v[14:15]
	;; [unrolled: 1-line block ×3, first 2 shown]
	v_add_f64 v[22:23], v[80:81], 0
	v_add_f64 v[4:5], v[4:5], 0
	v_mul_f64 v[86:87], v[56:57], v[18:19]
	v_mul_f64 v[18:19], v[58:59], v[18:19]
	v_add_f64 v[22:23], v[22:23], v[82:83]
	v_add_f64 v[4:5], v[4:5], v[6:7]
	v_fmac_f64_e32 v[86:87], v[58:59], v[16:17]
	v_fma_f64 v[10:11], v[56:57], v[16:17], -v[18:19]
	v_add_f64 v[6:7], v[22:23], v[84:85]
	v_add_f64 v[4:5], v[4:5], v[8:9]
	s_waitcnt vmcnt(4) lgkmcnt(3)
	v_mul_f64 v[90:91], v[64:65], v[26:27]
	v_mul_f64 v[26:27], v[66:67], v[26:27]
	v_fmac_f64_e32 v[88:89], v[62:63], v[20:21]
	v_add_f64 v[6:7], v[6:7], v[86:87]
	v_add_f64 v[4:5], v[4:5], v[10:11]
	s_waitcnt vmcnt(3) lgkmcnt(2)
	v_mul_f64 v[92:93], v[68:69], v[30:31]
	v_mul_f64 v[30:31], v[70:71], v[30:31]
	v_fmac_f64_e32 v[90:91], v[66:67], v[24:25]
	v_fma_f64 v[14:15], v[64:65], v[24:25], -v[26:27]
	v_add_f64 v[6:7], v[6:7], v[88:89]
	v_add_f64 v[4:5], v[4:5], v[12:13]
	s_waitcnt vmcnt(2) lgkmcnt(1)
	v_mul_f64 v[94:95], v[72:73], v[34:35]
	v_mul_f64 v[34:35], v[74:75], v[34:35]
	v_fmac_f64_e32 v[92:93], v[70:71], v[28:29]
	v_fma_f64 v[16:17], v[68:69], v[28:29], -v[30:31]
	v_add_f64 v[6:7], v[6:7], v[90:91]
	v_add_f64 v[4:5], v[4:5], v[14:15]
	s_waitcnt vmcnt(1) lgkmcnt(0)
	v_mul_f64 v[96:97], v[76:77], v[38:39]
	v_mul_f64 v[38:39], v[78:79], v[38:39]
	v_fmac_f64_e32 v[94:95], v[74:75], v[32:33]
	v_fma_f64 v[18:19], v[72:73], v[32:33], -v[34:35]
	v_add_f64 v[6:7], v[6:7], v[92:93]
	v_add_f64 v[4:5], v[4:5], v[16:17]
	v_fmac_f64_e32 v[96:97], v[78:79], v[36:37]
	v_fma_f64 v[20:21], v[76:77], v[36:37], -v[38:39]
	v_add_f64 v[6:7], v[6:7], v[94:95]
	v_add_f64 v[4:5], v[4:5], v[18:19]
	;; [unrolled: 1-line block ×4, first 2 shown]
	s_waitcnt vmcnt(0)
	v_add_f64 v[4:5], v[40:41], -v[4:5]
	v_add_f64 v[6:7], v[42:43], -v[6:7]
	scratch_store_dwordx4 off, v[4:7], off offset:688
	s_and_saveexec_b64 s[0:1], vcc
	s_cbranch_execz .LBB115_243
; %bb.242:
	scratch_load_dwordx4 v[6:9], off, s26
	v_mov_b32_e32 v3, v2
	v_mov_b32_e32 v4, v2
	;; [unrolled: 1-line block ×3, first 2 shown]
	v_accvgpr_read_b32 v0, a105
	scratch_store_dwordx4 off, v[2:5], off offset:672
	s_waitcnt vmcnt(1)
	ds_write_b128 v0, v[6:9]
.LBB115_243:
	s_or_b64 exec, exec, s[0:1]
	s_waitcnt lgkmcnt(0)
	; wave barrier
	scratch_load_dwordx4 v[4:7], off, off offset:688
	scratch_load_dwordx4 v[8:11], off, off offset:704
	scratch_load_dwordx4 v[12:15], off, off offset:720
	scratch_load_dwordx4 v[16:19], off, off offset:736
	scratch_load_dwordx4 v[20:23], off, off offset:752
	scratch_load_dwordx4 v[24:27], off, off offset:768
	scratch_load_dwordx4 v[28:31], off, off offset:784
	scratch_load_dwordx4 v[32:35], off, off offset:800
	scratch_load_dwordx4 v[36:39], off, off offset:816
	scratch_load_dwordx4 v[40:43], off, off offset:832
	scratch_load_dwordx4 v[44:47], off, off offset:672
	ds_read_b128 v[48:51], v2 offset:1504
	ds_read_b128 v[52:55], v2 offset:1520
	;; [unrolled: 1-line block ×10, first 2 shown]
	v_cmp_lt_u32_e32 vcc, 40, v240
	s_waitcnt vmcnt(10) lgkmcnt(9)
	v_mul_f64 v[2:3], v[48:49], v[6:7]
	v_mul_f64 v[6:7], v[50:51], v[6:7]
	s_waitcnt vmcnt(9) lgkmcnt(8)
	v_mul_f64 v[88:89], v[52:53], v[10:11]
	v_mul_f64 v[10:11], v[54:55], v[10:11]
	v_fmac_f64_e32 v[2:3], v[50:51], v[4:5]
	v_fma_f64 v[4:5], v[48:49], v[4:5], -v[6:7]
	s_waitcnt vmcnt(8) lgkmcnt(7)
	v_mul_f64 v[90:91], v[56:57], v[14:15]
	v_mul_f64 v[14:15], v[58:59], v[14:15]
	v_fmac_f64_e32 v[88:89], v[54:55], v[8:9]
	v_fma_f64 v[6:7], v[52:53], v[8:9], -v[10:11]
	v_add_f64 v[2:3], v[2:3], 0
	v_add_f64 v[4:5], v[4:5], 0
	s_waitcnt vmcnt(7) lgkmcnt(6)
	v_mul_f64 v[92:93], v[60:61], v[18:19]
	v_mul_f64 v[18:19], v[62:63], v[18:19]
	v_fmac_f64_e32 v[90:91], v[58:59], v[12:13]
	v_fma_f64 v[8:9], v[56:57], v[12:13], -v[14:15]
	v_add_f64 v[2:3], v[2:3], v[88:89]
	v_add_f64 v[4:5], v[4:5], v[6:7]
	s_waitcnt vmcnt(6) lgkmcnt(5)
	v_mul_f64 v[94:95], v[64:65], v[22:23]
	v_mul_f64 v[22:23], v[66:67], v[22:23]
	v_fmac_f64_e32 v[92:93], v[62:63], v[16:17]
	v_fma_f64 v[10:11], v[60:61], v[16:17], -v[18:19]
	v_add_f64 v[2:3], v[2:3], v[90:91]
	v_add_f64 v[4:5], v[4:5], v[8:9]
	s_waitcnt vmcnt(5) lgkmcnt(4)
	v_mul_f64 v[96:97], v[68:69], v[26:27]
	v_mul_f64 v[26:27], v[70:71], v[26:27]
	v_fmac_f64_e32 v[94:95], v[66:67], v[20:21]
	v_fma_f64 v[12:13], v[64:65], v[20:21], -v[22:23]
	v_add_f64 v[2:3], v[2:3], v[92:93]
	v_add_f64 v[4:5], v[4:5], v[10:11]
	s_waitcnt vmcnt(4) lgkmcnt(3)
	v_mul_f64 v[98:99], v[72:73], v[30:31]
	v_mul_f64 v[30:31], v[74:75], v[30:31]
	v_fmac_f64_e32 v[96:97], v[70:71], v[24:25]
	v_fma_f64 v[14:15], v[68:69], v[24:25], -v[26:27]
	v_add_f64 v[2:3], v[2:3], v[94:95]
	v_add_f64 v[4:5], v[4:5], v[12:13]
	s_waitcnt vmcnt(3) lgkmcnt(2)
	v_mul_f64 v[100:101], v[76:77], v[34:35]
	v_mul_f64 v[34:35], v[78:79], v[34:35]
	v_fmac_f64_e32 v[98:99], v[74:75], v[28:29]
	v_fma_f64 v[16:17], v[72:73], v[28:29], -v[30:31]
	v_add_f64 v[2:3], v[2:3], v[96:97]
	v_add_f64 v[4:5], v[4:5], v[14:15]
	s_waitcnt vmcnt(2) lgkmcnt(1)
	v_mul_f64 v[102:103], v[80:81], v[38:39]
	v_mul_f64 v[38:39], v[82:83], v[38:39]
	v_fmac_f64_e32 v[100:101], v[78:79], v[32:33]
	v_fma_f64 v[18:19], v[76:77], v[32:33], -v[34:35]
	v_add_f64 v[2:3], v[2:3], v[98:99]
	v_add_f64 v[4:5], v[4:5], v[16:17]
	s_waitcnt vmcnt(1) lgkmcnt(0)
	v_mul_f64 v[104:105], v[84:85], v[42:43]
	v_mul_f64 v[42:43], v[86:87], v[42:43]
	v_fmac_f64_e32 v[102:103], v[82:83], v[36:37]
	v_fma_f64 v[20:21], v[80:81], v[36:37], -v[38:39]
	v_add_f64 v[2:3], v[2:3], v[100:101]
	v_add_f64 v[4:5], v[4:5], v[18:19]
	v_fmac_f64_e32 v[104:105], v[86:87], v[40:41]
	v_fma_f64 v[22:23], v[84:85], v[40:41], -v[42:43]
	v_add_f64 v[2:3], v[2:3], v[102:103]
	v_add_f64 v[4:5], v[4:5], v[20:21]
	;; [unrolled: 1-line block ×4, first 2 shown]
	s_waitcnt vmcnt(0)
	v_add_f64 v[2:3], v[44:45], -v[2:3]
	v_add_f64 v[4:5], v[46:47], -v[6:7]
	scratch_store_dwordx4 off, v[2:5], off offset:672
	s_and_saveexec_b64 s[0:1], vcc
	s_cbranch_execz .LBB115_245
; %bb.244:
	scratch_load_dwordx4 v[2:5], off, s27
	v_mov_b32_e32 v6, 0
	v_mov_b32_e32 v7, v6
	;; [unrolled: 1-line block ×4, first 2 shown]
	v_accvgpr_read_b32 v0, a105
	scratch_store_dwordx4 off, v[6:9], off offset:656
	s_waitcnt vmcnt(1)
	ds_write_b128 v0, v[2:5]
.LBB115_245:
	s_or_b64 exec, exec, s[0:1]
	s_waitcnt lgkmcnt(0)
	; wave barrier
	scratch_load_dwordx4 v[4:7], off, off offset:672
	scratch_load_dwordx4 v[8:11], off, off offset:688
	;; [unrolled: 1-line block ×12, first 2 shown]
	v_mov_b32_e32 v2, 0
	ds_read_b128 v[52:55], v2 offset:1488
	ds_read_b128 v[56:59], v2 offset:1504
	;; [unrolled: 1-line block ×11, first 2 shown]
	v_cmp_lt_u32_e32 vcc, 39, v240
	s_waitcnt vmcnt(11) lgkmcnt(10)
	v_mul_f64 v[96:97], v[52:53], v[6:7]
	v_mul_f64 v[6:7], v[54:55], v[6:7]
	s_waitcnt vmcnt(10) lgkmcnt(9)
	v_mul_f64 v[98:99], v[56:57], v[10:11]
	s_waitcnt vmcnt(9) lgkmcnt(8)
	v_mul_f64 v[100:101], v[60:61], v[14:15]
	v_mul_f64 v[10:11], v[58:59], v[10:11]
	s_waitcnt vmcnt(6) lgkmcnt(5)
	v_mul_f64 v[106:107], v[72:73], v[26:27]
	v_mul_f64 v[14:15], v[62:63], v[14:15]
	;; [unrolled: 1-line block ×3, first 2 shown]
	v_fmac_f64_e32 v[96:97], v[54:55], v[4:5]
	v_fma_f64 v[4:5], v[52:53], v[4:5], -v[6:7]
	v_fmac_f64_e32 v[98:99], v[58:59], v[8:9]
	v_fma_f64 v[6:7], v[56:57], v[8:9], -v[10:11]
	v_fma_f64 v[8:9], v[60:61], v[12:13], -v[14:15]
	;; [unrolled: 1-line block ×3, first 2 shown]
	v_add_f64 v[26:27], v[96:97], 0
	v_add_f64 v[4:5], v[4:5], 0
	v_mul_f64 v[102:103], v[64:65], v[18:19]
	v_mul_f64 v[18:19], v[66:67], v[18:19]
	v_fmac_f64_e32 v[100:101], v[62:63], v[12:13]
	v_add_f64 v[26:27], v[26:27], v[98:99]
	v_add_f64 v[4:5], v[4:5], v[6:7]
	v_mul_f64 v[104:105], v[68:69], v[22:23]
	v_mul_f64 v[22:23], v[70:71], v[22:23]
	v_fmac_f64_e32 v[102:103], v[66:67], v[16:17]
	v_fma_f64 v[10:11], v[64:65], v[16:17], -v[18:19]
	v_add_f64 v[6:7], v[26:27], v[100:101]
	v_add_f64 v[4:5], v[4:5], v[8:9]
	v_fmac_f64_e32 v[104:105], v[70:71], v[20:21]
	v_fma_f64 v[12:13], v[68:69], v[20:21], -v[22:23]
	v_add_f64 v[6:7], v[6:7], v[102:103]
	v_add_f64 v[4:5], v[4:5], v[10:11]
	s_waitcnt vmcnt(5) lgkmcnt(4)
	v_mul_f64 v[108:109], v[76:77], v[30:31]
	v_mul_f64 v[30:31], v[78:79], v[30:31]
	v_fmac_f64_e32 v[106:107], v[74:75], v[24:25]
	v_add_f64 v[6:7], v[6:7], v[104:105]
	v_add_f64 v[4:5], v[4:5], v[12:13]
	s_waitcnt vmcnt(4) lgkmcnt(3)
	v_mul_f64 v[110:111], v[80:81], v[34:35]
	v_mul_f64 v[34:35], v[82:83], v[34:35]
	v_fmac_f64_e32 v[108:109], v[78:79], v[28:29]
	v_fma_f64 v[16:17], v[76:77], v[28:29], -v[30:31]
	v_add_f64 v[6:7], v[6:7], v[106:107]
	v_add_f64 v[4:5], v[4:5], v[14:15]
	s_waitcnt vmcnt(3) lgkmcnt(2)
	v_mul_f64 v[112:113], v[84:85], v[38:39]
	v_mul_f64 v[38:39], v[86:87], v[38:39]
	v_fmac_f64_e32 v[110:111], v[82:83], v[32:33]
	v_fma_f64 v[18:19], v[80:81], v[32:33], -v[34:35]
	v_add_f64 v[6:7], v[6:7], v[108:109]
	v_add_f64 v[4:5], v[4:5], v[16:17]
	s_waitcnt vmcnt(2) lgkmcnt(1)
	v_mul_f64 v[114:115], v[88:89], v[42:43]
	v_mul_f64 v[42:43], v[90:91], v[42:43]
	v_fmac_f64_e32 v[112:113], v[86:87], v[36:37]
	v_fma_f64 v[20:21], v[84:85], v[36:37], -v[38:39]
	v_add_f64 v[6:7], v[6:7], v[110:111]
	v_add_f64 v[4:5], v[4:5], v[18:19]
	s_waitcnt vmcnt(1) lgkmcnt(0)
	v_mul_f64 v[116:117], v[92:93], v[46:47]
	v_mul_f64 v[46:47], v[94:95], v[46:47]
	v_fmac_f64_e32 v[114:115], v[90:91], v[40:41]
	v_fma_f64 v[22:23], v[88:89], v[40:41], -v[42:43]
	v_add_f64 v[6:7], v[6:7], v[112:113]
	v_add_f64 v[4:5], v[4:5], v[20:21]
	v_fmac_f64_e32 v[116:117], v[94:95], v[44:45]
	v_fma_f64 v[24:25], v[92:93], v[44:45], -v[46:47]
	v_add_f64 v[6:7], v[6:7], v[114:115]
	v_add_f64 v[4:5], v[4:5], v[22:23]
	;; [unrolled: 1-line block ×4, first 2 shown]
	s_waitcnt vmcnt(0)
	v_add_f64 v[4:5], v[48:49], -v[4:5]
	v_add_f64 v[6:7], v[50:51], -v[6:7]
	scratch_store_dwordx4 off, v[4:7], off offset:656
	s_and_saveexec_b64 s[0:1], vcc
	s_cbranch_execz .LBB115_247
; %bb.246:
	scratch_load_dwordx4 v[6:9], off, s28
	v_mov_b32_e32 v3, v2
	v_mov_b32_e32 v4, v2
	;; [unrolled: 1-line block ×3, first 2 shown]
	v_accvgpr_read_b32 v0, a105
	scratch_store_dwordx4 off, v[2:5], off offset:640
	s_waitcnt vmcnt(1)
	ds_write_b128 v0, v[6:9]
.LBB115_247:
	s_or_b64 exec, exec, s[0:1]
	s_waitcnt lgkmcnt(0)
	; wave barrier
	scratch_load_dwordx4 v[4:7], off, off offset:656
	scratch_load_dwordx4 v[8:11], off, off offset:672
	;; [unrolled: 1-line block ×12, first 2 shown]
	ds_read_b128 v[52:55], v2 offset:1472
	ds_read_b128 v[56:59], v2 offset:1488
	;; [unrolled: 1-line block ×4, first 2 shown]
	scratch_load_dwordx4 v[68:71], off, off offset:640
	ds_read_b128 v[72:75], v2 offset:1536
	ds_read_b128 v[76:79], v2 offset:1552
	;; [unrolled: 1-line block ×8, first 2 shown]
	v_cmp_lt_u32_e32 vcc, 38, v240
	s_waitcnt vmcnt(12) lgkmcnt(11)
	v_mul_f64 v[2:3], v[52:53], v[6:7]
	s_waitcnt vmcnt(11) lgkmcnt(10)
	v_mul_f64 v[104:105], v[56:57], v[10:11]
	v_fmac_f64_e32 v[2:3], v[54:55], v[4:5]
	s_waitcnt vmcnt(10) lgkmcnt(9)
	v_mul_f64 v[106:107], v[60:61], v[14:15]
	v_mul_f64 v[6:7], v[54:55], v[6:7]
	v_fmac_f64_e32 v[104:105], v[58:59], v[8:9]
	v_add_f64 v[2:3], v[2:3], 0
	s_waitcnt vmcnt(9) lgkmcnt(8)
	v_mul_f64 v[108:109], v[64:65], v[18:19]
	v_mul_f64 v[10:11], v[58:59], v[10:11]
	v_fmac_f64_e32 v[106:107], v[62:63], v[12:13]
	v_fma_f64 v[4:5], v[52:53], v[4:5], -v[6:7]
	v_add_f64 v[2:3], v[2:3], v[104:105]
	s_waitcnt vmcnt(8) lgkmcnt(7)
	v_mul_f64 v[110:111], v[72:73], v[22:23]
	v_mul_f64 v[14:15], v[62:63], v[14:15]
	v_fmac_f64_e32 v[108:109], v[66:67], v[16:17]
	v_fma_f64 v[6:7], v[56:57], v[8:9], -v[10:11]
	v_add_f64 v[4:5], v[4:5], 0
	v_add_f64 v[2:3], v[2:3], v[106:107]
	s_waitcnt vmcnt(7) lgkmcnt(6)
	v_mul_f64 v[112:113], v[76:77], v[26:27]
	v_mul_f64 v[18:19], v[66:67], v[18:19]
	v_fmac_f64_e32 v[110:111], v[74:75], v[20:21]
	v_fma_f64 v[8:9], v[60:61], v[12:13], -v[14:15]
	v_add_f64 v[4:5], v[4:5], v[6:7]
	;; [unrolled: 7-line block ×8, first 2 shown]
	v_add_f64 v[2:3], v[2:3], v[120:121]
	v_mul_f64 v[46:47], v[98:99], v[46:47]
	v_fmac_f64_e32 v[124:125], v[102:103], v[48:49]
	v_fma_f64 v[22:23], v[92:93], v[40:41], -v[42:43]
	v_add_f64 v[4:5], v[4:5], v[20:21]
	v_add_f64 v[2:3], v[2:3], v[122:123]
	;; [unrolled: 1-line block ×4, first 2 shown]
	v_fma_f64 v[2:3], v[96:97], v[44:45], -v[46:47]
	v_add_f64 v[2:3], v[4:5], v[2:3]
	v_mul_f64 v[4:5], v[102:103], v[50:51]
	v_fma_f64 v[4:5], v[100:101], v[48:49], -v[4:5]
	v_add_f64 v[2:3], v[2:3], v[4:5]
	s_waitcnt vmcnt(0)
	v_add_f64 v[2:3], v[68:69], -v[2:3]
	v_add_f64 v[4:5], v[70:71], -v[6:7]
	scratch_store_dwordx4 off, v[2:5], off offset:640
	s_and_saveexec_b64 s[0:1], vcc
	s_cbranch_execz .LBB115_249
; %bb.248:
	scratch_load_dwordx4 v[2:5], off, s29
	v_mov_b32_e32 v6, 0
	v_mov_b32_e32 v7, v6
	;; [unrolled: 1-line block ×4, first 2 shown]
	v_accvgpr_read_b32 v0, a105
	scratch_store_dwordx4 off, v[6:9], off offset:624
	s_waitcnt vmcnt(1)
	ds_write_b128 v0, v[2:5]
.LBB115_249:
	s_or_b64 exec, exec, s[0:1]
	s_waitcnt lgkmcnt(0)
	; wave barrier
	scratch_load_dwordx4 v[4:7], off, off offset:640
	scratch_load_dwordx4 v[8:11], off, off offset:656
	scratch_load_dwordx4 v[12:15], off, off offset:672
	scratch_load_dwordx4 v[16:19], off, off offset:688
	scratch_load_dwordx4 v[20:23], off, off offset:704
	scratch_load_dwordx4 v[24:27], off, off offset:720
	scratch_load_dwordx4 v[28:31], off, off offset:736
	scratch_load_dwordx4 v[32:35], off, off offset:752
	scratch_load_dwordx4 v[36:39], off, off offset:768
	scratch_load_dwordx4 v[40:43], off, off offset:784
	scratch_load_dwordx4 v[44:47], off, off offset:800
	scratch_load_dwordx4 v[48:51], off, off offset:816
	scratch_load_dwordx4 v[52:55], off, off offset:832
	scratch_load_dwordx4 v[56:59], off, off offset:624
	v_mov_b32_e32 v2, 0
	ds_read_b128 v[60:63], v2 offset:1456
	ds_read_b128 v[64:67], v2 offset:1472
	;; [unrolled: 1-line block ×13, first 2 shown]
	v_cmp_lt_u32_e32 vcc, 37, v240
	s_waitcnt vmcnt(13) lgkmcnt(12)
	v_mul_f64 v[112:113], v[60:61], v[6:7]
	v_mul_f64 v[6:7], v[62:63], v[6:7]
	s_waitcnt vmcnt(12) lgkmcnt(11)
	v_mul_f64 v[114:115], v[64:65], v[10:11]
	v_mul_f64 v[10:11], v[66:67], v[10:11]
	v_fmac_f64_e32 v[112:113], v[62:63], v[4:5]
	v_fma_f64 v[4:5], v[60:61], v[4:5], -v[6:7]
	s_waitcnt vmcnt(11) lgkmcnt(10)
	v_mul_f64 v[116:117], v[68:69], v[14:15]
	v_mul_f64 v[14:15], v[70:71], v[14:15]
	v_fma_f64 v[6:7], v[64:65], v[8:9], -v[10:11]
	v_add_f64 v[4:5], v[4:5], 0
	s_waitcnt vmcnt(10) lgkmcnt(9)
	v_mul_f64 v[118:119], v[72:73], v[18:19]
	v_mul_f64 v[18:19], v[74:75], v[18:19]
	v_fmac_f64_e32 v[114:115], v[66:67], v[8:9]
	v_fma_f64 v[8:9], v[68:69], v[12:13], -v[14:15]
	v_add_f64 v[4:5], v[4:5], v[6:7]
	s_waitcnt vmcnt(9) lgkmcnt(8)
	v_mul_f64 v[120:121], v[76:77], v[22:23]
	v_mul_f64 v[22:23], v[78:79], v[22:23]
	v_fma_f64 v[10:11], v[72:73], v[16:17], -v[18:19]
	v_add_f64 v[4:5], v[4:5], v[8:9]
	s_waitcnt vmcnt(8) lgkmcnt(7)
	v_mul_f64 v[122:123], v[80:81], v[26:27]
	v_mul_f64 v[26:27], v[82:83], v[26:27]
	v_fmac_f64_e32 v[116:117], v[70:71], v[12:13]
	v_fma_f64 v[12:13], v[76:77], v[20:21], -v[22:23]
	v_add_f64 v[22:23], v[112:113], 0
	v_add_f64 v[4:5], v[4:5], v[10:11]
	s_waitcnt vmcnt(7) lgkmcnt(6)
	v_mul_f64 v[124:125], v[84:85], v[30:31]
	v_mul_f64 v[30:31], v[86:87], v[30:31]
	v_fma_f64 v[14:15], v[80:81], v[24:25], -v[26:27]
	v_add_f64 v[22:23], v[22:23], v[114:115]
	v_add_f64 v[4:5], v[4:5], v[12:13]
	s_waitcnt vmcnt(6) lgkmcnt(5)
	v_mul_f64 v[126:127], v[88:89], v[34:35]
	v_mul_f64 v[34:35], v[90:91], v[34:35]
	v_fmac_f64_e32 v[118:119], v[74:75], v[16:17]
	v_fma_f64 v[16:17], v[84:85], v[28:29], -v[30:31]
	v_add_f64 v[6:7], v[22:23], v[116:117]
	v_add_f64 v[4:5], v[4:5], v[14:15]
	s_waitcnt vmcnt(5) lgkmcnt(4)
	v_mul_f64 v[128:129], v[92:93], v[38:39]
	v_mul_f64 v[38:39], v[94:95], v[38:39]
	v_fmac_f64_e32 v[120:121], v[78:79], v[20:21]
	v_fma_f64 v[18:19], v[88:89], v[32:33], -v[34:35]
	v_add_f64 v[6:7], v[6:7], v[118:119]
	v_add_f64 v[4:5], v[4:5], v[16:17]
	v_fmac_f64_e32 v[122:123], v[82:83], v[24:25]
	v_fma_f64 v[20:21], v[92:93], v[36:37], -v[38:39]
	v_add_f64 v[6:7], v[6:7], v[120:121]
	v_add_f64 v[4:5], v[4:5], v[18:19]
	s_waitcnt vmcnt(4) lgkmcnt(3)
	v_mul_f64 v[8:9], v[98:99], v[42:43]
	v_fmac_f64_e32 v[124:125], v[86:87], v[28:29]
	v_add_f64 v[6:7], v[6:7], v[122:123]
	v_add_f64 v[4:5], v[4:5], v[20:21]
	v_fma_f64 v[8:9], v[96:97], v[40:41], -v[8:9]
	v_fmac_f64_e32 v[126:127], v[90:91], v[32:33]
	v_add_f64 v[6:7], v[6:7], v[124:125]
	v_add_f64 v[4:5], v[4:5], v[8:9]
	s_waitcnt vmcnt(3) lgkmcnt(2)
	v_mul_f64 v[8:9], v[102:103], v[46:47]
	v_mul_f64 v[130:131], v[96:97], v[42:43]
	v_fmac_f64_e32 v[128:129], v[94:95], v[36:37]
	v_add_f64 v[6:7], v[6:7], v[126:127]
	v_fma_f64 v[8:9], v[100:101], v[44:45], -v[8:9]
	v_mul_f64 v[132:133], v[100:101], v[46:47]
	v_fmac_f64_e32 v[130:131], v[98:99], v[40:41]
	v_add_f64 v[6:7], v[6:7], v[128:129]
	v_add_f64 v[4:5], v[4:5], v[8:9]
	s_waitcnt vmcnt(2) lgkmcnt(1)
	v_mul_f64 v[8:9], v[106:107], v[50:51]
	v_mul_f64 v[134:135], v[104:105], v[50:51]
	v_fmac_f64_e32 v[132:133], v[102:103], v[44:45]
	v_add_f64 v[6:7], v[6:7], v[130:131]
	v_fma_f64 v[8:9], v[104:105], v[48:49], -v[8:9]
	s_waitcnt vmcnt(1) lgkmcnt(0)
	v_mul_f64 v[136:137], v[108:109], v[54:55]
	v_fmac_f64_e32 v[134:135], v[106:107], v[48:49]
	v_add_f64 v[6:7], v[6:7], v[132:133]
	v_add_f64 v[4:5], v[4:5], v[8:9]
	v_mul_f64 v[8:9], v[110:111], v[54:55]
	v_fmac_f64_e32 v[136:137], v[110:111], v[52:53]
	v_add_f64 v[6:7], v[6:7], v[134:135]
	v_fma_f64 v[8:9], v[108:109], v[52:53], -v[8:9]
	v_add_f64 v[6:7], v[6:7], v[136:137]
	v_add_f64 v[4:5], v[4:5], v[8:9]
	s_waitcnt vmcnt(0)
	v_add_f64 v[4:5], v[56:57], -v[4:5]
	v_add_f64 v[6:7], v[58:59], -v[6:7]
	scratch_store_dwordx4 off, v[4:7], off offset:624
	s_and_saveexec_b64 s[0:1], vcc
	s_cbranch_execz .LBB115_251
; %bb.250:
	scratch_load_dwordx4 v[6:9], off, s30
	v_mov_b32_e32 v3, v2
	v_mov_b32_e32 v4, v2
	;; [unrolled: 1-line block ×3, first 2 shown]
	v_accvgpr_read_b32 v0, a105
	scratch_store_dwordx4 off, v[2:5], off offset:608
	s_waitcnt vmcnt(1)
	ds_write_b128 v0, v[6:9]
.LBB115_251:
	s_or_b64 exec, exec, s[0:1]
	s_waitcnt lgkmcnt(0)
	; wave barrier
	scratch_load_dwordx4 v[4:7], off, off offset:624
	scratch_load_dwordx4 v[8:11], off, off offset:640
	;; [unrolled: 1-line block ×14, first 2 shown]
	ds_read_b128 v[60:63], v2 offset:1440
	ds_read_b128 v[64:67], v2 offset:1456
	;; [unrolled: 1-line block ×14, first 2 shown]
	scratch_load_dwordx4 v[116:119], off, off offset:608
	v_cmp_lt_u32_e32 vcc, 36, v240
	s_waitcnt vmcnt(14) lgkmcnt(13)
	v_mul_f64 v[2:3], v[60:61], v[6:7]
	s_waitcnt vmcnt(13) lgkmcnt(12)
	v_mul_f64 v[120:121], v[64:65], v[10:11]
	v_fmac_f64_e32 v[2:3], v[62:63], v[4:5]
	s_waitcnt vmcnt(12) lgkmcnt(11)
	v_mul_f64 v[122:123], v[68:69], v[14:15]
	v_fmac_f64_e32 v[120:121], v[66:67], v[8:9]
	v_add_f64 v[2:3], v[2:3], 0
	s_waitcnt vmcnt(11) lgkmcnt(10)
	v_mul_f64 v[124:125], v[72:73], v[18:19]
	v_fmac_f64_e32 v[122:123], v[70:71], v[12:13]
	v_add_f64 v[2:3], v[2:3], v[120:121]
	;; [unrolled: 4-line block ×4, first 2 shown]
	s_waitcnt vmcnt(8) lgkmcnt(7)
	v_mul_f64 v[130:131], v[84:85], v[30:31]
	v_mul_f64 v[6:7], v[62:63], v[6:7]
	v_fmac_f64_e32 v[128:129], v[82:83], v[24:25]
	v_add_f64 v[2:3], v[2:3], v[126:127]
	s_waitcnt vmcnt(7) lgkmcnt(6)
	v_mul_f64 v[132:133], v[88:89], v[34:35]
	v_mul_f64 v[10:11], v[66:67], v[10:11]
	v_fmac_f64_e32 v[130:131], v[86:87], v[28:29]
	v_fma_f64 v[4:5], v[60:61], v[4:5], -v[6:7]
	v_add_f64 v[2:3], v[2:3], v[128:129]
	s_waitcnt vmcnt(6) lgkmcnt(5)
	v_mul_f64 v[134:135], v[92:93], v[38:39]
	v_mul_f64 v[14:15], v[70:71], v[14:15]
	v_fmac_f64_e32 v[132:133], v[90:91], v[32:33]
	v_fma_f64 v[6:7], v[64:65], v[8:9], -v[10:11]
	v_add_f64 v[4:5], v[4:5], 0
	v_add_f64 v[2:3], v[2:3], v[130:131]
	s_waitcnt vmcnt(5) lgkmcnt(4)
	v_mul_f64 v[136:137], v[96:97], v[42:43]
	v_mul_f64 v[18:19], v[74:75], v[18:19]
	v_fmac_f64_e32 v[134:135], v[94:95], v[36:37]
	v_fma_f64 v[8:9], v[68:69], v[12:13], -v[14:15]
	v_add_f64 v[4:5], v[4:5], v[6:7]
	;; [unrolled: 7-line block ×6, first 2 shown]
	v_add_f64 v[2:3], v[2:3], v[140:141]
	v_fmac_f64_e32 v[144:145], v[114:115], v[56:57]
	v_fma_f64 v[18:19], v[88:89], v[32:33], -v[34:35]
	v_add_f64 v[4:5], v[4:5], v[16:17]
	v_add_f64 v[2:3], v[2:3], v[142:143]
	;; [unrolled: 1-line block ×4, first 2 shown]
	v_mul_f64 v[4:5], v[94:95], v[38:39]
	v_fma_f64 v[4:5], v[92:93], v[36:37], -v[4:5]
	v_add_f64 v[2:3], v[2:3], v[4:5]
	v_mul_f64 v[4:5], v[98:99], v[42:43]
	v_fma_f64 v[4:5], v[96:97], v[40:41], -v[4:5]
	v_add_f64 v[2:3], v[2:3], v[4:5]
	;; [unrolled: 3-line block ×6, first 2 shown]
	s_waitcnt vmcnt(0)
	v_add_f64 v[2:3], v[116:117], -v[2:3]
	v_add_f64 v[4:5], v[118:119], -v[6:7]
	scratch_store_dwordx4 off, v[2:5], off offset:608
	s_and_saveexec_b64 s[0:1], vcc
	s_cbranch_execz .LBB115_253
; %bb.252:
	scratch_load_dwordx4 v[2:5], off, s31
	v_mov_b32_e32 v6, 0
	v_mov_b32_e32 v7, v6
	;; [unrolled: 1-line block ×4, first 2 shown]
	v_accvgpr_read_b32 v0, a105
	scratch_store_dwordx4 off, v[6:9], off offset:592
	s_waitcnt vmcnt(1)
	ds_write_b128 v0, v[2:5]
.LBB115_253:
	s_or_b64 exec, exec, s[0:1]
	v_mov_b32_e32 v2, 0
	s_waitcnt lgkmcnt(0)
	; wave barrier
	ds_read_b128 v[16:19], v2 offset:1424
	ds_read_b128 v[12:15], v2 offset:1440
	;; [unrolled: 1-line block ×4, first 2 shown]
	scratch_load_dwordx4 v[20:23], off, off offset:608
	scratch_load_dwordx4 v[40:43], off, off offset:672
	;; [unrolled: 1-line block ×9, first 2 shown]
	v_cmp_lt_u32_e32 vcc, 35, v240
	scratch_load_dwordx4 v[50:53], off, off offset:688
	scratch_load_dwordx4 v[58:61], off, off offset:704
	;; [unrolled: 1-line block ×3, first 2 shown]
	s_waitcnt vmcnt(11) lgkmcnt(3)
	v_mul_f64 v[24:25], v[16:17], v[22:23]
	v_fmac_f64_e32 v[24:25], v[18:19], v[20:21]
	v_add_f64 v[28:29], v[24:25], 0
	scratch_load_dwordx4 v[24:27], off, off offset:624
	v_mul_f64 v[18:19], v[18:19], v[22:23]
	v_fma_f64 v[16:17], v[16:17], v[20:21], -v[18:19]
	v_add_f64 v[16:17], v[16:17], 0
	s_waitcnt vmcnt(0) lgkmcnt(2)
	v_mul_f64 v[30:31], v[12:13], v[26:27]
	v_fmac_f64_e32 v[30:31], v[14:15], v[24:25]
	v_add_f64 v[32:33], v[28:29], v[30:31]
	scratch_load_dwordx4 v[28:31], off, off offset:640
	v_mul_f64 v[14:15], v[14:15], v[26:27]
	v_fma_f64 v[12:13], v[12:13], v[24:25], -v[14:15]
	v_add_f64 v[12:13], v[16:17], v[12:13]
	;; [unrolled: 8-line block ×3, first 2 shown]
	s_waitcnt vmcnt(0) lgkmcnt(0)
	v_mul_f64 v[38:39], v[4:5], v[34:35]
	v_fmac_f64_e32 v[38:39], v[6:7], v[32:33]
	v_add_f64 v[44:45], v[36:37], v[38:39]
	ds_read_b128 v[36:39], v2 offset:1488
	v_mul_f64 v[6:7], v[6:7], v[34:35]
	v_fma_f64 v[4:5], v[4:5], v[32:33], -v[6:7]
	v_add_f64 v[4:5], v[8:9], v[4:5]
	s_waitcnt lgkmcnt(0)
	v_mul_f64 v[46:47], v[36:37], v[42:43]
	v_fmac_f64_e32 v[46:47], v[38:39], v[40:41]
	v_add_f64 v[48:49], v[44:45], v[46:47]
	ds_read_b128 v[44:47], v2 offset:1504
	v_mul_f64 v[6:7], v[38:39], v[42:43]
	v_fma_f64 v[6:7], v[36:37], v[40:41], -v[6:7]
	v_add_f64 v[4:5], v[4:5], v[6:7]
	s_waitcnt lgkmcnt(0)
	;; [unrolled: 8-line block ×11, first 2 shown]
	v_mul_f64 v[6:7], v[120:121], v[124:125]
	v_fma_f64 v[6:7], v[118:119], v[122:123], -v[6:7]
	v_add_f64 v[8:9], v[4:5], v[6:7]
	scratch_load_dwordx4 v[4:7], off, off offset:592
	v_mul_f64 v[126:127], v[118:119], v[124:125]
	v_fmac_f64_e32 v[126:127], v[120:121], v[122:123]
	v_add_f64 v[48:49], v[48:49], v[126:127]
	s_waitcnt vmcnt(0)
	v_add_f64 v[4:5], v[4:5], -v[8:9]
	v_add_f64 v[6:7], v[6:7], -v[48:49]
	scratch_store_dwordx4 off, v[4:7], off offset:592
	s_and_saveexec_b64 s[0:1], vcc
	s_cbranch_execz .LBB115_255
; %bb.254:
	scratch_load_dwordx4 v[6:9], off, s33
	v_mov_b32_e32 v3, v2
	v_mov_b32_e32 v4, v2
	;; [unrolled: 1-line block ×3, first 2 shown]
	v_accvgpr_read_b32 v0, a105
	scratch_store_dwordx4 off, v[2:5], off offset:576
	s_waitcnt vmcnt(1)
	ds_write_b128 v0, v[6:9]
.LBB115_255:
	s_or_b64 exec, exec, s[0:1]
	s_waitcnt lgkmcnt(0)
	; wave barrier
	ds_read_b128 v[16:19], v2 offset:1408
	ds_read_b128 v[12:15], v2 offset:1424
	;; [unrolled: 1-line block ×4, first 2 shown]
	scratch_load_dwordx4 v[20:23], off, off offset:592
	scratch_load_dwordx4 v[40:43], off, off offset:656
	;; [unrolled: 1-line block ×10, first 2 shown]
	v_cmp_lt_u32_e32 vcc, 34, v240
	scratch_load_dwordx4 v[48:51], off, off offset:672
	scratch_load_dwordx4 v[56:59], off, off offset:688
	;; [unrolled: 1-line block ×3, first 2 shown]
	s_waitcnt vmcnt(12) lgkmcnt(3)
	v_mul_f64 v[24:25], v[16:17], v[22:23]
	v_fmac_f64_e32 v[24:25], v[18:19], v[20:21]
	v_add_f64 v[28:29], v[24:25], 0
	scratch_load_dwordx4 v[24:27], off, off offset:608
	s_waitcnt vmcnt(0) lgkmcnt(2)
	v_mul_f64 v[30:31], v[12:13], v[26:27]
	v_fmac_f64_e32 v[30:31], v[14:15], v[24:25]
	v_add_f64 v[32:33], v[28:29], v[30:31]
	scratch_load_dwordx4 v[28:31], off, off offset:624
	v_mul_f64 v[14:15], v[14:15], v[26:27]
	v_fma_f64 v[12:13], v[12:13], v[24:25], -v[14:15]
	s_waitcnt vmcnt(0) lgkmcnt(1)
	v_mul_f64 v[34:35], v[8:9], v[30:31]
	v_fmac_f64_e32 v[34:35], v[10:11], v[28:29]
	v_add_f64 v[36:37], v[32:33], v[34:35]
	scratch_load_dwordx4 v[32:35], off, off offset:640
	v_mul_f64 v[10:11], v[10:11], v[30:31]
	v_fma_f64 v[8:9], v[8:9], v[28:29], -v[10:11]
	s_waitcnt vmcnt(0) lgkmcnt(0)
	v_mul_f64 v[38:39], v[4:5], v[34:35]
	v_fmac_f64_e32 v[38:39], v[6:7], v[32:33]
	v_add_f64 v[44:45], v[36:37], v[38:39]
	ds_read_b128 v[36:39], v2 offset:1472
	v_mul_f64 v[6:7], v[6:7], v[34:35]
	v_fma_f64 v[4:5], v[4:5], v[32:33], -v[6:7]
	s_waitcnt lgkmcnt(0)
	v_mul_f64 v[46:47], v[36:37], v[42:43]
	v_fmac_f64_e32 v[46:47], v[38:39], v[40:41]
	v_add_f64 v[52:53], v[44:45], v[46:47]
	ds_read_b128 v[44:47], v2 offset:1488
	s_waitcnt lgkmcnt(0)
	v_mul_f64 v[54:55], v[44:45], v[50:51]
	v_fmac_f64_e32 v[54:55], v[46:47], v[48:49]
	v_add_f64 v[60:61], v[52:53], v[54:55]
	ds_read_b128 v[52:55], v2 offset:1504
	;; [unrolled: 5-line block ×11, first 2 shown]
	s_waitcnt lgkmcnt(0)
	v_mul_f64 v[2:3], v[126:127], v[132:133]
	v_fmac_f64_e32 v[2:3], v[128:129], v[130:131]
	v_add_f64 v[64:65], v[64:65], v[2:3]
	v_mul_f64 v[2:3], v[18:19], v[22:23]
	v_fma_f64 v[2:3], v[16:17], v[20:21], -v[2:3]
	v_add_f64 v[2:3], v[2:3], 0
	v_add_f64 v[2:3], v[2:3], v[12:13]
	;; [unrolled: 1-line block ×4, first 2 shown]
	v_mul_f64 v[4:5], v[38:39], v[42:43]
	v_fma_f64 v[4:5], v[36:37], v[40:41], -v[4:5]
	v_add_f64 v[2:3], v[2:3], v[4:5]
	v_mul_f64 v[4:5], v[46:47], v[50:51]
	v_fma_f64 v[4:5], v[44:45], v[48:49], -v[4:5]
	v_add_f64 v[2:3], v[2:3], v[4:5]
	;; [unrolled: 3-line block ×12, first 2 shown]
	scratch_load_dwordx4 v[2:5], off, off offset:576
	s_waitcnt vmcnt(0)
	v_add_f64 v[2:3], v[2:3], -v[6:7]
	v_add_f64 v[4:5], v[4:5], -v[64:65]
	scratch_store_dwordx4 off, v[2:5], off offset:576
	s_and_saveexec_b64 s[0:1], vcc
	s_cbranch_execz .LBB115_257
; %bb.256:
	scratch_load_dwordx4 v[2:5], off, s34
	v_mov_b32_e32 v6, 0
	v_mov_b32_e32 v7, v6
	;; [unrolled: 1-line block ×4, first 2 shown]
	v_accvgpr_read_b32 v0, a105
	scratch_store_dwordx4 off, v[6:9], off offset:560
	s_waitcnt vmcnt(1)
	ds_write_b128 v0, v[2:5]
.LBB115_257:
	s_or_b64 exec, exec, s[0:1]
	v_mov_b32_e32 v2, 0
	s_waitcnt lgkmcnt(0)
	; wave barrier
	ds_read_b128 v[16:19], v2 offset:1392
	ds_read_b128 v[12:15], v2 offset:1408
	;; [unrolled: 1-line block ×4, first 2 shown]
	scratch_load_dwordx4 v[20:23], off, off offset:576
	scratch_load_dwordx4 v[40:43], off, off offset:640
	;; [unrolled: 1-line block ×11, first 2 shown]
	v_cmp_lt_u32_e32 vcc, 33, v240
	scratch_load_dwordx4 v[48:51], off, off offset:656
	scratch_load_dwordx4 v[56:59], off, off offset:672
	;; [unrolled: 1-line block ×3, first 2 shown]
	s_waitcnt vmcnt(13) lgkmcnt(3)
	v_mul_f64 v[24:25], v[16:17], v[22:23]
	v_fmac_f64_e32 v[24:25], v[18:19], v[20:21]
	v_add_f64 v[28:29], v[24:25], 0
	scratch_load_dwordx4 v[24:27], off, off offset:592
	v_mul_f64 v[18:19], v[18:19], v[22:23]
	v_fma_f64 v[16:17], v[16:17], v[20:21], -v[18:19]
	v_add_f64 v[16:17], v[16:17], 0
	s_waitcnt vmcnt(0) lgkmcnt(2)
	v_mul_f64 v[30:31], v[12:13], v[26:27]
	v_fmac_f64_e32 v[30:31], v[14:15], v[24:25]
	v_add_f64 v[32:33], v[28:29], v[30:31]
	scratch_load_dwordx4 v[28:31], off, off offset:608
	v_mul_f64 v[14:15], v[14:15], v[26:27]
	v_fma_f64 v[12:13], v[12:13], v[24:25], -v[14:15]
	v_add_f64 v[12:13], v[16:17], v[12:13]
	s_waitcnt vmcnt(0) lgkmcnt(1)
	v_mul_f64 v[34:35], v[8:9], v[30:31]
	v_fmac_f64_e32 v[34:35], v[10:11], v[28:29]
	v_add_f64 v[36:37], v[32:33], v[34:35]
	scratch_load_dwordx4 v[32:35], off, off offset:624
	v_mul_f64 v[10:11], v[10:11], v[30:31]
	v_fma_f64 v[8:9], v[8:9], v[28:29], -v[10:11]
	v_add_f64 v[8:9], v[12:13], v[8:9]
	s_waitcnt vmcnt(0) lgkmcnt(0)
	v_mul_f64 v[38:39], v[4:5], v[34:35]
	v_fmac_f64_e32 v[38:39], v[6:7], v[32:33]
	v_add_f64 v[44:45], v[36:37], v[38:39]
	ds_read_b128 v[36:39], v2 offset:1456
	v_mul_f64 v[6:7], v[6:7], v[34:35]
	v_fma_f64 v[4:5], v[4:5], v[32:33], -v[6:7]
	v_add_f64 v[4:5], v[8:9], v[4:5]
	s_waitcnt lgkmcnt(0)
	v_mul_f64 v[46:47], v[36:37], v[42:43]
	v_fmac_f64_e32 v[46:47], v[38:39], v[40:41]
	v_add_f64 v[52:53], v[44:45], v[46:47]
	ds_read_b128 v[44:47], v2 offset:1472
	v_mul_f64 v[6:7], v[38:39], v[42:43]
	v_fma_f64 v[6:7], v[36:37], v[40:41], -v[6:7]
	v_add_f64 v[4:5], v[4:5], v[6:7]
	s_waitcnt lgkmcnt(0)
	;; [unrolled: 8-line block ×13, first 2 shown]
	v_mul_f64 v[6:7], v[136:137], v[140:141]
	v_fma_f64 v[6:7], v[134:135], v[138:139], -v[6:7]
	v_add_f64 v[8:9], v[4:5], v[6:7]
	scratch_load_dwordx4 v[4:7], off, off offset:560
	v_mul_f64 v[142:143], v[134:135], v[140:141]
	v_fmac_f64_e32 v[142:143], v[136:137], v[138:139]
	v_add_f64 v[72:73], v[72:73], v[142:143]
	s_waitcnt vmcnt(0)
	v_add_f64 v[4:5], v[4:5], -v[8:9]
	v_add_f64 v[6:7], v[6:7], -v[72:73]
	scratch_store_dwordx4 off, v[4:7], off offset:560
	s_and_saveexec_b64 s[0:1], vcc
	s_cbranch_execz .LBB115_259
; %bb.258:
	scratch_load_dwordx4 v[6:9], off, s35
	v_mov_b32_e32 v3, v2
	v_mov_b32_e32 v4, v2
	;; [unrolled: 1-line block ×3, first 2 shown]
	v_accvgpr_read_b32 v0, a105
	scratch_store_dwordx4 off, v[2:5], off offset:544
	s_waitcnt vmcnt(1)
	ds_write_b128 v0, v[6:9]
.LBB115_259:
	s_or_b64 exec, exec, s[0:1]
	s_waitcnt lgkmcnt(0)
	; wave barrier
	ds_read_b128 v[16:19], v2 offset:1376
	ds_read_b128 v[12:15], v2 offset:1392
	;; [unrolled: 1-line block ×4, first 2 shown]
	scratch_load_dwordx4 v[20:23], off, off offset:560
	scratch_load_dwordx4 v[40:43], off, off offset:624
	;; [unrolled: 1-line block ×12, first 2 shown]
	v_cmp_lt_u32_e32 vcc, 32, v240
	scratch_load_dwordx4 v[48:51], off, off offset:640
	scratch_load_dwordx4 v[56:59], off, off offset:656
	;; [unrolled: 1-line block ×3, first 2 shown]
	s_waitcnt vmcnt(14) lgkmcnt(3)
	v_mul_f64 v[24:25], v[16:17], v[22:23]
	v_fmac_f64_e32 v[24:25], v[18:19], v[20:21]
	v_add_f64 v[28:29], v[24:25], 0
	scratch_load_dwordx4 v[24:27], off, off offset:576
	s_waitcnt vmcnt(0) lgkmcnt(2)
	v_mul_f64 v[30:31], v[12:13], v[26:27]
	v_fmac_f64_e32 v[30:31], v[14:15], v[24:25]
	v_add_f64 v[32:33], v[28:29], v[30:31]
	scratch_load_dwordx4 v[28:31], off, off offset:592
	v_mul_f64 v[14:15], v[14:15], v[26:27]
	v_fma_f64 v[12:13], v[12:13], v[24:25], -v[14:15]
	s_waitcnt vmcnt(0) lgkmcnt(1)
	v_mul_f64 v[34:35], v[8:9], v[30:31]
	v_fmac_f64_e32 v[34:35], v[10:11], v[28:29]
	v_add_f64 v[36:37], v[32:33], v[34:35]
	scratch_load_dwordx4 v[32:35], off, off offset:608
	v_mul_f64 v[10:11], v[10:11], v[30:31]
	v_fma_f64 v[8:9], v[8:9], v[28:29], -v[10:11]
	s_waitcnt vmcnt(0) lgkmcnt(0)
	v_mul_f64 v[38:39], v[4:5], v[34:35]
	v_fmac_f64_e32 v[38:39], v[6:7], v[32:33]
	v_add_f64 v[44:45], v[36:37], v[38:39]
	ds_read_b128 v[36:39], v2 offset:1440
	v_mul_f64 v[6:7], v[6:7], v[34:35]
	v_fma_f64 v[4:5], v[4:5], v[32:33], -v[6:7]
	s_waitcnt lgkmcnt(0)
	v_mul_f64 v[46:47], v[36:37], v[42:43]
	v_fmac_f64_e32 v[46:47], v[38:39], v[40:41]
	v_add_f64 v[52:53], v[44:45], v[46:47]
	ds_read_b128 v[44:47], v2 offset:1456
	s_waitcnt lgkmcnt(0)
	v_mul_f64 v[54:55], v[44:45], v[50:51]
	v_fmac_f64_e32 v[54:55], v[46:47], v[48:49]
	v_add_f64 v[60:61], v[52:53], v[54:55]
	ds_read_b128 v[52:55], v2 offset:1472
	;; [unrolled: 5-line block ×13, first 2 shown]
	s_waitcnt lgkmcnt(0)
	v_mul_f64 v[2:3], v[142:143], v[148:149]
	v_fmac_f64_e32 v[2:3], v[144:145], v[146:147]
	v_add_f64 v[80:81], v[80:81], v[2:3]
	v_mul_f64 v[2:3], v[18:19], v[22:23]
	v_fma_f64 v[2:3], v[16:17], v[20:21], -v[2:3]
	v_add_f64 v[2:3], v[2:3], 0
	v_add_f64 v[2:3], v[2:3], v[12:13]
	;; [unrolled: 1-line block ×4, first 2 shown]
	v_mul_f64 v[4:5], v[38:39], v[42:43]
	v_fma_f64 v[4:5], v[36:37], v[40:41], -v[4:5]
	v_add_f64 v[2:3], v[2:3], v[4:5]
	v_mul_f64 v[4:5], v[46:47], v[50:51]
	v_fma_f64 v[4:5], v[44:45], v[48:49], -v[4:5]
	v_add_f64 v[2:3], v[2:3], v[4:5]
	;; [unrolled: 3-line block ×14, first 2 shown]
	scratch_load_dwordx4 v[2:5], off, off offset:544
	s_waitcnt vmcnt(0)
	v_add_f64 v[2:3], v[2:3], -v[6:7]
	v_add_f64 v[4:5], v[4:5], -v[80:81]
	scratch_store_dwordx4 off, v[2:5], off offset:544
	s_and_saveexec_b64 s[0:1], vcc
	s_cbranch_execz .LBB115_261
; %bb.260:
	scratch_load_dwordx4 v[2:5], off, s36
	v_mov_b32_e32 v6, 0
	v_mov_b32_e32 v7, v6
	;; [unrolled: 1-line block ×4, first 2 shown]
	v_accvgpr_read_b32 v0, a105
	scratch_store_dwordx4 off, v[6:9], off offset:528
	s_waitcnt vmcnt(1)
	ds_write_b128 v0, v[2:5]
.LBB115_261:
	s_or_b64 exec, exec, s[0:1]
	v_mov_b32_e32 v2, 0
	s_waitcnt lgkmcnt(0)
	; wave barrier
	ds_read_b128 v[16:19], v2 offset:1360
	ds_read_b128 v[12:15], v2 offset:1376
	;; [unrolled: 1-line block ×4, first 2 shown]
	scratch_load_dwordx4 v[20:23], off, off offset:544
	scratch_load_dwordx4 v[40:43], off, off offset:608
	;; [unrolled: 1-line block ×13, first 2 shown]
	v_cmp_lt_u32_e32 vcc, 31, v240
	scratch_load_dwordx4 v[48:51], off, off offset:624
	scratch_load_dwordx4 v[56:59], off, off offset:640
	;; [unrolled: 1-line block ×3, first 2 shown]
	s_waitcnt vmcnt(15) lgkmcnt(3)
	v_mul_f64 v[24:25], v[16:17], v[22:23]
	v_fmac_f64_e32 v[24:25], v[18:19], v[20:21]
	v_add_f64 v[28:29], v[24:25], 0
	scratch_load_dwordx4 v[24:27], off, off offset:560
	v_mul_f64 v[18:19], v[18:19], v[22:23]
	v_fma_f64 v[16:17], v[16:17], v[20:21], -v[18:19]
	v_add_f64 v[16:17], v[16:17], 0
	s_waitcnt vmcnt(0) lgkmcnt(2)
	v_mul_f64 v[30:31], v[12:13], v[26:27]
	v_fmac_f64_e32 v[30:31], v[14:15], v[24:25]
	v_add_f64 v[32:33], v[28:29], v[30:31]
	scratch_load_dwordx4 v[28:31], off, off offset:576
	v_mul_f64 v[14:15], v[14:15], v[26:27]
	v_fma_f64 v[12:13], v[12:13], v[24:25], -v[14:15]
	v_add_f64 v[12:13], v[16:17], v[12:13]
	;; [unrolled: 8-line block ×3, first 2 shown]
	s_waitcnt vmcnt(0) lgkmcnt(0)
	v_mul_f64 v[38:39], v[4:5], v[34:35]
	v_fmac_f64_e32 v[38:39], v[6:7], v[32:33]
	v_add_f64 v[44:45], v[36:37], v[38:39]
	ds_read_b128 v[36:39], v2 offset:1424
	v_mul_f64 v[6:7], v[6:7], v[34:35]
	v_fma_f64 v[4:5], v[4:5], v[32:33], -v[6:7]
	v_add_f64 v[4:5], v[8:9], v[4:5]
	s_waitcnt lgkmcnt(0)
	v_mul_f64 v[46:47], v[36:37], v[42:43]
	v_fmac_f64_e32 v[46:47], v[38:39], v[40:41]
	v_add_f64 v[52:53], v[44:45], v[46:47]
	ds_read_b128 v[44:47], v2 offset:1440
	v_mul_f64 v[6:7], v[38:39], v[42:43]
	v_fma_f64 v[6:7], v[36:37], v[40:41], -v[6:7]
	v_add_f64 v[4:5], v[4:5], v[6:7]
	s_waitcnt lgkmcnt(0)
	;; [unrolled: 8-line block ×15, first 2 shown]
	v_mul_f64 v[6:7], v[152:153], v[156:157]
	v_fma_f64 v[6:7], v[150:151], v[154:155], -v[6:7]
	v_add_f64 v[8:9], v[4:5], v[6:7]
	scratch_load_dwordx4 v[4:7], off, off offset:528
	v_mul_f64 v[158:159], v[150:151], v[156:157]
	v_fmac_f64_e32 v[158:159], v[152:153], v[154:155]
	v_add_f64 v[88:89], v[88:89], v[158:159]
	s_waitcnt vmcnt(0)
	v_add_f64 v[4:5], v[4:5], -v[8:9]
	v_add_f64 v[6:7], v[6:7], -v[88:89]
	scratch_store_dwordx4 off, v[4:7], off offset:528
	s_and_saveexec_b64 s[0:1], vcc
	s_cbranch_execz .LBB115_263
; %bb.262:
	scratch_load_dwordx4 v[6:9], off, s37
	v_mov_b32_e32 v3, v2
	v_mov_b32_e32 v4, v2
	;; [unrolled: 1-line block ×3, first 2 shown]
	v_accvgpr_read_b32 v0, a105
	scratch_store_dwordx4 off, v[2:5], off offset:512
	s_waitcnt vmcnt(1)
	ds_write_b128 v0, v[6:9]
.LBB115_263:
	s_or_b64 exec, exec, s[0:1]
	s_waitcnt lgkmcnt(0)
	; wave barrier
	ds_read_b128 v[16:19], v2 offset:1344
	ds_read_b128 v[12:15], v2 offset:1360
	ds_read_b128 v[8:11], v2 offset:1376
	ds_read_b128 v[4:7], v2 offset:1392
	scratch_load_dwordx4 v[20:23], off, off offset:528
	scratch_load_dwordx4 v[40:43], off, off offset:592
	;; [unrolled: 1-line block ×14, first 2 shown]
	v_cmp_lt_u32_e32 vcc, 30, v240
	scratch_load_dwordx4 v[48:51], off, off offset:608
	scratch_load_dwordx4 v[56:59], off, off offset:624
	;; [unrolled: 1-line block ×3, first 2 shown]
	s_waitcnt vmcnt(16) lgkmcnt(3)
	v_mul_f64 v[24:25], v[16:17], v[22:23]
	v_fmac_f64_e32 v[24:25], v[18:19], v[20:21]
	v_add_f64 v[28:29], v[24:25], 0
	scratch_load_dwordx4 v[24:27], off, off offset:544
	s_waitcnt vmcnt(0) lgkmcnt(2)
	v_mul_f64 v[30:31], v[12:13], v[26:27]
	v_fmac_f64_e32 v[30:31], v[14:15], v[24:25]
	v_add_f64 v[32:33], v[28:29], v[30:31]
	scratch_load_dwordx4 v[28:31], off, off offset:560
	v_mul_f64 v[14:15], v[14:15], v[26:27]
	v_fma_f64 v[12:13], v[12:13], v[24:25], -v[14:15]
	s_waitcnt vmcnt(0) lgkmcnt(1)
	v_mul_f64 v[34:35], v[8:9], v[30:31]
	v_fmac_f64_e32 v[34:35], v[10:11], v[28:29]
	v_add_f64 v[36:37], v[32:33], v[34:35]
	scratch_load_dwordx4 v[32:35], off, off offset:576
	v_mul_f64 v[10:11], v[10:11], v[30:31]
	v_fma_f64 v[8:9], v[8:9], v[28:29], -v[10:11]
	s_waitcnt vmcnt(0) lgkmcnt(0)
	v_mul_f64 v[38:39], v[4:5], v[34:35]
	v_fmac_f64_e32 v[38:39], v[6:7], v[32:33]
	v_add_f64 v[44:45], v[36:37], v[38:39]
	ds_read_b128 v[36:39], v2 offset:1408
	v_mul_f64 v[6:7], v[6:7], v[34:35]
	v_fma_f64 v[4:5], v[4:5], v[32:33], -v[6:7]
	s_waitcnt lgkmcnt(0)
	v_mul_f64 v[46:47], v[36:37], v[42:43]
	v_fmac_f64_e32 v[46:47], v[38:39], v[40:41]
	v_add_f64 v[52:53], v[44:45], v[46:47]
	ds_read_b128 v[44:47], v2 offset:1424
	s_waitcnt lgkmcnt(0)
	v_mul_f64 v[54:55], v[44:45], v[50:51]
	v_fmac_f64_e32 v[54:55], v[46:47], v[48:49]
	v_add_f64 v[60:61], v[52:53], v[54:55]
	ds_read_b128 v[52:55], v2 offset:1440
	;; [unrolled: 5-line block ×15, first 2 shown]
	s_waitcnt lgkmcnt(0)
	v_mul_f64 v[2:3], v[158:159], v[164:165]
	v_fmac_f64_e32 v[2:3], v[160:161], v[162:163]
	v_add_f64 v[96:97], v[96:97], v[2:3]
	v_mul_f64 v[2:3], v[18:19], v[22:23]
	v_fma_f64 v[2:3], v[16:17], v[20:21], -v[2:3]
	v_add_f64 v[2:3], v[2:3], 0
	v_add_f64 v[2:3], v[2:3], v[12:13]
	;; [unrolled: 1-line block ×4, first 2 shown]
	v_mul_f64 v[4:5], v[38:39], v[42:43]
	v_fma_f64 v[4:5], v[36:37], v[40:41], -v[4:5]
	v_add_f64 v[2:3], v[2:3], v[4:5]
	v_mul_f64 v[4:5], v[46:47], v[50:51]
	v_fma_f64 v[4:5], v[44:45], v[48:49], -v[4:5]
	v_add_f64 v[2:3], v[2:3], v[4:5]
	;; [unrolled: 3-line block ×16, first 2 shown]
	scratch_load_dwordx4 v[2:5], off, off offset:512
	s_waitcnt vmcnt(0)
	v_add_f64 v[2:3], v[2:3], -v[6:7]
	v_add_f64 v[4:5], v[4:5], -v[96:97]
	scratch_store_dwordx4 off, v[2:5], off offset:512
	s_and_saveexec_b64 s[0:1], vcc
	s_cbranch_execz .LBB115_265
; %bb.264:
	scratch_load_dwordx4 v[2:5], off, s38
	v_mov_b32_e32 v6, 0
	v_mov_b32_e32 v7, v6
	;; [unrolled: 1-line block ×4, first 2 shown]
	v_accvgpr_read_b32 v0, a105
	scratch_store_dwordx4 off, v[6:9], off offset:496
	s_waitcnt vmcnt(1)
	ds_write_b128 v0, v[2:5]
.LBB115_265:
	s_or_b64 exec, exec, s[0:1]
	v_mov_b32_e32 v2, 0
	s_waitcnt lgkmcnt(0)
	; wave barrier
	ds_read_b128 v[16:19], v2 offset:1328
	ds_read_b128 v[12:15], v2 offset:1344
	;; [unrolled: 1-line block ×4, first 2 shown]
	scratch_load_dwordx4 v[20:23], off, off offset:512
	scratch_load_dwordx4 v[40:43], off, off offset:576
	scratch_load_dwordx4 v[72:75], off, off offset:640
	scratch_load_dwordx4 v[80:83], off, off offset:656
	scratch_load_dwordx4 v[88:91], off, off offset:672
	scratch_load_dwordx4 v[96:99], off, off offset:688
	scratch_load_dwordx4 v[106:109], off, off offset:704
	scratch_load_dwordx4 v[114:117], off, off offset:720
	scratch_load_dwordx4 v[122:125], off, off offset:736
	scratch_load_dwordx4 v[130:133], off, off offset:752
	scratch_load_dwordx4 v[138:141], off, off offset:768
	scratch_load_dwordx4 v[146:149], off, off offset:784
	scratch_load_dwordx4 v[154:157], off, off offset:800
	scratch_load_dwordx4 v[162:165], off, off offset:816
	scratch_load_dwordx4 v[170:173], off, off offset:832
	v_cmp_lt_u32_e32 vcc, 29, v240
	scratch_load_dwordx4 v[48:51], off, off offset:592
	scratch_load_dwordx4 v[56:59], off, off offset:608
	;; [unrolled: 1-line block ×3, first 2 shown]
	s_waitcnt vmcnt(17) lgkmcnt(3)
	v_mul_f64 v[24:25], v[16:17], v[22:23]
	v_fmac_f64_e32 v[24:25], v[18:19], v[20:21]
	v_add_f64 v[28:29], v[24:25], 0
	scratch_load_dwordx4 v[24:27], off, off offset:528
	v_mul_f64 v[18:19], v[18:19], v[22:23]
	v_fma_f64 v[16:17], v[16:17], v[20:21], -v[18:19]
	v_add_f64 v[16:17], v[16:17], 0
	s_waitcnt vmcnt(0) lgkmcnt(2)
	v_mul_f64 v[30:31], v[12:13], v[26:27]
	v_fmac_f64_e32 v[30:31], v[14:15], v[24:25]
	v_add_f64 v[32:33], v[28:29], v[30:31]
	scratch_load_dwordx4 v[28:31], off, off offset:544
	v_mul_f64 v[14:15], v[14:15], v[26:27]
	v_fma_f64 v[12:13], v[12:13], v[24:25], -v[14:15]
	v_add_f64 v[12:13], v[16:17], v[12:13]
	;; [unrolled: 8-line block ×3, first 2 shown]
	s_waitcnt vmcnt(0) lgkmcnt(0)
	v_mul_f64 v[38:39], v[4:5], v[34:35]
	v_fmac_f64_e32 v[38:39], v[6:7], v[32:33]
	v_add_f64 v[44:45], v[36:37], v[38:39]
	ds_read_b128 v[36:39], v2 offset:1392
	v_mul_f64 v[6:7], v[6:7], v[34:35]
	v_fma_f64 v[4:5], v[4:5], v[32:33], -v[6:7]
	v_add_f64 v[4:5], v[8:9], v[4:5]
	s_waitcnt lgkmcnt(0)
	v_mul_f64 v[46:47], v[36:37], v[42:43]
	v_fmac_f64_e32 v[46:47], v[38:39], v[40:41]
	v_add_f64 v[52:53], v[44:45], v[46:47]
	ds_read_b128 v[44:47], v2 offset:1408
	v_mul_f64 v[6:7], v[38:39], v[42:43]
	v_fma_f64 v[6:7], v[36:37], v[40:41], -v[6:7]
	v_add_f64 v[4:5], v[4:5], v[6:7]
	s_waitcnt lgkmcnt(0)
	;; [unrolled: 8-line block ×17, first 2 shown]
	v_mul_f64 v[6:7], v[168:169], v[172:173]
	v_fma_f64 v[6:7], v[166:167], v[170:171], -v[6:7]
	v_add_f64 v[8:9], v[4:5], v[6:7]
	scratch_load_dwordx4 v[4:7], off, off offset:496
	v_mul_f64 v[174:175], v[166:167], v[172:173]
	v_fmac_f64_e32 v[174:175], v[168:169], v[170:171]
	v_add_f64 v[104:105], v[104:105], v[174:175]
	s_waitcnt vmcnt(0)
	v_add_f64 v[4:5], v[4:5], -v[8:9]
	v_add_f64 v[6:7], v[6:7], -v[104:105]
	scratch_store_dwordx4 off, v[4:7], off offset:496
	s_and_saveexec_b64 s[0:1], vcc
	s_cbranch_execz .LBB115_267
; %bb.266:
	scratch_load_dwordx4 v[6:9], off, s39
	v_mov_b32_e32 v3, v2
	v_mov_b32_e32 v4, v2
	v_mov_b32_e32 v5, v2
	v_accvgpr_read_b32 v0, a105
	scratch_store_dwordx4 off, v[2:5], off offset:480
	s_waitcnt vmcnt(1)
	ds_write_b128 v0, v[6:9]
.LBB115_267:
	s_or_b64 exec, exec, s[0:1]
	s_waitcnt lgkmcnt(0)
	; wave barrier
	ds_read_b128 v[16:19], v2 offset:1312
	ds_read_b128 v[12:15], v2 offset:1328
	;; [unrolled: 1-line block ×4, first 2 shown]
	scratch_load_dwordx4 v[20:23], off, off offset:496
	scratch_load_dwordx4 v[40:43], off, off offset:560
	;; [unrolled: 1-line block ×16, first 2 shown]
	v_cmp_lt_u32_e32 vcc, 28, v240
	scratch_load_dwordx4 v[48:51], off, off offset:576
	scratch_load_dwordx4 v[56:59], off, off offset:592
	;; [unrolled: 1-line block ×3, first 2 shown]
	s_waitcnt vmcnt(18) lgkmcnt(3)
	v_mul_f64 v[24:25], v[16:17], v[22:23]
	v_fmac_f64_e32 v[24:25], v[18:19], v[20:21]
	v_add_f64 v[28:29], v[24:25], 0
	scratch_load_dwordx4 v[24:27], off, off offset:512
	s_waitcnt vmcnt(0) lgkmcnt(2)
	v_mul_f64 v[30:31], v[12:13], v[26:27]
	v_fmac_f64_e32 v[30:31], v[14:15], v[24:25]
	v_add_f64 v[32:33], v[28:29], v[30:31]
	scratch_load_dwordx4 v[28:31], off, off offset:528
	v_mul_f64 v[14:15], v[14:15], v[26:27]
	v_fma_f64 v[12:13], v[12:13], v[24:25], -v[14:15]
	s_waitcnt vmcnt(0) lgkmcnt(1)
	v_mul_f64 v[34:35], v[8:9], v[30:31]
	v_fmac_f64_e32 v[34:35], v[10:11], v[28:29]
	v_add_f64 v[36:37], v[32:33], v[34:35]
	scratch_load_dwordx4 v[32:35], off, off offset:544
	v_mul_f64 v[10:11], v[10:11], v[30:31]
	v_fma_f64 v[8:9], v[8:9], v[28:29], -v[10:11]
	s_waitcnt vmcnt(0) lgkmcnt(0)
	v_mul_f64 v[38:39], v[4:5], v[34:35]
	v_fmac_f64_e32 v[38:39], v[6:7], v[32:33]
	v_add_f64 v[44:45], v[36:37], v[38:39]
	ds_read_b128 v[36:39], v2 offset:1376
	v_mul_f64 v[6:7], v[6:7], v[34:35]
	v_fma_f64 v[4:5], v[4:5], v[32:33], -v[6:7]
	s_waitcnt lgkmcnt(0)
	v_mul_f64 v[46:47], v[36:37], v[42:43]
	v_fmac_f64_e32 v[46:47], v[38:39], v[40:41]
	v_add_f64 v[52:53], v[44:45], v[46:47]
	ds_read_b128 v[44:47], v2 offset:1392
	s_waitcnt lgkmcnt(0)
	v_mul_f64 v[54:55], v[44:45], v[50:51]
	v_fmac_f64_e32 v[54:55], v[46:47], v[48:49]
	v_add_f64 v[60:61], v[52:53], v[54:55]
	ds_read_b128 v[52:55], v2 offset:1408
	s_waitcnt lgkmcnt(0)
	v_mul_f64 v[62:63], v[52:53], v[58:59]
	v_fmac_f64_e32 v[62:63], v[54:55], v[56:57]
	v_add_f64 v[68:69], v[60:61], v[62:63]
	ds_read_b128 v[60:63], v2 offset:1424
	s_waitcnt lgkmcnt(0)
	v_mul_f64 v[70:71], v[60:61], v[66:67]
	v_fmac_f64_e32 v[70:71], v[62:63], v[64:65]
	v_add_f64 v[76:77], v[68:69], v[70:71]
	ds_read_b128 v[68:71], v2 offset:1440
	s_waitcnt lgkmcnt(0)
	v_mul_f64 v[78:79], v[68:69], v[74:75]
	v_fmac_f64_e32 v[78:79], v[70:71], v[72:73]
	v_add_f64 v[84:85], v[76:77], v[78:79]
	ds_read_b128 v[76:79], v2 offset:1456
	s_waitcnt lgkmcnt(0)
	v_mul_f64 v[86:87], v[76:77], v[82:83]
	v_fmac_f64_e32 v[86:87], v[78:79], v[80:81]
	v_add_f64 v[92:93], v[84:85], v[86:87]
	ds_read_b128 v[84:87], v2 offset:1472
	s_waitcnt lgkmcnt(0)
	v_mul_f64 v[94:95], v[84:85], v[90:91]
	v_fmac_f64_e32 v[94:95], v[86:87], v[88:89]
	v_add_f64 v[100:101], v[92:93], v[94:95]
	ds_read_b128 v[92:95], v2 offset:1488
	s_waitcnt lgkmcnt(0)
	v_mul_f64 v[102:103], v[92:93], v[98:99]
	v_fmac_f64_e32 v[102:103], v[94:95], v[96:97]
	v_add_f64 v[108:109], v[100:101], v[102:103]
	ds_read_b128 v[100:103], v2 offset:1504
	s_waitcnt lgkmcnt(0)
	v_mul_f64 v[110:111], v[100:101], v[106:107]
	v_fmac_f64_e32 v[110:111], v[102:103], v[104:105]
	v_add_f64 v[116:117], v[108:109], v[110:111]
	ds_read_b128 v[108:111], v2 offset:1520
	s_waitcnt lgkmcnt(0)
	v_mul_f64 v[118:119], v[108:109], v[114:115]
	v_fmac_f64_e32 v[118:119], v[110:111], v[112:113]
	v_add_f64 v[120:121], v[116:117], v[118:119]
	ds_read_b128 v[116:119], v2 offset:1536
	s_waitcnt lgkmcnt(0)
	v_mul_f64 v[126:127], v[116:117], v[124:125]
	v_fmac_f64_e32 v[126:127], v[118:119], v[122:123]
	v_add_f64 v[120:121], v[120:121], v[126:127]
	ds_read_b128 v[126:129], v2 offset:1552
	s_waitcnt lgkmcnt(0)
	v_mul_f64 v[134:135], v[126:127], v[132:133]
	v_fmac_f64_e32 v[134:135], v[128:129], v[130:131]
	v_add_f64 v[120:121], v[120:121], v[134:135]
	ds_read_b128 v[134:137], v2 offset:1568
	s_waitcnt lgkmcnt(0)
	v_mul_f64 v[142:143], v[134:135], v[140:141]
	v_fmac_f64_e32 v[142:143], v[136:137], v[138:139]
	v_add_f64 v[120:121], v[120:121], v[142:143]
	ds_read_b128 v[142:145], v2 offset:1584
	s_waitcnt lgkmcnt(0)
	v_mul_f64 v[150:151], v[142:143], v[148:149]
	v_fmac_f64_e32 v[150:151], v[144:145], v[146:147]
	v_add_f64 v[120:121], v[120:121], v[150:151]
	ds_read_b128 v[150:153], v2 offset:1600
	s_waitcnt lgkmcnt(0)
	v_mul_f64 v[158:159], v[150:151], v[156:157]
	v_fmac_f64_e32 v[158:159], v[152:153], v[154:155]
	v_add_f64 v[120:121], v[120:121], v[158:159]
	ds_read_b128 v[158:161], v2 offset:1616
	s_waitcnt lgkmcnt(0)
	v_mul_f64 v[166:167], v[158:159], v[164:165]
	v_fmac_f64_e32 v[166:167], v[160:161], v[162:163]
	v_add_f64 v[120:121], v[120:121], v[166:167]
	ds_read_b128 v[166:169], v2 offset:1632
	s_waitcnt lgkmcnt(0)
	v_mul_f64 v[174:175], v[166:167], v[172:173]
	v_fmac_f64_e32 v[174:175], v[168:169], v[170:171]
	v_add_f64 v[120:121], v[120:121], v[174:175]
	ds_read_b128 v[174:177], v2 offset:1648
	s_waitcnt lgkmcnt(0)
	v_mul_f64 v[2:3], v[174:175], v[180:181]
	v_fmac_f64_e32 v[2:3], v[176:177], v[178:179]
	v_add_f64 v[120:121], v[120:121], v[2:3]
	v_mul_f64 v[2:3], v[18:19], v[22:23]
	v_fma_f64 v[2:3], v[16:17], v[20:21], -v[2:3]
	v_add_f64 v[2:3], v[2:3], 0
	v_add_f64 v[2:3], v[2:3], v[12:13]
	;; [unrolled: 1-line block ×4, first 2 shown]
	v_mul_f64 v[4:5], v[38:39], v[42:43]
	v_fma_f64 v[4:5], v[36:37], v[40:41], -v[4:5]
	v_add_f64 v[2:3], v[2:3], v[4:5]
	v_mul_f64 v[4:5], v[46:47], v[50:51]
	v_fma_f64 v[4:5], v[44:45], v[48:49], -v[4:5]
	v_add_f64 v[2:3], v[2:3], v[4:5]
	v_mul_f64 v[4:5], v[54:55], v[58:59]
	v_fma_f64 v[4:5], v[52:53], v[56:57], -v[4:5]
	v_add_f64 v[2:3], v[2:3], v[4:5]
	v_mul_f64 v[4:5], v[62:63], v[66:67]
	v_fma_f64 v[4:5], v[60:61], v[64:65], -v[4:5]
	v_add_f64 v[2:3], v[2:3], v[4:5]
	v_mul_f64 v[4:5], v[70:71], v[74:75]
	v_fma_f64 v[4:5], v[68:69], v[72:73], -v[4:5]
	v_add_f64 v[2:3], v[2:3], v[4:5]
	v_mul_f64 v[4:5], v[78:79], v[82:83]
	v_fma_f64 v[4:5], v[76:77], v[80:81], -v[4:5]
	v_add_f64 v[2:3], v[2:3], v[4:5]
	v_mul_f64 v[4:5], v[86:87], v[90:91]
	v_fma_f64 v[4:5], v[84:85], v[88:89], -v[4:5]
	v_add_f64 v[2:3], v[2:3], v[4:5]
	v_mul_f64 v[4:5], v[94:95], v[98:99]
	v_fma_f64 v[4:5], v[92:93], v[96:97], -v[4:5]
	v_add_f64 v[2:3], v[2:3], v[4:5]
	v_mul_f64 v[4:5], v[102:103], v[106:107]
	v_fma_f64 v[4:5], v[100:101], v[104:105], -v[4:5]
	v_add_f64 v[2:3], v[2:3], v[4:5]
	v_mul_f64 v[4:5], v[110:111], v[114:115]
	v_fma_f64 v[4:5], v[108:109], v[112:113], -v[4:5]
	v_add_f64 v[2:3], v[2:3], v[4:5]
	v_mul_f64 v[4:5], v[118:119], v[124:125]
	v_fma_f64 v[4:5], v[116:117], v[122:123], -v[4:5]
	v_add_f64 v[2:3], v[2:3], v[4:5]
	v_mul_f64 v[4:5], v[128:129], v[132:133]
	v_fma_f64 v[4:5], v[126:127], v[130:131], -v[4:5]
	v_add_f64 v[2:3], v[2:3], v[4:5]
	v_mul_f64 v[4:5], v[136:137], v[140:141]
	v_fma_f64 v[4:5], v[134:135], v[138:139], -v[4:5]
	v_add_f64 v[2:3], v[2:3], v[4:5]
	v_mul_f64 v[4:5], v[144:145], v[148:149]
	v_fma_f64 v[4:5], v[142:143], v[146:147], -v[4:5]
	v_add_f64 v[2:3], v[2:3], v[4:5]
	v_mul_f64 v[4:5], v[152:153], v[156:157]
	v_fma_f64 v[4:5], v[150:151], v[154:155], -v[4:5]
	v_add_f64 v[2:3], v[2:3], v[4:5]
	v_mul_f64 v[4:5], v[160:161], v[164:165]
	v_fma_f64 v[4:5], v[158:159], v[162:163], -v[4:5]
	v_add_f64 v[2:3], v[2:3], v[4:5]
	v_mul_f64 v[4:5], v[168:169], v[172:173]
	v_fma_f64 v[4:5], v[166:167], v[170:171], -v[4:5]
	v_add_f64 v[2:3], v[2:3], v[4:5]
	v_mul_f64 v[4:5], v[176:177], v[180:181]
	v_fma_f64 v[4:5], v[174:175], v[178:179], -v[4:5]
	v_add_f64 v[6:7], v[2:3], v[4:5]
	scratch_load_dwordx4 v[2:5], off, off offset:480
	s_waitcnt vmcnt(0)
	v_add_f64 v[2:3], v[2:3], -v[6:7]
	v_add_f64 v[4:5], v[4:5], -v[120:121]
	scratch_store_dwordx4 off, v[2:5], off offset:480
	s_and_saveexec_b64 s[0:1], vcc
	s_cbranch_execz .LBB115_269
; %bb.268:
	scratch_load_dwordx4 v[2:5], off, s40
	v_mov_b32_e32 v6, 0
	v_mov_b32_e32 v7, v6
	;; [unrolled: 1-line block ×4, first 2 shown]
	v_accvgpr_read_b32 v0, a105
	scratch_store_dwordx4 off, v[6:9], off offset:464
	s_waitcnt vmcnt(1)
	ds_write_b128 v0, v[2:5]
.LBB115_269:
	s_or_b64 exec, exec, s[0:1]
	v_mov_b32_e32 v2, 0
	s_waitcnt lgkmcnt(0)
	; wave barrier
	ds_read_b128 v[16:19], v2 offset:1296
	ds_read_b128 v[12:15], v2 offset:1312
	;; [unrolled: 1-line block ×4, first 2 shown]
	scratch_load_dwordx4 v[20:23], off, off offset:480
	scratch_load_dwordx4 v[40:43], off, off offset:544
	;; [unrolled: 1-line block ×17, first 2 shown]
	v_cmp_lt_u32_e32 vcc, 27, v240
	scratch_load_dwordx4 v[48:51], off, off offset:560
	scratch_load_dwordx4 v[56:59], off, off offset:576
	scratch_load_dwordx4 v[64:67], off, off offset:592
	s_waitcnt vmcnt(19) lgkmcnt(3)
	v_mul_f64 v[24:25], v[16:17], v[22:23]
	v_fmac_f64_e32 v[24:25], v[18:19], v[20:21]
	v_add_f64 v[28:29], v[24:25], 0
	scratch_load_dwordx4 v[24:27], off, off offset:496
	v_mul_f64 v[18:19], v[18:19], v[22:23]
	v_fma_f64 v[16:17], v[16:17], v[20:21], -v[18:19]
	v_add_f64 v[16:17], v[16:17], 0
	s_waitcnt vmcnt(0) lgkmcnt(2)
	v_mul_f64 v[30:31], v[12:13], v[26:27]
	v_fmac_f64_e32 v[30:31], v[14:15], v[24:25]
	v_add_f64 v[32:33], v[28:29], v[30:31]
	scratch_load_dwordx4 v[28:31], off, off offset:512
	v_mul_f64 v[14:15], v[14:15], v[26:27]
	v_fma_f64 v[12:13], v[12:13], v[24:25], -v[14:15]
	v_add_f64 v[12:13], v[16:17], v[12:13]
	s_waitcnt vmcnt(0) lgkmcnt(1)
	v_mul_f64 v[34:35], v[8:9], v[30:31]
	v_fmac_f64_e32 v[34:35], v[10:11], v[28:29]
	v_add_f64 v[36:37], v[32:33], v[34:35]
	scratch_load_dwordx4 v[32:35], off, off offset:528
	v_mul_f64 v[10:11], v[10:11], v[30:31]
	v_fma_f64 v[8:9], v[8:9], v[28:29], -v[10:11]
	v_add_f64 v[8:9], v[12:13], v[8:9]
	s_waitcnt vmcnt(0) lgkmcnt(0)
	v_mul_f64 v[38:39], v[4:5], v[34:35]
	v_fmac_f64_e32 v[38:39], v[6:7], v[32:33]
	v_add_f64 v[44:45], v[36:37], v[38:39]
	ds_read_b128 v[36:39], v2 offset:1360
	v_mul_f64 v[6:7], v[6:7], v[34:35]
	v_fma_f64 v[4:5], v[4:5], v[32:33], -v[6:7]
	v_add_f64 v[4:5], v[8:9], v[4:5]
	s_waitcnt lgkmcnt(0)
	v_mul_f64 v[46:47], v[36:37], v[42:43]
	v_fmac_f64_e32 v[46:47], v[38:39], v[40:41]
	v_add_f64 v[52:53], v[44:45], v[46:47]
	ds_read_b128 v[44:47], v2 offset:1376
	v_mul_f64 v[6:7], v[38:39], v[42:43]
	v_fma_f64 v[6:7], v[36:37], v[40:41], -v[6:7]
	v_add_f64 v[4:5], v[4:5], v[6:7]
	s_waitcnt lgkmcnt(0)
	;; [unrolled: 8-line block ×19, first 2 shown]
	v_mul_f64 v[6:7], v[184:185], v[188:189]
	v_fma_f64 v[6:7], v[182:183], v[186:187], -v[6:7]
	v_add_f64 v[8:9], v[4:5], v[6:7]
	scratch_load_dwordx4 v[4:7], off, off offset:464
	v_mul_f64 v[190:191], v[182:183], v[188:189]
	v_fmac_f64_e32 v[190:191], v[184:185], v[186:187]
	v_add_f64 v[128:129], v[128:129], v[190:191]
	s_waitcnt vmcnt(0)
	v_add_f64 v[4:5], v[4:5], -v[8:9]
	v_add_f64 v[6:7], v[6:7], -v[128:129]
	scratch_store_dwordx4 off, v[4:7], off offset:464
	s_and_saveexec_b64 s[0:1], vcc
	s_cbranch_execz .LBB115_271
; %bb.270:
	scratch_load_dwordx4 v[6:9], off, s41
	v_mov_b32_e32 v3, v2
	v_mov_b32_e32 v4, v2
	;; [unrolled: 1-line block ×3, first 2 shown]
	v_accvgpr_read_b32 v0, a105
	scratch_store_dwordx4 off, v[2:5], off offset:448
	s_waitcnt vmcnt(1)
	ds_write_b128 v0, v[6:9]
.LBB115_271:
	s_or_b64 exec, exec, s[0:1]
	s_waitcnt lgkmcnt(0)
	; wave barrier
	ds_read_b128 v[16:19], v2 offset:1280
	ds_read_b128 v[12:15], v2 offset:1296
	;; [unrolled: 1-line block ×4, first 2 shown]
	scratch_load_dwordx4 v[20:23], off, off offset:464
	scratch_load_dwordx4 v[40:43], off, off offset:528
	;; [unrolled: 1-line block ×18, first 2 shown]
	v_cmp_lt_u32_e32 vcc, 26, v240
	scratch_load_dwordx4 v[48:51], off, off offset:544
	scratch_load_dwordx4 v[56:59], off, off offset:560
	;; [unrolled: 1-line block ×3, first 2 shown]
	s_waitcnt vmcnt(20) lgkmcnt(3)
	v_mul_f64 v[24:25], v[16:17], v[22:23]
	v_fmac_f64_e32 v[24:25], v[18:19], v[20:21]
	v_add_f64 v[28:29], v[24:25], 0
	scratch_load_dwordx4 v[24:27], off, off offset:480
	s_waitcnt vmcnt(0) lgkmcnt(2)
	v_mul_f64 v[30:31], v[12:13], v[26:27]
	v_fmac_f64_e32 v[30:31], v[14:15], v[24:25]
	v_add_f64 v[32:33], v[28:29], v[30:31]
	scratch_load_dwordx4 v[28:31], off, off offset:496
	v_mul_f64 v[14:15], v[14:15], v[26:27]
	v_fma_f64 v[12:13], v[12:13], v[24:25], -v[14:15]
	s_waitcnt vmcnt(0) lgkmcnt(1)
	v_mul_f64 v[34:35], v[8:9], v[30:31]
	v_fmac_f64_e32 v[34:35], v[10:11], v[28:29]
	v_add_f64 v[36:37], v[32:33], v[34:35]
	scratch_load_dwordx4 v[32:35], off, off offset:512
	v_mul_f64 v[10:11], v[10:11], v[30:31]
	v_fma_f64 v[8:9], v[8:9], v[28:29], -v[10:11]
	s_waitcnt vmcnt(0) lgkmcnt(0)
	v_mul_f64 v[38:39], v[4:5], v[34:35]
	v_fmac_f64_e32 v[38:39], v[6:7], v[32:33]
	v_add_f64 v[44:45], v[36:37], v[38:39]
	ds_read_b128 v[36:39], v2 offset:1344
	v_mul_f64 v[6:7], v[6:7], v[34:35]
	v_fma_f64 v[4:5], v[4:5], v[32:33], -v[6:7]
	s_waitcnt lgkmcnt(0)
	v_mul_f64 v[46:47], v[36:37], v[42:43]
	v_fmac_f64_e32 v[46:47], v[38:39], v[40:41]
	v_add_f64 v[52:53], v[44:45], v[46:47]
	ds_read_b128 v[44:47], v2 offset:1360
	s_waitcnt lgkmcnt(0)
	v_mul_f64 v[54:55], v[44:45], v[50:51]
	v_fmac_f64_e32 v[54:55], v[46:47], v[48:49]
	v_add_f64 v[60:61], v[52:53], v[54:55]
	ds_read_b128 v[52:55], v2 offset:1376
	;; [unrolled: 5-line block ×19, first 2 shown]
	s_waitcnt lgkmcnt(0)
	v_mul_f64 v[2:3], v[190:191], v[196:197]
	v_fmac_f64_e32 v[2:3], v[192:193], v[194:195]
	v_add_f64 v[148:149], v[148:149], v[2:3]
	v_mul_f64 v[2:3], v[18:19], v[22:23]
	v_fma_f64 v[2:3], v[16:17], v[20:21], -v[2:3]
	v_add_f64 v[2:3], v[2:3], 0
	v_add_f64 v[2:3], v[2:3], v[12:13]
	;; [unrolled: 1-line block ×4, first 2 shown]
	v_mul_f64 v[4:5], v[38:39], v[42:43]
	v_fma_f64 v[4:5], v[36:37], v[40:41], -v[4:5]
	v_add_f64 v[2:3], v[2:3], v[4:5]
	v_mul_f64 v[4:5], v[46:47], v[50:51]
	v_fma_f64 v[4:5], v[44:45], v[48:49], -v[4:5]
	v_add_f64 v[2:3], v[2:3], v[4:5]
	;; [unrolled: 3-line block ×20, first 2 shown]
	scratch_load_dwordx4 v[2:5], off, off offset:448
	s_waitcnt vmcnt(0)
	v_add_f64 v[2:3], v[2:3], -v[6:7]
	v_add_f64 v[4:5], v[4:5], -v[148:149]
	scratch_store_dwordx4 off, v[2:5], off offset:448
	s_and_saveexec_b64 s[0:1], vcc
	s_cbranch_execz .LBB115_273
; %bb.272:
	scratch_load_dwordx4 v[2:5], off, s42
	v_mov_b32_e32 v6, 0
	v_mov_b32_e32 v7, v6
	;; [unrolled: 1-line block ×4, first 2 shown]
	v_accvgpr_read_b32 v0, a105
	scratch_store_dwordx4 off, v[6:9], off offset:432
	s_waitcnt vmcnt(1)
	ds_write_b128 v0, v[2:5]
.LBB115_273:
	s_or_b64 exec, exec, s[0:1]
	v_mov_b32_e32 v2, 0
	s_waitcnt lgkmcnt(0)
	; wave barrier
	ds_read_b128 v[16:19], v2 offset:1264
	ds_read_b128 v[12:15], v2 offset:1280
	;; [unrolled: 1-line block ×4, first 2 shown]
	scratch_load_dwordx4 v[20:23], off, off offset:448
	scratch_load_dwordx4 v[40:43], off, off offset:512
	;; [unrolled: 1-line block ×19, first 2 shown]
	v_cmp_lt_u32_e32 vcc, 25, v240
	scratch_load_dwordx4 v[48:51], off, off offset:528
	scratch_load_dwordx4 v[56:59], off, off offset:544
	;; [unrolled: 1-line block ×3, first 2 shown]
	s_waitcnt vmcnt(21) lgkmcnt(3)
	v_mul_f64 v[24:25], v[16:17], v[22:23]
	v_fmac_f64_e32 v[24:25], v[18:19], v[20:21]
	v_add_f64 v[28:29], v[24:25], 0
	scratch_load_dwordx4 v[24:27], off, off offset:464
	v_mul_f64 v[18:19], v[18:19], v[22:23]
	v_fma_f64 v[16:17], v[16:17], v[20:21], -v[18:19]
	v_add_f64 v[16:17], v[16:17], 0
	s_waitcnt vmcnt(0) lgkmcnt(2)
	v_mul_f64 v[30:31], v[12:13], v[26:27]
	v_fmac_f64_e32 v[30:31], v[14:15], v[24:25]
	v_add_f64 v[32:33], v[28:29], v[30:31]
	scratch_load_dwordx4 v[28:31], off, off offset:480
	v_mul_f64 v[14:15], v[14:15], v[26:27]
	v_fma_f64 v[12:13], v[12:13], v[24:25], -v[14:15]
	v_add_f64 v[12:13], v[16:17], v[12:13]
	;; [unrolled: 8-line block ×3, first 2 shown]
	s_waitcnt vmcnt(0) lgkmcnt(0)
	v_mul_f64 v[38:39], v[4:5], v[34:35]
	v_fmac_f64_e32 v[38:39], v[6:7], v[32:33]
	v_add_f64 v[44:45], v[36:37], v[38:39]
	ds_read_b128 v[36:39], v2 offset:1328
	v_mul_f64 v[6:7], v[6:7], v[34:35]
	v_fma_f64 v[4:5], v[4:5], v[32:33], -v[6:7]
	v_add_f64 v[4:5], v[8:9], v[4:5]
	s_waitcnt lgkmcnt(0)
	v_mul_f64 v[46:47], v[36:37], v[42:43]
	v_fmac_f64_e32 v[46:47], v[38:39], v[40:41]
	v_add_f64 v[52:53], v[44:45], v[46:47]
	ds_read_b128 v[44:47], v2 offset:1344
	v_mul_f64 v[6:7], v[38:39], v[42:43]
	v_fma_f64 v[6:7], v[36:37], v[40:41], -v[6:7]
	v_add_f64 v[4:5], v[4:5], v[6:7]
	s_waitcnt lgkmcnt(0)
	;; [unrolled: 8-line block ×21, first 2 shown]
	v_mul_f64 v[6:7], v[200:201], v[204:205]
	v_fma_f64 v[6:7], v[198:199], v[202:203], -v[6:7]
	v_add_f64 v[8:9], v[4:5], v[6:7]
	scratch_load_dwordx4 v[4:7], off, off offset:432
	v_mul_f64 v[206:207], v[198:199], v[204:205]
	v_fmac_f64_e32 v[206:207], v[200:201], v[202:203]
	v_add_f64 v[144:145], v[144:145], v[206:207]
	s_waitcnt vmcnt(0)
	v_add_f64 v[4:5], v[4:5], -v[8:9]
	v_add_f64 v[6:7], v[6:7], -v[144:145]
	scratch_store_dwordx4 off, v[4:7], off offset:432
	s_and_saveexec_b64 s[0:1], vcc
	s_cbranch_execz .LBB115_275
; %bb.274:
	scratch_load_dwordx4 v[6:9], off, s43
	v_mov_b32_e32 v3, v2
	v_mov_b32_e32 v4, v2
	;; [unrolled: 1-line block ×3, first 2 shown]
	v_accvgpr_read_b32 v0, a105
	scratch_store_dwordx4 off, v[2:5], off offset:416
	s_waitcnt vmcnt(1)
	ds_write_b128 v0, v[6:9]
.LBB115_275:
	s_or_b64 exec, exec, s[0:1]
	s_waitcnt lgkmcnt(0)
	; wave barrier
	ds_read_b128 v[16:19], v2 offset:1248
	ds_read_b128 v[12:15], v2 offset:1264
	;; [unrolled: 1-line block ×4, first 2 shown]
	scratch_load_dwordx4 v[20:23], off, off offset:432
	scratch_load_dwordx4 v[40:43], off, off offset:496
	;; [unrolled: 1-line block ×20, first 2 shown]
	v_cmp_lt_u32_e32 vcc, 24, v240
	scratch_load_dwordx4 v[48:51], off, off offset:512
	scratch_load_dwordx4 v[56:59], off, off offset:528
	;; [unrolled: 1-line block ×3, first 2 shown]
	s_waitcnt vmcnt(22) lgkmcnt(3)
	v_mul_f64 v[24:25], v[16:17], v[22:23]
	v_fmac_f64_e32 v[24:25], v[18:19], v[20:21]
	v_add_f64 v[28:29], v[24:25], 0
	scratch_load_dwordx4 v[24:27], off, off offset:448
	s_waitcnt vmcnt(0) lgkmcnt(2)
	v_mul_f64 v[30:31], v[12:13], v[26:27]
	v_fmac_f64_e32 v[30:31], v[14:15], v[24:25]
	v_add_f64 v[32:33], v[28:29], v[30:31]
	scratch_load_dwordx4 v[28:31], off, off offset:464
	v_mul_f64 v[14:15], v[14:15], v[26:27]
	v_fma_f64 v[12:13], v[12:13], v[24:25], -v[14:15]
	s_waitcnt vmcnt(0) lgkmcnt(1)
	v_mul_f64 v[34:35], v[8:9], v[30:31]
	v_fmac_f64_e32 v[34:35], v[10:11], v[28:29]
	v_add_f64 v[36:37], v[32:33], v[34:35]
	scratch_load_dwordx4 v[32:35], off, off offset:480
	v_mul_f64 v[10:11], v[10:11], v[30:31]
	v_fma_f64 v[8:9], v[8:9], v[28:29], -v[10:11]
	s_waitcnt vmcnt(0) lgkmcnt(0)
	v_mul_f64 v[38:39], v[4:5], v[34:35]
	v_fmac_f64_e32 v[38:39], v[6:7], v[32:33]
	v_add_f64 v[44:45], v[36:37], v[38:39]
	ds_read_b128 v[36:39], v2 offset:1312
	v_mul_f64 v[6:7], v[6:7], v[34:35]
	v_fma_f64 v[4:5], v[4:5], v[32:33], -v[6:7]
	s_waitcnt lgkmcnt(0)
	v_mul_f64 v[46:47], v[36:37], v[42:43]
	v_fmac_f64_e32 v[46:47], v[38:39], v[40:41]
	v_add_f64 v[52:53], v[44:45], v[46:47]
	ds_read_b128 v[44:47], v2 offset:1328
	s_waitcnt lgkmcnt(0)
	v_mul_f64 v[54:55], v[44:45], v[50:51]
	v_fmac_f64_e32 v[54:55], v[46:47], v[48:49]
	v_add_f64 v[60:61], v[52:53], v[54:55]
	ds_read_b128 v[52:55], v2 offset:1344
	;; [unrolled: 5-line block ×21, first 2 shown]
	s_waitcnt lgkmcnt(0)
	v_mul_f64 v[2:3], v[206:207], v[212:213]
	v_fmac_f64_e32 v[2:3], v[208:209], v[210:211]
	v_add_f64 v[168:169], v[168:169], v[2:3]
	v_mul_f64 v[2:3], v[18:19], v[22:23]
	v_fma_f64 v[2:3], v[16:17], v[20:21], -v[2:3]
	v_add_f64 v[2:3], v[2:3], 0
	v_add_f64 v[2:3], v[2:3], v[12:13]
	;; [unrolled: 1-line block ×4, first 2 shown]
	v_mul_f64 v[4:5], v[38:39], v[42:43]
	v_fma_f64 v[4:5], v[36:37], v[40:41], -v[4:5]
	v_add_f64 v[2:3], v[2:3], v[4:5]
	v_mul_f64 v[4:5], v[46:47], v[50:51]
	v_fma_f64 v[4:5], v[44:45], v[48:49], -v[4:5]
	v_add_f64 v[2:3], v[2:3], v[4:5]
	v_mul_f64 v[4:5], v[54:55], v[58:59]
	v_fma_f64 v[4:5], v[52:53], v[56:57], -v[4:5]
	v_add_f64 v[2:3], v[2:3], v[4:5]
	v_mul_f64 v[4:5], v[62:63], v[66:67]
	v_fma_f64 v[4:5], v[60:61], v[64:65], -v[4:5]
	v_add_f64 v[2:3], v[2:3], v[4:5]
	v_mul_f64 v[4:5], v[70:71], v[74:75]
	v_fma_f64 v[4:5], v[68:69], v[72:73], -v[4:5]
	v_add_f64 v[2:3], v[2:3], v[4:5]
	v_mul_f64 v[4:5], v[78:79], v[82:83]
	v_fma_f64 v[4:5], v[76:77], v[80:81], -v[4:5]
	v_add_f64 v[2:3], v[2:3], v[4:5]
	v_mul_f64 v[4:5], v[86:87], v[90:91]
	v_fma_f64 v[4:5], v[84:85], v[88:89], -v[4:5]
	v_add_f64 v[2:3], v[2:3], v[4:5]
	v_mul_f64 v[4:5], v[94:95], v[98:99]
	v_fma_f64 v[4:5], v[92:93], v[96:97], -v[4:5]
	v_add_f64 v[2:3], v[2:3], v[4:5]
	v_mul_f64 v[4:5], v[102:103], v[106:107]
	v_fma_f64 v[4:5], v[100:101], v[104:105], -v[4:5]
	v_add_f64 v[2:3], v[2:3], v[4:5]
	v_mul_f64 v[4:5], v[110:111], v[114:115]
	v_fma_f64 v[4:5], v[108:109], v[112:113], -v[4:5]
	v_add_f64 v[2:3], v[2:3], v[4:5]
	v_mul_f64 v[4:5], v[118:119], v[122:123]
	v_fma_f64 v[4:5], v[116:117], v[120:121], -v[4:5]
	v_add_f64 v[2:3], v[2:3], v[4:5]
	v_mul_f64 v[4:5], v[126:127], v[130:131]
	v_fma_f64 v[4:5], v[124:125], v[128:129], -v[4:5]
	v_add_f64 v[2:3], v[2:3], v[4:5]
	v_mul_f64 v[4:5], v[134:135], v[138:139]
	v_fma_f64 v[4:5], v[132:133], v[136:137], -v[4:5]
	v_add_f64 v[2:3], v[2:3], v[4:5]
	v_mul_f64 v[4:5], v[142:143], v[146:147]
	v_fma_f64 v[4:5], v[140:141], v[144:145], -v[4:5]
	v_add_f64 v[2:3], v[2:3], v[4:5]
	v_mul_f64 v[4:5], v[150:151], v[154:155]
	v_fma_f64 v[4:5], v[148:149], v[152:153], -v[4:5]
	v_add_f64 v[2:3], v[2:3], v[4:5]
	v_mul_f64 v[4:5], v[158:159], v[162:163]
	v_fma_f64 v[4:5], v[156:157], v[160:161], -v[4:5]
	v_add_f64 v[2:3], v[2:3], v[4:5]
	v_mul_f64 v[4:5], v[166:167], v[172:173]
	v_fma_f64 v[4:5], v[164:165], v[170:171], -v[4:5]
	v_add_f64 v[2:3], v[2:3], v[4:5]
	v_mul_f64 v[4:5], v[176:177], v[180:181]
	v_fma_f64 v[4:5], v[174:175], v[178:179], -v[4:5]
	v_add_f64 v[2:3], v[2:3], v[4:5]
	v_mul_f64 v[4:5], v[184:185], v[188:189]
	v_fma_f64 v[4:5], v[182:183], v[186:187], -v[4:5]
	v_add_f64 v[2:3], v[2:3], v[4:5]
	v_mul_f64 v[4:5], v[192:193], v[196:197]
	v_fma_f64 v[4:5], v[190:191], v[194:195], -v[4:5]
	v_add_f64 v[2:3], v[2:3], v[4:5]
	v_mul_f64 v[4:5], v[200:201], v[204:205]
	v_fma_f64 v[4:5], v[198:199], v[202:203], -v[4:5]
	v_add_f64 v[2:3], v[2:3], v[4:5]
	v_mul_f64 v[4:5], v[208:209], v[212:213]
	v_fma_f64 v[4:5], v[206:207], v[210:211], -v[4:5]
	v_add_f64 v[6:7], v[2:3], v[4:5]
	scratch_load_dwordx4 v[2:5], off, off offset:416
	s_waitcnt vmcnt(0)
	v_add_f64 v[2:3], v[2:3], -v[6:7]
	v_add_f64 v[4:5], v[4:5], -v[168:169]
	scratch_store_dwordx4 off, v[2:5], off offset:416
	s_and_saveexec_b64 s[0:1], vcc
	s_cbranch_execz .LBB115_277
; %bb.276:
	scratch_load_dwordx4 v[2:5], off, s44
	v_mov_b32_e32 v6, 0
	v_mov_b32_e32 v7, v6
	;; [unrolled: 1-line block ×4, first 2 shown]
	v_accvgpr_read_b32 v0, a105
	scratch_store_dwordx4 off, v[6:9], off offset:400
	s_waitcnt vmcnt(1)
	ds_write_b128 v0, v[2:5]
.LBB115_277:
	s_or_b64 exec, exec, s[0:1]
	v_mov_b32_e32 v2, 0
	s_waitcnt lgkmcnt(0)
	; wave barrier
	ds_read_b128 v[16:19], v2 offset:1232
	ds_read_b128 v[12:15], v2 offset:1248
	;; [unrolled: 1-line block ×4, first 2 shown]
	scratch_load_dwordx4 v[20:23], off, off offset:416
	scratch_load_dwordx4 v[40:43], off, off offset:480
	;; [unrolled: 1-line block ×21, first 2 shown]
	v_cmp_lt_u32_e32 vcc, 23, v240
	scratch_load_dwordx4 v[48:51], off, off offset:496
	scratch_load_dwordx4 v[56:59], off, off offset:512
	;; [unrolled: 1-line block ×3, first 2 shown]
	s_waitcnt vmcnt(23) lgkmcnt(3)
	v_mul_f64 v[24:25], v[16:17], v[22:23]
	v_fmac_f64_e32 v[24:25], v[18:19], v[20:21]
	v_add_f64 v[28:29], v[24:25], 0
	scratch_load_dwordx4 v[24:27], off, off offset:432
	v_mul_f64 v[18:19], v[18:19], v[22:23]
	v_fma_f64 v[16:17], v[16:17], v[20:21], -v[18:19]
	v_add_f64 v[16:17], v[16:17], 0
	s_waitcnt vmcnt(0) lgkmcnt(2)
	v_mul_f64 v[30:31], v[12:13], v[26:27]
	v_fmac_f64_e32 v[30:31], v[14:15], v[24:25]
	v_add_f64 v[32:33], v[28:29], v[30:31]
	scratch_load_dwordx4 v[28:31], off, off offset:448
	v_mul_f64 v[14:15], v[14:15], v[26:27]
	v_fma_f64 v[12:13], v[12:13], v[24:25], -v[14:15]
	v_add_f64 v[12:13], v[16:17], v[12:13]
	;; [unrolled: 8-line block ×3, first 2 shown]
	s_waitcnt vmcnt(0) lgkmcnt(0)
	v_mul_f64 v[38:39], v[4:5], v[34:35]
	v_fmac_f64_e32 v[38:39], v[6:7], v[32:33]
	v_add_f64 v[44:45], v[36:37], v[38:39]
	ds_read_b128 v[36:39], v2 offset:1296
	v_mul_f64 v[6:7], v[6:7], v[34:35]
	v_fma_f64 v[4:5], v[4:5], v[32:33], -v[6:7]
	v_add_f64 v[4:5], v[8:9], v[4:5]
	s_waitcnt lgkmcnt(0)
	v_mul_f64 v[46:47], v[36:37], v[42:43]
	v_fmac_f64_e32 v[46:47], v[38:39], v[40:41]
	v_add_f64 v[52:53], v[44:45], v[46:47]
	ds_read_b128 v[44:47], v2 offset:1312
	v_mul_f64 v[6:7], v[38:39], v[42:43]
	v_fma_f64 v[6:7], v[36:37], v[40:41], -v[6:7]
	v_add_f64 v[4:5], v[4:5], v[6:7]
	s_waitcnt lgkmcnt(0)
	;; [unrolled: 8-line block ×23, first 2 shown]
	v_mul_f64 v[6:7], v[216:217], v[220:221]
	v_fma_f64 v[6:7], v[214:215], v[218:219], -v[6:7]
	v_add_f64 v[8:9], v[4:5], v[6:7]
	scratch_load_dwordx4 v[4:7], off, off offset:400
	v_mul_f64 v[222:223], v[214:215], v[220:221]
	v_fmac_f64_e32 v[222:223], v[216:217], v[218:219]
	v_add_f64 v[160:161], v[160:161], v[222:223]
	s_waitcnt vmcnt(0)
	v_add_f64 v[4:5], v[4:5], -v[8:9]
	v_add_f64 v[6:7], v[6:7], -v[160:161]
	scratch_store_dwordx4 off, v[4:7], off offset:400
	s_and_saveexec_b64 s[0:1], vcc
	s_cbranch_execz .LBB115_279
; %bb.278:
	scratch_load_dwordx4 v[6:9], off, s45
	v_mov_b32_e32 v3, v2
	v_mov_b32_e32 v4, v2
	;; [unrolled: 1-line block ×3, first 2 shown]
	v_accvgpr_read_b32 v0, a105
	scratch_store_dwordx4 off, v[2:5], off offset:384
	s_waitcnt vmcnt(1)
	ds_write_b128 v0, v[6:9]
.LBB115_279:
	s_or_b64 exec, exec, s[0:1]
	s_waitcnt lgkmcnt(0)
	; wave barrier
	ds_read_b128 v[16:19], v2 offset:1216
	ds_read_b128 v[12:15], v2 offset:1232
	;; [unrolled: 1-line block ×4, first 2 shown]
	scratch_load_dwordx4 v[20:23], off, off offset:400
	scratch_load_dwordx4 v[40:43], off, off offset:464
	;; [unrolled: 1-line block ×22, first 2 shown]
	v_cmp_lt_u32_e32 vcc, 22, v240
	scratch_load_dwordx4 v[48:51], off, off offset:480
	scratch_load_dwordx4 v[56:59], off, off offset:496
	scratch_load_dwordx4 v[64:67], off, off offset:512
	s_waitcnt vmcnt(24) lgkmcnt(3)
	v_mul_f64 v[24:25], v[16:17], v[22:23]
	v_fmac_f64_e32 v[24:25], v[18:19], v[20:21]
	v_add_f64 v[28:29], v[24:25], 0
	scratch_load_dwordx4 v[24:27], off, off offset:416
	s_waitcnt vmcnt(0) lgkmcnt(2)
	v_mul_f64 v[30:31], v[12:13], v[26:27]
	v_fmac_f64_e32 v[30:31], v[14:15], v[24:25]
	v_add_f64 v[32:33], v[28:29], v[30:31]
	scratch_load_dwordx4 v[28:31], off, off offset:432
	v_mul_f64 v[14:15], v[14:15], v[26:27]
	v_fma_f64 v[12:13], v[12:13], v[24:25], -v[14:15]
	s_waitcnt vmcnt(0) lgkmcnt(1)
	v_mul_f64 v[34:35], v[8:9], v[30:31]
	v_fmac_f64_e32 v[34:35], v[10:11], v[28:29]
	v_add_f64 v[36:37], v[32:33], v[34:35]
	scratch_load_dwordx4 v[32:35], off, off offset:448
	v_mul_f64 v[10:11], v[10:11], v[30:31]
	v_fma_f64 v[8:9], v[8:9], v[28:29], -v[10:11]
	s_waitcnt vmcnt(0) lgkmcnt(0)
	v_mul_f64 v[38:39], v[4:5], v[34:35]
	v_fmac_f64_e32 v[38:39], v[6:7], v[32:33]
	v_add_f64 v[44:45], v[36:37], v[38:39]
	ds_read_b128 v[36:39], v2 offset:1280
	v_mul_f64 v[6:7], v[6:7], v[34:35]
	v_fma_f64 v[4:5], v[4:5], v[32:33], -v[6:7]
	s_waitcnt lgkmcnt(0)
	v_mul_f64 v[46:47], v[36:37], v[42:43]
	v_fmac_f64_e32 v[46:47], v[38:39], v[40:41]
	v_add_f64 v[52:53], v[44:45], v[46:47]
	ds_read_b128 v[44:47], v2 offset:1296
	s_waitcnt lgkmcnt(0)
	v_mul_f64 v[54:55], v[44:45], v[50:51]
	v_fmac_f64_e32 v[54:55], v[46:47], v[48:49]
	v_add_f64 v[60:61], v[52:53], v[54:55]
	ds_read_b128 v[52:55], v2 offset:1312
	;; [unrolled: 5-line block ×23, first 2 shown]
	s_waitcnt lgkmcnt(0)
	v_mul_f64 v[2:3], v[222:223], v[228:229]
	v_fmac_f64_e32 v[2:3], v[224:225], v[226:227]
	v_add_f64 v[176:177], v[176:177], v[2:3]
	v_mul_f64 v[2:3], v[18:19], v[22:23]
	v_fma_f64 v[2:3], v[16:17], v[20:21], -v[2:3]
	v_add_f64 v[2:3], v[2:3], 0
	v_add_f64 v[2:3], v[2:3], v[12:13]
	;; [unrolled: 1-line block ×4, first 2 shown]
	v_mul_f64 v[4:5], v[38:39], v[42:43]
	v_fma_f64 v[4:5], v[36:37], v[40:41], -v[4:5]
	v_add_f64 v[2:3], v[2:3], v[4:5]
	v_mul_f64 v[4:5], v[46:47], v[50:51]
	v_fma_f64 v[4:5], v[44:45], v[48:49], -v[4:5]
	v_add_f64 v[2:3], v[2:3], v[4:5]
	;; [unrolled: 3-line block ×24, first 2 shown]
	scratch_load_dwordx4 v[2:5], off, off offset:384
	s_waitcnt vmcnt(0)
	v_add_f64 v[2:3], v[2:3], -v[6:7]
	v_add_f64 v[4:5], v[4:5], -v[176:177]
	scratch_store_dwordx4 off, v[2:5], off offset:384
	s_and_saveexec_b64 s[0:1], vcc
	s_cbranch_execz .LBB115_281
; %bb.280:
	scratch_load_dwordx4 v[2:5], off, s46
	v_mov_b32_e32 v6, 0
	v_mov_b32_e32 v7, v6
	;; [unrolled: 1-line block ×4, first 2 shown]
	v_accvgpr_read_b32 v0, a105
	scratch_store_dwordx4 off, v[6:9], off offset:368
	s_waitcnt vmcnt(1)
	ds_write_b128 v0, v[2:5]
.LBB115_281:
	s_or_b64 exec, exec, s[0:1]
	v_mov_b32_e32 v2, 0
	s_waitcnt lgkmcnt(0)
	; wave barrier
	ds_read_b128 v[16:19], v2 offset:1200
	ds_read_b128 v[12:15], v2 offset:1216
	;; [unrolled: 1-line block ×4, first 2 shown]
	scratch_load_dwordx4 v[20:23], off, off offset:384
	scratch_load_dwordx4 v[40:43], off, off offset:448
	;; [unrolled: 1-line block ×23, first 2 shown]
	v_cmp_lt_u32_e32 vcc, 21, v240
	scratch_load_dwordx4 v[48:51], off, off offset:464
	scratch_load_dwordx4 v[56:59], off, off offset:480
	;; [unrolled: 1-line block ×3, first 2 shown]
	s_waitcnt vmcnt(25) lgkmcnt(3)
	v_mul_f64 v[24:25], v[16:17], v[22:23]
	v_fmac_f64_e32 v[24:25], v[18:19], v[20:21]
	v_add_f64 v[28:29], v[24:25], 0
	scratch_load_dwordx4 v[24:27], off, off offset:400
	v_mul_f64 v[18:19], v[18:19], v[22:23]
	v_fma_f64 v[16:17], v[16:17], v[20:21], -v[18:19]
	v_add_f64 v[16:17], v[16:17], 0
	s_waitcnt vmcnt(0) lgkmcnt(2)
	v_mul_f64 v[30:31], v[12:13], v[26:27]
	v_fmac_f64_e32 v[30:31], v[14:15], v[24:25]
	v_add_f64 v[32:33], v[28:29], v[30:31]
	scratch_load_dwordx4 v[28:31], off, off offset:416
	v_mul_f64 v[14:15], v[14:15], v[26:27]
	v_fma_f64 v[12:13], v[12:13], v[24:25], -v[14:15]
	v_add_f64 v[12:13], v[16:17], v[12:13]
	;; [unrolled: 8-line block ×3, first 2 shown]
	s_waitcnt vmcnt(0) lgkmcnt(0)
	v_mul_f64 v[38:39], v[4:5], v[34:35]
	v_fmac_f64_e32 v[38:39], v[6:7], v[32:33]
	v_add_f64 v[44:45], v[36:37], v[38:39]
	ds_read_b128 v[36:39], v2 offset:1264
	v_mul_f64 v[6:7], v[6:7], v[34:35]
	v_fma_f64 v[4:5], v[4:5], v[32:33], -v[6:7]
	v_add_f64 v[4:5], v[8:9], v[4:5]
	s_waitcnt lgkmcnt(0)
	v_mul_f64 v[46:47], v[36:37], v[42:43]
	v_fmac_f64_e32 v[46:47], v[38:39], v[40:41]
	v_add_f64 v[52:53], v[44:45], v[46:47]
	ds_read_b128 v[44:47], v2 offset:1280
	v_mul_f64 v[6:7], v[38:39], v[42:43]
	v_fma_f64 v[6:7], v[36:37], v[40:41], -v[6:7]
	v_add_f64 v[4:5], v[4:5], v[6:7]
	s_waitcnt lgkmcnt(0)
	;; [unrolled: 8-line block ×25, first 2 shown]
	v_mul_f64 v[6:7], v[232:233], v[236:237]
	v_fma_f64 v[6:7], v[230:231], v[234:235], -v[6:7]
	v_add_f64 v[8:9], v[4:5], v[6:7]
	scratch_load_dwordx4 v[4:7], off, off offset:368
	v_mul_f64 v[238:239], v[230:231], v[236:237]
	v_fmac_f64_e32 v[238:239], v[232:233], v[234:235]
	v_add_f64 v[176:177], v[176:177], v[238:239]
	s_waitcnt vmcnt(0)
	v_add_f64 v[4:5], v[4:5], -v[8:9]
	v_add_f64 v[6:7], v[6:7], -v[176:177]
	scratch_store_dwordx4 off, v[4:7], off offset:368
	s_and_saveexec_b64 s[0:1], vcc
	s_cbranch_execz .LBB115_283
; %bb.282:
	scratch_load_dwordx4 v[6:9], off, s47
	v_mov_b32_e32 v3, v2
	v_mov_b32_e32 v4, v2
	;; [unrolled: 1-line block ×3, first 2 shown]
	v_accvgpr_read_b32 v0, a105
	scratch_store_dwordx4 off, v[2:5], off offset:352
	s_waitcnt vmcnt(1)
	ds_write_b128 v0, v[6:9]
.LBB115_283:
	s_or_b64 exec, exec, s[0:1]
	s_waitcnt lgkmcnt(0)
	; wave barrier
	ds_read_b128 v[16:19], v2 offset:1184
	ds_read_b128 v[12:15], v2 offset:1200
	;; [unrolled: 1-line block ×4, first 2 shown]
	scratch_load_dwordx4 v[20:23], off, off offset:368
	scratch_load_dwordx4 v[40:43], off, off offset:432
	;; [unrolled: 1-line block ×24, first 2 shown]
	v_cmp_lt_u32_e32 vcc, 20, v240
	scratch_load_dwordx4 v[48:51], off, off offset:448
	scratch_load_dwordx4 v[56:59], off, off offset:464
	;; [unrolled: 1-line block ×3, first 2 shown]
	ds_read_b128 v[246:249], v2 offset:1648
	s_waitcnt vmcnt(26) lgkmcnt(4)
	v_mul_f64 v[24:25], v[16:17], v[22:23]
	v_fmac_f64_e32 v[24:25], v[18:19], v[20:21]
	v_add_f64 v[28:29], v[24:25], 0
	scratch_load_dwordx4 v[24:27], off, off offset:384
	s_waitcnt vmcnt(0) lgkmcnt(3)
	v_mul_f64 v[30:31], v[12:13], v[26:27]
	v_fmac_f64_e32 v[30:31], v[14:15], v[24:25]
	v_add_f64 v[32:33], v[28:29], v[30:31]
	scratch_load_dwordx4 v[28:31], off, off offset:400
	v_mul_f64 v[14:15], v[14:15], v[26:27]
	v_fma_f64 v[12:13], v[12:13], v[24:25], -v[14:15]
	s_waitcnt vmcnt(0) lgkmcnt(2)
	v_mul_f64 v[34:35], v[8:9], v[30:31]
	v_fmac_f64_e32 v[34:35], v[10:11], v[28:29]
	v_add_f64 v[36:37], v[32:33], v[34:35]
	scratch_load_dwordx4 v[32:35], off, off offset:416
	v_mul_f64 v[10:11], v[10:11], v[30:31]
	v_fma_f64 v[8:9], v[8:9], v[28:29], -v[10:11]
	s_waitcnt vmcnt(0) lgkmcnt(1)
	v_mul_f64 v[38:39], v[4:5], v[34:35]
	v_fmac_f64_e32 v[38:39], v[6:7], v[32:33]
	v_add_f64 v[44:45], v[36:37], v[38:39]
	ds_read_b128 v[36:39], v2 offset:1248
	v_mul_f64 v[6:7], v[6:7], v[34:35]
	v_fma_f64 v[4:5], v[4:5], v[32:33], -v[6:7]
	s_waitcnt lgkmcnt(0)
	v_mul_f64 v[46:47], v[36:37], v[42:43]
	v_fmac_f64_e32 v[46:47], v[38:39], v[40:41]
	v_add_f64 v[52:53], v[44:45], v[46:47]
	ds_read_b128 v[44:47], v2 offset:1264
	s_waitcnt lgkmcnt(0)
	v_mul_f64 v[54:55], v[44:45], v[50:51]
	v_fmac_f64_e32 v[54:55], v[46:47], v[48:49]
	v_add_f64 v[60:61], v[52:53], v[54:55]
	ds_read_b128 v[52:55], v2 offset:1280
	;; [unrolled: 5-line block ×24, first 2 shown]
	v_mul_f64 v[2:3], v[246:247], v[252:253]
	v_fmac_f64_e32 v[2:3], v[248:249], v[250:251]
	s_waitcnt lgkmcnt(0)
	v_mul_f64 v[238:239], v[230:231], v[236:237]
	v_fmac_f64_e32 v[238:239], v[232:233], v[234:235]
	v_add_f64 v[184:185], v[184:185], v[238:239]
	v_add_f64 v[184:185], v[184:185], v[2:3]
	v_mul_f64 v[2:3], v[18:19], v[22:23]
	v_fma_f64 v[2:3], v[16:17], v[20:21], -v[2:3]
	v_add_f64 v[2:3], v[2:3], 0
	v_add_f64 v[2:3], v[2:3], v[12:13]
	;; [unrolled: 1-line block ×4, first 2 shown]
	v_mul_f64 v[4:5], v[38:39], v[42:43]
	v_fma_f64 v[4:5], v[36:37], v[40:41], -v[4:5]
	v_add_f64 v[2:3], v[2:3], v[4:5]
	v_mul_f64 v[4:5], v[46:47], v[50:51]
	v_fma_f64 v[4:5], v[44:45], v[48:49], -v[4:5]
	v_add_f64 v[2:3], v[2:3], v[4:5]
	;; [unrolled: 3-line block ×26, first 2 shown]
	scratch_load_dwordx4 v[2:5], off, off offset:352
	s_waitcnt vmcnt(0)
	v_add_f64 v[2:3], v[2:3], -v[6:7]
	v_add_f64 v[4:5], v[4:5], -v[184:185]
	scratch_store_dwordx4 off, v[2:5], off offset:352
	s_and_saveexec_b64 s[0:1], vcc
	s_cbranch_execz .LBB115_285
; %bb.284:
	scratch_load_dwordx4 v[2:5], off, s48
	v_mov_b32_e32 v6, 0
	v_mov_b32_e32 v7, v6
	;; [unrolled: 1-line block ×4, first 2 shown]
	v_accvgpr_read_b32 v0, a105
	scratch_store_dwordx4 off, v[6:9], off offset:336
	s_waitcnt vmcnt(1)
	ds_write_b128 v0, v[2:5]
.LBB115_285:
	s_or_b64 exec, exec, s[0:1]
	s_waitcnt lgkmcnt(0)
	; wave barrier
	scratch_load_dwordx4 v[16:19], off, off offset:352
	scratch_load_dwordx4 v[12:15], off, off offset:368
	;; [unrolled: 1-line block ×32, first 2 shown]
	v_mov_b32_e32 v2, 0
	ds_read_b128 v[132:135], v2 offset:1168
	ds_read_b128 v[136:139], v2 offset:1184
	;; [unrolled: 1-line block ×17, first 2 shown]
	v_cmp_lt_u32_e32 vcc, 19, v240
	s_waitcnt vmcnt(31) lgkmcnt(14)
	v_mul_f64 v[200:201], v[132:133], v[18:19]
	s_waitcnt vmcnt(30)
	v_mul_f64 v[202:203], v[136:137], v[14:15]
	v_fmac_f64_e32 v[200:201], v[134:135], v[16:17]
	s_waitcnt vmcnt(29)
	v_mul_f64 v[204:205], v[140:141], v[10:11]
	v_fmac_f64_e32 v[202:203], v[138:139], v[12:13]
	v_add_f64 v[200:201], v[200:201], 0
	s_waitcnt vmcnt(28) lgkmcnt(13)
	v_mul_f64 v[206:207], v[144:145], v[6:7]
	v_fmac_f64_e32 v[204:205], v[142:143], v[8:9]
	v_add_f64 v[200:201], v[200:201], v[202:203]
	s_waitcnt vmcnt(27) lgkmcnt(12)
	;; [unrolled: 4-line block ×12, first 2 shown]
	v_mul_f64 v[228:229], v[188:189], v[62:63]
	v_fmac_f64_e32 v[226:227], v[186:187], v[56:57]
	v_add_f64 v[200:201], v[200:201], v[224:225]
	v_fmac_f64_e32 v[228:229], v[190:191], v[60:61]
	v_add_f64 v[200:201], v[200:201], v[226:227]
	s_waitcnt vmcnt(16) lgkmcnt(1)
	v_mul_f64 v[202:203], v[192:193], v[66:67]
	v_add_f64 v[200:201], v[200:201], v[228:229]
	v_fmac_f64_e32 v[202:203], v[194:195], v[64:65]
	s_waitcnt vmcnt(15) lgkmcnt(0)
	v_mul_f64 v[206:207], v[196:197], v[70:71]
	v_add_f64 v[204:205], v[200:201], v[202:203]
	ds_read_b128 v[200:203], v2 offset:1440
	v_fmac_f64_e32 v[206:207], v[198:199], v[68:69]
	v_add_f64 v[208:209], v[204:205], v[206:207]
	ds_read_b128 v[204:207], v2 offset:1456
	v_mul_f64 v[18:19], v[134:135], v[18:19]
	s_waitcnt vmcnt(14) lgkmcnt(1)
	v_mul_f64 v[210:211], v[200:201], v[74:75]
	v_fmac_f64_e32 v[210:211], v[202:203], v[72:73]
	v_add_f64 v[212:213], v[208:209], v[210:211]
	s_waitcnt vmcnt(13) lgkmcnt(0)
	v_mul_f64 v[214:215], v[204:205], v[78:79]
	ds_read_b128 v[208:211], v2 offset:1472
	v_fmac_f64_e32 v[214:215], v[206:207], v[76:77]
	v_add_f64 v[216:217], v[212:213], v[214:215]
	ds_read_b128 v[212:215], v2 offset:1488
	v_fma_f64 v[248:249], v[132:133], v[16:17], -v[18:19]
	s_waitcnt vmcnt(12) lgkmcnt(1)
	v_mul_f64 v[218:219], v[208:209], v[82:83]
	v_fmac_f64_e32 v[218:219], v[210:211], v[80:81]
	v_add_f64 v[220:221], v[216:217], v[218:219]
	s_waitcnt vmcnt(11) lgkmcnt(0)
	v_mul_f64 v[222:223], v[212:213], v[86:87]
	ds_read_b128 v[216:219], v2 offset:1504
	v_fmac_f64_e32 v[222:223], v[214:215], v[84:85]
	v_add_f64 v[224:225], v[220:221], v[222:223]
	ds_read_b128 v[220:223], v2 offset:1520
	ds_read_b128 v[16:19], v2 offset:1600
	s_waitcnt vmcnt(10) lgkmcnt(2)
	v_mul_f64 v[226:227], v[216:217], v[90:91]
	v_fmac_f64_e32 v[226:227], v[218:219], v[88:89]
	v_add_f64 v[228:229], v[224:225], v[226:227]
	s_waitcnt vmcnt(9) lgkmcnt(1)
	v_mul_f64 v[230:231], v[220:221], v[94:95]
	ds_read_b128 v[224:227], v2 offset:1536
	v_fmac_f64_e32 v[230:231], v[222:223], v[92:93]
	v_add_f64 v[232:233], v[228:229], v[230:231]
	ds_read_b128 v[228:231], v2 offset:1552
	v_mul_f64 v[14:15], v[138:139], v[14:15]
	s_waitcnt vmcnt(8) lgkmcnt(1)
	v_mul_f64 v[234:235], v[224:225], v[98:99]
	v_fmac_f64_e32 v[234:235], v[226:227], v[96:97]
	v_add_f64 v[236:237], v[232:233], v[234:235]
	s_waitcnt vmcnt(7) lgkmcnt(0)
	v_mul_f64 v[238:239], v[228:229], v[102:103]
	ds_read_b128 v[232:235], v2 offset:1568
	v_fmac_f64_e32 v[238:239], v[230:231], v[100:101]
	v_add_f64 v[246:247], v[236:237], v[238:239]
	ds_read_b128 v[236:239], v2 offset:1584
	v_fma_f64 v[136:137], v[136:137], v[12:13], -v[14:15]
	s_waitcnt vmcnt(6) lgkmcnt(1)
	v_mul_f64 v[132:133], v[232:233], v[106:107]
	v_fmac_f64_e32 v[132:133], v[234:235], v[104:105]
	v_add_f64 v[132:133], v[246:247], v[132:133]
	s_waitcnt vmcnt(5) lgkmcnt(0)
	v_mul_f64 v[134:135], v[236:237], v[110:111]
	v_fmac_f64_e32 v[134:135], v[238:239], v[108:109]
	v_add_f64 v[132:133], v[132:133], v[134:135]
	ds_read_b128 v[12:15], v2 offset:1616
	s_waitcnt vmcnt(4)
	v_mul_f64 v[134:135], v[16:17], v[114:115]
	v_fmac_f64_e32 v[134:135], v[18:19], v[112:113]
	v_add_f64 v[138:139], v[132:133], v[134:135]
	ds_read_b128 v[132:135], v2 offset:1632
	v_mul_f64 v[10:11], v[142:143], v[10:11]
	v_fma_f64 v[140:141], v[140:141], v[8:9], -v[10:11]
	ds_read_b128 v[8:11], v2 offset:1648
	s_waitcnt vmcnt(3) lgkmcnt(2)
	v_mul_f64 v[142:143], v[12:13], v[118:119]
	v_fmac_f64_e32 v[142:143], v[14:15], v[116:117]
	v_add_f64 v[138:139], v[138:139], v[142:143]
	s_waitcnt vmcnt(2) lgkmcnt(1)
	v_mul_f64 v[142:143], v[132:133], v[122:123]
	v_fmac_f64_e32 v[142:143], v[134:135], v[120:121]
	v_add_f64 v[138:139], v[138:139], v[142:143]
	;; [unrolled: 4-line block ×3, first 2 shown]
	v_add_f64 v[142:143], v[248:249], 0
	v_add_f64 v[136:137], v[142:143], v[136:137]
	v_mul_f64 v[6:7], v[146:147], v[6:7]
	v_add_f64 v[136:137], v[136:137], v[140:141]
	v_fma_f64 v[4:5], v[144:145], v[4:5], -v[6:7]
	v_mul_f64 v[6:7], v[150:151], v[22:23]
	v_add_f64 v[4:5], v[136:137], v[4:5]
	v_fma_f64 v[6:7], v[148:149], v[20:21], -v[6:7]
	v_add_f64 v[4:5], v[4:5], v[6:7]
	v_mul_f64 v[6:7], v[154:155], v[26:27]
	v_fma_f64 v[6:7], v[152:153], v[24:25], -v[6:7]
	v_add_f64 v[4:5], v[4:5], v[6:7]
	v_mul_f64 v[6:7], v[158:159], v[30:31]
	;; [unrolled: 3-line block ×26, first 2 shown]
	v_fma_f64 v[6:7], v[8:9], v[124:125], -v[6:7]
	v_add_f64 v[4:5], v[4:5], v[6:7]
	s_waitcnt vmcnt(0)
	v_add_f64 v[4:5], v[128:129], -v[4:5]
	v_add_f64 v[6:7], v[130:131], -v[138:139]
	scratch_store_dwordx4 off, v[4:7], off offset:336
	s_and_saveexec_b64 s[0:1], vcc
	s_cbranch_execz .LBB115_287
; %bb.286:
	scratch_load_dwordx4 v[6:9], off, s49
	v_mov_b32_e32 v3, v2
	v_mov_b32_e32 v4, v2
	;; [unrolled: 1-line block ×3, first 2 shown]
	v_accvgpr_read_b32 v0, a105
	scratch_store_dwordx4 off, v[2:5], off offset:320
	s_waitcnt vmcnt(1)
	ds_write_b128 v0, v[6:9]
.LBB115_287:
	s_or_b64 exec, exec, s[0:1]
	s_waitcnt lgkmcnt(0)
	; wave barrier
	scratch_load_dwordx4 v[140:143], off, off offset:336
	scratch_load_dwordx4 v[148:151], off, off offset:352
	;; [unrolled: 1-line block ×16, first 2 shown]
	ds_read_b128 v[188:191], v2 offset:1152
	ds_read_b128 v[184:187], v2 offset:1168
	scratch_load_dwordx4 v[56:59], off, off offset:592
	ds_read_b128 v[192:195], v2 offset:1184
	ds_read_b128 v[68:71], v2 offset:1200
	scratch_load_dwordx4 v[60:63], off, off offset:608
	ds_read_b128 v[88:91], v2 offset:1216
	ds_read_b128 v[84:87], v2 offset:1232
	;; [unrolled: 1-line block ×4, first 2 shown]
	scratch_load_dwordx4 v[64:67], off, off offset:624
	ds_read_b128 v[100:103], v2 offset:1280
	ds_read_b128 v[96:99], v2 offset:1296
	scratch_load_dwordx4 v[72:75], off, off offset:640
	ds_read_b128 v[116:119], v2 offset:1312
	ds_read_b128 v[112:115], v2 offset:1328
	;; [unrolled: 1-line block ×4, first 2 shown]
	scratch_load_dwordx4 v[92:95], off, off offset:656
	ds_read_b128 v[132:135], v2 offset:1376
	ds_read_b128 v[128:131], v2 offset:1392
	;; [unrolled: 1-line block ×3, first 2 shown]
	scratch_load_dwordx4 v[120:123], off, off offset:672
	scratch_load_dwordx4 v[136:139], off, off offset:688
	;; [unrolled: 1-line block ×11, first 2 shown]
	v_cmp_lt_u32_e32 vcc, 18, v240
	s_waitcnt vmcnt(31) lgkmcnt(14)
	v_mul_f64 v[200:201], v[188:189], v[142:143]
	s_waitcnt vmcnt(30)
	v_mul_f64 v[202:203], v[184:185], v[150:151]
	v_fmac_f64_e32 v[200:201], v[190:191], v[140:141]
	s_waitcnt vmcnt(29)
	v_mul_f64 v[204:205], v[192:193], v[154:155]
	v_fmac_f64_e32 v[202:203], v[186:187], v[148:149]
	v_add_f64 v[200:201], v[200:201], 0
	s_waitcnt vmcnt(28) lgkmcnt(13)
	v_mul_f64 v[206:207], v[68:69], v[6:7]
	v_fmac_f64_e32 v[204:205], v[194:195], v[152:153]
	v_add_f64 v[200:201], v[200:201], v[202:203]
	s_waitcnt vmcnt(27) lgkmcnt(12)
	v_mul_f64 v[208:209], v[88:89], v[10:11]
	v_fmac_f64_e32 v[206:207], v[70:71], v[4:5]
	v_add_f64 v[200:201], v[200:201], v[204:205]
	s_waitcnt vmcnt(26) lgkmcnt(11)
	v_mul_f64 v[210:211], v[84:85], v[14:15]
	v_fmac_f64_e32 v[208:209], v[90:91], v[8:9]
	v_add_f64 v[200:201], v[200:201], v[206:207]
	s_waitcnt vmcnt(25) lgkmcnt(10)
	v_mul_f64 v[212:213], v[80:81], v[18:19]
	v_fmac_f64_e32 v[210:211], v[86:87], v[12:13]
	v_add_f64 v[200:201], v[200:201], v[208:209]
	s_waitcnt vmcnt(24) lgkmcnt(9)
	v_mul_f64 v[214:215], v[76:77], v[22:23]
	v_fmac_f64_e32 v[212:213], v[82:83], v[16:17]
	v_add_f64 v[200:201], v[200:201], v[210:211]
	s_waitcnt vmcnt(23) lgkmcnt(8)
	v_mul_f64 v[216:217], v[100:101], v[26:27]
	v_fmac_f64_e32 v[214:215], v[78:79], v[20:21]
	v_add_f64 v[200:201], v[200:201], v[212:213]
	s_waitcnt vmcnt(22) lgkmcnt(7)
	v_mul_f64 v[218:219], v[96:97], v[30:31]
	v_fmac_f64_e32 v[216:217], v[102:103], v[24:25]
	v_add_f64 v[200:201], v[200:201], v[214:215]
	s_waitcnt vmcnt(21) lgkmcnt(6)
	v_mul_f64 v[220:221], v[116:117], v[34:35]
	v_fmac_f64_e32 v[218:219], v[98:99], v[28:29]
	v_add_f64 v[200:201], v[200:201], v[216:217]
	s_waitcnt vmcnt(20) lgkmcnt(5)
	v_mul_f64 v[222:223], v[112:113], v[38:39]
	v_fmac_f64_e32 v[220:221], v[118:119], v[32:33]
	v_add_f64 v[200:201], v[200:201], v[218:219]
	s_waitcnt vmcnt(19) lgkmcnt(4)
	v_mul_f64 v[224:225], v[108:109], v[42:43]
	v_fmac_f64_e32 v[222:223], v[114:115], v[36:37]
	v_add_f64 v[200:201], v[200:201], v[220:221]
	s_waitcnt vmcnt(18) lgkmcnt(3)
	v_mul_f64 v[226:227], v[104:105], v[46:47]
	v_fmac_f64_e32 v[224:225], v[110:111], v[40:41]
	v_add_f64 v[200:201], v[200:201], v[222:223]
	s_waitcnt vmcnt(17) lgkmcnt(2)
	v_mul_f64 v[228:229], v[132:133], v[50:51]
	v_fmac_f64_e32 v[226:227], v[106:107], v[44:45]
	v_add_f64 v[200:201], v[200:201], v[224:225]
	s_waitcnt vmcnt(16) lgkmcnt(1)
	v_mul_f64 v[230:231], v[128:129], v[54:55]
	v_fmac_f64_e32 v[228:229], v[134:135], v[48:49]
	v_add_f64 v[200:201], v[200:201], v[226:227]
	v_add_f64 v[200:201], v[200:201], v[228:229]
	v_fmac_f64_e32 v[230:231], v[130:131], v[52:53]
	v_add_f64 v[204:205], v[200:201], v[230:231]
	ds_read_b128 v[200:203], v2 offset:1424
	s_waitcnt vmcnt(15) lgkmcnt(1)
	v_mul_f64 v[206:207], v[124:125], v[58:59]
	v_fmac_f64_e32 v[206:207], v[126:127], v[56:57]
	v_add_f64 v[208:209], v[204:205], v[206:207]
	ds_read_b128 v[204:207], v2 offset:1440
	s_waitcnt vmcnt(14) lgkmcnt(1)
	v_mul_f64 v[210:211], v[200:201], v[62:63]
	;; [unrolled: 5-line block ×10, first 2 shown]
	v_fmac_f64_e32 v[248:249], v[234:235], v[160:161]
	v_mul_f64 v[142:143], v[190:191], v[142:143]
	v_add_f64 v[248:249], v[246:247], v[248:249]
	v_fma_f64 v[246:247], v[188:189], v[140:141], -v[142:143]
	ds_read_b128 v[140:143], v2 offset:1584
	s_waitcnt vmcnt(5) lgkmcnt(1)
	v_mul_f64 v[188:189], v[236:237], v[166:167]
	v_fmac_f64_e32 v[188:189], v[238:239], v[164:165]
	v_mul_f64 v[150:151], v[186:187], v[150:151]
	v_add_f64 v[188:189], v[248:249], v[188:189]
	v_fma_f64 v[248:249], v[184:185], v[148:149], -v[150:151]
	ds_read_b128 v[148:151], v2 offset:1600
	s_waitcnt vmcnt(4) lgkmcnt(1)
	v_mul_f64 v[184:185], v[140:141], v[170:171]
	v_fmac_f64_e32 v[184:185], v[142:143], v[168:169]
	v_add_f64 v[188:189], v[188:189], v[184:185]
	ds_read_b128 v[184:187], v2 offset:1616
	v_mul_f64 v[154:155], v[194:195], v[154:155]
	s_waitcnt vmcnt(3) lgkmcnt(1)
	v_mul_f64 v[190:191], v[148:149], v[174:175]
	v_fma_f64 v[252:253], v[192:193], v[152:153], -v[154:155]
	ds_read_b128 v[152:155], v2 offset:1632
	v_fmac_f64_e32 v[190:191], v[150:151], v[172:173]
	v_add_f64 v[250:251], v[188:189], v[190:191]
	ds_read_b128 v[188:191], v2 offset:1648
	s_waitcnt vmcnt(2) lgkmcnt(2)
	v_mul_f64 v[192:193], v[184:185], v[178:179]
	v_fmac_f64_e32 v[192:193], v[186:187], v[176:177]
	v_add_f64 v[2:3], v[250:251], v[192:193]
	s_waitcnt vmcnt(1) lgkmcnt(1)
	v_mul_f64 v[192:193], v[152:153], v[182:183]
	v_fmac_f64_e32 v[192:193], v[154:155], v[180:181]
	v_add_f64 v[2:3], v[2:3], v[192:193]
	;; [unrolled: 4-line block ×3, first 2 shown]
	scratch_load_dwordx4 v[192:195], off, off offset:320
	v_add_f64 v[246:247], v[246:247], 0
	v_add_f64 v[246:247], v[246:247], v[248:249]
	v_mul_f64 v[6:7], v[70:71], v[6:7]
	v_add_f64 v[246:247], v[246:247], v[252:253]
	v_fma_f64 v[4:5], v[68:69], v[4:5], -v[6:7]
	v_mul_f64 v[6:7], v[90:91], v[10:11]
	v_add_f64 v[4:5], v[246:247], v[4:5]
	v_fma_f64 v[6:7], v[88:89], v[8:9], -v[6:7]
	v_add_f64 v[4:5], v[4:5], v[6:7]
	v_mul_f64 v[6:7], v[86:87], v[14:15]
	v_fma_f64 v[6:7], v[84:85], v[12:13], -v[6:7]
	v_add_f64 v[4:5], v[4:5], v[6:7]
	v_mul_f64 v[6:7], v[82:83], v[18:19]
	;; [unrolled: 3-line block ×27, first 2 shown]
	v_fma_f64 v[6:7], v[188:189], v[196:197], -v[6:7]
	v_add_f64 v[4:5], v[4:5], v[6:7]
	s_waitcnt vmcnt(0)
	v_add_f64 v[4:5], v[192:193], -v[4:5]
	v_add_f64 v[6:7], v[194:195], -v[2:3]
	scratch_store_dwordx4 off, v[4:7], off offset:320
	s_and_saveexec_b64 s[0:1], vcc
	s_cbranch_execz .LBB115_289
; %bb.288:
	scratch_load_dwordx4 v[2:5], off, s50
	v_mov_b32_e32 v6, 0
	v_mov_b32_e32 v7, v6
	;; [unrolled: 1-line block ×4, first 2 shown]
	v_accvgpr_read_b32 v0, a105
	scratch_store_dwordx4 off, v[6:9], off offset:304
	s_waitcnt vmcnt(1)
	ds_write_b128 v0, v[2:5]
.LBB115_289:
	s_or_b64 exec, exec, s[0:1]
	s_waitcnt lgkmcnt(0)
	; wave barrier
	scratch_load_dwordx4 v[108:111], off, off offset:320
	scratch_load_dwordx4 v[116:119], off, off offset:336
	;; [unrolled: 1-line block ×33, first 2 shown]
	v_mov_b32_e32 v2, 0
	ds_read_b128 v[220:223], v2 offset:1136
	ds_read_b128 v[224:227], v2 offset:1152
	;; [unrolled: 1-line block ×16, first 2 shown]
	v_cmp_lt_u32_e32 vcc, 17, v240
	s_waitcnt vmcnt(32) lgkmcnt(14)
	v_mul_f64 v[180:181], v[220:221], v[110:111]
	s_waitcnt vmcnt(31)
	v_mul_f64 v[182:183], v[224:225], v[118:119]
	v_fmac_f64_e32 v[180:181], v[222:223], v[108:109]
	s_waitcnt vmcnt(30) lgkmcnt(13)
	v_mul_f64 v[184:185], v[234:235], v[122:123]
	v_fmac_f64_e32 v[182:183], v[226:227], v[116:117]
	v_add_f64 v[180:181], v[180:181], 0
	s_waitcnt vmcnt(29) lgkmcnt(12)
	v_mul_f64 v[186:187], v[246:247], v[126:127]
	v_fmac_f64_e32 v[184:185], v[236:237], v[120:121]
	v_add_f64 v[180:181], v[180:181], v[182:183]
	;; [unrolled: 4-line block ×13, first 2 shown]
	v_fmac_f64_e32 v[208:209], v[142:143], v[40:41]
	v_add_f64 v[180:181], v[180:181], v[206:207]
	v_add_f64 v[184:185], v[180:181], v[208:209]
	ds_read_b128 v[180:183], v2 offset:1392
	s_waitcnt vmcnt(17) lgkmcnt(1)
	v_mul_f64 v[186:187], v[136:137], v[46:47]
	v_fmac_f64_e32 v[186:187], v[138:139], v[44:45]
	v_add_f64 v[188:189], v[184:185], v[186:187]
	ds_read_b128 v[184:187], v2 offset:1408
	s_waitcnt vmcnt(16) lgkmcnt(1)
	v_mul_f64 v[190:191], v[180:181], v[50:51]
	v_fmac_f64_e32 v[190:191], v[182:183], v[48:49]
	;; [unrolled: 5-line block ×10, first 2 shown]
	v_mul_f64 v[110:111], v[222:223], v[110:111]
	v_add_f64 v[228:229], v[228:229], v[230:231]
	v_fma_f64 v[230:231], v[220:221], v[108:109], -v[110:111]
	ds_read_b128 v[108:111], v2 offset:1552
	s_waitcnt vmcnt(7) lgkmcnt(1)
	v_mul_f64 v[220:221], v[216:217], v[86:87]
	v_mul_f64 v[118:119], v[226:227], v[118:119]
	v_fmac_f64_e32 v[220:221], v[218:219], v[84:85]
	v_fma_f64 v[232:233], v[224:225], v[116:117], -v[118:119]
	ds_read_b128 v[116:119], v2 offset:1568
	s_waitcnt vmcnt(6) lgkmcnt(1)
	v_mul_f64 v[222:223], v[108:109], v[90:91]
	v_add_f64 v[220:221], v[228:229], v[220:221]
	v_fmac_f64_e32 v[222:223], v[110:111], v[88:89]
	v_add_f64 v[224:225], v[220:221], v[222:223]
	ds_read_b128 v[220:223], v2 offset:1584
	v_mul_f64 v[122:123], v[236:237], v[122:123]
	v_fma_f64 v[234:235], v[234:235], v[120:121], -v[122:123]
	ds_read_b128 v[120:123], v2 offset:1600
	s_waitcnt vmcnt(5) lgkmcnt(2)
	v_mul_f64 v[226:227], v[116:117], v[94:95]
	v_fmac_f64_e32 v[226:227], v[118:119], v[92:93]
	v_mul_f64 v[126:127], v[248:249], v[126:127]
	v_add_f64 v[224:225], v[224:225], v[226:227]
	s_waitcnt vmcnt(4) lgkmcnt(1)
	v_mul_f64 v[226:227], v[220:221], v[98:99]
	v_fma_f64 v[236:237], v[246:247], v[124:125], -v[126:127]
	ds_read_b128 v[124:127], v2 offset:1616
	v_fmac_f64_e32 v[226:227], v[222:223], v[96:97]
	v_add_f64 v[228:229], v[224:225], v[226:227]
	s_waitcnt vmcnt(3) lgkmcnt(1)
	v_mul_f64 v[238:239], v[120:121], v[102:103]
	ds_read_b128 v[224:227], v2 offset:1632
	v_fmac_f64_e32 v[238:239], v[122:123], v[100:101]
	v_mul_f64 v[130:131], v[252:253], v[130:131]
	v_add_f64 v[228:229], v[228:229], v[238:239]
	v_fma_f64 v[238:239], v[250:251], v[128:129], -v[130:131]
	ds_read_b128 v[128:131], v2 offset:1648
	s_waitcnt vmcnt(2) lgkmcnt(2)
	v_mul_f64 v[246:247], v[124:125], v[106:107]
	v_fmac_f64_e32 v[246:247], v[126:127], v[104:105]
	v_add_f64 v[228:229], v[228:229], v[246:247]
	s_waitcnt vmcnt(1) lgkmcnt(1)
	v_mul_f64 v[246:247], v[224:225], v[114:115]
	v_fmac_f64_e32 v[246:247], v[226:227], v[112:113]
	v_add_f64 v[228:229], v[228:229], v[246:247]
	;; [unrolled: 4-line block ×3, first 2 shown]
	scratch_load_dwordx4 v[246:249], off, off offset:304
	v_add_f64 v[230:231], v[230:231], 0
	v_add_f64 v[230:231], v[230:231], v[232:233]
	;; [unrolled: 1-line block ×4, first 2 shown]
	v_mul_f64 v[6:7], v[178:179], v[6:7]
	v_add_f64 v[230:231], v[230:231], v[238:239]
	v_fma_f64 v[4:5], v[176:177], v[4:5], -v[6:7]
	v_mul_f64 v[6:7], v[174:175], v[10:11]
	v_add_f64 v[4:5], v[230:231], v[4:5]
	v_fma_f64 v[6:7], v[172:173], v[8:9], -v[6:7]
	v_add_f64 v[4:5], v[4:5], v[6:7]
	v_mul_f64 v[6:7], v[170:171], v[14:15]
	v_fma_f64 v[6:7], v[168:169], v[12:13], -v[6:7]
	v_add_f64 v[4:5], v[4:5], v[6:7]
	v_mul_f64 v[6:7], v[166:167], v[18:19]
	;; [unrolled: 3-line block ×26, first 2 shown]
	v_fma_f64 v[6:7], v[128:129], v[132:133], -v[6:7]
	v_add_f64 v[4:5], v[4:5], v[6:7]
	s_waitcnt vmcnt(0)
	v_add_f64 v[4:5], v[246:247], -v[4:5]
	v_add_f64 v[6:7], v[248:249], -v[228:229]
	scratch_store_dwordx4 off, v[4:7], off offset:304
	s_and_saveexec_b64 s[0:1], vcc
	s_cbranch_execz .LBB115_291
; %bb.290:
	scratch_load_dwordx4 v[6:9], off, s51
	v_mov_b32_e32 v3, v2
	v_mov_b32_e32 v4, v2
	;; [unrolled: 1-line block ×3, first 2 shown]
	v_accvgpr_read_b32 v0, a105
	scratch_store_dwordx4 off, v[2:5], off offset:288
	s_waitcnt vmcnt(1)
	ds_write_b128 v0, v[6:9]
.LBB115_291:
	s_or_b64 exec, exec, s[0:1]
	s_waitcnt lgkmcnt(0)
	; wave barrier
	scratch_load_dwordx4 v[144:147], off, off offset:304
	scratch_load_dwordx4 v[152:155], off, off offset:320
	;; [unrolled: 1-line block ×16, first 2 shown]
	ds_read_b128 v[196:199], v2 offset:1120
	ds_read_b128 v[188:191], v2 offset:1136
	ds_read_b128 v[180:183], v2 offset:1152
	scratch_load_dwordx4 v[48:51], off, off offset:560
	ds_read_b128 v[192:195], v2 offset:1168
	ds_read_b128 v[184:187], v2 offset:1184
	ds_read_b128 v[64:67], v2 offset:1200
	scratch_load_dwordx4 v[52:55], off, off offset:576
	ds_read_b128 v[76:79], v2 offset:1216
	ds_read_b128 v[72:75], v2 offset:1232
	ds_read_b128 v[68:71], v2 offset:1248
	scratch_load_dwordx4 v[56:59], off, off offset:592
	ds_read_b128 v[88:91], v2 offset:1264
	ds_read_b128 v[84:87], v2 offset:1280
	ds_read_b128 v[80:83], v2 offset:1296
	scratch_load_dwordx4 v[60:63], off, off offset:608
	ds_read_b128 v[104:107], v2 offset:1312
	ds_read_b128 v[100:103], v2 offset:1328
	ds_read_b128 v[96:99], v2 offset:1344
	scratch_load_dwordx4 v[92:95], off, off offset:624
	ds_read_b128 v[116:119], v2 offset:1360
	ds_read_b128 v[112:115], v2 offset:1376
	scratch_load_dwordx4 v[108:111], off, off offset:640
	scratch_load_dwordx4 v[120:123], off, off offset:656
	;; [unrolled: 1-line block ×12, first 2 shown]
	v_cmp_lt_u32_e32 vcc, 16, v240
	s_waitcnt vmcnt(32) lgkmcnt(14)
	v_mul_f64 v[204:205], v[196:197], v[146:147]
	s_waitcnt vmcnt(31)
	v_mul_f64 v[206:207], v[188:189], v[154:155]
	v_fmac_f64_e32 v[204:205], v[198:199], v[144:145]
	s_waitcnt vmcnt(30)
	v_mul_f64 v[208:209], v[180:181], v[158:159]
	v_fmac_f64_e32 v[206:207], v[190:191], v[152:153]
	v_add_f64 v[204:205], v[204:205], 0
	s_waitcnt vmcnt(29) lgkmcnt(13)
	v_mul_f64 v[210:211], v[192:193], v[162:163]
	v_fmac_f64_e32 v[208:209], v[182:183], v[156:157]
	v_add_f64 v[204:205], v[204:205], v[206:207]
	s_waitcnt vmcnt(28) lgkmcnt(12)
	;; [unrolled: 4-line block ×12, first 2 shown]
	v_mul_f64 v[232:233], v[96:97], v[42:43]
	v_fmac_f64_e32 v[230:231], v[102:103], v[36:37]
	v_add_f64 v[204:205], v[204:205], v[228:229]
	v_fmac_f64_e32 v[232:233], v[98:99], v[40:41]
	v_add_f64 v[204:205], v[204:205], v[230:231]
	s_waitcnt vmcnt(17) lgkmcnt(1)
	v_mul_f64 v[206:207], v[116:117], v[46:47]
	v_add_f64 v[204:205], v[204:205], v[232:233]
	v_fmac_f64_e32 v[206:207], v[118:119], v[44:45]
	s_waitcnt vmcnt(16) lgkmcnt(0)
	v_mul_f64 v[210:211], v[112:113], v[50:51]
	v_add_f64 v[208:209], v[204:205], v[206:207]
	ds_read_b128 v[204:207], v2 offset:1392
	v_fmac_f64_e32 v[210:211], v[114:115], v[48:49]
	v_add_f64 v[212:213], v[208:209], v[210:211]
	ds_read_b128 v[208:211], v2 offset:1408
	v_mul_f64 v[146:147], v[198:199], v[146:147]
	s_waitcnt vmcnt(15) lgkmcnt(1)
	v_mul_f64 v[214:215], v[204:205], v[54:55]
	v_fmac_f64_e32 v[214:215], v[206:207], v[52:53]
	v_add_f64 v[216:217], v[212:213], v[214:215]
	s_waitcnt vmcnt(14) lgkmcnt(0)
	v_mul_f64 v[218:219], v[208:209], v[58:59]
	ds_read_b128 v[212:215], v2 offset:1424
	v_fmac_f64_e32 v[218:219], v[210:211], v[56:57]
	v_add_f64 v[220:221], v[216:217], v[218:219]
	ds_read_b128 v[216:219], v2 offset:1440
	v_mul_f64 v[154:155], v[190:191], v[154:155]
	s_waitcnt vmcnt(13) lgkmcnt(1)
	v_mul_f64 v[222:223], v[212:213], v[62:63]
	v_fmac_f64_e32 v[222:223], v[214:215], v[60:61]
	v_add_f64 v[224:225], v[220:221], v[222:223]
	s_waitcnt vmcnt(12) lgkmcnt(0)
	v_mul_f64 v[226:227], v[216:217], v[94:95]
	ds_read_b128 v[220:223], v2 offset:1456
	v_fmac_f64_e32 v[226:227], v[218:219], v[92:93]
	v_add_f64 v[228:229], v[224:225], v[226:227]
	ds_read_b128 v[224:227], v2 offset:1472
	v_fma_f64 v[250:251], v[188:189], v[152:153], -v[154:155]
	s_waitcnt vmcnt(11) lgkmcnt(1)
	v_mul_f64 v[230:231], v[220:221], v[110:111]
	v_fmac_f64_e32 v[230:231], v[222:223], v[108:109]
	v_add_f64 v[232:233], v[228:229], v[230:231]
	s_waitcnt vmcnt(10) lgkmcnt(0)
	v_mul_f64 v[234:235], v[224:225], v[122:123]
	ds_read_b128 v[228:231], v2 offset:1488
	v_fmac_f64_e32 v[234:235], v[226:227], v[120:121]
	v_add_f64 v[236:237], v[232:233], v[234:235]
	ds_read_b128 v[232:235], v2 offset:1504
	ds_read_b128 v[152:155], v2 offset:1552
	s_waitcnt vmcnt(9) lgkmcnt(2)
	v_mul_f64 v[238:239], v[228:229], v[126:127]
	v_fmac_f64_e32 v[238:239], v[230:231], v[124:125]
	v_add_f64 v[246:247], v[236:237], v[238:239]
	s_waitcnt vmcnt(8) lgkmcnt(1)
	v_mul_f64 v[248:249], v[232:233], v[130:131]
	ds_read_b128 v[236:239], v2 offset:1520
	v_fmac_f64_e32 v[248:249], v[234:235], v[128:129]
	v_add_f64 v[246:247], v[246:247], v[248:249]
	v_fma_f64 v[248:249], v[196:197], v[144:145], -v[146:147]
	ds_read_b128 v[144:147], v2 offset:1536
	s_waitcnt vmcnt(7) lgkmcnt(1)
	v_mul_f64 v[196:197], v[236:237], v[134:135]
	v_fmac_f64_e32 v[196:197], v[238:239], v[132:133]
	v_add_f64 v[188:189], v[246:247], v[196:197]
	v_mul_f64 v[158:159], v[182:183], v[158:159]
	s_waitcnt vmcnt(6) lgkmcnt(0)
	v_mul_f64 v[190:191], v[144:145], v[138:139]
	v_fmac_f64_e32 v[190:191], v[146:147], v[136:137]
	v_add_f64 v[196:197], v[188:189], v[190:191]
	ds_read_b128 v[188:191], v2 offset:1568
	v_fma_f64 v[246:247], v[180:181], v[156:157], -v[158:159]
	ds_read_b128 v[156:159], v2 offset:1584
	s_waitcnt vmcnt(5)
	v_mul_f64 v[198:199], v[152:153], v[142:143]
	v_fmac_f64_e32 v[198:199], v[154:155], v[140:141]
	s_waitcnt vmcnt(4) lgkmcnt(1)
	v_mul_f64 v[180:181], v[188:189], v[150:151]
	v_add_f64 v[196:197], v[196:197], v[198:199]
	v_fmac_f64_e32 v[180:181], v[190:191], v[148:149]
	v_mul_f64 v[162:163], v[194:195], v[162:163]
	v_add_f64 v[198:199], v[196:197], v[180:181]
	v_fma_f64 v[196:197], v[192:193], v[160:161], -v[162:163]
	ds_read_b128 v[160:163], v2 offset:1600
	s_waitcnt vmcnt(3) lgkmcnt(1)
	v_mul_f64 v[192:193], v[156:157], v[166:167]
	ds_read_b128 v[180:183], v2 offset:1616
	v_fmac_f64_e32 v[192:193], v[158:159], v[164:165]
	v_mul_f64 v[170:171], v[186:187], v[170:171]
	v_add_f64 v[192:193], v[198:199], v[192:193]
	v_fma_f64 v[198:199], v[184:185], v[168:169], -v[170:171]
	ds_read_b128 v[168:171], v2 offset:1632
	s_waitcnt vmcnt(2) lgkmcnt(2)
	v_mul_f64 v[184:185], v[160:161], v[174:175]
	v_fmac_f64_e32 v[184:185], v[162:163], v[172:173]
	s_waitcnt vmcnt(1) lgkmcnt(1)
	v_mul_f64 v[186:187], v[180:181], v[178:179]
	v_add_f64 v[184:185], v[192:193], v[184:185]
	v_fmac_f64_e32 v[186:187], v[182:183], v[176:177]
	v_add_f64 v[184:185], v[184:185], v[186:187]
	s_waitcnt vmcnt(0) lgkmcnt(0)
	v_mul_f64 v[186:187], v[168:169], v[202:203]
	v_fmac_f64_e32 v[186:187], v[170:171], v[200:201]
	v_add_f64 v[252:253], v[184:185], v[186:187]
	scratch_load_dwordx4 v[184:187], off, off offset:832
	v_add_f64 v[248:249], v[248:249], 0
	v_add_f64 v[248:249], v[248:249], v[250:251]
	v_add_f64 v[246:247], v[248:249], v[246:247]
	scratch_load_dwordx4 v[248:251], off, off offset:288
	v_add_f64 v[196:197], v[246:247], v[196:197]
	v_mul_f64 v[6:7], v[66:67], v[6:7]
	v_add_f64 v[196:197], v[196:197], v[198:199]
	v_fma_f64 v[4:5], v[64:65], v[4:5], -v[6:7]
	v_mul_f64 v[6:7], v[78:79], v[10:11]
	v_add_f64 v[4:5], v[196:197], v[4:5]
	v_fma_f64 v[6:7], v[76:77], v[8:9], -v[6:7]
	v_add_f64 v[4:5], v[4:5], v[6:7]
	v_mul_f64 v[6:7], v[74:75], v[14:15]
	v_fma_f64 v[6:7], v[72:73], v[12:13], -v[6:7]
	v_add_f64 v[4:5], v[4:5], v[6:7]
	v_mul_f64 v[6:7], v[70:71], v[18:19]
	;; [unrolled: 3-line block ×24, first 2 shown]
	ds_read_b128 v[192:195], v2 offset:1648
	v_fma_f64 v[6:7], v[160:161], v[172:173], -v[6:7]
	v_add_f64 v[4:5], v[4:5], v[6:7]
	v_mul_f64 v[6:7], v[182:183], v[178:179]
	v_fma_f64 v[6:7], v[180:181], v[176:177], -v[6:7]
	v_add_f64 v[4:5], v[4:5], v[6:7]
	v_mul_f64 v[6:7], v[170:171], v[202:203]
	v_fma_f64 v[6:7], v[168:169], v[200:201], -v[6:7]
	s_waitcnt vmcnt(1) lgkmcnt(0)
	v_mul_f64 v[2:3], v[192:193], v[186:187]
	v_add_f64 v[4:5], v[4:5], v[6:7]
	v_mul_f64 v[6:7], v[194:195], v[186:187]
	v_fmac_f64_e32 v[2:3], v[194:195], v[184:185]
	v_fma_f64 v[6:7], v[192:193], v[184:185], -v[6:7]
	v_add_f64 v[2:3], v[252:253], v[2:3]
	v_add_f64 v[4:5], v[4:5], v[6:7]
	s_waitcnt vmcnt(0)
	v_add_f64 v[4:5], v[248:249], -v[4:5]
	v_add_f64 v[6:7], v[250:251], -v[2:3]
	scratch_store_dwordx4 off, v[4:7], off offset:288
	s_and_saveexec_b64 s[0:1], vcc
	s_cbranch_execz .LBB115_293
; %bb.292:
	scratch_load_dwordx4 v[2:5], off, s52
	v_mov_b32_e32 v6, 0
	v_mov_b32_e32 v7, v6
	;; [unrolled: 1-line block ×4, first 2 shown]
	v_accvgpr_read_b32 v0, a105
	scratch_store_dwordx4 off, v[6:9], off offset:272
	s_waitcnt vmcnt(1)
	ds_write_b128 v0, v[2:5]
.LBB115_293:
	s_or_b64 exec, exec, s[0:1]
	s_waitcnt lgkmcnt(0)
	; wave barrier
	scratch_load_dwordx4 v[184:187], off, off offset:288
	scratch_load_dwordx4 v[188:191], off, off offset:304
	;; [unrolled: 1-line block ×32, first 2 shown]
	v_mov_b32_e32 v2, 0
	ds_read_b128 v[192:195], v2 offset:1104
	ds_read_b128 v[204:207], v2 offset:1120
	;; [unrolled: 1-line block ×16, first 2 shown]
	v_cmp_lt_u32_e32 vcc, 15, v240
	s_waitcnt vmcnt(31) lgkmcnt(14)
	v_mul_f64 v[104:105], v[192:193], v[186:187]
	s_waitcnt vmcnt(30)
	v_mul_f64 v[106:107], v[204:205], v[190:191]
	v_fmac_f64_e32 v[104:105], v[194:195], v[184:185]
	s_waitcnt vmcnt(29) lgkmcnt(13)
	v_mul_f64 v[112:113], v[216:217], v[198:199]
	v_fmac_f64_e32 v[106:107], v[206:207], v[188:189]
	v_add_f64 v[104:105], v[104:105], 0
	s_waitcnt vmcnt(28) lgkmcnt(12)
	v_mul_f64 v[114:115], v[224:225], v[202:203]
	v_fmac_f64_e32 v[112:113], v[218:219], v[196:197]
	v_add_f64 v[104:105], v[104:105], v[106:107]
	;; [unrolled: 4-line block ×10, first 2 shown]
	ds_read_b128 v[152:155], v2 offset:1360
	ds_read_b128 v[156:159], v2 offset:1376
	s_waitcnt vmcnt(19) lgkmcnt(5)
	v_mul_f64 v[164:165], v[124:125], v[26:27]
	v_fmac_f64_e32 v[162:163], v[134:135], v[20:21]
	v_add_f64 v[104:105], v[104:105], v[160:161]
	s_waitcnt vmcnt(18) lgkmcnt(4)
	v_mul_f64 v[166:167], v[120:121], v[30:31]
	v_fmac_f64_e32 v[164:165], v[126:127], v[24:25]
	v_add_f64 v[104:105], v[104:105], v[162:163]
	;; [unrolled: 4-line block ×4, first 2 shown]
	v_add_f64 v[112:113], v[104:105], v[168:169]
	v_fmac_f64_e32 v[170:171], v[110:111], v[36:37]
	scratch_load_dwordx4 v[104:107], off, off offset:800
	s_waitcnt vmcnt(16) lgkmcnt(1)
	v_mul_f64 v[114:115], v[152:153], v[42:43]
	v_add_f64 v[112:113], v[112:113], v[170:171]
	v_fmac_f64_e32 v[114:115], v[154:155], v[40:41]
	v_add_f64 v[128:129], v[112:113], v[114:115]
	scratch_load_dwordx4 v[112:115], off, off offset:816
	s_waitcnt vmcnt(16) lgkmcnt(0)
	v_mul_f64 v[130:131], v[156:157], v[46:47]
	v_fmac_f64_e32 v[130:131], v[158:159], v[44:45]
	v_add_f64 v[168:169], v[128:129], v[130:131]
	scratch_load_dwordx4 v[128:131], off, off offset:832
	ds_read_b128 v[160:163], v2 offset:1392
	ds_read_b128 v[164:167], v2 offset:1408
	v_mul_f64 v[186:187], v[194:195], v[186:187]
	v_fma_f64 v[254:255], v[192:193], v[184:185], -v[186:187]
	ds_read_b128 v[184:187], v2 offset:1488
	s_waitcnt vmcnt(16) lgkmcnt(2)
	v_mul_f64 v[170:171], v[160:161], v[50:51]
	v_fmac_f64_e32 v[170:171], v[162:163], v[48:49]
	s_waitcnt vmcnt(15) lgkmcnt(1)
	v_mul_f64 v[174:175], v[164:165], v[54:55]
	v_add_f64 v[172:173], v[168:169], v[170:171]
	ds_read_b128 v[168:171], v2 offset:1424
	v_fmac_f64_e32 v[174:175], v[166:167], v[52:53]
	v_add_f64 v[176:177], v[172:173], v[174:175]
	ds_read_b128 v[172:175], v2 offset:1440
	v_mul_f64 v[190:191], v[206:207], v[190:191]
	s_waitcnt vmcnt(14) lgkmcnt(1)
	v_mul_f64 v[178:179], v[168:169], v[58:59]
	v_fmac_f64_e32 v[178:179], v[170:171], v[56:57]
	v_add_f64 v[180:181], v[176:177], v[178:179]
	s_waitcnt vmcnt(13) lgkmcnt(0)
	v_mul_f64 v[182:183], v[172:173], v[62:63]
	ds_read_b128 v[176:179], v2 offset:1456
	v_fmac_f64_e32 v[182:183], v[174:175], v[60:61]
	v_add_f64 v[232:233], v[180:181], v[182:183]
	ds_read_b128 v[180:183], v2 offset:1472
	v_fma_f64 v[242:243], v[204:205], v[188:189], -v[190:191]
	s_waitcnt vmcnt(12) lgkmcnt(1)
	v_mul_f64 v[234:235], v[176:177], v[66:67]
	v_fmac_f64_e32 v[234:235], v[178:179], v[64:65]
	v_add_f64 v[232:233], v[232:233], v[234:235]
	s_waitcnt vmcnt(11) lgkmcnt(0)
	v_mul_f64 v[192:193], v[180:181], v[70:71]
	v_fmac_f64_e32 v[192:193], v[182:183], v[68:69]
	ds_read_b128 v[188:191], v2 offset:1504
	s_waitcnt vmcnt(10)
	v_mul_f64 v[194:195], v[184:185], v[74:75]
	v_add_f64 v[192:193], v[232:233], v[192:193]
	v_fmac_f64_e32 v[194:195], v[186:187], v[72:73]
	v_add_f64 v[204:205], v[192:193], v[194:195]
	ds_read_b128 v[192:195], v2 offset:1520
	v_mul_f64 v[198:199], v[218:219], v[198:199]
	v_fma_f64 v[244:245], v[216:217], v[196:197], -v[198:199]
	ds_read_b128 v[196:199], v2 offset:1536
	s_waitcnt vmcnt(9) lgkmcnt(2)
	v_mul_f64 v[206:207], v[188:189], v[78:79]
	v_fmac_f64_e32 v[206:207], v[190:191], v[76:77]
	v_add_f64 v[204:205], v[204:205], v[206:207]
	s_waitcnt vmcnt(8) lgkmcnt(1)
	v_mul_f64 v[206:207], v[192:193], v[82:83]
	v_fmac_f64_e32 v[206:207], v[194:195], v[80:81]
	v_mul_f64 v[202:203], v[226:227], v[202:203]
	v_add_f64 v[204:205], v[204:205], v[206:207]
	v_fma_f64 v[234:235], v[224:225], v[200:201], -v[202:203]
	ds_read_b128 v[200:203], v2 offset:1552
	s_waitcnt vmcnt(7) lgkmcnt(1)
	v_mul_f64 v[206:207], v[196:197], v[86:87]
	v_fmac_f64_e32 v[206:207], v[198:199], v[84:85]
	v_add_f64 v[216:217], v[204:205], v[206:207]
	ds_read_b128 v[204:207], v2 offset:1568
	v_mul_f64 v[210:211], v[230:231], v[210:211]
	v_fma_f64 v[236:237], v[228:229], v[208:209], -v[210:211]
	ds_read_b128 v[208:211], v2 offset:1584
	s_waitcnt vmcnt(6) lgkmcnt(2)
	v_mul_f64 v[218:219], v[200:201], v[90:91]
	v_fmac_f64_e32 v[218:219], v[202:203], v[88:89]
	v_add_f64 v[216:217], v[216:217], v[218:219]
	s_waitcnt vmcnt(5) lgkmcnt(1)
	v_mul_f64 v[218:219], v[204:205], v[94:95]
	v_fmac_f64_e32 v[218:219], v[206:207], v[92:93]
	v_mul_f64 v[214:215], v[248:249], v[214:215]
	v_fma_f64 v[238:239], v[246:247], v[212:213], -v[214:215]
	ds_read_b128 v[212:215], v2 offset:1600
	v_add_f64 v[216:217], v[216:217], v[218:219]
	s_waitcnt vmcnt(4) lgkmcnt(1)
	v_mul_f64 v[218:219], v[208:209], v[102:103]
	v_fmac_f64_e32 v[218:219], v[210:211], v[100:101]
	v_add_f64 v[224:225], v[216:217], v[218:219]
	ds_read_b128 v[216:219], v2 offset:1616
	v_mul_f64 v[222:223], v[252:253], v[222:223]
	v_fma_f64 v[246:247], v[250:251], v[220:221], -v[222:223]
	ds_read_b128 v[220:223], v2 offset:1632
	s_waitcnt vmcnt(3) lgkmcnt(2)
	v_mul_f64 v[226:227], v[212:213], v[98:99]
	v_fmac_f64_e32 v[226:227], v[214:215], v[96:97]
	v_add_f64 v[224:225], v[224:225], v[226:227]
	s_waitcnt vmcnt(2) lgkmcnt(1)
	v_mul_f64 v[226:227], v[216:217], v[106:107]
	v_fmac_f64_e32 v[226:227], v[218:219], v[104:105]
	v_add_f64 v[224:225], v[224:225], v[226:227]
	;; [unrolled: 4-line block ×3, first 2 shown]
	ds_read_b128 v[224:227], v2 offset:1648
	v_mul_f64 v[6:7], v[150:151], v[6:7]
	v_fma_f64 v[4:5], v[148:149], v[4:5], -v[6:7]
	v_mul_f64 v[6:7], v[146:147], v[10:11]
	v_fma_f64 v[6:7], v[144:145], v[8:9], -v[6:7]
	s_waitcnt vmcnt(0) lgkmcnt(0)
	v_mul_f64 v[230:231], v[224:225], v[130:131]
	v_fmac_f64_e32 v[230:231], v[226:227], v[128:129]
	v_add_f64 v[232:233], v[228:229], v[230:231]
	v_add_f64 v[228:229], v[254:255], 0
	;; [unrolled: 1-line block ×4, first 2 shown]
	scratch_load_dwordx4 v[228:231], off, off offset:272
	v_add_f64 v[234:235], v[248:249], v[234:235]
	v_add_f64 v[234:235], v[234:235], v[236:237]
	;; [unrolled: 1-line block ×6, first 2 shown]
	v_mul_f64 v[6:7], v[142:143], v[14:15]
	v_fma_f64 v[6:7], v[140:141], v[12:13], -v[6:7]
	v_add_f64 v[4:5], v[4:5], v[6:7]
	v_mul_f64 v[6:7], v[138:139], v[18:19]
	v_fma_f64 v[6:7], v[136:137], v[16:17], -v[6:7]
	v_add_f64 v[4:5], v[4:5], v[6:7]
	;; [unrolled: 3-line block ×26, first 2 shown]
	s_waitcnt vmcnt(0)
	v_add_f64 v[4:5], v[228:229], -v[4:5]
	v_add_f64 v[6:7], v[230:231], -v[232:233]
	scratch_store_dwordx4 off, v[4:7], off offset:272
	s_and_saveexec_b64 s[0:1], vcc
	s_cbranch_execz .LBB115_295
; %bb.294:
	scratch_load_dwordx4 v[6:9], off, s53
	v_mov_b32_e32 v3, v2
	v_mov_b32_e32 v4, v2
	;; [unrolled: 1-line block ×3, first 2 shown]
	v_accvgpr_read_b32 v0, a105
	scratch_store_dwordx4 off, v[2:5], off offset:256
	s_waitcnt vmcnt(1)
	ds_write_b128 v0, v[6:9]
.LBB115_295:
	s_or_b64 exec, exec, s[0:1]
	s_waitcnt lgkmcnt(0)
	; wave barrier
	scratch_load_dwordx4 v[140:143], off, off offset:272
	scratch_load_dwordx4 v[144:147], off, off offset:288
	;; [unrolled: 1-line block ×16, first 2 shown]
	ds_read_b128 v[208:211], v2 offset:1088
	ds_read_b128 v[200:203], v2 offset:1104
	;; [unrolled: 1-line block ×3, first 2 shown]
	scratch_load_dwordx4 v[40:43], off, off offset:528
	ds_read_b128 v[204:207], v2 offset:1136
	ds_read_b128 v[192:195], v2 offset:1152
	;; [unrolled: 1-line block ×3, first 2 shown]
	scratch_load_dwordx4 v[44:47], off, off offset:544
	ds_read_b128 v[196:199], v2 offset:1184
	ds_read_b128 v[64:67], v2 offset:1200
	;; [unrolled: 1-line block ×4, first 2 shown]
	scratch_load_dwordx4 v[48:51], off, off offset:560
	ds_read_b128 v[72:75], v2 offset:1248
	ds_read_b128 v[68:71], v2 offset:1264
	scratch_load_dwordx4 v[56:59], off, off offset:576
	ds_read_b128 v[92:95], v2 offset:1280
	ds_read_b128 v[88:91], v2 offset:1296
	ds_read_b128 v[84:87], v2 offset:1312
	ds_read_b128 v[80:83], v2 offset:1328
	scratch_load_dwordx4 v[76:79], off, off offset:592
	scratch_load_dwordx4 v[96:99], off, off offset:608
	;; [unrolled: 1-line block ×12, first 2 shown]
	ds_read_b128 v[168:171], v2 offset:1344
	v_accvgpr_write_b32 a104, v240
	v_cmp_lt_u32_e32 vcc, 14, v240
	s_waitcnt vmcnt(31) lgkmcnt(14)
	v_mul_f64 v[172:173], v[208:209], v[142:143]
	s_waitcnt vmcnt(30)
	v_mul_f64 v[174:175], v[200:201], v[146:147]
	v_fmac_f64_e32 v[172:173], v[210:211], v[140:141]
	s_waitcnt vmcnt(29)
	v_mul_f64 v[176:177], v[188:189], v[150:151]
	v_fmac_f64_e32 v[174:175], v[202:203], v[144:145]
	v_add_f64 v[172:173], v[172:173], 0
	s_waitcnt vmcnt(28) lgkmcnt(13)
	v_mul_f64 v[178:179], v[204:205], v[154:155]
	v_fmac_f64_e32 v[176:177], v[190:191], v[148:149]
	v_add_f64 v[172:173], v[172:173], v[174:175]
	s_waitcnt vmcnt(27) lgkmcnt(12)
	;; [unrolled: 4-line block ×10, first 2 shown]
	v_mul_f64 v[224:225], v[92:93], v[26:27]
	v_fmac_f64_e32 v[222:223], v[70:71], v[20:21]
	v_add_f64 v[172:173], v[172:173], v[220:221]
	ds_read_b128 v[212:215], v2 offset:1360
	s_waitcnt vmcnt(18) lgkmcnt(4)
	v_mul_f64 v[226:227], v[88:89], v[30:31]
	v_fmac_f64_e32 v[224:225], v[94:95], v[24:25]
	v_add_f64 v[172:173], v[172:173], v[222:223]
	ds_read_b128 v[216:219], v2 offset:1376
	ds_read_b128 v[220:223], v2 offset:1392
	s_waitcnt vmcnt(17) lgkmcnt(5)
	v_mul_f64 v[228:229], v[84:85], v[34:35]
	v_fmac_f64_e32 v[226:227], v[90:91], v[28:29]
	v_add_f64 v[172:173], v[172:173], v[224:225]
	s_waitcnt vmcnt(16) lgkmcnt(4)
	v_mul_f64 v[230:231], v[80:81], v[38:39]
	v_fmac_f64_e32 v[228:229], v[86:87], v[32:33]
	v_add_f64 v[172:173], v[172:173], v[226:227]
	v_add_f64 v[176:177], v[172:173], v[228:229]
	v_fmac_f64_e32 v[230:231], v[82:83], v[36:37]
	s_waitcnt vmcnt(15) lgkmcnt(3)
	v_mul_f64 v[178:179], v[168:169], v[42:43]
	v_add_f64 v[176:177], v[176:177], v[230:231]
	v_fmac_f64_e32 v[178:179], v[170:171], v[40:41]
	s_waitcnt vmcnt(14) lgkmcnt(2)
	v_mul_f64 v[182:183], v[212:213], v[46:47]
	;; [unrolled: 4-line block ×3, first 2 shown]
	v_add_f64 v[224:225], v[180:181], v[182:183]
	v_fmac_f64_e32 v[226:227], v[218:219], v[48:49]
	v_add_f64 v[228:229], v[224:225], v[226:227]
	ds_read_b128 v[224:227], v2 offset:1408
	s_waitcnt vmcnt(12) lgkmcnt(1)
	v_mul_f64 v[230:231], v[220:221], v[58:59]
	v_fmac_f64_e32 v[230:231], v[222:223], v[56:57]
	v_add_f64 v[232:233], v[228:229], v[230:231]
	ds_read_b128 v[228:231], v2 offset:1424
	s_waitcnt vmcnt(11) lgkmcnt(1)
	v_mul_f64 v[234:235], v[224:225], v[78:79]
	;; [unrolled: 5-line block ×4, first 2 shown]
	v_fmac_f64_e32 v[244:245], v[234:235], v[100:101]
	v_mul_f64 v[142:143], v[210:211], v[142:143]
	v_add_f64 v[242:243], v[242:243], v[244:245]
	v_fma_f64 v[244:245], v[208:209], v[140:141], -v[142:143]
	ds_read_b128 v[140:143], v2 offset:1472
	s_waitcnt vmcnt(8) lgkmcnt(1)
	v_mul_f64 v[208:209], v[236:237], v[106:107]
	v_fmac_f64_e32 v[208:209], v[238:239], v[104:105]
	v_mul_f64 v[146:147], v[202:203], v[146:147]
	v_add_f64 v[208:209], v[242:243], v[208:209]
	v_fma_f64 v[242:243], v[200:201], v[144:145], -v[146:147]
	ds_read_b128 v[144:147], v2 offset:1488
	s_waitcnt vmcnt(7) lgkmcnt(1)
	v_mul_f64 v[200:201], v[140:141], v[110:111]
	scratch_load_dwordx4 v[172:175], off, off offset:784
	v_fmac_f64_e32 v[200:201], v[142:143], v[108:109]
	v_add_f64 v[208:209], v[208:209], v[200:201]
	ds_read_b128 v[200:203], v2 offset:1504
	v_mul_f64 v[150:151], v[190:191], v[150:151]
	scratch_load_dwordx4 v[176:179], off, off offset:800
	scratch_load_dwordx4 v[180:183], off, off offset:816
	v_fma_f64 v[246:247], v[188:189], v[148:149], -v[150:151]
	ds_read_b128 v[148:151], v2 offset:1520
	s_waitcnt vmcnt(9) lgkmcnt(2)
	v_mul_f64 v[210:211], v[144:145], v[114:115]
	v_fmac_f64_e32 v[210:211], v[146:147], v[112:113]
	s_waitcnt vmcnt(8) lgkmcnt(1)
	v_mul_f64 v[188:189], v[200:201], v[118:119]
	v_add_f64 v[208:209], v[208:209], v[210:211]
	v_fmac_f64_e32 v[188:189], v[202:203], v[116:117]
	v_mul_f64 v[154:155], v[206:207], v[154:155]
	s_waitcnt vmcnt(7) lgkmcnt(0)
	v_mul_f64 v[190:191], v[148:149], v[122:123]
	v_add_f64 v[188:189], v[208:209], v[188:189]
	v_fma_f64 v[248:249], v[204:205], v[152:153], -v[154:155]
	ds_read_b128 v[152:155], v2 offset:1536
	v_fmac_f64_e32 v[190:191], v[150:151], v[120:121]
	v_add_f64 v[204:205], v[188:189], v[190:191]
	ds_read_b128 v[188:191], v2 offset:1552
	v_mul_f64 v[158:159], v[194:195], v[158:159]
	s_waitcnt vmcnt(6) lgkmcnt(1)
	v_mul_f64 v[206:207], v[152:153], v[126:127]
	v_fmac_f64_e32 v[206:207], v[154:155], v[124:125]
	v_fma_f64 v[250:251], v[192:193], v[156:157], -v[158:159]
	s_waitcnt vmcnt(5) lgkmcnt(0)
	v_mul_f64 v[192:193], v[188:189], v[130:131]
	v_add_f64 v[204:205], v[204:205], v[206:207]
	v_fmac_f64_e32 v[192:193], v[190:191], v[128:129]
	v_mul_f64 v[162:163], v[186:187], v[162:163]
	v_add_f64 v[244:245], v[244:245], 0
	v_fma_f64 v[208:209], v[184:185], v[160:161], -v[162:163]
	v_add_f64 v[184:185], v[204:205], v[192:193]
	scratch_load_dwordx4 v[204:207], off, off offset:832
	v_add_f64 v[242:243], v[244:245], v[242:243]
	v_add_f64 v[242:243], v[242:243], v[246:247]
	;; [unrolled: 1-line block ×4, first 2 shown]
	scratch_load_dwordx4 v[248:251], off, off offset:256
	v_mul_f64 v[166:167], v[198:199], v[166:167]
	v_fma_f64 v[210:211], v[196:197], v[164:165], -v[166:167]
	v_add_f64 v[208:209], v[246:247], v[208:209]
	v_mul_f64 v[6:7], v[66:67], v[6:7]
	v_add_f64 v[208:209], v[208:209], v[210:211]
	v_fma_f64 v[4:5], v[64:65], v[4:5], -v[6:7]
	v_mul_f64 v[6:7], v[62:63], v[10:11]
	v_add_f64 v[4:5], v[208:209], v[4:5]
	v_fma_f64 v[6:7], v[60:61], v[8:9], -v[6:7]
	v_add_f64 v[4:5], v[4:5], v[6:7]
	v_mul_f64 v[6:7], v[54:55], v[14:15]
	v_fma_f64 v[6:7], v[52:53], v[12:13], -v[6:7]
	v_add_f64 v[4:5], v[4:5], v[6:7]
	v_mul_f64 v[6:7], v[74:75], v[18:19]
	;; [unrolled: 3-line block ×12, first 2 shown]
	v_fma_f64 v[6:7], v[224:225], v[76:77], -v[6:7]
	ds_read_b128 v[156:159], v2 offset:1568
	ds_read_b128 v[160:163], v2 offset:1584
	v_add_f64 v[4:5], v[4:5], v[6:7]
	v_mul_f64 v[6:7], v[230:231], v[98:99]
	v_fma_f64 v[6:7], v[228:229], v[96:97], -v[6:7]
	v_add_f64 v[4:5], v[4:5], v[6:7]
	v_mul_f64 v[6:7], v[234:235], v[102:103]
	v_fma_f64 v[6:7], v[232:233], v[100:101], -v[6:7]
	v_add_f64 v[4:5], v[4:5], v[6:7]
	v_mul_f64 v[6:7], v[238:239], v[106:107]
	s_waitcnt vmcnt(6) lgkmcnt(1)
	v_mul_f64 v[186:187], v[156:157], v[138:139]
	v_fma_f64 v[6:7], v[236:237], v[104:105], -v[6:7]
	v_fmac_f64_e32 v[186:187], v[158:159], v[136:137]
	v_add_f64 v[4:5], v[4:5], v[6:7]
	v_mul_f64 v[6:7], v[142:143], v[110:111]
	v_add_f64 v[192:193], v[184:185], v[186:187]
	ds_read_b128 v[184:187], v2 offset:1600
	ds_read_b128 v[164:167], v2 offset:1616
	v_fma_f64 v[6:7], v[140:141], v[108:109], -v[6:7]
	v_add_f64 v[4:5], v[4:5], v[6:7]
	v_mul_f64 v[6:7], v[146:147], v[114:115]
	v_fma_f64 v[6:7], v[144:145], v[112:113], -v[6:7]
	s_waitcnt vmcnt(5) lgkmcnt(2)
	v_mul_f64 v[194:195], v[160:161], v[134:135]
	v_add_f64 v[4:5], v[4:5], v[6:7]
	v_mul_f64 v[6:7], v[202:203], v[118:119]
	v_fmac_f64_e32 v[194:195], v[162:163], v[132:133]
	v_fma_f64 v[6:7], v[200:201], v[116:117], -v[6:7]
	v_add_f64 v[192:193], v[192:193], v[194:195]
	s_waitcnt vmcnt(4) lgkmcnt(1)
	v_mul_f64 v[194:195], v[184:185], v[174:175]
	v_add_f64 v[4:5], v[4:5], v[6:7]
	v_mul_f64 v[6:7], v[150:151], v[122:123]
	v_fmac_f64_e32 v[194:195], v[186:187], v[172:173]
	v_fma_f64 v[6:7], v[148:149], v[120:121], -v[6:7]
	v_add_f64 v[192:193], v[192:193], v[194:195]
	;; [unrolled: 7-line block ×3, first 2 shown]
	ds_read_b128 v[192:195], v2 offset:1632
	v_add_f64 v[4:5], v[4:5], v[6:7]
	v_mul_f64 v[6:7], v[190:191], v[130:131]
	v_fma_f64 v[6:7], v[188:189], v[128:129], -v[6:7]
	v_add_f64 v[4:5], v[4:5], v[6:7]
	v_mul_f64 v[6:7], v[158:159], v[138:139]
	v_fma_f64 v[6:7], v[156:157], v[136:137], -v[6:7]
	v_add_f64 v[4:5], v[4:5], v[6:7]
	v_mul_f64 v[6:7], v[162:163], v[134:135]
	s_waitcnt vmcnt(2) lgkmcnt(0)
	v_mul_f64 v[198:199], v[192:193], v[182:183]
	v_fma_f64 v[6:7], v[160:161], v[132:133], -v[6:7]
	v_fmac_f64_e32 v[198:199], v[194:195], v[180:181]
	v_add_f64 v[4:5], v[4:5], v[6:7]
	v_mul_f64 v[6:7], v[186:187], v[174:175]
	v_add_f64 v[252:253], v[196:197], v[198:199]
	ds_read_b128 v[196:199], v2 offset:1648
	v_fma_f64 v[6:7], v[184:185], v[172:173], -v[6:7]
	v_add_f64 v[4:5], v[4:5], v[6:7]
	v_mul_f64 v[6:7], v[166:167], v[178:179]
	v_fma_f64 v[6:7], v[164:165], v[176:177], -v[6:7]
	v_add_f64 v[4:5], v[4:5], v[6:7]
	v_mul_f64 v[6:7], v[194:195], v[182:183]
	v_fma_f64 v[6:7], v[192:193], v[180:181], -v[6:7]
	s_waitcnt vmcnt(1) lgkmcnt(0)
	v_mul_f64 v[2:3], v[196:197], v[206:207]
	v_add_f64 v[4:5], v[4:5], v[6:7]
	v_mul_f64 v[6:7], v[198:199], v[206:207]
	v_fmac_f64_e32 v[2:3], v[198:199], v[204:205]
	v_fma_f64 v[6:7], v[196:197], v[204:205], -v[6:7]
	v_add_f64 v[2:3], v[252:253], v[2:3]
	v_add_f64 v[4:5], v[4:5], v[6:7]
	s_waitcnt vmcnt(0)
	v_add_f64 v[4:5], v[248:249], -v[4:5]
	v_add_f64 v[6:7], v[250:251], -v[2:3]
	scratch_store_dwordx4 off, v[4:7], off offset:256
	s_and_saveexec_b64 s[0:1], vcc
	s_cbranch_execz .LBB115_297
; %bb.296:
	scratch_load_dwordx4 v[2:5], off, s54
	v_mov_b32_e32 v6, 0
	v_mov_b32_e32 v7, v6
	;; [unrolled: 1-line block ×4, first 2 shown]
	v_accvgpr_read_b32 v0, a105
	scratch_store_dwordx4 off, v[6:9], off offset:240
	s_waitcnt vmcnt(1)
	ds_write_b128 v0, v[2:5]
.LBB115_297:
	s_or_b64 exec, exec, s[0:1]
	s_waitcnt lgkmcnt(0)
	; wave barrier
	scratch_load_dwordx4 v[168:171], off, off offset:256
	scratch_load_dwordx4 v[172:175], off, off offset:272
	;; [unrolled: 1-line block ×32, first 2 shown]
	v_mov_b32_e32 v2, 0
	ds_read_b128 v[176:179], v2 offset:1072
	ds_read_b128 v[188:191], v2 offset:1088
	;; [unrolled: 1-line block ×17, first 2 shown]
	v_accvgpr_read_b32 v0, a104
	v_cmp_lt_u32_e32 vcc, 13, v0
	s_waitcnt vmcnt(31) lgkmcnt(14)
	v_mul_f64 v[104:105], v[176:177], v[170:171]
	s_waitcnt vmcnt(30)
	v_mul_f64 v[106:107], v[188:189], v[174:175]
	v_fmac_f64_e32 v[104:105], v[178:179], v[168:169]
	s_waitcnt vmcnt(29)
	v_mul_f64 v[108:109], v[200:201], v[182:183]
	v_fmac_f64_e32 v[106:107], v[190:191], v[172:173]
	v_add_f64 v[104:105], v[104:105], 0
	s_waitcnt vmcnt(28) lgkmcnt(13)
	v_mul_f64 v[110:111], v[212:213], v[186:187]
	v_fmac_f64_e32 v[108:109], v[202:203], v[180:181]
	v_add_f64 v[104:105], v[104:105], v[106:107]
	s_waitcnt vmcnt(27) lgkmcnt(12)
	;; [unrolled: 4-line block ×12, first 2 shown]
	v_mul_f64 v[156:157], v[112:113], v[26:27]
	v_fmac_f64_e32 v[154:155], v[118:119], v[20:21]
	v_add_f64 v[104:105], v[104:105], v[152:153]
	v_fmac_f64_e32 v[156:157], v[114:115], v[24:25]
	v_add_f64 v[104:105], v[104:105], v[154:155]
	s_waitcnt vmcnt(16) lgkmcnt(1)
	v_mul_f64 v[106:107], v[100:101], v[30:31]
	v_add_f64 v[104:105], v[104:105], v[156:157]
	v_fmac_f64_e32 v[106:107], v[102:103], v[28:29]
	v_add_f64 v[108:109], v[104:105], v[106:107]
	ds_read_b128 v[144:147], v2 offset:1344
	ds_read_b128 v[148:151], v2 offset:1360
	scratch_load_dwordx4 v[104:107], off, off offset:768
	s_waitcnt vmcnt(16) lgkmcnt(2)
	v_mul_f64 v[110:111], v[96:97], v[34:35]
	v_fmac_f64_e32 v[110:111], v[98:99], v[32:33]
	v_add_f64 v[120:121], v[108:109], v[110:111]
	scratch_load_dwordx4 v[108:111], off, off offset:784
	s_waitcnt vmcnt(16) lgkmcnt(1)
	v_mul_f64 v[122:123], v[144:145], v[38:39]
	v_fmac_f64_e32 v[122:123], v[146:147], v[36:37]
	v_add_f64 v[132:133], v[120:121], v[122:123]
	s_waitcnt vmcnt(15) lgkmcnt(0)
	v_mul_f64 v[134:135], v[148:149], v[42:43]
	scratch_load_dwordx4 v[120:123], off, off offset:800
	v_fmac_f64_e32 v[134:135], v[150:151], v[40:41]
	v_add_f64 v[160:161], v[132:133], v[134:135]
	scratch_load_dwordx4 v[132:135], off, off offset:816
	ds_read_b128 v[152:155], v2 offset:1376
	ds_read_b128 v[156:159], v2 offset:1392
	v_mul_f64 v[170:171], v[178:179], v[170:171]
	v_fma_f64 v[242:243], v[176:177], v[168:169], -v[170:171]
	ds_read_b128 v[168:171], v2 offset:1440
	s_waitcnt vmcnt(16) lgkmcnt(2)
	v_mul_f64 v[162:163], v[152:153], v[46:47]
	v_fmac_f64_e32 v[162:163], v[154:155], v[44:45]
	s_waitcnt vmcnt(15) lgkmcnt(1)
	v_mul_f64 v[166:167], v[156:157], v[50:51]
	v_add_f64 v[164:165], v[160:161], v[162:163]
	ds_read_b128 v[160:163], v2 offset:1408
	v_fmac_f64_e32 v[166:167], v[158:159], v[48:49]
	v_add_f64 v[232:233], v[164:165], v[166:167]
	ds_read_b128 v[164:167], v2 offset:1424
	v_mul_f64 v[174:175], v[190:191], v[174:175]
	s_waitcnt vmcnt(14) lgkmcnt(1)
	v_mul_f64 v[234:235], v[160:161], v[54:55]
	v_fmac_f64_e32 v[234:235], v[162:163], v[52:53]
	v_add_f64 v[232:233], v[232:233], v[234:235]
	s_waitcnt vmcnt(13) lgkmcnt(0)
	v_mul_f64 v[176:177], v[164:165], v[58:59]
	v_fmac_f64_e32 v[176:177], v[166:167], v[56:57]
	v_fma_f64 v[244:245], v[188:189], v[172:173], -v[174:175]
	ds_read_b128 v[172:175], v2 offset:1456
	s_waitcnt vmcnt(12)
	v_mul_f64 v[178:179], v[168:169], v[62:63]
	v_add_f64 v[176:177], v[232:233], v[176:177]
	v_fmac_f64_e32 v[178:179], v[170:171], v[60:61]
	v_add_f64 v[188:189], v[176:177], v[178:179]
	ds_read_b128 v[176:179], v2 offset:1472
	v_mul_f64 v[182:183], v[202:203], v[182:183]
	v_fma_f64 v[254:255], v[200:201], v[180:181], -v[182:183]
	ds_read_b128 v[180:183], v2 offset:1488
	s_waitcnt vmcnt(11) lgkmcnt(2)
	v_mul_f64 v[190:191], v[172:173], v[66:67]
	v_fmac_f64_e32 v[190:191], v[174:175], v[64:65]
	v_add_f64 v[188:189], v[188:189], v[190:191]
	s_waitcnt vmcnt(10) lgkmcnt(1)
	v_mul_f64 v[190:191], v[176:177], v[70:71]
	v_fmac_f64_e32 v[190:191], v[178:179], v[68:69]
	v_mul_f64 v[186:187], v[214:215], v[186:187]
	v_fma_f64 v[240:241], v[212:213], v[184:185], -v[186:187]
	ds_read_b128 v[184:187], v2 offset:1504
	v_add_f64 v[188:189], v[188:189], v[190:191]
	s_waitcnt vmcnt(9) lgkmcnt(1)
	v_mul_f64 v[190:191], v[180:181], v[74:75]
	v_fmac_f64_e32 v[190:191], v[182:183], v[72:73]
	v_add_f64 v[200:201], v[188:189], v[190:191]
	ds_read_b128 v[188:191], v2 offset:1520
	v_mul_f64 v[194:195], v[222:223], v[194:195]
	v_fma_f64 v[232:233], v[220:221], v[192:193], -v[194:195]
	ds_read_b128 v[192:195], v2 offset:1536
	s_waitcnt vmcnt(8) lgkmcnt(2)
	v_mul_f64 v[202:203], v[184:185], v[78:79]
	v_fmac_f64_e32 v[202:203], v[186:187], v[76:77]
	v_add_f64 v[200:201], v[200:201], v[202:203]
	s_waitcnt vmcnt(7) lgkmcnt(1)
	v_mul_f64 v[202:203], v[188:189], v[82:83]
	v_fmac_f64_e32 v[202:203], v[190:191], v[80:81]
	v_mul_f64 v[198:199], v[226:227], v[198:199]
	v_add_f64 v[200:201], v[200:201], v[202:203]
	v_fma_f64 v[234:235], v[224:225], v[196:197], -v[198:199]
	ds_read_b128 v[196:199], v2 offset:1552
	s_waitcnt vmcnt(6) lgkmcnt(1)
	v_mul_f64 v[202:203], v[192:193], v[86:87]
	v_fmac_f64_e32 v[202:203], v[194:195], v[84:85]
	v_add_f64 v[212:213], v[200:201], v[202:203]
	ds_read_b128 v[200:203], v2 offset:1568
	v_mul_f64 v[206:207], v[230:231], v[206:207]
	v_fma_f64 v[236:237], v[228:229], v[204:205], -v[206:207]
	ds_read_b128 v[204:207], v2 offset:1584
	s_waitcnt vmcnt(5) lgkmcnt(2)
	v_mul_f64 v[214:215], v[196:197], v[94:95]
	v_fmac_f64_e32 v[214:215], v[198:199], v[92:93]
	v_add_f64 v[212:213], v[212:213], v[214:215]
	s_waitcnt vmcnt(4) lgkmcnt(1)
	v_mul_f64 v[214:215], v[200:201], v[90:91]
	v_fmac_f64_e32 v[214:215], v[202:203], v[88:89]
	v_mul_f64 v[210:211], v[248:249], v[210:211]
	v_fma_f64 v[238:239], v[246:247], v[208:209], -v[210:211]
	ds_read_b128 v[208:211], v2 offset:1600
	v_add_f64 v[212:213], v[212:213], v[214:215]
	s_waitcnt vmcnt(3) lgkmcnt(1)
	v_mul_f64 v[214:215], v[204:205], v[106:107]
	v_fmac_f64_e32 v[214:215], v[206:207], v[104:105]
	v_add_f64 v[220:221], v[212:213], v[214:215]
	ds_read_b128 v[212:215], v2 offset:1616
	v_mul_f64 v[218:219], v[252:253], v[218:219]
	v_fma_f64 v[246:247], v[250:251], v[216:217], -v[218:219]
	ds_read_b128 v[216:219], v2 offset:1632
	ds_read_b128 v[224:227], v2 offset:1648
	s_waitcnt vmcnt(2) lgkmcnt(3)
	v_mul_f64 v[222:223], v[208:209], v[110:111]
	v_fmac_f64_e32 v[222:223], v[210:211], v[108:109]
	v_add_f64 v[220:221], v[220:221], v[222:223]
	s_waitcnt vmcnt(1) lgkmcnt(2)
	v_mul_f64 v[222:223], v[212:213], v[122:123]
	v_fmac_f64_e32 v[222:223], v[214:215], v[120:121]
	v_add_f64 v[220:221], v[220:221], v[222:223]
	;; [unrolled: 4-line block ×3, first 2 shown]
	scratch_load_dwordx4 v[220:223], off, off offset:832
	v_mul_f64 v[6:7], v[142:143], v[6:7]
	v_fma_f64 v[4:5], v[140:141], v[4:5], -v[6:7]
	v_mul_f64 v[6:7], v[138:139], v[10:11]
	v_fma_f64 v[6:7], v[136:137], v[8:9], -v[6:7]
	s_waitcnt vmcnt(0) lgkmcnt(0)
	v_mul_f64 v[230:231], v[224:225], v[222:223]
	v_fmac_f64_e32 v[230:231], v[226:227], v[220:221]
	v_add_f64 v[250:251], v[228:229], v[230:231]
	v_add_f64 v[228:229], v[242:243], 0
	;; [unrolled: 1-line block ×6, first 2 shown]
	scratch_load_dwordx4 v[228:231], off, off offset:240
	v_add_f64 v[232:233], v[248:249], v[234:235]
	v_add_f64 v[232:233], v[232:233], v[236:237]
	;; [unrolled: 1-line block ×6, first 2 shown]
	v_mul_f64 v[6:7], v[130:131], v[14:15]
	v_fma_f64 v[6:7], v[128:129], v[12:13], -v[6:7]
	v_add_f64 v[4:5], v[4:5], v[6:7]
	v_mul_f64 v[6:7], v[126:127], v[18:19]
	v_fma_f64 v[6:7], v[124:125], v[16:17], -v[6:7]
	v_add_f64 v[4:5], v[4:5], v[6:7]
	;; [unrolled: 3-line block ×26, first 2 shown]
	s_waitcnt vmcnt(0)
	v_add_f64 v[4:5], v[228:229], -v[4:5]
	v_add_f64 v[6:7], v[230:231], -v[250:251]
	scratch_store_dwordx4 off, v[4:7], off offset:240
	s_and_saveexec_b64 s[0:1], vcc
	s_cbranch_execz .LBB115_299
; %bb.298:
	scratch_load_dwordx4 v[6:9], off, s55
	v_mov_b32_e32 v3, v2
	v_mov_b32_e32 v4, v2
	;; [unrolled: 1-line block ×3, first 2 shown]
	v_accvgpr_read_b32 v0, a105
	scratch_store_dwordx4 off, v[2:5], off offset:224
	s_waitcnt vmcnt(1)
	ds_write_b128 v0, v[6:9]
.LBB115_299:
	s_or_b64 exec, exec, s[0:1]
	s_waitcnt lgkmcnt(0)
	; wave barrier
	scratch_load_dwordx4 v[168:171], off, off offset:240
	scratch_load_dwordx4 v[172:175], off, off offset:256
	;; [unrolled: 1-line block ×16, first 2 shown]
	ds_read_b128 v[232:235], v2 offset:1056
	ds_read_b128 v[176:179], v2 offset:1072
	scratch_load_dwordx4 v[32:35], off, off offset:496
	ds_read_b128 v[236:239], v2 offset:1088
	ds_read_b128 v[188:191], v2 offset:1104
	;; [unrolled: 1-line block ×5, first 2 shown]
	scratch_load_dwordx4 v[36:39], off, off offset:512
	ds_read_b128 v[224:227], v2 offset:1168
	ds_read_b128 v[220:223], v2 offset:1184
	;; [unrolled: 1-line block ×3, first 2 shown]
	scratch_load_dwordx4 v[40:43], off, off offset:528
	ds_read_b128 v[64:67], v2 offset:1216
	ds_read_b128 v[60:63], v2 offset:1232
	;; [unrolled: 1-line block ×4, first 2 shown]
	scratch_load_dwordx4 v[48:51], off, off offset:544
	ds_read_b128 v[80:83], v2 offset:1280
	ds_read_b128 v[72:75], v2 offset:1296
	;; [unrolled: 1-line block ×3, first 2 shown]
	scratch_load_dwordx4 v[76:79], off, off offset:560
	scratch_load_dwordx4 v[84:87], off, off offset:576
	;; [unrolled: 1-line block ×12, first 2 shown]
	v_accvgpr_read_b32 v0, a104
	v_cmp_lt_u32_e32 vcc, 12, v0
	s_waitcnt vmcnt(31) lgkmcnt(14)
	v_mul_f64 v[128:129], v[232:233], v[170:171]
	s_waitcnt vmcnt(30)
	v_mul_f64 v[130:131], v[176:177], v[174:175]
	v_fmac_f64_e32 v[128:129], v[234:235], v[168:169]
	s_waitcnt vmcnt(29)
	v_mul_f64 v[132:133], v[236:237], v[182:183]
	v_fmac_f64_e32 v[130:131], v[178:179], v[172:173]
	v_add_f64 v[128:129], v[128:129], 0
	s_waitcnt vmcnt(28) lgkmcnt(13)
	v_mul_f64 v[134:135], v[188:189], v[186:187]
	v_fmac_f64_e32 v[132:133], v[238:239], v[180:181]
	v_add_f64 v[128:129], v[128:129], v[130:131]
	s_waitcnt vmcnt(27) lgkmcnt(12)
	v_mul_f64 v[136:137], v[228:229], v[194:195]
	v_fmac_f64_e32 v[134:135], v[190:191], v[184:185]
	v_add_f64 v[128:129], v[128:129], v[132:133]
	s_waitcnt vmcnt(26) lgkmcnt(11)
	v_mul_f64 v[138:139], v[200:201], v[198:199]
	v_fmac_f64_e32 v[136:137], v[230:231], v[192:193]
	v_add_f64 v[128:129], v[128:129], v[134:135]
	s_waitcnt vmcnt(25) lgkmcnt(10)
	v_mul_f64 v[140:141], v[212:213], v[206:207]
	v_fmac_f64_e32 v[138:139], v[202:203], v[196:197]
	v_add_f64 v[128:129], v[128:129], v[136:137]
	s_waitcnt vmcnt(24) lgkmcnt(9)
	v_mul_f64 v[142:143], v[224:225], v[210:211]
	v_fmac_f64_e32 v[140:141], v[214:215], v[204:205]
	v_add_f64 v[128:129], v[128:129], v[138:139]
	s_waitcnt vmcnt(23) lgkmcnt(8)
	v_mul_f64 v[144:145], v[220:221], v[218:219]
	v_fmac_f64_e32 v[142:143], v[226:227], v[208:209]
	v_add_f64 v[128:129], v[128:129], v[140:141]
	s_waitcnt vmcnt(22) lgkmcnt(7)
	v_mul_f64 v[146:147], v[44:45], v[6:7]
	v_fmac_f64_e32 v[144:145], v[222:223], v[216:217]
	v_add_f64 v[128:129], v[128:129], v[142:143]
	s_waitcnt vmcnt(21) lgkmcnt(6)
	v_mul_f64 v[148:149], v[64:65], v[10:11]
	v_fmac_f64_e32 v[146:147], v[46:47], v[4:5]
	v_add_f64 v[128:129], v[128:129], v[144:145]
	s_waitcnt vmcnt(20) lgkmcnt(5)
	v_mul_f64 v[150:151], v[60:61], v[14:15]
	v_fmac_f64_e32 v[148:149], v[66:67], v[8:9]
	v_add_f64 v[128:129], v[128:129], v[146:147]
	s_waitcnt vmcnt(19) lgkmcnt(4)
	v_mul_f64 v[152:153], v[56:57], v[18:19]
	v_fmac_f64_e32 v[150:151], v[62:63], v[12:13]
	v_add_f64 v[128:129], v[128:129], v[148:149]
	s_waitcnt vmcnt(18) lgkmcnt(3)
	v_mul_f64 v[154:155], v[52:53], v[22:23]
	v_fmac_f64_e32 v[152:153], v[58:59], v[16:17]
	v_add_f64 v[128:129], v[128:129], v[150:151]
	s_waitcnt vmcnt(17) lgkmcnt(2)
	v_mul_f64 v[156:157], v[80:81], v[26:27]
	v_fmac_f64_e32 v[154:155], v[54:55], v[20:21]
	v_add_f64 v[128:129], v[128:129], v[152:153]
	s_waitcnt vmcnt(16) lgkmcnt(1)
	v_mul_f64 v[158:159], v[72:73], v[30:31]
	v_fmac_f64_e32 v[156:157], v[82:83], v[24:25]
	v_add_f64 v[128:129], v[128:129], v[154:155]
	v_add_f64 v[128:129], v[128:129], v[156:157]
	v_fmac_f64_e32 v[158:159], v[74:75], v[28:29]
	v_add_f64 v[132:133], v[128:129], v[158:159]
	ds_read_b128 v[144:147], v2 offset:1328
	ds_read_b128 v[148:151], v2 offset:1344
	scratch_load_dwordx4 v[128:131], off, off offset:752
	s_waitcnt vmcnt(16) lgkmcnt(2)
	v_mul_f64 v[134:135], v[68:69], v[34:35]
	v_fmac_f64_e32 v[134:135], v[70:71], v[32:33]
	s_waitcnt vmcnt(15) lgkmcnt(1)
	v_mul_f64 v[138:139], v[144:145], v[38:39]
	v_add_f64 v[136:137], v[132:133], v[134:135]
	scratch_load_dwordx4 v[132:135], off, off offset:768
	v_fmac_f64_e32 v[138:139], v[146:147], v[36:37]
	v_add_f64 v[140:141], v[136:137], v[138:139]
	s_waitcnt vmcnt(15) lgkmcnt(0)
	v_mul_f64 v[142:143], v[148:149], v[42:43]
	scratch_load_dwordx4 v[136:139], off, off offset:784
	v_fmac_f64_e32 v[142:143], v[150:151], v[40:41]
	v_add_f64 v[160:161], v[140:141], v[142:143]
	scratch_load_dwordx4 v[140:143], off, off offset:800
	ds_read_b128 v[152:155], v2 offset:1360
	ds_read_b128 v[156:159], v2 offset:1376
	v_mul_f64 v[170:171], v[234:235], v[170:171]
	v_mul_f64 v[174:175], v[178:179], v[174:175]
	;; [unrolled: 1-line block ×3, first 2 shown]
	s_waitcnt vmcnt(16) lgkmcnt(1)
	v_mul_f64 v[162:163], v[152:153], v[50:51]
	v_fmac_f64_e32 v[162:163], v[154:155], v[48:49]
	v_add_f64 v[164:165], v[160:161], v[162:163]
	ds_read_b128 v[160:163], v2 offset:1392
	s_waitcnt vmcnt(15) lgkmcnt(1)
	v_mul_f64 v[166:167], v[156:157], v[78:79]
	v_fmac_f64_e32 v[166:167], v[158:159], v[76:77]
	v_add_f64 v[240:241], v[164:165], v[166:167]
	ds_read_b128 v[164:167], v2 offset:1408
	s_waitcnt vmcnt(14) lgkmcnt(1)
	v_mul_f64 v[242:243], v[160:161], v[86:87]
	v_fmac_f64_e32 v[242:243], v[162:163], v[84:85]
	v_add_f64 v[240:241], v[240:241], v[242:243]
	v_fma_f64 v[242:243], v[232:233], v[168:169], -v[170:171]
	ds_read_b128 v[168:171], v2 offset:1424
	s_waitcnt vmcnt(13) lgkmcnt(1)
	v_mul_f64 v[232:233], v[164:165], v[90:91]
	v_fmac_f64_e32 v[232:233], v[166:167], v[88:89]
	v_add_f64 v[232:233], v[240:241], v[232:233]
	v_fma_f64 v[240:241], v[176:177], v[172:173], -v[174:175]
	ds_read_b128 v[172:175], v2 offset:1440
	s_waitcnt vmcnt(12) lgkmcnt(1)
	v_mul_f64 v[176:177], v[168:169], v[94:95]
	v_fmac_f64_e32 v[176:177], v[170:171], v[92:93]
	v_add_f64 v[232:233], v[232:233], v[176:177]
	ds_read_b128 v[176:179], v2 offset:1456
	v_fma_f64 v[236:237], v[236:237], v[180:181], -v[182:183]
	ds_read_b128 v[180:183], v2 offset:1472
	s_waitcnt vmcnt(11) lgkmcnt(2)
	v_mul_f64 v[234:235], v[172:173], v[98:99]
	v_fmac_f64_e32 v[234:235], v[174:175], v[96:97]
	v_add_f64 v[232:233], v[232:233], v[234:235]
	s_waitcnt vmcnt(10) lgkmcnt(1)
	v_mul_f64 v[234:235], v[176:177], v[102:103]
	v_fmac_f64_e32 v[234:235], v[178:179], v[100:101]
	v_mul_f64 v[186:187], v[190:191], v[186:187]
	s_waitcnt vmcnt(9) lgkmcnt(0)
	v_mul_f64 v[190:191], v[180:181], v[106:107]
	v_fma_f64 v[238:239], v[188:189], v[184:185], -v[186:187]
	ds_read_b128 v[184:187], v2 offset:1488
	v_add_f64 v[188:189], v[232:233], v[234:235]
	v_fmac_f64_e32 v[190:191], v[182:183], v[104:105]
	v_add_f64 v[232:233], v[188:189], v[190:191]
	ds_read_b128 v[188:191], v2 offset:1504
	v_mul_f64 v[194:195], v[230:231], v[194:195]
	v_fma_f64 v[244:245], v[228:229], v[192:193], -v[194:195]
	ds_read_b128 v[192:195], v2 offset:1520
	s_waitcnt vmcnt(8) lgkmcnt(2)
	v_mul_f64 v[234:235], v[184:185], v[110:111]
	v_fmac_f64_e32 v[234:235], v[186:187], v[108:109]
	s_waitcnt vmcnt(7) lgkmcnt(1)
	v_mul_f64 v[228:229], v[188:189], v[114:115]
	v_mul_f64 v[198:199], v[202:203], v[198:199]
	v_add_f64 v[232:233], v[232:233], v[234:235]
	v_fmac_f64_e32 v[228:229], v[190:191], v[112:113]
	v_fma_f64 v[250:251], v[200:201], v[196:197], -v[198:199]
	ds_read_b128 v[196:199], v2 offset:1536
	s_waitcnt vmcnt(6) lgkmcnt(1)
	v_mul_f64 v[200:201], v[192:193], v[118:119]
	v_add_f64 v[228:229], v[232:233], v[228:229]
	v_fmac_f64_e32 v[200:201], v[194:195], v[116:117]
	v_add_f64 v[228:229], v[228:229], v[200:201]
	ds_read_b128 v[200:203], v2 offset:1552
	v_mul_f64 v[206:207], v[214:215], v[206:207]
	v_add_f64 v[242:243], v[242:243], 0
	v_fma_f64 v[252:253], v[212:213], v[204:205], -v[206:207]
	ds_read_b128 v[204:207], v2 offset:1568
	v_add_f64 v[240:241], v[242:243], v[240:241]
	v_add_f64 v[236:237], v[240:241], v[236:237]
	;; [unrolled: 1-line block ×3, first 2 shown]
	s_waitcnt vmcnt(5) lgkmcnt(2)
	v_mul_f64 v[230:231], v[196:197], v[126:127]
	v_add_f64 v[236:237], v[236:237], v[244:245]
	v_fmac_f64_e32 v[230:231], v[198:199], v[124:125]
	s_waitcnt vmcnt(4) lgkmcnt(1)
	v_mul_f64 v[212:213], v[200:201], v[122:123]
	v_add_f64 v[236:237], v[236:237], v[250:251]
	v_add_f64 v[228:229], v[228:229], v[230:231]
	v_fmac_f64_e32 v[212:213], v[202:203], v[120:121]
	v_mul_f64 v[210:211], v[226:227], v[210:211]
	v_add_f64 v[250:251], v[236:237], v[252:253]
	scratch_load_dwordx4 v[236:239], off, off offset:224
	s_waitcnt vmcnt(4) lgkmcnt(0)
	v_mul_f64 v[214:215], v[204:205], v[130:131]
	v_fma_f64 v[246:247], v[224:225], v[208:209], -v[210:211]
	ds_read_b128 v[208:211], v2 offset:1584
	v_add_f64 v[212:213], v[228:229], v[212:213]
	v_fmac_f64_e32 v[214:215], v[206:207], v[128:129]
	v_add_f64 v[224:225], v[212:213], v[214:215]
	ds_read_b128 v[212:215], v2 offset:1600
	v_mul_f64 v[218:219], v[222:223], v[218:219]
	v_fma_f64 v[248:249], v[220:221], v[216:217], -v[218:219]
	ds_read_b128 v[216:219], v2 offset:1616
	s_waitcnt vmcnt(3) lgkmcnt(2)
	v_mul_f64 v[220:221], v[208:209], v[134:135]
	v_fmac_f64_e32 v[220:221], v[210:211], v[132:133]
	s_waitcnt vmcnt(2) lgkmcnt(1)
	v_mul_f64 v[222:223], v[212:213], v[138:139]
	v_add_f64 v[220:221], v[224:225], v[220:221]
	v_fmac_f64_e32 v[222:223], v[214:215], v[136:137]
	v_add_f64 v[220:221], v[220:221], v[222:223]
	ds_read_b128 v[224:227], v2 offset:1632
	scratch_load_dwordx4 v[232:235], off, off offset:832
	s_waitcnt vmcnt(2) lgkmcnt(1)
	v_mul_f64 v[222:223], v[216:217], v[142:143]
	v_fmac_f64_e32 v[222:223], v[218:219], v[140:141]
	v_add_f64 v[228:229], v[220:221], v[222:223]
	scratch_load_dwordx4 v[220:223], off, off offset:816
	v_add_f64 v[240:241], v[250:251], v[246:247]
	v_mul_f64 v[6:7], v[46:47], v[6:7]
	v_add_f64 v[240:241], v[240:241], v[248:249]
	v_fma_f64 v[4:5], v[44:45], v[4:5], -v[6:7]
	v_mul_f64 v[6:7], v[66:67], v[10:11]
	v_add_f64 v[4:5], v[240:241], v[4:5]
	v_fma_f64 v[6:7], v[64:65], v[8:9], -v[6:7]
	v_add_f64 v[4:5], v[4:5], v[6:7]
	v_mul_f64 v[6:7], v[62:63], v[14:15]
	v_fma_f64 v[6:7], v[60:61], v[12:13], -v[6:7]
	v_add_f64 v[4:5], v[4:5], v[6:7]
	v_mul_f64 v[6:7], v[58:59], v[18:19]
	v_fma_f64 v[6:7], v[56:57], v[16:17], -v[6:7]
	v_add_f64 v[4:5], v[4:5], v[6:7]
	v_mul_f64 v[6:7], v[54:55], v[22:23]
	v_fma_f64 v[6:7], v[52:53], v[20:21], -v[6:7]
	v_add_f64 v[4:5], v[4:5], v[6:7]
	v_mul_f64 v[6:7], v[82:83], v[26:27]
	v_fma_f64 v[6:7], v[80:81], v[24:25], -v[6:7]
	v_add_f64 v[4:5], v[4:5], v[6:7]
	v_mul_f64 v[6:7], v[74:75], v[30:31]
	v_fma_f64 v[6:7], v[72:73], v[28:29], -v[6:7]
	v_add_f64 v[4:5], v[4:5], v[6:7]
	v_mul_f64 v[6:7], v[70:71], v[34:35]
	v_fma_f64 v[6:7], v[68:69], v[32:33], -v[6:7]
	v_add_f64 v[4:5], v[4:5], v[6:7]
	v_mul_f64 v[6:7], v[146:147], v[38:39]
	v_fma_f64 v[6:7], v[144:145], v[36:37], -v[6:7]
	v_add_f64 v[4:5], v[4:5], v[6:7]
	v_mul_f64 v[6:7], v[150:151], v[42:43]
	v_fma_f64 v[6:7], v[148:149], v[40:41], -v[6:7]
	v_add_f64 v[4:5], v[4:5], v[6:7]
	v_mul_f64 v[6:7], v[154:155], v[50:51]
	v_fma_f64 v[6:7], v[152:153], v[48:49], -v[6:7]
	v_add_f64 v[4:5], v[4:5], v[6:7]
	v_mul_f64 v[6:7], v[158:159], v[78:79]
	v_fma_f64 v[6:7], v[156:157], v[76:77], -v[6:7]
	v_add_f64 v[4:5], v[4:5], v[6:7]
	v_mul_f64 v[6:7], v[162:163], v[86:87]
	v_fma_f64 v[6:7], v[160:161], v[84:85], -v[6:7]
	v_add_f64 v[4:5], v[4:5], v[6:7]
	v_mul_f64 v[6:7], v[166:167], v[90:91]
	v_fma_f64 v[6:7], v[164:165], v[88:89], -v[6:7]
	v_add_f64 v[4:5], v[4:5], v[6:7]
	v_mul_f64 v[6:7], v[170:171], v[94:95]
	v_fma_f64 v[6:7], v[168:169], v[92:93], -v[6:7]
	v_add_f64 v[4:5], v[4:5], v[6:7]
	v_mul_f64 v[6:7], v[174:175], v[98:99]
	v_fma_f64 v[6:7], v[172:173], v[96:97], -v[6:7]
	v_add_f64 v[4:5], v[4:5], v[6:7]
	v_mul_f64 v[6:7], v[178:179], v[102:103]
	v_fma_f64 v[6:7], v[176:177], v[100:101], -v[6:7]
	v_add_f64 v[4:5], v[4:5], v[6:7]
	v_mul_f64 v[6:7], v[182:183], v[106:107]
	v_fma_f64 v[6:7], v[180:181], v[104:105], -v[6:7]
	v_add_f64 v[4:5], v[4:5], v[6:7]
	v_mul_f64 v[6:7], v[186:187], v[110:111]
	v_fma_f64 v[6:7], v[184:185], v[108:109], -v[6:7]
	v_add_f64 v[4:5], v[4:5], v[6:7]
	v_mul_f64 v[6:7], v[190:191], v[114:115]
	v_fma_f64 v[6:7], v[188:189], v[112:113], -v[6:7]
	v_add_f64 v[4:5], v[4:5], v[6:7]
	v_mul_f64 v[6:7], v[194:195], v[118:119]
	v_fma_f64 v[6:7], v[192:193], v[116:117], -v[6:7]
	v_add_f64 v[4:5], v[4:5], v[6:7]
	v_mul_f64 v[6:7], v[198:199], v[126:127]
	v_fma_f64 v[6:7], v[196:197], v[124:125], -v[6:7]
	v_add_f64 v[4:5], v[4:5], v[6:7]
	v_mul_f64 v[6:7], v[202:203], v[122:123]
	v_fma_f64 v[6:7], v[200:201], v[120:121], -v[6:7]
	v_add_f64 v[4:5], v[4:5], v[6:7]
	v_mul_f64 v[6:7], v[206:207], v[130:131]
	v_fma_f64 v[6:7], v[204:205], v[128:129], -v[6:7]
	v_add_f64 v[4:5], v[4:5], v[6:7]
	v_mul_f64 v[6:7], v[210:211], v[134:135]
	v_fma_f64 v[6:7], v[208:209], v[132:133], -v[6:7]
	v_add_f64 v[4:5], v[4:5], v[6:7]
	v_mul_f64 v[6:7], v[214:215], v[138:139]
	v_fma_f64 v[6:7], v[212:213], v[136:137], -v[6:7]
	s_waitcnt vmcnt(0) lgkmcnt(0)
	v_mul_f64 v[230:231], v[224:225], v[222:223]
	v_fmac_f64_e32 v[230:231], v[226:227], v[220:221]
	v_add_f64 v[254:255], v[228:229], v[230:231]
	ds_read_b128 v[228:231], v2 offset:1648
	v_add_f64 v[4:5], v[4:5], v[6:7]
	v_mul_f64 v[6:7], v[218:219], v[142:143]
	v_fma_f64 v[6:7], v[216:217], v[140:141], -v[6:7]
	v_add_f64 v[4:5], v[4:5], v[6:7]
	v_mul_f64 v[6:7], v[226:227], v[222:223]
	v_fma_f64 v[6:7], v[224:225], v[220:221], -v[6:7]
	s_waitcnt lgkmcnt(0)
	v_mul_f64 v[2:3], v[228:229], v[234:235]
	v_add_f64 v[4:5], v[4:5], v[6:7]
	v_mul_f64 v[6:7], v[230:231], v[234:235]
	v_fmac_f64_e32 v[2:3], v[230:231], v[232:233]
	v_fma_f64 v[6:7], v[228:229], v[232:233], -v[6:7]
	v_add_f64 v[2:3], v[254:255], v[2:3]
	v_add_f64 v[4:5], v[4:5], v[6:7]
	v_add_f64 v[4:5], v[236:237], -v[4:5]
	v_add_f64 v[6:7], v[238:239], -v[2:3]
	scratch_store_dwordx4 off, v[4:7], off offset:224
	s_and_saveexec_b64 s[0:1], vcc
	s_cbranch_execz .LBB115_301
; %bb.300:
	scratch_load_dwordx4 v[2:5], off, s56
	v_mov_b32_e32 v6, 0
	v_mov_b32_e32 v7, v6
	;; [unrolled: 1-line block ×4, first 2 shown]
	v_accvgpr_read_b32 v0, a105
	scratch_store_dwordx4 off, v[6:9], off offset:208
	s_waitcnt vmcnt(1)
	ds_write_b128 v0, v[2:5]
.LBB115_301:
	s_or_b64 exec, exec, s[0:1]
	s_waitcnt lgkmcnt(0)
	; wave barrier
	scratch_load_dwordx4 v[80:83], off, off offset:224
	scratch_load_dwordx4 v[84:87], off, off offset:240
	;; [unrolled: 1-line block ×31, first 2 shown]
	v_mov_b32_e32 v2, 0
	ds_read_b128 v[196:199], v2 offset:1040
	ds_read_b128 v[200:203], v2 offset:1056
	;; [unrolled: 1-line block ×20, first 2 shown]
	s_waitcnt vmcnt(30) lgkmcnt(14)
	v_mul_f64 v[140:141], v[196:197], v[82:83]
	s_waitcnt vmcnt(29)
	v_mul_f64 v[142:143], v[200:201], v[86:87]
	v_fmac_f64_e32 v[140:141], v[198:199], v[80:81]
	s_waitcnt vmcnt(28)
	v_mul_f64 v[152:153], v[204:205], v[90:91]
	v_fmac_f64_e32 v[142:143], v[202:203], v[84:85]
	v_add_f64 v[140:141], v[140:141], 0
	s_waitcnt vmcnt(27)
	v_mul_f64 v[154:155], v[208:209], v[94:95]
	v_fmac_f64_e32 v[152:153], v[206:207], v[88:89]
	v_add_f64 v[140:141], v[140:141], v[142:143]
	;; [unrolled: 4-line block ×4, first 2 shown]
	s_waitcnt vmcnt(24) lgkmcnt(13)
	v_mul_f64 v[164:165], v[220:221], v[106:107]
	v_fmac_f64_e32 v[162:163], v[218:219], v[100:101]
	v_add_f64 v[140:141], v[140:141], v[160:161]
	s_waitcnt vmcnt(23) lgkmcnt(12)
	v_mul_f64 v[166:167], v[224:225], v[110:111]
	v_fmac_f64_e32 v[164:165], v[222:223], v[104:105]
	v_add_f64 v[140:141], v[140:141], v[162:163]
	;; [unrolled: 4-line block ×8, first 2 shown]
	v_fmac_f64_e32 v[178:179], v[146:147], v[12:13]
	v_add_f64 v[140:141], v[140:141], v[176:177]
	v_add_f64 v[140:141], v[140:141], v[178:179]
	ds_read_b128 v[176:179], v2 offset:1312
	s_waitcnt vmcnt(16) lgkmcnt(6)
	v_mul_f64 v[180:181], v[136:137], v[18:19]
	s_waitcnt vmcnt(15) lgkmcnt(5)
	v_mul_f64 v[182:183], v[132:133], v[22:23]
	v_fmac_f64_e32 v[180:181], v[138:139], v[16:17]
	v_add_f64 v[152:153], v[140:141], v[180:181]
	v_fmac_f64_e32 v[182:183], v[134:135], v[20:21]
	scratch_load_dwordx4 v[140:143], off, off offset:720
	s_waitcnt vmcnt(15) lgkmcnt(4)
	v_mul_f64 v[154:155], v[128:129], v[26:27]
	v_add_f64 v[152:153], v[152:153], v[182:183]
	v_fmac_f64_e32 v[154:155], v[130:131], v[24:25]
	v_add_f64 v[160:161], v[152:153], v[154:155]
	ds_read_b128 v[180:183], v2 offset:1328
	s_waitcnt vmcnt(14) lgkmcnt(1)
	v_mul_f64 v[162:163], v[176:177], v[30:31]
	scratch_load_dwordx4 v[152:155], off, off offset:736
	v_fmac_f64_e32 v[162:163], v[178:179], v[28:29]
	v_add_f64 v[164:165], v[160:161], v[162:163]
	scratch_load_dwordx4 v[160:163], off, off offset:752
	s_waitcnt vmcnt(15) lgkmcnt(0)
	v_mul_f64 v[166:167], v[180:181], v[34:35]
	v_fmac_f64_e32 v[166:167], v[182:183], v[32:33]
	v_add_f64 v[168:169], v[164:165], v[166:167]
	s_waitcnt vmcnt(14)
	v_mul_f64 v[170:171], v[184:185], v[38:39]
	scratch_load_dwordx4 v[164:167], off, off offset:768
	v_fmac_f64_e32 v[170:171], v[186:187], v[36:37]
	v_add_f64 v[168:169], v[168:169], v[170:171]
	s_waitcnt vmcnt(14)
	v_mul_f64 v[170:171], v[188:189], v[42:43]
	scratch_load_dwordx4 v[172:175], off, off offset:784
	v_fmac_f64_e32 v[170:171], v[190:191], v[40:41]
	v_add_f64 v[232:233], v[168:169], v[170:171]
	scratch_load_dwordx4 v[168:171], off, off offset:800
	v_mul_f64 v[82:83], v[198:199], v[82:83]
	v_fma_f64 v[240:241], v[196:197], v[80:81], -v[82:83]
	ds_read_b128 v[196:199], v2 offset:1392
	s_waitcnt vmcnt(15)
	v_mul_f64 v[80:81], v[192:193], v[46:47]
	v_fmac_f64_e32 v[80:81], v[194:195], v[44:45]
	v_add_f64 v[232:233], v[232:233], v[80:81]
	v_mul_f64 v[80:81], v[202:203], v[86:87]
	v_fma_f64 v[242:243], v[200:201], v[84:85], -v[80:81]
	scratch_load_dwordx4 v[80:83], off, off offset:816
	ds_read_b128 v[84:87], v2 offset:1408
	v_mul_f64 v[90:91], v[206:207], v[90:91]
	v_fma_f64 v[244:245], v[204:205], v[88:89], -v[90:91]
	ds_read_b128 v[88:91], v2 offset:1424
	s_waitcnt vmcnt(15) lgkmcnt(2)
	v_mul_f64 v[200:201], v[196:197], v[50:51]
	v_fmac_f64_e32 v[200:201], v[198:199], v[48:49]
	s_waitcnt vmcnt(14) lgkmcnt(1)
	v_mul_f64 v[202:203], v[84:85], v[54:55]
	v_add_f64 v[200:201], v[232:233], v[200:201]
	v_fmac_f64_e32 v[202:203], v[86:87], v[52:53]
	v_mul_f64 v[94:95], v[210:211], v[94:95]
	v_fma_f64 v[254:255], v[208:209], v[92:93], -v[94:95]
	ds_read_b128 v[92:95], v2 offset:1440
	v_add_f64 v[200:201], v[200:201], v[202:203]
	s_waitcnt vmcnt(13) lgkmcnt(1)
	v_mul_f64 v[202:203], v[88:89], v[58:59]
	v_fmac_f64_e32 v[202:203], v[90:91], v[56:57]
	v_add_f64 v[204:205], v[200:201], v[202:203]
	ds_read_b128 v[200:203], v2 offset:1456
	v_mul_f64 v[98:99], v[214:215], v[98:99]
	v_fma_f64 v[232:233], v[212:213], v[96:97], -v[98:99]
	ds_read_b128 v[96:99], v2 offset:1472
	s_waitcnt vmcnt(12) lgkmcnt(2)
	v_mul_f64 v[206:207], v[92:93], v[62:63]
	v_fmac_f64_e32 v[206:207], v[94:95], v[60:61]
	v_add_f64 v[204:205], v[204:205], v[206:207]
	s_waitcnt vmcnt(11) lgkmcnt(1)
	v_mul_f64 v[206:207], v[200:201], v[66:67]
	v_fmac_f64_e32 v[206:207], v[202:203], v[64:65]
	v_mul_f64 v[102:103], v[218:219], v[102:103]
	v_add_f64 v[204:205], v[204:205], v[206:207]
	v_fma_f64 v[4:5], v[216:217], v[100:101], -v[102:103]
	ds_read_b128 v[100:103], v2 offset:1488
	s_waitcnt vmcnt(10) lgkmcnt(1)
	v_mul_f64 v[206:207], v[96:97], v[70:71]
	v_fmac_f64_e32 v[206:207], v[98:99], v[68:69]
	v_add_f64 v[208:209], v[204:205], v[206:207]
	ds_read_b128 v[204:207], v2 offset:1504
	v_mul_f64 v[106:107], v[222:223], v[106:107]
	v_fma_f64 v[0:1], v[220:221], v[104:105], -v[106:107]
	ds_read_b128 v[104:107], v2 offset:1520
	s_waitcnt vmcnt(9) lgkmcnt(2)
	v_mul_f64 v[210:211], v[100:101], v[74:75]
	v_fmac_f64_e32 v[210:211], v[102:103], v[72:73]
	v_add_f64 v[208:209], v[208:209], v[210:211]
	s_waitcnt vmcnt(8) lgkmcnt(1)
	v_mul_f64 v[210:211], v[204:205], v[78:79]
	v_fmac_f64_e32 v[210:211], v[206:207], v[76:77]
	v_mul_f64 v[6:7], v[226:227], v[110:111]
	v_fma_f64 v[6:7], v[224:225], v[108:109], -v[6:7]
	ds_read_b128 v[108:111], v2 offset:1536
	v_add_f64 v[208:209], v[208:209], v[210:211]
	s_waitcnt vmcnt(7) lgkmcnt(1)
	v_mul_f64 v[210:211], v[104:105], v[126:127]
	v_fmac_f64_e32 v[210:211], v[106:107], v[124:125]
	v_mul_f64 v[114:115], v[230:231], v[114:115]
	v_add_f64 v[212:213], v[208:209], v[210:211]
	ds_read_b128 v[208:211], v2 offset:1552
	v_fma_f64 v[112:113], v[228:229], v[112:113], -v[114:115]
	v_accvgpr_write_b32 a106, v112
	v_accvgpr_write_b32 a107, v113
	ds_read_b128 v[112:115], v2 offset:1568
	s_waitcnt vmcnt(6) lgkmcnt(2)
	v_mul_f64 v[214:215], v[108:109], v[142:143]
	v_fmac_f64_e32 v[214:215], v[110:111], v[140:141]
	v_add_f64 v[212:213], v[212:213], v[214:215]
	s_waitcnt vmcnt(5) lgkmcnt(1)
	v_mul_f64 v[214:215], v[208:209], v[154:155]
	v_fmac_f64_e32 v[214:215], v[210:211], v[152:153]
	v_mul_f64 v[118:119], v[248:249], v[118:119]
	v_add_f64 v[212:213], v[212:213], v[214:215]
	v_fma_f64 v[238:239], v[246:247], v[116:117], -v[118:119]
	ds_read_b128 v[116:119], v2 offset:1584
	s_waitcnt vmcnt(4) lgkmcnt(1)
	v_mul_f64 v[214:215], v[112:113], v[162:163]
	v_fmac_f64_e32 v[214:215], v[114:115], v[160:161]
	v_add_f64 v[216:217], v[212:213], v[214:215]
	ds_read_b128 v[212:215], v2 offset:1600
	v_mul_f64 v[122:123], v[252:253], v[122:123]
	v_fma_f64 v[246:247], v[250:251], v[120:121], -v[122:123]
	ds_read_b128 v[120:123], v2 offset:1616
	s_waitcnt vmcnt(3) lgkmcnt(2)
	v_mul_f64 v[218:219], v[116:117], v[166:167]
	v_fmac_f64_e32 v[218:219], v[118:119], v[164:165]
	v_add_f64 v[216:217], v[216:217], v[218:219]
	s_waitcnt vmcnt(2) lgkmcnt(1)
	v_mul_f64 v[218:219], v[212:213], v[174:175]
	v_fmac_f64_e32 v[218:219], v[214:215], v[172:173]
	v_add_f64 v[216:217], v[216:217], v[218:219]
	;; [unrolled: 4-line block ×3, first 2 shown]
	ds_read_b128 v[216:219], v2 offset:1632
	ds_read_b128 v[224:227], v2 offset:1648
	s_waitcnt vmcnt(0) lgkmcnt(1)
	v_mul_f64 v[222:223], v[216:217], v[82:83]
	v_fmac_f64_e32 v[222:223], v[218:219], v[80:81]
	v_add_f64 v[228:229], v[220:221], v[222:223]
	scratch_load_dwordx4 v[220:223], off, off offset:832
	s_waitcnt vmcnt(0) lgkmcnt(0)
	v_mul_f64 v[230:231], v[224:225], v[222:223]
	v_fmac_f64_e32 v[230:231], v[226:227], v[220:221]
	v_add_f64 v[250:251], v[228:229], v[230:231]
	v_add_f64 v[228:229], v[240:241], 0
	;; [unrolled: 1-line block ×7, first 2 shown]
	scratch_load_dwordx4 v[228:231], off, off offset:208
	v_add_f64 v[248:249], v[4:5], v[0:1]
	v_accvgpr_read_b32 v4, a106
	v_add_f64 v[0:1], v[248:249], v[6:7]
	v_accvgpr_read_b32 v5, a107
	v_add_f64 v[0:1], v[0:1], v[4:5]
	v_add_f64 v[0:1], v[0:1], v[238:239]
	v_mul_f64 v[4:5], v[158:159], v[236:237]
	v_add_f64 v[0:1], v[0:1], v[246:247]
	v_fma_f64 v[4:5], v[156:157], v[234:235], -v[4:5]
	v_add_f64 v[0:1], v[0:1], v[4:5]
	v_mul_f64 v[4:5], v[150:151], v[10:11]
	v_fma_f64 v[4:5], v[148:149], v[8:9], -v[4:5]
	v_add_f64 v[0:1], v[0:1], v[4:5]
	v_mul_f64 v[4:5], v[146:147], v[14:15]
	v_fma_f64 v[4:5], v[144:145], v[12:13], -v[4:5]
	v_add_f64 v[0:1], v[0:1], v[4:5]
	v_mul_f64 v[4:5], v[138:139], v[18:19]
	v_fma_f64 v[4:5], v[136:137], v[16:17], -v[4:5]
	v_add_f64 v[0:1], v[0:1], v[4:5]
	v_mul_f64 v[4:5], v[134:135], v[22:23]
	v_fma_f64 v[4:5], v[132:133], v[20:21], -v[4:5]
	v_add_f64 v[0:1], v[0:1], v[4:5]
	v_mul_f64 v[4:5], v[130:131], v[26:27]
	v_fma_f64 v[4:5], v[128:129], v[24:25], -v[4:5]
	v_add_f64 v[0:1], v[0:1], v[4:5]
	v_mul_f64 v[4:5], v[178:179], v[30:31]
	v_fma_f64 v[4:5], v[176:177], v[28:29], -v[4:5]
	v_add_f64 v[0:1], v[0:1], v[4:5]
	v_mul_f64 v[4:5], v[182:183], v[34:35]
	v_fma_f64 v[4:5], v[180:181], v[32:33], -v[4:5]
	v_add_f64 v[0:1], v[0:1], v[4:5]
	v_mul_f64 v[4:5], v[186:187], v[38:39]
	v_fma_f64 v[4:5], v[184:185], v[36:37], -v[4:5]
	v_add_f64 v[0:1], v[0:1], v[4:5]
	v_mul_f64 v[4:5], v[190:191], v[42:43]
	v_fma_f64 v[4:5], v[188:189], v[40:41], -v[4:5]
	v_add_f64 v[0:1], v[0:1], v[4:5]
	v_mul_f64 v[4:5], v[194:195], v[46:47]
	v_fma_f64 v[4:5], v[192:193], v[44:45], -v[4:5]
	v_add_f64 v[0:1], v[0:1], v[4:5]
	v_mul_f64 v[4:5], v[198:199], v[50:51]
	v_fma_f64 v[4:5], v[196:197], v[48:49], -v[4:5]
	v_add_f64 v[0:1], v[0:1], v[4:5]
	v_mul_f64 v[4:5], v[86:87], v[54:55]
	v_fma_f64 v[4:5], v[84:85], v[52:53], -v[4:5]
	v_add_f64 v[0:1], v[0:1], v[4:5]
	v_mul_f64 v[4:5], v[90:91], v[58:59]
	v_fma_f64 v[4:5], v[88:89], v[56:57], -v[4:5]
	v_add_f64 v[0:1], v[0:1], v[4:5]
	v_mul_f64 v[4:5], v[94:95], v[62:63]
	v_fma_f64 v[4:5], v[92:93], v[60:61], -v[4:5]
	v_add_f64 v[0:1], v[0:1], v[4:5]
	v_mul_f64 v[4:5], v[202:203], v[66:67]
	v_fma_f64 v[4:5], v[200:201], v[64:65], -v[4:5]
	v_add_f64 v[0:1], v[0:1], v[4:5]
	v_mul_f64 v[4:5], v[98:99], v[70:71]
	v_fma_f64 v[4:5], v[96:97], v[68:69], -v[4:5]
	v_add_f64 v[0:1], v[0:1], v[4:5]
	v_mul_f64 v[4:5], v[102:103], v[74:75]
	v_fma_f64 v[4:5], v[100:101], v[72:73], -v[4:5]
	v_add_f64 v[0:1], v[0:1], v[4:5]
	v_mul_f64 v[4:5], v[206:207], v[78:79]
	v_fma_f64 v[4:5], v[204:205], v[76:77], -v[4:5]
	v_add_f64 v[0:1], v[0:1], v[4:5]
	v_mul_f64 v[4:5], v[106:107], v[126:127]
	v_fma_f64 v[4:5], v[104:105], v[124:125], -v[4:5]
	v_add_f64 v[0:1], v[0:1], v[4:5]
	v_mul_f64 v[4:5], v[110:111], v[142:143]
	v_fma_f64 v[4:5], v[108:109], v[140:141], -v[4:5]
	v_add_f64 v[0:1], v[0:1], v[4:5]
	v_mul_f64 v[4:5], v[210:211], v[154:155]
	v_fma_f64 v[4:5], v[208:209], v[152:153], -v[4:5]
	v_add_f64 v[0:1], v[0:1], v[4:5]
	v_mul_f64 v[4:5], v[114:115], v[162:163]
	v_fma_f64 v[4:5], v[112:113], v[160:161], -v[4:5]
	v_add_f64 v[0:1], v[0:1], v[4:5]
	v_mul_f64 v[4:5], v[118:119], v[166:167]
	v_fma_f64 v[4:5], v[116:117], v[164:165], -v[4:5]
	v_add_f64 v[0:1], v[0:1], v[4:5]
	v_mul_f64 v[4:5], v[214:215], v[174:175]
	v_fma_f64 v[4:5], v[212:213], v[172:173], -v[4:5]
	v_add_f64 v[0:1], v[0:1], v[4:5]
	v_mul_f64 v[4:5], v[122:123], v[170:171]
	v_fma_f64 v[4:5], v[120:121], v[168:169], -v[4:5]
	v_add_f64 v[0:1], v[0:1], v[4:5]
	v_mul_f64 v[4:5], v[218:219], v[82:83]
	v_fma_f64 v[4:5], v[216:217], v[80:81], -v[4:5]
	v_add_f64 v[0:1], v[0:1], v[4:5]
	v_mul_f64 v[4:5], v[226:227], v[222:223]
	v_fma_f64 v[4:5], v[224:225], v[220:221], -v[4:5]
	v_add_f64 v[0:1], v[0:1], v[4:5]
	s_waitcnt vmcnt(0)
	v_add_f64 v[4:5], v[228:229], -v[0:1]
	v_accvgpr_read_b32 v0, a104
	v_add_f64 v[6:7], v[230:231], -v[250:251]
	v_cmp_lt_u32_e32 vcc, 11, v0
	scratch_store_dwordx4 off, v[4:7], off offset:208
	s_and_saveexec_b64 s[0:1], vcc
	s_cbranch_execz .LBB115_303
; %bb.302:
	scratch_load_dwordx4 v[6:9], off, s57
	v_mov_b32_e32 v3, v2
	v_mov_b32_e32 v4, v2
	;; [unrolled: 1-line block ×3, first 2 shown]
	v_accvgpr_read_b32 v0, a105
	scratch_store_dwordx4 off, v[2:5], off offset:192
	s_waitcnt vmcnt(1)
	ds_write_b128 v0, v[6:9]
.LBB115_303:
	s_or_b64 exec, exec, s[0:1]
	s_waitcnt lgkmcnt(0)
	; wave barrier
	scratch_load_dwordx4 v[132:135], off, off offset:208
	scratch_load_dwordx4 v[160:163], off, off offset:224
	;; [unrolled: 1-line block ×16, first 2 shown]
	ds_read_b128 v[156:159], v2 offset:1024
	ds_read_b128 v[172:175], v2 offset:1040
	scratch_load_dwordx4 v[24:27], off, off offset:464
	ds_read_b128 v[232:235], v2 offset:1056
	ds_read_b128 v[228:231], v2 offset:1072
	scratch_load_dwordx4 v[28:31], off, off offset:480
	ds_read_b128 v[236:239], v2 offset:1088
	ds_read_b128 v[184:187], v2 offset:1104
	;; [unrolled: 1-line block ×5, first 2 shown]
	scratch_load_dwordx4 v[32:35], off, off offset:496
	ds_read_b128 v[220:223], v2 offset:1168
	ds_read_b128 v[216:219], v2 offset:1184
	;; [unrolled: 1-line block ×3, first 2 shown]
	scratch_load_dwordx4 v[36:39], off, off offset:512
	ds_read_b128 v[64:67], v2 offset:1216
	ds_read_b128 v[60:63], v2 offset:1232
	;; [unrolled: 1-line block ×5, first 2 shown]
	scratch_load_dwordx4 v[52:55], off, off offset:528
	scratch_load_dwordx4 v[68:71], off, off offset:544
	;; [unrolled: 1-line block ×11, first 2 shown]
	ds_read_b128 v[144:147], v2 offset:1328
	ds_read_b128 v[148:151], v2 offset:1344
	;; [unrolled: 1-line block ×3, first 2 shown]
	s_waitcnt vmcnt(30) lgkmcnt(14)
	v_mul_f64 v[0:1], v[156:157], v[134:135]
	s_waitcnt vmcnt(29)
	v_mul_f64 v[108:109], v[172:173], v[162:163]
	v_fmac_f64_e32 v[0:1], v[158:159], v[132:133]
	s_waitcnt vmcnt(28)
	v_mul_f64 v[110:111], v[232:233], v[166:167]
	v_fmac_f64_e32 v[108:109], v[174:175], v[160:161]
	v_add_f64 v[0:1], v[0:1], 0
	s_waitcnt vmcnt(27)
	v_mul_f64 v[112:113], v[228:229], v[170:171]
	v_fmac_f64_e32 v[110:111], v[234:235], v[164:165]
	v_add_f64 v[0:1], v[0:1], v[108:109]
	;; [unrolled: 4-line block ×4, first 2 shown]
	s_waitcnt vmcnt(24) lgkmcnt(13)
	v_mul_f64 v[118:119], v[224:225], v[190:191]
	v_fmac_f64_e32 v[116:117], v[186:187], v[180:181]
	v_add_f64 v[0:1], v[0:1], v[114:115]
	s_waitcnt vmcnt(23) lgkmcnt(12)
	v_mul_f64 v[120:121], v[196:197], v[194:195]
	v_fmac_f64_e32 v[118:119], v[226:227], v[188:189]
	v_add_f64 v[0:1], v[0:1], v[116:117]
	;; [unrolled: 4-line block ×9, first 2 shown]
	v_fmac_f64_e32 v[138:139], v[58:59], v[16:17]
	v_add_f64 v[0:1], v[0:1], v[136:137]
	v_add_f64 v[0:1], v[0:1], v[138:139]
	ds_read_b128 v[136:139], v2 offset:1296
	s_waitcnt vmcnt(15) lgkmcnt(5)
	v_mul_f64 v[140:141], v[48:49], v[22:23]
	v_fmac_f64_e32 v[140:141], v[50:51], v[20:21]
	s_waitcnt vmcnt(14) lgkmcnt(4)
	v_mul_f64 v[112:113], v[44:45], v[26:27]
	scratch_load_dwordx4 v[108:111], off, off offset:704
	v_add_f64 v[0:1], v[0:1], v[140:141]
	v_fmac_f64_e32 v[112:113], v[46:47], v[24:25]
	v_add_f64 v[0:1], v[0:1], v[112:113]
	scratch_load_dwordx4 v[112:115], off, off offset:720
	ds_read_b128 v[140:143], v2 offset:1312
	s_waitcnt vmcnt(15) lgkmcnt(1)
	v_mul_f64 v[116:117], v[136:137], v[30:31]
	v_fmac_f64_e32 v[116:117], v[138:139], v[28:29]
	v_add_f64 v[0:1], v[0:1], v[116:117]
	scratch_load_dwordx4 v[116:119], off, off offset:736
	s_waitcnt vmcnt(15) lgkmcnt(0)
	v_mul_f64 v[120:121], v[140:141], v[34:35]
	v_fmac_f64_e32 v[120:121], v[142:143], v[32:33]
	s_waitcnt vmcnt(14)
	v_mul_f64 v[124:125], v[144:145], v[38:39]
	v_add_f64 v[0:1], v[0:1], v[120:121]
	scratch_load_dwordx4 v[120:123], off, off offset:752
	v_fmac_f64_e32 v[124:125], v[146:147], v[36:37]
	v_add_f64 v[0:1], v[0:1], v[124:125]
	s_waitcnt vmcnt(14)
	v_mul_f64 v[124:125], v[148:149], v[54:55]
	scratch_load_dwordx4 v[128:131], off, off offset:768
	v_fmac_f64_e32 v[124:125], v[150:151], v[52:53]
	v_add_f64 v[0:1], v[0:1], v[124:125]
	scratch_load_dwordx4 v[124:127], off, off offset:784
	v_mul_f64 v[134:135], v[158:159], v[134:135]
	v_fma_f64 v[240:241], v[156:157], v[132:133], -v[134:135]
	ds_read_b128 v[156:159], v2 offset:1376
	s_waitcnt vmcnt(15)
	v_mul_f64 v[132:133], v[152:153], v[70:71]
	v_fmac_f64_e32 v[132:133], v[154:155], v[68:69]
	v_add_f64 v[0:1], v[0:1], v[132:133]
	v_mul_f64 v[132:133], v[174:175], v[162:163]
	v_fma_f64 v[242:243], v[172:173], v[160:161], -v[132:133]
	scratch_load_dwordx4 v[132:135], off, off offset:800
	ds_read_b128 v[160:163], v2 offset:1392
	v_mul_f64 v[166:167], v[234:235], v[166:167]
	v_fma_f64 v[244:245], v[232:233], v[164:165], -v[166:167]
	ds_read_b128 v[164:167], v2 offset:1408
	s_waitcnt vmcnt(15) lgkmcnt(2)
	v_mul_f64 v[172:173], v[156:157], v[74:75]
	v_fmac_f64_e32 v[172:173], v[158:159], v[72:73]
	v_add_f64 v[0:1], v[0:1], v[172:173]
	s_waitcnt vmcnt(14) lgkmcnt(1)
	v_mul_f64 v[172:173], v[160:161], v[78:79]
	v_fmac_f64_e32 v[172:173], v[162:163], v[76:77]
	v_mul_f64 v[170:171], v[230:231], v[170:171]
	v_fma_f64 v[250:251], v[228:229], v[168:169], -v[170:171]
	ds_read_b128 v[168:171], v2 offset:1424
	v_add_f64 v[0:1], v[0:1], v[172:173]
	s_waitcnt vmcnt(13) lgkmcnt(1)
	v_mul_f64 v[172:173], v[164:165], v[82:83]
	v_fmac_f64_e32 v[172:173], v[166:167], v[80:81]
	v_add_f64 v[0:1], v[0:1], v[172:173]
	ds_read_b128 v[172:175], v2 offset:1440
	v_mul_f64 v[178:179], v[238:239], v[178:179]
	v_fma_f64 v[236:237], v[236:237], v[176:177], -v[178:179]
	ds_read_b128 v[176:179], v2 offset:1456
	s_waitcnt vmcnt(12) lgkmcnt(2)
	v_mul_f64 v[228:229], v[168:169], v[86:87]
	v_fmac_f64_e32 v[228:229], v[170:171], v[84:85]
	v_add_f64 v[0:1], v[0:1], v[228:229]
	s_waitcnt vmcnt(11) lgkmcnt(1)
	v_mul_f64 v[228:229], v[172:173], v[90:91]
	v_mul_f64 v[182:183], v[186:187], v[182:183]
	v_fmac_f64_e32 v[228:229], v[174:175], v[88:89]
	v_fma_f64 v[238:239], v[184:185], v[180:181], -v[182:183]
	ds_read_b128 v[180:183], v2 offset:1472
	s_waitcnt vmcnt(10) lgkmcnt(1)
	v_mul_f64 v[184:185], v[176:177], v[94:95]
	v_add_f64 v[0:1], v[0:1], v[228:229]
	v_fmac_f64_e32 v[184:185], v[178:179], v[92:93]
	v_add_f64 v[0:1], v[0:1], v[184:185]
	ds_read_b128 v[184:187], v2 offset:1488
	v_mul_f64 v[190:191], v[226:227], v[190:191]
	v_fma_f64 v[252:253], v[224:225], v[188:189], -v[190:191]
	ds_read_b128 v[188:191], v2 offset:1504
	s_waitcnt vmcnt(9) lgkmcnt(2)
	v_mul_f64 v[228:229], v[180:181], v[98:99]
	v_fmac_f64_e32 v[228:229], v[182:183], v[96:97]
	s_waitcnt vmcnt(8) lgkmcnt(1)
	v_mul_f64 v[224:225], v[184:185], v[102:103]
	v_mul_f64 v[194:195], v[198:199], v[194:195]
	v_add_f64 v[0:1], v[0:1], v[228:229]
	v_fmac_f64_e32 v[224:225], v[186:187], v[100:101]
	v_fma_f64 v[254:255], v[196:197], v[192:193], -v[194:195]
	s_waitcnt vmcnt(7) lgkmcnt(0)
	v_mul_f64 v[196:197], v[188:189], v[106:107]
	ds_read_b128 v[192:195], v2 offset:1520
	v_add_f64 v[0:1], v[0:1], v[224:225]
	v_fmac_f64_e32 v[196:197], v[190:191], v[104:105]
	v_add_f64 v[0:1], v[0:1], v[196:197]
	ds_read_b128 v[196:199], v2 offset:1536
	v_mul_f64 v[202:203], v[210:211], v[202:203]
	v_fma_f64 v[246:247], v[208:209], v[200:201], -v[202:203]
	ds_read_b128 v[200:203], v2 offset:1552
	s_waitcnt vmcnt(6) lgkmcnt(2)
	v_mul_f64 v[224:225], v[192:193], v[110:111]
	v_fmac_f64_e32 v[224:225], v[194:195], v[108:109]
	s_waitcnt vmcnt(5) lgkmcnt(1)
	v_mul_f64 v[208:209], v[196:197], v[114:115]
	v_add_f64 v[0:1], v[0:1], v[224:225]
	v_fmac_f64_e32 v[208:209], v[198:199], v[112:113]
	v_add_f64 v[208:209], v[0:1], v[208:209]
	v_mul_f64 v[0:1], v[222:223], v[206:207]
	v_fma_f64 v[0:1], v[220:221], v[204:205], -v[0:1]
	ds_read_b128 v[204:207], v2 offset:1568
	s_waitcnt vmcnt(4) lgkmcnt(1)
	v_mul_f64 v[210:211], v[200:201], v[118:119]
	v_fmac_f64_e32 v[210:211], v[202:203], v[116:117]
	v_add_f64 v[220:221], v[208:209], v[210:211]
	ds_read_b128 v[208:211], v2 offset:1584
	v_mul_f64 v[214:215], v[218:219], v[214:215]
	v_fma_f64 v[248:249], v[216:217], v[212:213], -v[214:215]
	ds_read_b128 v[212:215], v2 offset:1600
	s_waitcnt vmcnt(3) lgkmcnt(2)
	v_mul_f64 v[216:217], v[204:205], v[122:123]
	v_fmac_f64_e32 v[216:217], v[206:207], v[120:121]
	s_waitcnt vmcnt(2) lgkmcnt(1)
	v_mul_f64 v[218:219], v[208:209], v[130:131]
	v_add_f64 v[216:217], v[220:221], v[216:217]
	v_fmac_f64_e32 v[218:219], v[210:211], v[128:129]
	v_add_f64 v[216:217], v[216:217], v[218:219]
	s_waitcnt vmcnt(1) lgkmcnt(0)
	v_mul_f64 v[218:219], v[212:213], v[126:127]
	v_fmac_f64_e32 v[218:219], v[214:215], v[124:125]
	v_add_f64 v[220:221], v[216:217], v[218:219]
	ds_read_b128 v[216:219], v2 offset:1616
	ds_read_b128 v[224:227], v2 offset:1632
	scratch_load_dwordx4 v[232:235], off, off offset:832
	v_accvgpr_write_b32 a107, v1
	v_accvgpr_write_b32 a106, v0
	s_waitcnt vmcnt(1) lgkmcnt(1)
	v_mul_f64 v[222:223], v[216:217], v[134:135]
	v_fmac_f64_e32 v[222:223], v[218:219], v[132:133]
	v_add_f64 v[228:229], v[220:221], v[222:223]
	scratch_load_dwordx4 v[220:223], off, off offset:816
	v_mul_f64 v[6:7], v[42:43], v[6:7]
	v_fma_f64 v[4:5], v[40:41], v[4:5], -v[6:7]
	s_waitcnt vmcnt(0) lgkmcnt(0)
	v_mul_f64 v[230:231], v[224:225], v[222:223]
	v_fmac_f64_e32 v[230:231], v[226:227], v[220:221]
	v_add_f64 v[0:1], v[228:229], v[230:231]
	ds_read_b128 v[228:231], v2 offset:1648
	s_waitcnt lgkmcnt(0)
	v_mul_f64 v[2:3], v[228:229], v[234:235]
	v_fmac_f64_e32 v[2:3], v[230:231], v[232:233]
	v_add_f64 v[2:3], v[0:1], v[2:3]
	v_add_f64 v[0:1], v[240:241], 0
	;; [unrolled: 1-line block ×7, first 2 shown]
	scratch_load_dwordx4 v[236:239], off, off offset:192
	v_add_f64 v[0:1], v[0:1], v[252:253]
	v_add_f64 v[0:1], v[0:1], v[254:255]
	;; [unrolled: 1-line block ×3, first 2 shown]
	v_accvgpr_read_b32 v0, a106
	v_accvgpr_read_b32 v1, a107
	v_add_f64 v[0:1], v[250:251], v[0:1]
	v_add_f64 v[0:1], v[0:1], v[248:249]
	;; [unrolled: 1-line block ×3, first 2 shown]
	v_mul_f64 v[4:5], v[66:67], v[10:11]
	v_fma_f64 v[4:5], v[64:65], v[8:9], -v[4:5]
	v_add_f64 v[0:1], v[0:1], v[4:5]
	v_mul_f64 v[4:5], v[62:63], v[14:15]
	v_fma_f64 v[4:5], v[60:61], v[12:13], -v[4:5]
	v_add_f64 v[0:1], v[0:1], v[4:5]
	;; [unrolled: 3-line block ×28, first 2 shown]
	s_waitcnt vmcnt(0)
	v_add_f64 v[4:5], v[236:237], -v[0:1]
	v_accvgpr_read_b32 v0, a104
	v_add_f64 v[6:7], v[238:239], -v[2:3]
	v_cmp_lt_u32_e32 vcc, 10, v0
	scratch_store_dwordx4 off, v[4:7], off offset:192
	s_and_saveexec_b64 s[0:1], vcc
	s_cbranch_execz .LBB115_305
; %bb.304:
	scratch_load_dwordx4 v[2:5], off, s58
	v_mov_b32_e32 v6, 0
	v_mov_b32_e32 v7, v6
	;; [unrolled: 1-line block ×4, first 2 shown]
	v_accvgpr_read_b32 v0, a105
	scratch_store_dwordx4 off, v[6:9], off offset:176
	s_waitcnt vmcnt(1)
	ds_write_b128 v0, v[2:5]
.LBB115_305:
	s_or_b64 exec, exec, s[0:1]
	s_waitcnt lgkmcnt(0)
	; wave barrier
	scratch_load_dwordx4 v[112:115], off, off offset:192
	scratch_load_dwordx4 v[116:119], off, off offset:208
	;; [unrolled: 1-line block ×30, first 2 shown]
	v_mov_b32_e32 v2, 0
	ds_read_b128 v[144:147], v2 offset:1008
	ds_read_b128 v[156:159], v2 offset:1024
	;; [unrolled: 1-line block ×20, first 2 shown]
	s_waitcnt vmcnt(29) lgkmcnt(14)
	v_mul_f64 v[0:1], v[144:145], v[114:115]
	s_waitcnt vmcnt(28)
	v_mul_f64 v[88:89], v[156:157], v[118:119]
	v_fmac_f64_e32 v[0:1], v[146:147], v[112:113]
	s_waitcnt vmcnt(27)
	v_mul_f64 v[90:91], v[168:169], v[122:123]
	v_fmac_f64_e32 v[88:89], v[158:159], v[116:117]
	v_add_f64 v[0:1], v[0:1], 0
	s_waitcnt vmcnt(26)
	v_mul_f64 v[92:93], v[180:181], v[154:155]
	v_fmac_f64_e32 v[90:91], v[170:171], v[120:121]
	v_add_f64 v[0:1], v[0:1], v[88:89]
	;; [unrolled: 4-line block ×4, first 2 shown]
	s_waitcnt vmcnt(23) lgkmcnt(13)
	v_mul_f64 v[98:99], v[212:213], v[174:175]
	v_fmac_f64_e32 v[96:97], v[206:207], v[164:165]
	v_add_f64 v[0:1], v[0:1], v[94:95]
	s_waitcnt vmcnt(22) lgkmcnt(12)
	v_mul_f64 v[100:101], v[216:217], v[178:179]
	v_fmac_f64_e32 v[98:99], v[214:215], v[172:173]
	v_add_f64 v[0:1], v[0:1], v[96:97]
	;; [unrolled: 4-line block ×9, first 2 shown]
	v_fmac_f64_e32 v[126:127], v[82:83], v[8:9]
	v_add_f64 v[0:1], v[0:1], v[124:125]
	scratch_load_dwordx4 v[88:91], off, off offset:672
	s_waitcnt vmcnt(15) lgkmcnt(4)
	v_mul_f64 v[128:129], v[76:77], v[236:237]
	v_add_f64 v[0:1], v[0:1], v[126:127]
	ds_read_b128 v[124:127], v2 offset:1280
	v_fmac_f64_e32 v[128:129], v[78:79], v[234:235]
	v_add_f64 v[0:1], v[0:1], v[128:129]
	ds_read_b128 v[128:131], v2 offset:1296
	s_waitcnt vmcnt(14) lgkmcnt(5)
	v_mul_f64 v[92:93], v[72:73], v[18:19]
	v_fmac_f64_e32 v[92:93], v[74:75], v[16:17]
	v_add_f64 v[0:1], v[0:1], v[92:93]
	s_waitcnt vmcnt(13) lgkmcnt(1)
	v_mul_f64 v[96:97], v[124:125], v[22:23]
	scratch_load_dwordx4 v[92:95], off, off offset:688
	v_fmac_f64_e32 v[96:97], v[126:127], v[20:21]
	v_add_f64 v[0:1], v[0:1], v[96:97]
	s_waitcnt vmcnt(13) lgkmcnt(0)
	v_mul_f64 v[100:101], v[128:129], v[26:27]
	scratch_load_dwordx4 v[96:99], off, off offset:704
	v_fmac_f64_e32 v[100:101], v[130:131], v[24:25]
	v_add_f64 v[0:1], v[0:1], v[100:101]
	scratch_load_dwordx4 v[100:103], off, off offset:720
	s_waitcnt vmcnt(14)
	v_mul_f64 v[104:105], v[132:133], v[30:31]
	v_fmac_f64_e32 v[104:105], v[134:135], v[28:29]
	v_add_f64 v[0:1], v[0:1], v[104:105]
	s_waitcnt vmcnt(13)
	v_mul_f64 v[104:105], v[136:137], v[34:35]
	v_fmac_f64_e32 v[104:105], v[138:139], v[32:33]
	v_add_f64 v[0:1], v[0:1], v[104:105]
	scratch_load_dwordx4 v[104:107], off, off offset:736
	s_waitcnt vmcnt(13)
	v_mul_f64 v[108:109], v[140:141], v[38:39]
	v_fmac_f64_e32 v[108:109], v[142:143], v[36:37]
	v_add_f64 v[0:1], v[0:1], v[108:109]
	scratch_load_dwordx4 v[108:111], off, off offset:752
	v_mul_f64 v[114:115], v[146:147], v[114:115]
	v_fma_f64 v[240:241], v[144:145], v[112:113], -v[114:115]
	v_mul_f64 v[112:113], v[158:159], v[118:119]
	ds_read_b128 v[148:151], v2 offset:1360
	ds_read_b128 v[144:147], v2 offset:1376
	v_fma_f64 v[242:243], v[156:157], v[116:117], -v[112:113]
	scratch_load_dwordx4 v[116:119], off, off offset:768
	scratch_load_dwordx4 v[112:115], off, off offset:784
	v_mul_f64 v[122:123], v[170:171], v[122:123]
	v_fma_f64 v[244:245], v[168:169], v[120:121], -v[122:123]
	scratch_load_dwordx4 v[120:123], off, off offset:800
	s_waitcnt vmcnt(16) lgkmcnt(1)
	v_mul_f64 v[156:157], v[148:149], v[42:43]
	v_fmac_f64_e32 v[156:157], v[150:151], v[40:41]
	v_mul_f64 v[154:155], v[182:183], v[154:155]
	v_add_f64 v[0:1], v[0:1], v[156:157]
	v_fma_f64 v[254:255], v[180:181], v[152:153], -v[154:155]
	ds_read_b128 v[152:155], v2 offset:1392
	s_waitcnt vmcnt(15) lgkmcnt(1)
	v_mul_f64 v[156:157], v[144:145], v[46:47]
	v_fmac_f64_e32 v[156:157], v[146:147], v[44:45]
	v_add_f64 v[0:1], v[0:1], v[156:157]
	ds_read_b128 v[156:159], v2 offset:1408
	v_mul_f64 v[162:163], v[194:195], v[162:163]
	v_fma_f64 v[232:233], v[192:193], v[160:161], -v[162:163]
	ds_read_b128 v[160:163], v2 offset:1424
	s_waitcnt vmcnt(14) lgkmcnt(2)
	v_mul_f64 v[168:169], v[152:153], v[50:51]
	v_fmac_f64_e32 v[168:169], v[154:155], v[48:49]
	v_mul_f64 v[166:167], v[206:207], v[166:167]
	v_add_f64 v[0:1], v[0:1], v[168:169]
	s_waitcnt vmcnt(13) lgkmcnt(1)
	v_mul_f64 v[168:169], v[156:157], v[54:55]
	v_fma_f64 v[12:13], v[204:205], v[164:165], -v[166:167]
	ds_read_b128 v[164:167], v2 offset:1440
	v_accvgpr_write_b32 a109, v7
	v_fmac_f64_e32 v[168:169], v[158:159], v[52:53]
	v_accvgpr_write_b32 a108, v6
	v_accvgpr_write_b32 a107, v5
	;; [unrolled: 1-line block ×3, first 2 shown]
	v_add_f64 v[0:1], v[0:1], v[168:169]
	s_waitcnt vmcnt(12) lgkmcnt(1)
	v_mul_f64 v[6:7], v[160:161], v[58:59]
	ds_read_b128 v[168:171], v2 offset:1456
	v_fmac_f64_e32 v[6:7], v[162:163], v[56:57]
	v_accvgpr_write_b32 a113, v11
	v_add_f64 v[0:1], v[0:1], v[6:7]
	v_mul_f64 v[6:7], v[214:215], v[174:175]
	v_accvgpr_write_b32 a112, v10
	v_accvgpr_write_b32 a111, v9
	;; [unrolled: 1-line block ×3, first 2 shown]
	v_fma_f64 v[8:9], v[212:213], v[172:173], -v[6:7]
	s_waitcnt vmcnt(11) lgkmcnt(1)
	v_mul_f64 v[6:7], v[164:165], v[62:63]
	v_fmac_f64_e32 v[6:7], v[166:167], v[60:61]
	ds_read_b128 v[172:175], v2 offset:1472
	v_add_f64 v[0:1], v[0:1], v[6:7]
	s_waitcnt vmcnt(10) lgkmcnt(1)
	v_mul_f64 v[6:7], v[168:169], v[66:67]
	v_fmac_f64_e32 v[6:7], v[170:171], v[64:65]
	v_add_f64 v[0:1], v[0:1], v[6:7]
	v_mul_f64 v[6:7], v[218:219], v[178:179]
	v_fma_f64 v[10:11], v[216:217], v[176:177], -v[6:7]
	ds_read_b128 v[176:179], v2 offset:1488
	ds_read_b128 v[180:183], v2 offset:1504
	s_waitcnt vmcnt(9) lgkmcnt(2)
	v_mul_f64 v[6:7], v[172:173], v[70:71]
	v_fmac_f64_e32 v[6:7], v[174:175], v[68:69]
	v_add_f64 v[0:1], v[0:1], v[6:7]
	s_waitcnt vmcnt(8) lgkmcnt(1)
	v_mul_f64 v[6:7], v[176:177], v[90:91]
	v_fmac_f64_e32 v[6:7], v[178:179], v[88:89]
	v_add_f64 v[0:1], v[0:1], v[6:7]
	v_mul_f64 v[6:7], v[222:223], v[186:187]
	v_fma_f64 v[4:5], v[220:221], v[184:185], -v[6:7]
	ds_read_b128 v[184:187], v2 offset:1520
	v_mul_f64 v[6:7], v[226:227], v[190:191]
	v_fma_f64 v[6:7], v[224:225], v[188:189], -v[6:7]
	ds_read_b128 v[188:191], v2 offset:1536
	s_waitcnt vmcnt(7) lgkmcnt(2)
	v_mul_f64 v[14:15], v[180:181], v[94:95]
	v_fmac_f64_e32 v[14:15], v[182:183], v[92:93]
	v_add_f64 v[0:1], v[0:1], v[14:15]
	s_waitcnt vmcnt(6) lgkmcnt(1)
	v_mul_f64 v[14:15], v[184:185], v[98:99]
	v_fmac_f64_e32 v[14:15], v[186:187], v[96:97]
	v_add_f64 v[0:1], v[0:1], v[14:15]
	s_waitcnt vmcnt(5) lgkmcnt(0)
	v_mul_f64 v[14:15], v[188:189], v[102:103]
	ds_read_b128 v[192:195], v2 offset:1552
	v_fmac_f64_e32 v[14:15], v[190:191], v[100:101]
	v_add_f64 v[14:15], v[0:1], v[14:15]
	v_mul_f64 v[0:1], v[230:231], v[198:199]
	v_fma_f64 v[0:1], v[228:229], v[196:197], -v[0:1]
	ds_read_b128 v[196:199], v2 offset:1568
	v_mul_f64 v[202:203], v[248:249], v[202:203]
	s_waitcnt vmcnt(4) lgkmcnt(1)
	v_mul_f64 v[204:205], v[192:193], v[106:107]
	v_fma_f64 v[238:239], v[246:247], v[200:201], -v[202:203]
	ds_read_b128 v[200:203], v2 offset:1584
	v_fmac_f64_e32 v[204:205], v[194:195], v[104:105]
	v_add_f64 v[14:15], v[14:15], v[204:205]
	ds_read_b128 v[204:207], v2 offset:1600
	s_waitcnt vmcnt(3) lgkmcnt(2)
	v_mul_f64 v[212:213], v[196:197], v[110:111]
	v_mul_f64 v[210:211], v[252:253], v[210:211]
	v_fmac_f64_e32 v[212:213], v[198:199], v[108:109]
	v_fma_f64 v[246:247], v[250:251], v[208:209], -v[210:211]
	ds_read_b128 v[208:211], v2 offset:1616
	ds_read_b128 v[216:219], v2 offset:1632
	v_add_f64 v[14:15], v[14:15], v[212:213]
	s_waitcnt vmcnt(2) lgkmcnt(3)
	v_mul_f64 v[212:213], v[200:201], v[118:119]
	v_fmac_f64_e32 v[212:213], v[202:203], v[116:117]
	v_add_f64 v[14:15], v[14:15], v[212:213]
	s_waitcnt vmcnt(1) lgkmcnt(2)
	v_mul_f64 v[212:213], v[204:205], v[114:115]
	v_fmac_f64_e32 v[212:213], v[206:207], v[112:113]
	;; [unrolled: 4-line block ×3, first 2 shown]
	v_add_f64 v[14:15], v[14:15], v[212:213]
	scratch_load_dwordx4 v[212:215], off, off offset:816
	ds_read_b128 v[224:227], v2 offset:1648
	s_waitcnt vmcnt(0) lgkmcnt(1)
	v_mul_f64 v[220:221], v[216:217], v[214:215]
	v_fmac_f64_e32 v[220:221], v[218:219], v[212:213]
	v_add_f64 v[14:15], v[14:15], v[220:221]
	scratch_load_dwordx4 v[220:223], off, off offset:832
	s_waitcnt vmcnt(0) lgkmcnt(0)
	v_mul_f64 v[228:229], v[224:225], v[222:223]
	v_fmac_f64_e32 v[228:229], v[226:227], v[220:221]
	v_add_f64 v[250:251], v[14:15], v[228:229]
	scratch_load_dwordx4 v[228:231], off, off offset:176
	v_add_f64 v[14:15], v[240:241], 0
	v_add_f64 v[14:15], v[14:15], v[242:243]
	;; [unrolled: 1-line block ×10, first 2 shown]
	v_accvgpr_read_b32 v6, a106
	v_accvgpr_read_b32 v8, a108
	;; [unrolled: 1-line block ×3, first 2 shown]
	v_add_f64 v[0:1], v[4:5], v[0:1]
	v_accvgpr_read_b32 v7, a107
	v_mul_f64 v[4:5], v[86:87], v[8:9]
	v_add_f64 v[0:1], v[0:1], v[238:239]
	v_fma_f64 v[4:5], v[84:85], v[6:7], -v[4:5]
	v_accvgpr_read_b32 v6, a110
	v_add_f64 v[0:1], v[0:1], v[246:247]
	v_accvgpr_read_b32 v8, a112
	v_accvgpr_read_b32 v9, a113
	v_add_f64 v[0:1], v[0:1], v[4:5]
	v_accvgpr_read_b32 v7, a111
	v_mul_f64 v[4:5], v[82:83], v[8:9]
	v_fma_f64 v[4:5], v[80:81], v[6:7], -v[4:5]
	v_add_f64 v[0:1], v[0:1], v[4:5]
	v_mul_f64 v[4:5], v[78:79], v[236:237]
	v_fma_f64 v[4:5], v[76:77], v[234:235], -v[4:5]
	v_add_f64 v[0:1], v[0:1], v[4:5]
	;; [unrolled: 3-line block ×27, first 2 shown]
	s_waitcnt vmcnt(0)
	v_add_f64 v[4:5], v[228:229], -v[0:1]
	v_accvgpr_read_b32 v0, a104
	v_add_f64 v[6:7], v[230:231], -v[250:251]
	v_cmp_lt_u32_e32 vcc, 9, v0
	scratch_store_dwordx4 off, v[4:7], off offset:176
	s_and_saveexec_b64 s[0:1], vcc
	s_cbranch_execz .LBB115_307
; %bb.306:
	scratch_load_dwordx4 v[6:9], off, s59
	v_mov_b32_e32 v3, v2
	v_mov_b32_e32 v4, v2
	;; [unrolled: 1-line block ×3, first 2 shown]
	v_accvgpr_read_b32 v0, a105
	scratch_store_dwordx4 off, v[2:5], off offset:160
	s_waitcnt vmcnt(1)
	ds_write_b128 v0, v[6:9]
.LBB115_307:
	s_or_b64 exec, exec, s[0:1]
	s_waitcnt lgkmcnt(0)
	; wave barrier
	scratch_load_dwordx4 v[88:91], off, off offset:176
	scratch_load_dwordx4 v[92:95], off, off offset:192
	;; [unrolled: 1-line block ×17, first 2 shown]
	ds_read_b128 v[212:215], v2 offset:992
	ds_read_b128 v[204:207], v2 offset:1008
	;; [unrolled: 1-line block ×3, first 2 shown]
	scratch_load_dwordx4 v[20:23], off, off offset:448
	ds_read_b128 v[216:219], v2 offset:1040
	ds_read_b128 v[208:211], v2 offset:1056
	;; [unrolled: 1-line block ×5, first 2 shown]
	scratch_load_dwordx4 v[24:27], off, off offset:464
	ds_read_b128 v[180:183], v2 offset:1120
	ds_read_b128 v[160:163], v2 offset:1136
	;; [unrolled: 1-line block ×3, first 2 shown]
	scratch_load_dwordx4 v[28:31], off, off offset:480
	ds_read_b128 v[172:175], v2 offset:1168
	ds_read_b128 v[148:151], v2 offset:1184
	;; [unrolled: 1-line block ×5, first 2 shown]
	scratch_load_dwordx4 v[36:39], off, off offset:496
	ds_read_b128 v[48:51], v2 offset:1248
	scratch_load_dwordx4 v[52:55], off, off offset:512
	scratch_load_dwordx4 v[56:59], off, off offset:528
	;; [unrolled: 1-line block ×9, first 2 shown]
	ds_read_b128 v[140:143], v2 offset:1264
	ds_read_b128 v[232:235], v2 offset:1328
	;; [unrolled: 1-line block ×3, first 2 shown]
	s_waitcnt vmcnt(29) lgkmcnt(14)
	v_mul_f64 v[0:1], v[212:213], v[90:91]
	s_waitcnt vmcnt(28)
	v_mul_f64 v[152:153], v[204:205], v[94:95]
	v_fmac_f64_e32 v[0:1], v[214:215], v[88:89]
	s_waitcnt vmcnt(27)
	v_mul_f64 v[154:155], v[196:197], v[98:99]
	v_fmac_f64_e32 v[152:153], v[206:207], v[92:93]
	v_add_f64 v[0:1], v[0:1], 0
	s_waitcnt vmcnt(26)
	v_mul_f64 v[164:165], v[216:217], v[102:103]
	v_fmac_f64_e32 v[154:155], v[198:199], v[96:97]
	v_add_f64 v[0:1], v[0:1], v[152:153]
	;; [unrolled: 4-line block ×4, first 2 shown]
	s_waitcnt vmcnt(23) lgkmcnt(13)
	v_mul_f64 v[170:171], v[184:185], v[114:115]
	v_fmac_f64_e32 v[168:169], v[202:203], v[108:109]
	v_add_f64 v[0:1], v[0:1], v[166:167]
	s_waitcnt vmcnt(22) lgkmcnt(12)
	v_mul_f64 v[176:177], v[156:157], v[118:119]
	v_fmac_f64_e32 v[170:171], v[186:187], v[112:113]
	v_add_f64 v[0:1], v[0:1], v[168:169]
	;; [unrolled: 4-line block ×10, first 2 shown]
	v_fmac_f64_e32 v[224:225], v[34:35], v[12:13]
	v_add_f64 v[0:1], v[0:1], v[222:223]
	ds_read_b128 v[220:223], v2 offset:1280
	v_add_f64 v[0:1], v[0:1], v[224:225]
	ds_read_b128 v[224:227], v2 offset:1296
	s_waitcnt vmcnt(13) lgkmcnt(5)
	v_mul_f64 v[164:165], v[48:49], v[18:19]
	scratch_load_dwordx4 v[152:155], off, off offset:656
	v_fmac_f64_e32 v[164:165], v[50:51], v[16:17]
	s_waitcnt vmcnt(13) lgkmcnt(4)
	v_mul_f64 v[168:169], v[140:141], v[22:23]
	v_add_f64 v[0:1], v[0:1], v[164:165]
	v_fmac_f64_e32 v[168:169], v[142:143], v[20:21]
	scratch_load_dwordx4 v[164:167], off, off offset:672
	v_add_f64 v[0:1], v[0:1], v[168:169]
	s_waitcnt vmcnt(13) lgkmcnt(1)
	v_mul_f64 v[176:177], v[220:221], v[26:27]
	scratch_load_dwordx4 v[168:171], off, off offset:688
	v_fmac_f64_e32 v[176:177], v[222:223], v[24:25]
	s_waitcnt vmcnt(13) lgkmcnt(0)
	v_mul_f64 v[188:189], v[224:225], v[30:31]
	v_add_f64 v[0:1], v[0:1], v[176:177]
	scratch_load_dwordx4 v[176:179], off, off offset:704
	v_fmac_f64_e32 v[188:189], v[226:227], v[28:29]
	v_add_f64 v[0:1], v[0:1], v[188:189]
	s_waitcnt vmcnt(13)
	v_mul_f64 v[188:189], v[228:229], v[38:39]
	v_fmac_f64_e32 v[188:189], v[230:231], v[36:37]
	v_add_f64 v[0:1], v[0:1], v[188:189]
	scratch_load_dwordx4 v[188:191], off, off offset:720
	s_waitcnt vmcnt(13)
	v_mul_f64 v[192:193], v[232:233], v[54:55]
	v_fmac_f64_e32 v[192:193], v[234:235], v[52:53]
	v_mul_f64 v[90:91], v[214:215], v[90:91]
	v_add_f64 v[0:1], v[0:1], v[192:193]
	scratch_load_dwordx4 v[192:195], off, off offset:736
	v_fma_f64 v[240:241], v[212:213], v[88:89], -v[90:91]
	v_mul_f64 v[88:89], v[206:207], v[94:95]
	ds_read_b128 v[236:239], v2 offset:1344
	ds_read_b128 v[212:215], v2 offset:1360
	v_fma_f64 v[242:243], v[204:205], v[92:93], -v[88:89]
	scratch_load_dwordx4 v[92:95], off, off offset:752
	scratch_load_dwordx4 v[88:91], off, off offset:768
	v_mul_f64 v[98:99], v[198:199], v[98:99]
	v_fma_f64 v[244:245], v[196:197], v[96:97], -v[98:99]
	scratch_load_dwordx4 v[96:99], off, off offset:784
	s_waitcnt vmcnt(16) lgkmcnt(1)
	v_mul_f64 v[204:205], v[236:237], v[58:59]
	v_mul_f64 v[102:103], v[218:219], v[102:103]
	v_fmac_f64_e32 v[204:205], v[238:239], v[56:57]
	v_fma_f64 v[216:217], v[216:217], v[100:101], -v[102:103]
	ds_read_b128 v[100:103], v2 offset:1376
	s_waitcnt vmcnt(15) lgkmcnt(1)
	v_mul_f64 v[196:197], v[212:213], v[62:63]
	v_add_f64 v[0:1], v[0:1], v[204:205]
	v_fmac_f64_e32 v[196:197], v[214:215], v[60:61]
	v_add_f64 v[0:1], v[0:1], v[196:197]
	ds_read_b128 v[196:199], v2 offset:1392
	v_mul_f64 v[106:107], v[210:211], v[106:107]
	v_fma_f64 v[218:219], v[208:209], v[104:105], -v[106:107]
	ds_read_b128 v[104:107], v2 offset:1408
	s_waitcnt vmcnt(14) lgkmcnt(2)
	v_mul_f64 v[204:205], v[100:101], v[66:67]
	v_fmac_f64_e32 v[204:205], v[102:103], v[64:65]
	v_add_f64 v[0:1], v[0:1], v[204:205]
	s_waitcnt vmcnt(13) lgkmcnt(1)
	v_mul_f64 v[204:205], v[196:197], v[70:71]
	v_mul_f64 v[110:111], v[202:203], v[110:111]
	v_fmac_f64_e32 v[204:205], v[198:199], v[68:69]
	v_fma_f64 v[250:251], v[200:201], v[108:109], -v[110:111]
	ds_read_b128 v[108:111], v2 offset:1424
	s_waitcnt vmcnt(12) lgkmcnt(1)
	v_mul_f64 v[200:201], v[104:105], v[74:75]
	v_add_f64 v[0:1], v[0:1], v[204:205]
	v_fmac_f64_e32 v[200:201], v[106:107], v[72:73]
	v_add_f64 v[0:1], v[0:1], v[200:201]
	ds_read_b128 v[200:203], v2 offset:1440
	v_mul_f64 v[114:115], v[186:187], v[114:115]
	v_fma_f64 v[252:253], v[184:185], v[112:113], -v[114:115]
	ds_read_b128 v[112:115], v2 offset:1456
	s_waitcnt vmcnt(11) lgkmcnt(2)
	v_mul_f64 v[184:185], v[108:109], v[78:79]
	v_fmac_f64_e32 v[184:185], v[110:111], v[76:77]
	v_add_f64 v[0:1], v[0:1], v[184:185]
	s_waitcnt vmcnt(10) lgkmcnt(1)
	v_mul_f64 v[184:185], v[200:201], v[82:83]
	v_mul_f64 v[118:119], v[158:159], v[118:119]
	v_fmac_f64_e32 v[184:185], v[202:203], v[80:81]
	v_fma_f64 v[254:255], v[156:157], v[116:117], -v[118:119]
	s_waitcnt vmcnt(9) lgkmcnt(0)
	v_mul_f64 v[156:157], v[112:113], v[86:87]
	v_add_f64 v[0:1], v[0:1], v[184:185]
	ds_read_b128 v[116:119], v2 offset:1472
	v_fmac_f64_e32 v[156:157], v[114:115], v[84:85]
	v_add_f64 v[0:1], v[0:1], v[156:157]
	ds_read_b128 v[156:159], v2 offset:1488
	v_mul_f64 v[122:123], v[182:183], v[122:123]
	v_fma_f64 v[246:247], v[180:181], v[120:121], -v[122:123]
	ds_read_b128 v[120:123], v2 offset:1504
	v_accvgpr_write_b32 a109, v7
	v_mul_f64 v[126:127], v[162:163], v[126:127]
	v_accvgpr_write_b32 a108, v6
	v_accvgpr_write_b32 a107, v5
	;; [unrolled: 1-line block ×3, first 2 shown]
	v_fma_f64 v[4:5], v[160:161], v[124:125], -v[126:127]
	ds_read_b128 v[124:127], v2 offset:1520
	s_waitcnt vmcnt(8) lgkmcnt(3)
	v_mul_f64 v[184:185], v[116:117], v[154:155]
	v_fmac_f64_e32 v[184:185], v[118:119], v[152:153]
	s_waitcnt vmcnt(7) lgkmcnt(2)
	v_mul_f64 v[180:181], v[156:157], v[166:167]
	v_add_f64 v[0:1], v[0:1], v[184:185]
	v_fmac_f64_e32 v[180:181], v[158:159], v[164:165]
	s_waitcnt vmcnt(6) lgkmcnt(1)
	v_mul_f64 v[6:7], v[120:121], v[170:171]
	ds_read_b128 v[160:163], v2 offset:1536
	v_add_f64 v[0:1], v[0:1], v[180:181]
	v_fmac_f64_e32 v[6:7], v[122:123], v[168:169]
	v_add_f64 v[0:1], v[0:1], v[6:7]
	s_waitcnt vmcnt(5) lgkmcnt(1)
	v_mul_f64 v[6:7], v[124:125], v[178:179]
	v_fmac_f64_e32 v[6:7], v[126:127], v[176:177]
	v_add_f64 v[0:1], v[0:1], v[6:7]
	v_mul_f64 v[6:7], v[146:147], v[130:131]
	v_fma_f64 v[6:7], v[144:145], v[128:129], -v[6:7]
	ds_read_b128 v[128:131], v2 offset:1552
	s_waitcnt vmcnt(4) lgkmcnt(1)
	v_mul_f64 v[144:145], v[160:161], v[190:191]
	v_fmac_f64_e32 v[144:145], v[162:163], v[188:189]
	v_add_f64 v[180:181], v[0:1], v[144:145]
	v_mul_f64 v[0:1], v[174:175], v[134:135]
	v_fma_f64 v[0:1], v[172:173], v[132:133], -v[0:1]
	ds_read_b128 v[132:135], v2 offset:1568
	ds_read_b128 v[144:147], v2 offset:1584
	v_mul_f64 v[138:139], v[150:151], v[138:139]
	v_fma_f64 v[248:249], v[148:149], v[136:137], -v[138:139]
	ds_read_b128 v[136:139], v2 offset:1600
	s_waitcnt vmcnt(3) lgkmcnt(3)
	v_mul_f64 v[172:173], v[128:129], v[194:195]
	v_fmac_f64_e32 v[172:173], v[130:131], v[192:193]
	s_waitcnt vmcnt(2) lgkmcnt(2)
	v_mul_f64 v[148:149], v[132:133], v[94:95]
	v_add_f64 v[172:173], v[180:181], v[172:173]
	v_fmac_f64_e32 v[148:149], v[134:135], v[92:93]
	s_waitcnt vmcnt(1) lgkmcnt(1)
	v_mul_f64 v[150:151], v[144:145], v[90:91]
	v_add_f64 v[148:149], v[172:173], v[148:149]
	v_fmac_f64_e32 v[150:151], v[146:147], v[88:89]
	v_add_f64 v[148:149], v[148:149], v[150:151]
	ds_read_b128 v[172:175], v2 offset:1616
	scratch_load_dwordx4 v[208:211], off, off offset:832
	s_waitcnt vmcnt(1) lgkmcnt(1)
	v_mul_f64 v[150:151], v[136:137], v[98:99]
	v_fmac_f64_e32 v[150:151], v[138:139], v[96:97]
	v_add_f64 v[180:181], v[148:149], v[150:151]
	scratch_load_dwordx4 v[148:151], off, off offset:800
	ds_read_b128 v[184:187], v2 offset:1632
	v_accvgpr_write_b32 a111, v1
	v_accvgpr_write_b32 a110, v0
	s_waitcnt vmcnt(0) lgkmcnt(1)
	v_mul_f64 v[182:183], v[172:173], v[150:151]
	v_fmac_f64_e32 v[182:183], v[174:175], v[148:149]
	v_add_f64 v[204:205], v[180:181], v[182:183]
	scratch_load_dwordx4 v[180:183], off, off offset:816
	s_waitcnt vmcnt(0) lgkmcnt(0)
	v_mul_f64 v[206:207], v[184:185], v[182:183]
	v_fmac_f64_e32 v[206:207], v[186:187], v[180:181]
	v_add_f64 v[0:1], v[204:205], v[206:207]
	ds_read_b128 v[204:207], v2 offset:1648
	s_waitcnt lgkmcnt(0)
	v_mul_f64 v[2:3], v[204:205], v[210:211]
	v_fmac_f64_e32 v[2:3], v[206:207], v[208:209]
	v_add_f64 v[2:3], v[0:1], v[2:3]
	v_add_f64 v[0:1], v[240:241], 0
	v_add_f64 v[0:1], v[0:1], v[242:243]
	v_add_f64 v[0:1], v[0:1], v[244:245]
	v_add_f64 v[0:1], v[0:1], v[216:217]
	v_add_f64 v[0:1], v[0:1], v[218:219]
	scratch_load_dwordx4 v[216:219], off, off offset:160
	v_add_f64 v[0:1], v[0:1], v[250:251]
	v_add_f64 v[0:1], v[0:1], v[252:253]
	v_add_f64 v[0:1], v[0:1], v[254:255]
	v_add_f64 v[0:1], v[0:1], v[246:247]
	v_add_f64 v[0:1], v[0:1], v[4:5]
	v_add_f64 v[250:251], v[0:1], v[6:7]
	v_accvgpr_read_b32 v0, a110
	v_accvgpr_read_b32 v243, a109
	;; [unrolled: 1-line block ×4, first 2 shown]
	v_add_f64 v[0:1], v[250:251], v[0:1]
	v_accvgpr_read_b32 v241, a107
	v_accvgpr_read_b32 v240, a106
	v_mul_f64 v[4:5], v[46:47], v[242:243]
	v_add_f64 v[0:1], v[0:1], v[248:249]
	v_fma_f64 v[4:5], v[44:45], v[240:241], -v[4:5]
	v_add_f64 v[0:1], v[0:1], v[4:5]
	v_mul_f64 v[4:5], v[42:43], v[10:11]
	v_fma_f64 v[4:5], v[40:41], v[8:9], -v[4:5]
	v_add_f64 v[0:1], v[0:1], v[4:5]
	v_mul_f64 v[4:5], v[34:35], v[14:15]
	;; [unrolled: 3-line block ×28, first 2 shown]
	v_fma_f64 v[4:5], v[204:205], v[208:209], -v[4:5]
	v_add_f64 v[0:1], v[0:1], v[4:5]
	s_waitcnt vmcnt(0)
	v_add_f64 v[4:5], v[216:217], -v[0:1]
	v_accvgpr_read_b32 v0, a104
	v_add_f64 v[6:7], v[218:219], -v[2:3]
	v_cmp_lt_u32_e32 vcc, 8, v0
	scratch_store_dwordx4 off, v[4:7], off offset:160
	s_and_saveexec_b64 s[0:1], vcc
	s_cbranch_execz .LBB115_309
; %bb.308:
	scratch_load_dwordx4 v[2:5], off, s60
	v_mov_b32_e32 v6, 0
	v_mov_b32_e32 v7, v6
	;; [unrolled: 1-line block ×4, first 2 shown]
	v_accvgpr_read_b32 v0, a105
	scratch_store_dwordx4 off, v[6:9], off offset:144
	s_waitcnt vmcnt(1)
	ds_write_b128 v0, v[2:5]
.LBB115_309:
	s_or_b64 exec, exec, s[0:1]
	s_waitcnt lgkmcnt(0)
	; wave barrier
	scratch_load_dwordx4 v[96:99], off, off offset:160
	scratch_load_dwordx4 v[100:103], off, off offset:176
	;; [unrolled: 1-line block ×30, first 2 shown]
	v_mov_b32_e32 v2, 0
	ds_read_b128 v[136:139], v2 offset:976
	ds_read_b128 v[144:147], v2 offset:992
	;; [unrolled: 1-line block ×20, first 2 shown]
	s_waitcnt vmcnt(29) lgkmcnt(14)
	v_mul_f64 v[0:1], v[136:137], v[98:99]
	s_waitcnt vmcnt(28)
	v_mul_f64 v[72:73], v[144:145], v[102:103]
	v_fmac_f64_e32 v[0:1], v[138:139], v[96:97]
	s_waitcnt vmcnt(27)
	v_mul_f64 v[74:75], v[148:149], v[106:107]
	v_fmac_f64_e32 v[72:73], v[146:147], v[100:101]
	v_add_f64 v[0:1], v[0:1], 0
	s_waitcnt vmcnt(26)
	v_mul_f64 v[76:77], v[164:165], v[110:111]
	v_fmac_f64_e32 v[74:75], v[150:151], v[104:105]
	v_add_f64 v[0:1], v[0:1], v[72:73]
	;; [unrolled: 4-line block ×4, first 2 shown]
	s_waitcnt vmcnt(23) lgkmcnt(13)
	v_mul_f64 v[82:83], v[200:201], v[158:159]
	v_fmac_f64_e32 v[80:81], v[190:191], v[152:153]
	v_add_f64 v[0:1], v[0:1], v[78:79]
	s_waitcnt vmcnt(22) lgkmcnt(12)
	v_mul_f64 v[84:85], v[208:209], v[162:163]
	v_fmac_f64_e32 v[82:83], v[202:203], v[156:157]
	v_add_f64 v[0:1], v[0:1], v[80:81]
	;; [unrolled: 4-line block ×9, first 2 shown]
	s_waitcnt vmcnt(14) lgkmcnt(4)
	v_mul_f64 v[120:121], v[68:69], v[6:7]
	v_fmac_f64_e32 v[118:119], v[252:253], v[204:205]
	v_accvgpr_write_b32 a109, v7
	v_add_f64 v[0:1], v[0:1], v[116:117]
	v_fmac_f64_e32 v[120:121], v[70:71], v[4:5]
	v_accvgpr_write_b32 a108, v6
	v_accvgpr_write_b32 a107, v5
	;; [unrolled: 1-line block ×3, first 2 shown]
	v_add_f64 v[0:1], v[0:1], v[118:119]
	ds_read_b128 v[116:119], v2 offset:1248
	s_waitcnt vmcnt(13)
	v_mov_b64_e32 v[4:5], v[8:9]
	v_mov_b64_e32 v[6:7], v[10:11]
	s_waitcnt lgkmcnt(4)
	v_mul_f64 v[76:77], v[64:65], v[6:7]
	scratch_load_dwordx4 v[72:75], off, off offset:640
	v_add_f64 v[0:1], v[0:1], v[120:121]
	v_fmac_f64_e32 v[76:77], v[66:67], v[4:5]
	s_waitcnt vmcnt(13)
	v_mov_b64_e32 v[4:5], v[12:13]
	v_add_f64 v[0:1], v[0:1], v[76:77]
	v_mov_b64_e32 v[6:7], v[14:15]
	scratch_load_dwordx4 v[76:79], off, off offset:656
	ds_read_b128 v[120:123], v2 offset:1264
	s_waitcnt lgkmcnt(1)
	v_mul_f64 v[80:81], v[116:117], v[6:7]
	v_fmac_f64_e32 v[80:81], v[118:119], v[4:5]
	v_add_f64 v[0:1], v[0:1], v[80:81]
	scratch_load_dwordx4 v[80:83], off, off offset:672
	s_waitcnt vmcnt(14) lgkmcnt(0)
	v_mul_f64 v[84:85], v[120:121], v[236:237]
	v_fmac_f64_e32 v[84:85], v[122:123], v[234:235]
	s_waitcnt vmcnt(13)
	v_mul_f64 v[88:89], v[124:125], v[22:23]
	v_add_f64 v[0:1], v[0:1], v[84:85]
	v_fmac_f64_e32 v[88:89], v[126:127], v[20:21]
	scratch_load_dwordx4 v[84:87], off, off offset:688
	v_add_f64 v[0:1], v[0:1], v[88:89]
	s_waitcnt vmcnt(13)
	v_mul_f64 v[88:89], v[128:129], v[26:27]
	v_fmac_f64_e32 v[88:89], v[130:131], v[24:25]
	v_add_f64 v[0:1], v[0:1], v[88:89]
	scratch_load_dwordx4 v[88:91], off, off offset:704
	s_waitcnt vmcnt(13)
	v_mul_f64 v[92:93], v[132:133], v[30:31]
	v_fmac_f64_e32 v[92:93], v[134:135], v[28:29]
	v_add_f64 v[0:1], v[0:1], v[92:93]
	scratch_load_dwordx4 v[92:95], off, off offset:720
	v_mul_f64 v[98:99], v[138:139], v[98:99]
	v_fma_f64 v[240:241], v[136:137], v[96:97], -v[98:99]
	v_mul_f64 v[96:97], v[146:147], v[102:103]
	ds_read_b128 v[140:143], v2 offset:1328
	ds_read_b128 v[136:139], v2 offset:1344
	v_fma_f64 v[242:243], v[144:145], v[100:101], -v[96:97]
	scratch_load_dwordx4 v[100:103], off, off offset:736
	scratch_load_dwordx4 v[96:99], off, off offset:752
	s_waitcnt vmcnt(15) lgkmcnt(1)
	v_mul_f64 v[144:145], v[140:141], v[34:35]
	v_fmac_f64_e32 v[144:145], v[142:143], v[32:33]
	v_mul_f64 v[106:107], v[150:151], v[106:107]
	v_add_f64 v[0:1], v[0:1], v[144:145]
	s_waitcnt vmcnt(14) lgkmcnt(0)
	v_mul_f64 v[144:145], v[136:137], v[38:39]
	v_fma_f64 v[244:245], v[148:149], v[104:105], -v[106:107]
	v_mul_f64 v[104:105], v[166:167], v[110:111]
	v_fmac_f64_e32 v[144:145], v[138:139], v[36:37]
	v_fma_f64 v[254:255], v[164:165], v[108:109], -v[104:105]
	scratch_load_dwordx4 v[104:107], off, off offset:768
	v_add_f64 v[0:1], v[0:1], v[144:145]
	ds_read_b128 v[144:147], v2 offset:1360
	ds_read_b128 v[148:151], v2 offset:1376
	v_mul_f64 v[108:109], v[178:179], v[114:115]
	v_fma_f64 v[232:233], v[176:177], v[112:113], -v[108:109]
	scratch_load_dwordx4 v[108:111], off, off offset:784
	s_waitcnt vmcnt(15) lgkmcnt(1)
	v_mul_f64 v[112:113], v[144:145], v[42:43]
	v_fmac_f64_e32 v[112:113], v[146:147], v[40:41]
	v_add_f64 v[0:1], v[0:1], v[112:113]
	v_mul_f64 v[112:113], v[190:191], v[154:155]
	v_fma_f64 v[16:17], v[188:189], v[152:153], -v[112:113]
	scratch_load_dwordx4 v[112:115], off, off offset:800
	ds_read_b128 v[152:155], v2 offset:1392
	s_waitcnt vmcnt(15) lgkmcnt(1)
	v_mul_f64 v[6:7], v[148:149], v[46:47]
	v_fmac_f64_e32 v[6:7], v[150:151], v[44:45]
	v_accvgpr_write_b32 a117, v15
	v_add_f64 v[0:1], v[0:1], v[6:7]
	v_mul_f64 v[6:7], v[202:203], v[158:159]
	v_accvgpr_write_b32 a116, v14
	v_accvgpr_write_b32 a115, v13
	;; [unrolled: 1-line block ×3, first 2 shown]
	v_fma_f64 v[12:13], v[200:201], v[156:157], -v[6:7]
	ds_read_b128 v[156:159], v2 offset:1408
	s_waitcnt vmcnt(14) lgkmcnt(1)
	v_mul_f64 v[6:7], v[152:153], v[50:51]
	v_fmac_f64_e32 v[6:7], v[154:155], v[48:49]
	v_accvgpr_write_b32 a113, v11
	v_add_f64 v[0:1], v[0:1], v[6:7]
	v_mul_f64 v[6:7], v[210:211], v[162:163]
	v_accvgpr_write_b32 a112, v10
	v_accvgpr_write_b32 a111, v9
	;; [unrolled: 1-line block ×3, first 2 shown]
	v_fma_f64 v[10:11], v[208:209], v[160:161], -v[6:7]
	ds_read_b128 v[160:163], v2 offset:1424
	ds_read_b128 v[164:167], v2 offset:1440
	s_waitcnt vmcnt(13) lgkmcnt(2)
	v_mul_f64 v[6:7], v[156:157], v[54:55]
	v_fmac_f64_e32 v[6:7], v[158:159], v[52:53]
	v_add_f64 v[0:1], v[0:1], v[6:7]
	s_waitcnt vmcnt(12) lgkmcnt(1)
	v_mul_f64 v[6:7], v[160:161], v[62:63]
	v_fmac_f64_e32 v[6:7], v[162:163], v[60:61]
	v_add_f64 v[0:1], v[0:1], v[6:7]
	v_mul_f64 v[6:7], v[214:215], v[170:171]
	v_fma_f64 v[8:9], v[212:213], v[168:169], -v[6:7]
	s_waitcnt vmcnt(11) lgkmcnt(0)
	v_mul_f64 v[6:7], v[164:165], v[58:59]
	v_fmac_f64_e32 v[6:7], v[166:167], v[56:57]
	ds_read_b128 v[168:171], v2 offset:1456
	v_add_f64 v[0:1], v[0:1], v[6:7]
	v_mul_f64 v[6:7], v[218:219], v[174:175]
	v_fma_f64 v[14:15], v[216:217], v[172:173], -v[6:7]
	ds_read_b128 v[172:175], v2 offset:1472
	s_waitcnt vmcnt(10) lgkmcnt(1)
	v_mul_f64 v[6:7], v[168:169], v[74:75]
	ds_read_b128 v[176:179], v2 offset:1488
	v_fmac_f64_e32 v[6:7], v[170:171], v[72:73]
	v_add_f64 v[0:1], v[0:1], v[6:7]
	s_waitcnt vmcnt(9) lgkmcnt(1)
	v_mul_f64 v[6:7], v[172:173], v[78:79]
	v_fmac_f64_e32 v[6:7], v[174:175], v[76:77]
	v_add_f64 v[0:1], v[0:1], v[6:7]
	v_mul_f64 v[6:7], v[222:223], v[182:183]
	v_fma_f64 v[4:5], v[220:221], v[180:181], -v[6:7]
	ds_read_b128 v[180:183], v2 offset:1504
	s_waitcnt vmcnt(8) lgkmcnt(1)
	v_mul_f64 v[6:7], v[176:177], v[82:83]
	v_fmac_f64_e32 v[6:7], v[178:179], v[80:81]
	v_add_f64 v[0:1], v[0:1], v[6:7]
	v_mul_f64 v[6:7], v[226:227], v[186:187]
	v_fma_f64 v[6:7], v[224:225], v[184:185], -v[6:7]
	ds_read_b128 v[184:187], v2 offset:1520
	ds_read_b128 v[188:191], v2 offset:1536
	s_waitcnt vmcnt(7) lgkmcnt(2)
	v_mul_f64 v[18:19], v[180:181], v[86:87]
	v_fmac_f64_e32 v[18:19], v[182:183], v[84:85]
	v_add_f64 v[0:1], v[0:1], v[18:19]
	s_waitcnt vmcnt(6) lgkmcnt(1)
	v_mul_f64 v[18:19], v[184:185], v[90:91]
	v_fmac_f64_e32 v[18:19], v[186:187], v[88:89]
	v_add_f64 v[18:19], v[0:1], v[18:19]
	v_mul_f64 v[0:1], v[230:231], v[194:195]
	v_fma_f64 v[0:1], v[228:229], v[192:193], -v[0:1]
	ds_read_b128 v[192:195], v2 offset:1552
	s_waitcnt vmcnt(5) lgkmcnt(1)
	v_mul_f64 v[200:201], v[188:189], v[94:95]
	v_fmac_f64_e32 v[200:201], v[190:191], v[92:93]
	v_mul_f64 v[198:199], v[248:249], v[198:199]
	v_fma_f64 v[238:239], v[246:247], v[196:197], -v[198:199]
	ds_read_b128 v[196:199], v2 offset:1568
	v_add_f64 v[18:19], v[18:19], v[200:201]
	s_waitcnt vmcnt(4) lgkmcnt(1)
	v_mul_f64 v[200:201], v[192:193], v[102:103]
	v_fmac_f64_e32 v[200:201], v[194:195], v[100:101]
	v_add_f64 v[18:19], v[18:19], v[200:201]
	ds_read_b128 v[200:203], v2 offset:1584
	v_mul_f64 v[206:207], v[252:253], v[206:207]
	v_fma_f64 v[246:247], v[250:251], v[204:205], -v[206:207]
	ds_read_b128 v[204:207], v2 offset:1600
	s_waitcnt vmcnt(3) lgkmcnt(2)
	v_mul_f64 v[208:209], v[196:197], v[98:99]
	v_fmac_f64_e32 v[208:209], v[198:199], v[96:97]
	v_add_f64 v[18:19], v[18:19], v[208:209]
	s_waitcnt vmcnt(2) lgkmcnt(1)
	v_mul_f64 v[208:209], v[200:201], v[106:107]
	v_fmac_f64_e32 v[208:209], v[202:203], v[104:105]
	v_add_f64 v[18:19], v[18:19], v[208:209]
	;; [unrolled: 4-line block ×3, first 2 shown]
	ds_read_b128 v[208:211], v2 offset:1616
	ds_read_b128 v[216:219], v2 offset:1632
	;; [unrolled: 1-line block ×3, first 2 shown]
	s_waitcnt vmcnt(0) lgkmcnt(2)
	v_mul_f64 v[212:213], v[208:209], v[114:115]
	v_fmac_f64_e32 v[212:213], v[210:211], v[112:113]
	v_add_f64 v[18:19], v[18:19], v[212:213]
	scratch_load_dwordx4 v[212:215], off, off offset:816
	s_waitcnt vmcnt(0) lgkmcnt(1)
	v_mul_f64 v[220:221], v[216:217], v[214:215]
	v_fmac_f64_e32 v[220:221], v[218:219], v[212:213]
	v_add_f64 v[18:19], v[18:19], v[220:221]
	scratch_load_dwordx4 v[220:223], off, off offset:832
	;; [unrolled: 5-line block ×3, first 2 shown]
	v_add_f64 v[18:19], v[240:241], 0
	v_add_f64 v[18:19], v[18:19], v[242:243]
	;; [unrolled: 1-line block ×12, first 2 shown]
	v_accvgpr_read_b32 v6, a106
	v_accvgpr_read_b32 v8, a108
	;; [unrolled: 1-line block ×3, first 2 shown]
	v_add_f64 v[0:1], v[4:5], v[0:1]
	v_accvgpr_read_b32 v7, a107
	v_mul_f64 v[4:5], v[70:71], v[8:9]
	v_add_f64 v[0:1], v[0:1], v[238:239]
	v_fma_f64 v[4:5], v[68:69], v[6:7], -v[4:5]
	v_accvgpr_read_b32 v6, a110
	v_add_f64 v[0:1], v[0:1], v[246:247]
	v_accvgpr_read_b32 v8, a112
	v_accvgpr_read_b32 v9, a113
	v_add_f64 v[0:1], v[0:1], v[4:5]
	v_accvgpr_read_b32 v7, a111
	v_mul_f64 v[4:5], v[66:67], v[8:9]
	v_fma_f64 v[4:5], v[64:65], v[6:7], -v[4:5]
	v_accvgpr_read_b32 v6, a114
	v_accvgpr_read_b32 v8, a116
	;; [unrolled: 1-line block ×3, first 2 shown]
	v_add_f64 v[0:1], v[0:1], v[4:5]
	v_accvgpr_read_b32 v7, a115
	v_mul_f64 v[4:5], v[118:119], v[8:9]
	v_fma_f64 v[4:5], v[116:117], v[6:7], -v[4:5]
	v_add_f64 v[0:1], v[0:1], v[4:5]
	v_mul_f64 v[4:5], v[122:123], v[236:237]
	v_fma_f64 v[4:5], v[120:121], v[234:235], -v[4:5]
	v_add_f64 v[0:1], v[0:1], v[4:5]
	;; [unrolled: 3-line block ×26, first 2 shown]
	s_waitcnt vmcnt(0)
	v_add_f64 v[4:5], v[228:229], -v[0:1]
	v_accvgpr_read_b32 v0, a104
	v_add_f64 v[6:7], v[230:231], -v[250:251]
	v_cmp_lt_u32_e32 vcc, 7, v0
	scratch_store_dwordx4 off, v[4:7], off offset:144
	s_and_saveexec_b64 s[0:1], vcc
	s_cbranch_execz .LBB115_311
; %bb.310:
	scratch_load_dwordx4 v[6:9], off, s61
	v_mov_b32_e32 v3, v2
	v_mov_b32_e32 v4, v2
	;; [unrolled: 1-line block ×3, first 2 shown]
	v_accvgpr_read_b32 v0, a105
	scratch_store_dwordx4 off, v[2:5], off offset:128
	s_waitcnt vmcnt(1)
	ds_write_b128 v0, v[6:9]
.LBB115_311:
	s_or_b64 exec, exec, s[0:1]
	s_waitcnt lgkmcnt(0)
	; wave barrier
	scratch_load_dwordx4 v[72:75], off, off offset:144
	scratch_load_dwordx4 v[76:79], off, off offset:160
	;; [unrolled: 1-line block ×17, first 2 shown]
	ds_read_b128 v[176:179], v2 offset:960
	ds_read_b128 v[192:195], v2 offset:976
	;; [unrolled: 1-line block ×3, first 2 shown]
	scratch_load_dwordx4 v[20:23], off, off offset:416
	ds_read_b128 v[236:239], v2 offset:1008
	ds_read_b128 v[232:235], v2 offset:1024
	;; [unrolled: 1-line block ×5, first 2 shown]
	scratch_load_dwordx4 v[168:171], off, off offset:432
	ds_read_b128 v[224:227], v2 offset:1088
	ds_read_b128 v[212:215], v2 offset:1104
	;; [unrolled: 1-line block ×3, first 2 shown]
	scratch_load_dwordx4 v[12:15], off, off offset:448
	ds_read_b128 v[216:219], v2 offset:1136
	ds_read_b128 v[204:207], v2 offset:1152
	;; [unrolled: 1-line block ×5, first 2 shown]
	scratch_load_dwordx4 v[28:31], off, off offset:464
	ds_read_b128 v[32:35], v2 offset:1216
	scratch_load_dwordx4 v[36:39], off, off offset:480
	scratch_load_dwordx4 v[40:43], off, off offset:496
	;; [unrolled: 1-line block ×9, first 2 shown]
	ds_read_b128 v[132:135], v2 offset:1232
	s_waitcnt lgkmcnt(2)
	v_accvgpr_write_b32 a113, v19
	v_accvgpr_write_b32 a112, v18
	;; [unrolled: 1-line block ×4, first 2 shown]
	ds_read_b128 v[172:175], v2 offset:1296
	s_waitcnt vmcnt(29)
	v_mul_f64 v[0:1], v[176:177], v[74:75]
	s_waitcnt vmcnt(28)
	v_mul_f64 v[136:137], v[192:193], v[78:79]
	v_fmac_f64_e32 v[0:1], v[178:179], v[72:73]
	s_waitcnt vmcnt(27)
	v_mul_f64 v[138:139], v[188:189], v[82:83]
	v_fmac_f64_e32 v[136:137], v[194:195], v[76:77]
	v_add_f64 v[0:1], v[0:1], 0
	s_waitcnt vmcnt(26)
	v_mul_f64 v[140:141], v[236:237], v[86:87]
	v_fmac_f64_e32 v[138:139], v[190:191], v[80:81]
	v_add_f64 v[0:1], v[0:1], v[136:137]
	;; [unrolled: 4-line block ×14, first 2 shown]
	v_fmac_f64_e32 v[164:165], v[18:19], v[4:5]
	v_add_f64 v[0:1], v[0:1], v[162:163]
	s_waitcnt vmcnt(13) lgkmcnt(2)
	v_mul_f64 v[140:141], v[32:33], v[26:27]
	scratch_load_dwordx4 v[136:139], off, off offset:624
	v_add_f64 v[0:1], v[0:1], v[164:165]
	v_fmac_f64_e32 v[140:141], v[34:35], v[24:25]
	v_add_f64 v[0:1], v[0:1], v[140:141]
	ds_read_b128 v[160:163], v2 offset:1248
	scratch_load_dwordx4 v[140:143], off, off offset:640
	ds_read_b128 v[164:167], v2 offset:1264
	s_waitcnt vmcnt(13)
	v_mov_b64_e32 v[16:17], v[168:169]
	v_mov_b64_e32 v[18:19], v[170:171]
	ds_read_b128 v[168:171], v2 offset:1280
	s_waitcnt lgkmcnt(4)
	v_mul_f64 v[144:145], v[132:133], v[22:23]
	v_fmac_f64_e32 v[144:145], v[134:135], v[20:21]
	s_waitcnt lgkmcnt(2)
	v_mul_f64 v[148:149], v[160:161], v[18:19]
	v_add_f64 v[0:1], v[0:1], v[144:145]
	v_fmac_f64_e32 v[148:149], v[162:163], v[16:17]
	s_waitcnt vmcnt(12) lgkmcnt(1)
	v_mul_f64 v[152:153], v[164:165], v[14:15]
	scratch_load_dwordx4 v[144:147], off, off offset:656
	v_add_f64 v[0:1], v[0:1], v[148:149]
	v_fmac_f64_e32 v[152:153], v[166:167], v[12:13]
	scratch_load_dwordx4 v[148:151], off, off offset:672
	v_add_f64 v[0:1], v[0:1], v[152:153]
	s_waitcnt vmcnt(13) lgkmcnt(0)
	v_mul_f64 v[152:153], v[168:169], v[30:31]
	v_fmac_f64_e32 v[152:153], v[170:171], v[28:29]
	v_add_f64 v[0:1], v[0:1], v[152:153]
	scratch_load_dwordx4 v[152:155], off, off offset:688
	s_waitcnt vmcnt(13)
	v_mul_f64 v[156:157], v[172:173], v[38:39]
	v_fmac_f64_e32 v[156:157], v[174:175], v[36:37]
	v_mul_f64 v[74:75], v[178:179], v[74:75]
	v_add_f64 v[0:1], v[0:1], v[156:157]
	scratch_load_dwordx4 v[156:159], off, off offset:704
	v_fma_f64 v[240:241], v[176:177], v[72:73], -v[74:75]
	v_mul_f64 v[72:73], v[194:195], v[78:79]
	ds_read_b128 v[180:183], v2 offset:1312
	ds_read_b128 v[176:179], v2 offset:1328
	v_fma_f64 v[242:243], v[192:193], v[76:77], -v[72:73]
	scratch_load_dwordx4 v[76:79], off, off offset:720
	scratch_load_dwordx4 v[72:75], off, off offset:736
	v_mul_f64 v[82:83], v[190:191], v[82:83]
	v_fma_f64 v[244:245], v[188:189], v[80:81], -v[82:83]
	v_mul_f64 v[80:81], v[238:239], v[86:87]
	v_fma_f64 v[236:237], v[236:237], v[84:85], -v[80:81]
	scratch_load_dwordx4 v[80:83], off, off offset:752
	ds_read_b128 v[188:191], v2 offset:1344
	v_mul_f64 v[84:85], v[234:235], v[90:91]
	s_waitcnt vmcnt(16) lgkmcnt(2)
	v_mul_f64 v[192:193], v[180:181], v[42:43]
	v_fma_f64 v[238:239], v[232:233], v[88:89], -v[84:85]
	scratch_load_dwordx4 v[84:87], off, off offset:768
	v_fmac_f64_e32 v[192:193], v[182:183], v[40:41]
	v_add_f64 v[0:1], v[0:1], v[192:193]
	s_waitcnt vmcnt(16) lgkmcnt(1)
	v_mul_f64 v[192:193], v[176:177], v[46:47]
	v_fmac_f64_e32 v[192:193], v[178:179], v[44:45]
	v_add_f64 v[0:1], v[0:1], v[192:193]
	ds_read_b128 v[192:195], v2 offset:1360
	s_waitcnt vmcnt(15) lgkmcnt(1)
	v_mul_f64 v[88:89], v[188:189], v[50:51]
	v_fmac_f64_e32 v[88:89], v[190:191], v[48:49]
	v_add_f64 v[0:1], v[0:1], v[88:89]
	v_mul_f64 v[88:89], v[230:231], v[94:95]
	v_fma_f64 v[250:251], v[228:229], v[92:93], -v[88:89]
	scratch_load_dwordx4 v[88:91], off, off offset:784
	scratch_load_dwordx4 v[232:235], off, off offset:832
	ds_read_b128 v[92:95], v2 offset:1376
	v_mul_f64 v[98:99], v[222:223], v[98:99]
	v_fma_f64 v[252:253], v[220:221], v[96:97], -v[98:99]
	ds_read_b128 v[96:99], v2 offset:1392
	v_mul_f64 v[102:103], v[210:211], v[102:103]
	s_waitcnt vmcnt(16) lgkmcnt(2)
	v_mul_f64 v[228:229], v[192:193], v[54:55]
	v_fma_f64 v[254:255], v[208:209], v[100:101], -v[102:103]
	ds_read_b128 v[100:103], v2 offset:1408
	ds_read_b128 v[208:211], v2 offset:1424
	v_fmac_f64_e32 v[228:229], v[194:195], v[52:53]
	s_waitcnt vmcnt(15) lgkmcnt(3)
	v_mul_f64 v[220:221], v[92:93], v[58:59]
	v_add_f64 v[0:1], v[0:1], v[228:229]
	v_fmac_f64_e32 v[220:221], v[94:95], v[56:57]
	v_mul_f64 v[106:107], v[226:227], v[106:107]
	v_add_f64 v[0:1], v[0:1], v[220:221]
	s_waitcnt vmcnt(14) lgkmcnt(2)
	v_mul_f64 v[220:221], v[96:97], v[62:63]
	v_fma_f64 v[246:247], v[224:225], v[104:105], -v[106:107]
	ds_read_b128 v[104:107], v2 offset:1440
	v_fmac_f64_e32 v[220:221], v[98:99], v[60:61]
	v_mul_f64 v[110:111], v[214:215], v[110:111]
	v_add_f64 v[0:1], v[0:1], v[220:221]
	s_waitcnt vmcnt(13) lgkmcnt(2)
	v_mul_f64 v[220:221], v[100:101], v[70:71]
	v_fma_f64 v[8:9], v[212:213], v[108:109], -v[110:111]
	ds_read_b128 v[108:111], v2 offset:1456
	v_fmac_f64_e32 v[220:221], v[102:103], v[68:69]
	v_accvgpr_write_b32 a109, v7
	v_add_f64 v[0:1], v[0:1], v[220:221]
	s_waitcnt vmcnt(12) lgkmcnt(2)
	v_mul_f64 v[220:221], v[208:209], v[66:67]
	v_accvgpr_write_b32 a108, v6
	v_accvgpr_write_b32 a107, v5
	;; [unrolled: 1-line block ×3, first 2 shown]
	v_fmac_f64_e32 v[220:221], v[210:211], v[64:65]
	s_waitcnt vmcnt(11) lgkmcnt(1)
	v_mul_f64 v[6:7], v[104:105], v[138:139]
	v_add_f64 v[0:1], v[0:1], v[220:221]
	v_fmac_f64_e32 v[6:7], v[106:107], v[136:137]
	v_add_f64 v[0:1], v[0:1], v[6:7]
	s_waitcnt vmcnt(10) lgkmcnt(0)
	v_mul_f64 v[6:7], v[108:109], v[142:143]
	v_fmac_f64_e32 v[6:7], v[110:111], v[140:141]
	ds_read_b128 v[212:215], v2 offset:1472
	v_add_f64 v[0:1], v[0:1], v[6:7]
	v_mul_f64 v[6:7], v[202:203], v[114:115]
	v_fma_f64 v[6:7], v[200:201], v[112:113], -v[6:7]
	ds_read_b128 v[112:115], v2 offset:1488
	v_mul_f64 v[118:119], v[218:219], v[118:119]
	v_fma_f64 v[4:5], v[216:217], v[116:117], -v[118:119]
	ds_read_b128 v[116:119], v2 offset:1504
	s_waitcnt vmcnt(9) lgkmcnt(2)
	v_mul_f64 v[200:201], v[212:213], v[146:147]
	v_fmac_f64_e32 v[200:201], v[214:215], v[144:145]
	s_waitcnt vmcnt(8) lgkmcnt(1)
	v_mul_f64 v[10:11], v[112:113], v[150:151]
	v_add_f64 v[0:1], v[0:1], v[200:201]
	v_fmac_f64_e32 v[10:11], v[114:115], v[148:149]
	v_add_f64 v[0:1], v[0:1], v[10:11]
	ds_read_b128 v[200:203], v2 offset:1520
	s_waitcnt vmcnt(7) lgkmcnt(1)
	v_mul_f64 v[10:11], v[116:117], v[154:155]
	v_fmac_f64_e32 v[10:11], v[118:119], v[152:153]
	v_add_f64 v[10:11], v[0:1], v[10:11]
	v_mul_f64 v[0:1], v[206:207], v[122:123]
	v_fma_f64 v[0:1], v[204:205], v[120:121], -v[0:1]
	ds_read_b128 v[120:123], v2 offset:1536
	v_mul_f64 v[126:127], v[198:199], v[126:127]
	v_fma_f64 v[124:125], v[196:197], v[124:125], -v[126:127]
	s_waitcnt vmcnt(6) lgkmcnt(1)
	v_mul_f64 v[204:205], v[200:201], v[158:159]
	v_accvgpr_write_b32 a114, v124
	v_fmac_f64_e32 v[204:205], v[202:203], v[156:157]
	v_accvgpr_write_b32 a115, v125
	ds_read_b128 v[124:127], v2 offset:1552
	s_waitcnt vmcnt(5) lgkmcnt(1)
	v_mul_f64 v[196:197], v[120:121], v[78:79]
	v_add_f64 v[10:11], v[10:11], v[204:205]
	v_fmac_f64_e32 v[196:197], v[122:123], v[76:77]
	v_add_f64 v[10:11], v[10:11], v[196:197]
	ds_read_b128 v[196:199], v2 offset:1568
	v_mul_f64 v[130:131], v[186:187], v[130:131]
	v_fma_f64 v[248:249], v[184:185], v[128:129], -v[130:131]
	ds_read_b128 v[128:131], v2 offset:1584
	s_waitcnt vmcnt(4) lgkmcnt(2)
	v_mul_f64 v[184:185], v[124:125], v[74:75]
	v_fmac_f64_e32 v[184:185], v[126:127], v[72:73]
	v_add_f64 v[10:11], v[10:11], v[184:185]
	s_waitcnt vmcnt(3) lgkmcnt(1)
	v_mul_f64 v[184:185], v[196:197], v[82:83]
	v_fmac_f64_e32 v[184:185], v[198:199], v[80:81]
	v_add_f64 v[10:11], v[10:11], v[184:185]
	;; [unrolled: 4-line block ×3, first 2 shown]
	ds_read_b128 v[184:187], v2 offset:1600
	ds_read_b128 v[216:219], v2 offset:1616
	;; [unrolled: 1-line block ×3, first 2 shown]
	s_waitcnt vmcnt(1) lgkmcnt(2)
	v_mul_f64 v[204:205], v[184:185], v[90:91]
	v_fmac_f64_e32 v[204:205], v[186:187], v[88:89]
	v_add_f64 v[10:11], v[10:11], v[204:205]
	scratch_load_dwordx4 v[204:207], off, off offset:800
	s_waitcnt vmcnt(0) lgkmcnt(1)
	v_mul_f64 v[220:221], v[216:217], v[206:207]
	v_fmac_f64_e32 v[220:221], v[218:219], v[204:205]
	v_add_f64 v[10:11], v[10:11], v[220:221]
	scratch_load_dwordx4 v[220:223], off, off offset:816
	s_waitcnt vmcnt(0) lgkmcnt(0)
	v_mul_f64 v[228:229], v[224:225], v[222:223]
	v_fmac_f64_e32 v[228:229], v[226:227], v[220:221]
	v_add_f64 v[10:11], v[10:11], v[228:229]
	ds_read_b128 v[228:231], v2 offset:1648
	s_waitcnt lgkmcnt(0)
	v_mul_f64 v[2:3], v[228:229], v[234:235]
	v_fmac_f64_e32 v[2:3], v[230:231], v[232:233]
	v_add_f64 v[2:3], v[10:11], v[2:3]
	v_add_f64 v[10:11], v[240:241], 0
	;; [unrolled: 1-line block ×6, first 2 shown]
	scratch_load_dwordx4 v[236:239], off, off offset:128
	v_add_f64 v[10:11], v[10:11], v[250:251]
	v_add_f64 v[10:11], v[10:11], v[252:253]
	;; [unrolled: 1-line block ×8, first 2 shown]
	v_accvgpr_read_b32 v0, a114
	v_accvgpr_read_b32 v6, a106
	;; [unrolled: 1-line block ×7, first 2 shown]
	v_add_f64 v[0:1], v[250:251], v[0:1]
	v_accvgpr_read_b32 v7, a107
	v_accvgpr_read_b32 v241, a111
	;; [unrolled: 1-line block ×3, first 2 shown]
	v_mul_f64 v[4:5], v[242:243], v[8:9]
	v_add_f64 v[0:1], v[0:1], v[248:249]
	v_fma_f64 v[4:5], v[240:241], v[6:7], -v[4:5]
	v_add_f64 v[0:1], v[0:1], v[4:5]
	v_mul_f64 v[4:5], v[34:35], v[26:27]
	v_fma_f64 v[4:5], v[32:33], v[24:25], -v[4:5]
	v_add_f64 v[0:1], v[0:1], v[4:5]
	v_mul_f64 v[4:5], v[134:135], v[22:23]
	;; [unrolled: 3-line block ×28, first 2 shown]
	v_fma_f64 v[4:5], v[228:229], v[232:233], -v[4:5]
	v_add_f64 v[0:1], v[0:1], v[4:5]
	s_waitcnt vmcnt(0)
	v_add_f64 v[4:5], v[236:237], -v[0:1]
	v_accvgpr_read_b32 v0, a104
	v_add_f64 v[6:7], v[238:239], -v[2:3]
	v_cmp_lt_u32_e32 vcc, 6, v0
	scratch_store_dwordx4 off, v[4:7], off offset:128
	s_and_saveexec_b64 s[0:1], vcc
	s_cbranch_execz .LBB115_313
; %bb.312:
	scratch_load_dwordx4 v[2:5], off, s62
	v_mov_b32_e32 v6, 0
	v_mov_b32_e32 v7, v6
	;; [unrolled: 1-line block ×4, first 2 shown]
	v_accvgpr_read_b32 v0, a105
	scratch_store_dwordx4 off, v[6:9], off offset:112
	s_waitcnt vmcnt(1)
	ds_write_b128 v0, v[2:5]
.LBB115_313:
	s_or_b64 exec, exec, s[0:1]
	s_waitcnt lgkmcnt(0)
	; wave barrier
	scratch_load_dwordx4 v[80:83], off, off offset:128
	scratch_load_dwordx4 v[84:87], off, off offset:144
	;; [unrolled: 1-line block ×29, first 2 shown]
	v_mov_b32_e32 v2, 0
	ds_read_b128 v[132:135], v2 offset:944
	ds_read_b128 v[136:139], v2 offset:960
	;; [unrolled: 1-line block ×22, first 2 shown]
	s_waitcnt vmcnt(28) lgkmcnt(14)
	v_mul_f64 v[0:1], v[132:133], v[82:83]
	s_waitcnt vmcnt(27)
	v_mul_f64 v[56:57], v[136:137], v[86:87]
	v_fmac_f64_e32 v[0:1], v[134:135], v[80:81]
	s_waitcnt vmcnt(26)
	v_mul_f64 v[58:59], v[140:141], v[90:91]
	v_fmac_f64_e32 v[56:57], v[138:139], v[84:85]
	v_add_f64 v[0:1], v[0:1], 0
	s_waitcnt vmcnt(25)
	v_mul_f64 v[60:61], v[148:149], v[94:95]
	v_fmac_f64_e32 v[58:59], v[142:143], v[88:89]
	v_add_f64 v[0:1], v[0:1], v[56:57]
	;; [unrolled: 4-line block ×6, first 2 shown]
	s_waitcnt vmcnt(20) lgkmcnt(13)
	v_mul_f64 v[70:71], v[204:205], v[154:155]
	v_fmac_f64_e32 v[68:69], v[198:199], v[144:145]
	v_add_f64 v[0:1], v[0:1], v[66:67]
	s_waitcnt vmcnt(19) lgkmcnt(12)
	v_mul_f64 v[72:73], v[208:209], v[158:159]
	v_fmac_f64_e32 v[70:71], v[206:207], v[152:153]
	v_add_f64 v[0:1], v[0:1], v[68:69]
	;; [unrolled: 4-line block ×8, first 2 shown]
	v_fmac_f64_e32 v[112:113], v[248:249], v[192:193]
	v_add_f64 v[0:1], v[0:1], v[110:111]
	s_waitcnt vmcnt(12) lgkmcnt(5)
	v_mul_f64 v[60:61], v[250:251], v[202:203]
	scratch_load_dwordx4 v[56:59], off, off offset:592
	ds_read_b128 v[108:111], v2 offset:1232
	v_add_f64 v[0:1], v[0:1], v[112:113]
	v_fmac_f64_e32 v[60:61], v[252:253], v[200:201]
	v_add_f64 v[0:1], v[0:1], v[60:61]
	s_waitcnt vmcnt(12) lgkmcnt(5)
	v_mul_f64 v[64:65], v[52:53], v[6:7]
	scratch_load_dwordx4 v[60:63], off, off offset:608
	v_accvgpr_write_b32 a109, v7
	v_fmac_f64_e32 v[64:65], v[54:55], v[4:5]
	v_accvgpr_write_b32 a108, v6
	v_accvgpr_write_b32 a107, v5
	;; [unrolled: 1-line block ×3, first 2 shown]
	ds_read_b128 v[112:115], v2 offset:1248
	s_waitcnt vmcnt(12)
	v_mov_b64_e32 v[4:5], v[8:9]
	v_mov_b64_e32 v[6:7], v[10:11]
	s_waitcnt lgkmcnt(1)
	v_mul_f64 v[68:69], v[108:109], v[6:7]
	v_fmac_f64_e32 v[68:69], v[110:111], v[4:5]
	s_waitcnt vmcnt(11)
	v_mov_b64_e32 v[4:5], v[12:13]
	v_add_f64 v[0:1], v[0:1], v[64:65]
	v_mov_b64_e32 v[6:7], v[14:15]
	scratch_load_dwordx4 v[64:67], off, off offset:624
	v_add_f64 v[0:1], v[0:1], v[68:69]
	s_waitcnt lgkmcnt(0)
	v_mul_f64 v[68:69], v[112:113], v[6:7]
	v_fmac_f64_e32 v[68:69], v[114:115], v[4:5]
	s_waitcnt vmcnt(11)
	v_mov_b64_e32 v[4:5], v[16:17]
	v_add_f64 v[0:1], v[0:1], v[68:69]
	scratch_load_dwordx4 v[68:71], off, off offset:640
	v_mov_b64_e32 v[6:7], v[18:19]
	v_mul_f64 v[76:77], v[116:117], v[6:7]
	scratch_load_dwordx4 v[72:75], off, off offset:656
	v_fmac_f64_e32 v[76:77], v[118:119], v[4:5]
	v_add_f64 v[0:1], v[0:1], v[76:77]
	s_waitcnt vmcnt(12)
	v_mul_f64 v[76:77], v[120:121], v[236:237]
	v_fmac_f64_e32 v[76:77], v[122:123], v[234:235]
	v_add_f64 v[0:1], v[0:1], v[76:77]
	scratch_load_dwordx4 v[76:79], off, off offset:672
	v_mul_f64 v[82:83], v[134:135], v[82:83]
	v_fma_f64 v[240:241], v[132:133], v[80:81], -v[82:83]
	scratch_load_dwordx4 v[80:83], off, off offset:688
	v_mul_f64 v[86:87], v[138:139], v[86:87]
	v_fma_f64 v[242:243], v[136:137], v[84:85], -v[86:87]
	scratch_load_dwordx4 v[84:87], off, off offset:704
	v_mul_f64 v[90:91], v[142:143], v[90:91]
	s_waitcnt vmcnt(14)
	v_mul_f64 v[132:133], v[124:125], v[26:27]
	v_fma_f64 v[244:245], v[140:141], v[88:89], -v[90:91]
	scratch_load_dwordx4 v[88:91], off, off offset:720
	v_fmac_f64_e32 v[132:133], v[126:127], v[24:25]
	s_waitcnt vmcnt(14)
	v_mul_f64 v[136:137], v[128:129], v[30:31]
	v_mul_f64 v[94:95], v[150:151], v[94:95]
	v_add_f64 v[0:1], v[0:1], v[132:133]
	v_fmac_f64_e32 v[136:137], v[130:131], v[28:29]
	v_fma_f64 v[254:255], v[148:149], v[92:93], -v[94:95]
	v_mul_f64 v[92:93], v[162:163], v[98:99]
	ds_read_b128 v[132:135], v2 offset:1328
	v_add_f64 v[0:1], v[0:1], v[136:137]
	ds_read_b128 v[136:139], v2 offset:1344
	v_fma_f64 v[232:233], v[160:161], v[96:97], -v[92:93]
	scratch_load_dwordx4 v[96:99], off, off offset:736
	scratch_load_dwordx4 v[92:95], off, off offset:752
	v_mul_f64 v[102:103], v[174:175], v[102:103]
	v_fma_f64 v[20:21], v[172:173], v[100:101], -v[102:103]
	scratch_load_dwordx4 v[100:103], off, off offset:768
	v_accvgpr_write_b32 a121, v19
	v_mul_f64 v[6:7], v[186:187], v[106:107]
	v_accvgpr_write_b32 a120, v18
	v_accvgpr_write_b32 a119, v17
	;; [unrolled: 1-line block ×3, first 2 shown]
	v_fma_f64 v[16:17], v[184:185], v[104:105], -v[6:7]
	scratch_load_dwordx4 v[104:107], off, off offset:784
	s_waitcnt vmcnt(17) lgkmcnt(1)
	v_mul_f64 v[140:141], v[132:133], v[34:35]
	v_fmac_f64_e32 v[140:141], v[134:135], v[32:33]
	v_add_f64 v[0:1], v[0:1], v[140:141]
	ds_read_b128 v[140:143], v2 offset:1360
	v_accvgpr_write_b32 a117, v15
	v_mul_f64 v[6:7], v[198:199], v[146:147]
	v_accvgpr_write_b32 a116, v14
	v_accvgpr_write_b32 a115, v13
	;; [unrolled: 1-line block ×3, first 2 shown]
	v_fma_f64 v[12:13], v[196:197], v[144:145], -v[6:7]
	ds_read_b128 v[144:147], v2 offset:1376
	s_waitcnt vmcnt(16) lgkmcnt(2)
	v_mul_f64 v[148:149], v[136:137], v[38:39]
	v_fmac_f64_e32 v[148:149], v[138:139], v[36:37]
	v_add_f64 v[0:1], v[0:1], v[148:149]
	s_waitcnt vmcnt(15) lgkmcnt(1)
	v_mul_f64 v[6:7], v[140:141], v[42:43]
	ds_read_b128 v[148:151], v2 offset:1392
	v_fmac_f64_e32 v[6:7], v[142:143], v[40:41]
	v_add_f64 v[0:1], v[0:1], v[6:7]
	s_waitcnt vmcnt(14) lgkmcnt(1)
	v_mul_f64 v[6:7], v[144:145], v[46:47]
	v_fmac_f64_e32 v[6:7], v[146:147], v[44:45]
	v_accvgpr_write_b32 a113, v11
	v_add_f64 v[0:1], v[0:1], v[6:7]
	v_mul_f64 v[6:7], v[206:207], v[154:155]
	v_accvgpr_write_b32 a112, v10
	v_accvgpr_write_b32 a111, v9
	;; [unrolled: 1-line block ×3, first 2 shown]
	v_fma_f64 v[10:11], v[204:205], v[152:153], -v[6:7]
	ds_read_b128 v[152:155], v2 offset:1408
	s_waitcnt vmcnt(13) lgkmcnt(1)
	v_mul_f64 v[6:7], v[148:149], v[50:51]
	v_fmac_f64_e32 v[6:7], v[150:151], v[48:49]
	v_add_f64 v[0:1], v[0:1], v[6:7]
	v_mul_f64 v[6:7], v[210:211], v[158:159]
	v_fma_f64 v[14:15], v[208:209], v[156:157], -v[6:7]
	ds_read_b128 v[156:159], v2 offset:1424
	ds_read_b128 v[160:163], v2 offset:1440
	s_waitcnt vmcnt(12) lgkmcnt(2)
	v_mul_f64 v[6:7], v[152:153], v[58:59]
	v_fmac_f64_e32 v[6:7], v[154:155], v[56:57]
	v_add_f64 v[0:1], v[0:1], v[6:7]
	s_waitcnt vmcnt(11) lgkmcnt(1)
	v_mul_f64 v[6:7], v[156:157], v[62:63]
	v_fmac_f64_e32 v[6:7], v[158:159], v[60:61]
	v_add_f64 v[0:1], v[0:1], v[6:7]
	v_mul_f64 v[6:7], v[214:215], v[166:167]
	v_fma_f64 v[8:9], v[212:213], v[164:165], -v[6:7]
	ds_read_b128 v[164:167], v2 offset:1456
	v_mul_f64 v[18:19], v[218:219], v[170:171]
	v_fma_f64 v[18:19], v[216:217], v[168:169], -v[18:19]
	ds_read_b128 v[168:171], v2 offset:1472
	s_waitcnt vmcnt(10) lgkmcnt(2)
	v_mul_f64 v[6:7], v[160:161], v[66:67]
	v_fmac_f64_e32 v[6:7], v[162:163], v[64:65]
	v_add_f64 v[0:1], v[0:1], v[6:7]
	s_waitcnt vmcnt(9) lgkmcnt(1)
	v_mul_f64 v[6:7], v[164:165], v[70:71]
	ds_read_b128 v[172:175], v2 offset:1488
	v_fmac_f64_e32 v[6:7], v[166:167], v[68:69]
	v_add_f64 v[0:1], v[0:1], v[6:7]
	s_waitcnt vmcnt(8) lgkmcnt(1)
	v_mul_f64 v[6:7], v[168:169], v[74:75]
	v_fmac_f64_e32 v[6:7], v[170:171], v[72:73]
	v_add_f64 v[0:1], v[0:1], v[6:7]
	v_mul_f64 v[6:7], v[222:223], v[178:179]
	v_fma_f64 v[4:5], v[220:221], v[176:177], -v[6:7]
	ds_read_b128 v[176:179], v2 offset:1504
	s_waitcnt vmcnt(7) lgkmcnt(1)
	v_mul_f64 v[6:7], v[172:173], v[78:79]
	v_fmac_f64_e32 v[6:7], v[174:175], v[76:77]
	v_add_f64 v[0:1], v[0:1], v[6:7]
	v_mul_f64 v[6:7], v[226:227], v[182:183]
	v_fma_f64 v[6:7], v[224:225], v[180:181], -v[6:7]
	ds_read_b128 v[180:183], v2 offset:1520
	ds_read_b128 v[184:187], v2 offset:1536
	s_waitcnt vmcnt(6) lgkmcnt(2)
	v_mul_f64 v[22:23], v[176:177], v[82:83]
	v_fmac_f64_e32 v[22:23], v[178:179], v[80:81]
	v_add_f64 v[0:1], v[0:1], v[22:23]
	s_waitcnt vmcnt(5) lgkmcnt(1)
	v_mul_f64 v[22:23], v[180:181], v[86:87]
	v_fmac_f64_e32 v[22:23], v[182:183], v[84:85]
	v_add_f64 v[22:23], v[0:1], v[22:23]
	v_mul_f64 v[0:1], v[230:231], v[190:191]
	v_fma_f64 v[0:1], v[228:229], v[188:189], -v[0:1]
	ds_read_b128 v[188:191], v2 offset:1552
	s_waitcnt vmcnt(4) lgkmcnt(1)
	v_mul_f64 v[196:197], v[184:185], v[90:91]
	v_fmac_f64_e32 v[196:197], v[186:187], v[88:89]
	v_mul_f64 v[194:195], v[248:249], v[194:195]
	v_fma_f64 v[238:239], v[246:247], v[192:193], -v[194:195]
	ds_read_b128 v[192:195], v2 offset:1568
	v_add_f64 v[22:23], v[22:23], v[196:197]
	s_waitcnt vmcnt(3) lgkmcnt(1)
	v_mul_f64 v[196:197], v[188:189], v[98:99]
	v_fmac_f64_e32 v[196:197], v[190:191], v[96:97]
	v_add_f64 v[22:23], v[22:23], v[196:197]
	ds_read_b128 v[196:199], v2 offset:1584
	v_mul_f64 v[202:203], v[252:253], v[202:203]
	v_fma_f64 v[246:247], v[250:251], v[200:201], -v[202:203]
	ds_read_b128 v[200:203], v2 offset:1600
	s_waitcnt vmcnt(2) lgkmcnt(2)
	v_mul_f64 v[204:205], v[192:193], v[94:95]
	v_fmac_f64_e32 v[204:205], v[194:195], v[92:93]
	v_add_f64 v[22:23], v[22:23], v[204:205]
	s_waitcnt vmcnt(1) lgkmcnt(1)
	v_mul_f64 v[204:205], v[196:197], v[102:103]
	v_fmac_f64_e32 v[204:205], v[198:199], v[100:101]
	v_add_f64 v[22:23], v[22:23], v[204:205]
	;; [unrolled: 4-line block ×3, first 2 shown]
	scratch_load_dwordx4 v[204:207], off, off offset:800
	ds_read_b128 v[208:211], v2 offset:1616
	ds_read_b128 v[216:219], v2 offset:1632
	;; [unrolled: 1-line block ×3, first 2 shown]
	s_waitcnt vmcnt(0) lgkmcnt(2)
	v_mul_f64 v[212:213], v[208:209], v[206:207]
	v_fmac_f64_e32 v[212:213], v[210:211], v[204:205]
	v_add_f64 v[22:23], v[22:23], v[212:213]
	scratch_load_dwordx4 v[212:215], off, off offset:816
	s_waitcnt vmcnt(0) lgkmcnt(1)
	v_mul_f64 v[220:221], v[216:217], v[214:215]
	v_fmac_f64_e32 v[220:221], v[218:219], v[212:213]
	v_add_f64 v[22:23], v[22:23], v[220:221]
	scratch_load_dwordx4 v[220:223], off, off offset:832
	;; [unrolled: 5-line block ×3, first 2 shown]
	v_add_f64 v[22:23], v[240:241], 0
	v_add_f64 v[22:23], v[22:23], v[242:243]
	;; [unrolled: 1-line block ×14, first 2 shown]
	v_accvgpr_read_b32 v6, a106
	v_accvgpr_read_b32 v8, a108
	;; [unrolled: 1-line block ×3, first 2 shown]
	v_add_f64 v[0:1], v[4:5], v[0:1]
	v_accvgpr_read_b32 v7, a107
	v_mul_f64 v[4:5], v[54:55], v[8:9]
	v_add_f64 v[0:1], v[0:1], v[238:239]
	v_fma_f64 v[4:5], v[52:53], v[6:7], -v[4:5]
	v_accvgpr_read_b32 v6, a110
	v_add_f64 v[0:1], v[0:1], v[246:247]
	v_accvgpr_read_b32 v8, a112
	v_accvgpr_read_b32 v9, a113
	v_add_f64 v[0:1], v[0:1], v[4:5]
	v_accvgpr_read_b32 v7, a111
	v_mul_f64 v[4:5], v[110:111], v[8:9]
	v_fma_f64 v[4:5], v[108:109], v[6:7], -v[4:5]
	v_accvgpr_read_b32 v6, a114
	v_accvgpr_read_b32 v8, a116
	v_accvgpr_read_b32 v9, a117
	v_add_f64 v[0:1], v[0:1], v[4:5]
	v_accvgpr_read_b32 v7, a115
	v_mul_f64 v[4:5], v[114:115], v[8:9]
	v_fma_f64 v[4:5], v[112:113], v[6:7], -v[4:5]
	v_accvgpr_read_b32 v6, a118
	v_accvgpr_read_b32 v8, a120
	;; [unrolled: 1-line block ×3, first 2 shown]
	v_add_f64 v[0:1], v[0:1], v[4:5]
	v_accvgpr_read_b32 v7, a119
	v_mul_f64 v[4:5], v[118:119], v[8:9]
	v_fma_f64 v[4:5], v[116:117], v[6:7], -v[4:5]
	v_add_f64 v[0:1], v[0:1], v[4:5]
	v_mul_f64 v[4:5], v[122:123], v[236:237]
	v_fma_f64 v[4:5], v[120:121], v[234:235], -v[4:5]
	v_add_f64 v[0:1], v[0:1], v[4:5]
	;; [unrolled: 3-line block ×25, first 2 shown]
	s_waitcnt vmcnt(0)
	v_add_f64 v[4:5], v[228:229], -v[0:1]
	v_accvgpr_read_b32 v0, a104
	v_add_f64 v[6:7], v[230:231], -v[250:251]
	v_cmp_lt_u32_e32 vcc, 5, v0
	scratch_store_dwordx4 off, v[4:7], off offset:112
	s_and_saveexec_b64 s[0:1], vcc
	s_cbranch_execz .LBB115_315
; %bb.314:
	scratch_load_dwordx4 v[6:9], off, s63
	v_mov_b32_e32 v3, v2
	v_mov_b32_e32 v4, v2
	;; [unrolled: 1-line block ×3, first 2 shown]
	v_accvgpr_read_b32 v0, a105
	scratch_store_dwordx4 off, v[2:5], off offset:96
	s_waitcnt vmcnt(1)
	ds_write_b128 v0, v[6:9]
.LBB115_315:
	s_or_b64 exec, exec, s[0:1]
	s_waitcnt lgkmcnt(0)
	; wave barrier
	scratch_load_dwordx4 v[80:83], off, off offset:112
	scratch_load_dwordx4 v[84:87], off, off offset:128
	;; [unrolled: 1-line block ×17, first 2 shown]
	ds_read_b128 v[136:139], v2 offset:928
	ds_read_b128 v[132:135], v2 offset:944
	scratch_load_dwordx4 v[4:7], off, off offset:384
	ds_read_b128 v[236:239], v2 offset:960
	ds_read_b128 v[228:231], v2 offset:976
	ds_read_b128 v[224:227], v2 offset:992
	ds_read_b128 v[148:151], v2 offset:1008
	ds_read_b128 v[140:143], v2 offset:1024
	scratch_load_dwordx4 v[8:11], off, off offset:400
	ds_read_b128 v[232:235], v2 offset:1040
	ds_read_b128 v[216:219], v2 offset:1056
	ds_read_b128 v[160:163], v2 offset:1072
	scratch_load_dwordx4 v[12:15], off, off offset:416
	ds_read_b128 v[220:223], v2 offset:1088
	ds_read_b128 v[172:175], v2 offset:1104
	;; [unrolled: 1-line block ×5, first 2 shown]
	scratch_load_dwordx4 v[16:19], off, off offset:432
	ds_read_b128 v[208:211], v2 offset:1168
	ds_read_b128 v[204:207], v2 offset:1184
	;; [unrolled: 1-line block ×3, first 2 shown]
	scratch_load_dwordx4 v[24:27], off, off offset:448
	scratch_load_dwordx4 v[28:31], off, off offset:464
	;; [unrolled: 1-line block ×8, first 2 shown]
	ds_read_b128 v[116:119], v2 offset:1248
	ds_read_b128 v[120:123], v2 offset:1264
	;; [unrolled: 1-line block ×4, first 2 shown]
	s_waitcnt vmcnt(28) lgkmcnt(14)
	v_mul_f64 v[0:1], v[136:137], v[82:83]
	s_waitcnt vmcnt(27)
	v_mul_f64 v[56:57], v[132:133], v[86:87]
	v_fmac_f64_e32 v[0:1], v[138:139], v[80:81]
	s_waitcnt vmcnt(26)
	v_mul_f64 v[58:59], v[236:237], v[90:91]
	v_fmac_f64_e32 v[56:57], v[134:135], v[84:85]
	v_add_f64 v[0:1], v[0:1], 0
	s_waitcnt vmcnt(25)
	v_mul_f64 v[60:61], v[228:229], v[94:95]
	v_fmac_f64_e32 v[58:59], v[238:239], v[88:89]
	v_add_f64 v[0:1], v[0:1], v[56:57]
	;; [unrolled: 4-line block ×6, first 2 shown]
	s_waitcnt vmcnt(20) lgkmcnt(13)
	v_mul_f64 v[70:71], v[216:217], v[154:155]
	v_fmac_f64_e32 v[68:69], v[234:235], v[144:145]
	v_add_f64 v[0:1], v[0:1], v[66:67]
	s_waitcnt vmcnt(19) lgkmcnt(12)
	v_mul_f64 v[72:73], v[160:161], v[158:159]
	v_fmac_f64_e32 v[70:71], v[218:219], v[152:153]
	v_add_f64 v[0:1], v[0:1], v[68:69]
	;; [unrolled: 4-line block ×7, first 2 shown]
	v_fmac_f64_e32 v[110:111], v[198:199], v[188:189]
	v_add_f64 v[0:1], v[0:1], v[108:109]
	s_waitcnt vmcnt(13) lgkmcnt(6)
	v_mul_f64 v[112:113], v[208:209], v[194:195]
	v_add_f64 v[0:1], v[0:1], v[110:111]
	scratch_load_dwordx4 v[56:59], off, off offset:576
	scratch_load_dwordx4 v[60:63], off, off offset:592
	ds_read_b128 v[108:111], v2 offset:1216
	s_waitcnt vmcnt(14) lgkmcnt(6)
	v_mul_f64 v[114:115], v[204:205], v[202:203]
	v_fmac_f64_e32 v[112:113], v[210:211], v[192:193]
	v_add_f64 v[0:1], v[0:1], v[112:113]
	v_fmac_f64_e32 v[114:115], v[206:207], v[200:201]
	s_waitcnt vmcnt(13) lgkmcnt(5)
	v_mul_f64 v[64:65], v[20:21], v[6:7]
	v_accvgpr_write_b32 a109, v7
	v_add_f64 v[0:1], v[0:1], v[114:115]
	v_fmac_f64_e32 v[64:65], v[22:23], v[4:5]
	v_accvgpr_write_b32 a108, v6
	v_accvgpr_write_b32 a107, v5
	;; [unrolled: 1-line block ×3, first 2 shown]
	ds_read_b128 v[112:115], v2 offset:1232
	s_waitcnt vmcnt(12)
	v_mov_b64_e32 v[4:5], v[8:9]
	v_mov_b64_e32 v[6:7], v[10:11]
	s_waitcnt lgkmcnt(1)
	v_mul_f64 v[68:69], v[108:109], v[6:7]
	v_fmac_f64_e32 v[68:69], v[110:111], v[4:5]
	s_waitcnt vmcnt(11)
	v_mov_b64_e32 v[4:5], v[12:13]
	v_add_f64 v[0:1], v[0:1], v[64:65]
	v_mov_b64_e32 v[6:7], v[14:15]
	v_add_f64 v[0:1], v[0:1], v[68:69]
	s_waitcnt lgkmcnt(0)
	v_mul_f64 v[68:69], v[112:113], v[6:7]
	scratch_load_dwordx4 v[64:67], off, off offset:608
	v_fmac_f64_e32 v[68:69], v[114:115], v[4:5]
	v_add_f64 v[0:1], v[0:1], v[68:69]
	scratch_load_dwordx4 v[68:71], off, off offset:624
	scratch_load_dwordx4 v[72:75], off, off offset:640
	s_waitcnt vmcnt(13)
	v_mul_f64 v[76:77], v[116:117], v[18:19]
	v_fmac_f64_e32 v[76:77], v[118:119], v[16:17]
	v_add_f64 v[0:1], v[0:1], v[76:77]
	s_waitcnt vmcnt(12)
	v_mul_f64 v[76:77], v[120:121], v[26:27]
	v_fmac_f64_e32 v[76:77], v[122:123], v[24:25]
	v_add_f64 v[0:1], v[0:1], v[76:77]
	scratch_load_dwordx4 v[76:79], off, off offset:656
	v_mul_f64 v[82:83], v[138:139], v[82:83]
	v_fma_f64 v[240:241], v[136:137], v[80:81], -v[82:83]
	scratch_load_dwordx4 v[80:83], off, off offset:672
	v_mul_f64 v[86:87], v[134:135], v[86:87]
	v_fma_f64 v[242:243], v[132:133], v[84:85], -v[86:87]
	scratch_load_dwordx4 v[84:87], off, off offset:688
	s_waitcnt vmcnt(14)
	v_mul_f64 v[136:137], v[124:125], v[30:31]
	v_mul_f64 v[90:91], v[238:239], v[90:91]
	v_fmac_f64_e32 v[136:137], v[126:127], v[28:29]
	v_fma_f64 v[236:237], v[236:237], v[88:89], -v[90:91]
	scratch_load_dwordx4 v[88:91], off, off offset:704
	v_add_f64 v[0:1], v[0:1], v[136:137]
	s_waitcnt vmcnt(14)
	v_mul_f64 v[136:137], v[128:129], v[34:35]
	v_mul_f64 v[94:95], v[230:231], v[94:95]
	v_fmac_f64_e32 v[136:137], v[130:131], v[32:33]
	v_fma_f64 v[238:239], v[228:229], v[92:93], -v[94:95]
	v_mul_f64 v[92:93], v[226:227], v[98:99]
	ds_read_b128 v[132:135], v2 offset:1312
	v_add_f64 v[0:1], v[0:1], v[136:137]
	ds_read_b128 v[136:139], v2 offset:1328
	v_fma_f64 v[244:245], v[224:225], v[96:97], -v[92:93]
	scratch_load_dwordx4 v[96:99], off, off offset:720
	scratch_load_dwordx4 v[92:95], off, off offset:736
	v_mul_f64 v[102:103], v[150:151], v[102:103]
	v_fma_f64 v[250:251], v[148:149], v[100:101], -v[102:103]
	scratch_load_dwordx4 v[100:103], off, off offset:752
	v_mul_f64 v[106:107], v[142:143], v[106:107]
	v_fma_f64 v[252:253], v[140:141], v[104:105], -v[106:107]
	v_mul_f64 v[104:105], v[234:235], v[146:147]
	v_fma_f64 v[254:255], v[232:233], v[144:145], -v[104:105]
	scratch_load_dwordx4 v[104:107], off, off offset:768
	ds_read_b128 v[140:143], v2 offset:1344
	ds_read_b128 v[144:147], v2 offset:1360
	s_waitcnt vmcnt(17) lgkmcnt(3)
	v_mul_f64 v[228:229], v[132:133], v[38:39]
	v_fmac_f64_e32 v[228:229], v[134:135], v[36:37]
	s_waitcnt vmcnt(16) lgkmcnt(2)
	v_mul_f64 v[224:225], v[136:137], v[42:43]
	v_add_f64 v[0:1], v[0:1], v[228:229]
	v_fmac_f64_e32 v[224:225], v[138:139], v[40:41]
	s_waitcnt vmcnt(15) lgkmcnt(1)
	v_mul_f64 v[148:149], v[140:141], v[46:47]
	v_add_f64 v[0:1], v[0:1], v[224:225]
	v_fmac_f64_e32 v[148:149], v[142:143], v[44:45]
	v_add_f64 v[0:1], v[0:1], v[148:149]
	ds_read_b128 v[148:151], v2 offset:1376
	v_mul_f64 v[154:155], v[218:219], v[154:155]
	v_fma_f64 v[246:247], v[216:217], v[152:153], -v[154:155]
	ds_read_b128 v[152:155], v2 offset:1392
	v_accvgpr_write_b32 a117, v15
	v_mul_f64 v[158:159], v[162:163], v[158:159]
	v_accvgpr_write_b32 a116, v14
	v_accvgpr_write_b32 a115, v13
	;; [unrolled: 1-line block ×3, first 2 shown]
	v_fma_f64 v[12:13], v[160:161], v[156:157], -v[158:159]
	ds_read_b128 v[156:159], v2 offset:1408
	ds_read_b128 v[160:163], v2 offset:1424
	s_waitcnt vmcnt(14) lgkmcnt(4)
	v_mul_f64 v[224:225], v[144:145], v[50:51]
	v_fmac_f64_e32 v[224:225], v[146:147], v[48:49]
	s_waitcnt vmcnt(13) lgkmcnt(3)
	v_mul_f64 v[216:217], v[148:149], v[54:55]
	v_add_f64 v[0:1], v[0:1], v[224:225]
	v_fmac_f64_e32 v[216:217], v[150:151], v[52:53]
	s_waitcnt vmcnt(12) lgkmcnt(2)
	v_mul_f64 v[6:7], v[152:153], v[58:59]
	v_add_f64 v[0:1], v[0:1], v[216:217]
	v_fmac_f64_e32 v[6:7], v[154:155], v[56:57]
	v_add_f64 v[0:1], v[0:1], v[6:7]
	s_waitcnt vmcnt(11) lgkmcnt(1)
	v_mul_f64 v[6:7], v[156:157], v[62:63]
	v_fmac_f64_e32 v[6:7], v[158:159], v[60:61]
	v_accvgpr_write_b32 a113, v11
	v_add_f64 v[0:1], v[0:1], v[6:7]
	v_mul_f64 v[6:7], v[222:223], v[166:167]
	v_accvgpr_write_b32 a112, v10
	v_accvgpr_write_b32 a111, v9
	;; [unrolled: 1-line block ×3, first 2 shown]
	v_fma_f64 v[8:9], v[220:221], v[164:165], -v[6:7]
	ds_read_b128 v[164:167], v2 offset:1440
	v_mul_f64 v[170:171], v[174:175], v[170:171]
	v_fma_f64 v[6:7], v[172:173], v[168:169], -v[170:171]
	ds_read_b128 v[168:171], v2 offset:1456
	s_waitcnt vmcnt(10) lgkmcnt(2)
	v_mul_f64 v[216:217], v[160:161], v[66:67]
	v_fmac_f64_e32 v[216:217], v[162:163], v[64:65]
	s_waitcnt vmcnt(9) lgkmcnt(1)
	v_mul_f64 v[10:11], v[164:165], v[70:71]
	v_add_f64 v[0:1], v[0:1], v[216:217]
	v_fmac_f64_e32 v[10:11], v[166:167], v[68:69]
	v_add_f64 v[0:1], v[0:1], v[10:11]
	s_waitcnt vmcnt(8) lgkmcnt(0)
	v_mul_f64 v[10:11], v[168:169], v[74:75]
	v_fmac_f64_e32 v[10:11], v[170:171], v[72:73]
	ds_read_b128 v[172:175], v2 offset:1472
	v_add_f64 v[0:1], v[0:1], v[10:11]
	v_mul_f64 v[10:11], v[214:215], v[178:179]
	v_fma_f64 v[10:11], v[212:213], v[176:177], -v[10:11]
	ds_read_b128 v[176:179], v2 offset:1488
	v_mul_f64 v[182:183], v[186:187], v[182:183]
	v_fma_f64 v[4:5], v[184:185], v[180:181], -v[182:183]
	ds_read_b128 v[180:183], v2 offset:1504
	ds_read_b128 v[184:187], v2 offset:1520
	s_waitcnt vmcnt(7) lgkmcnt(3)
	v_mul_f64 v[212:213], v[172:173], v[78:79]
	v_fmac_f64_e32 v[212:213], v[174:175], v[76:77]
	s_waitcnt vmcnt(6) lgkmcnt(2)
	v_mul_f64 v[14:15], v[176:177], v[82:83]
	v_add_f64 v[0:1], v[0:1], v[212:213]
	v_fmac_f64_e32 v[14:15], v[178:179], v[80:81]
	v_add_f64 v[0:1], v[0:1], v[14:15]
	s_waitcnt vmcnt(5) lgkmcnt(1)
	v_mul_f64 v[14:15], v[180:181], v[86:87]
	v_fmac_f64_e32 v[14:15], v[182:183], v[84:85]
	v_add_f64 v[14:15], v[0:1], v[14:15]
	v_mul_f64 v[0:1], v[198:199], v[190:191]
	v_fma_f64 v[0:1], v[196:197], v[188:189], -v[0:1]
	ds_read_b128 v[188:191], v2 offset:1536
	v_mul_f64 v[194:195], v[210:211], v[194:195]
	s_waitcnt vmcnt(4) lgkmcnt(1)
	v_mul_f64 v[196:197], v[184:185], v[90:91]
	v_fma_f64 v[192:193], v[208:209], v[192:193], -v[194:195]
	v_fmac_f64_e32 v[196:197], v[186:187], v[88:89]
	v_accvgpr_write_b32 a118, v192
	v_accvgpr_write_b32 a119, v193
	ds_read_b128 v[192:195], v2 offset:1552
	v_add_f64 v[14:15], v[14:15], v[196:197]
	s_waitcnt vmcnt(3) lgkmcnt(1)
	v_mul_f64 v[196:197], v[188:189], v[98:99]
	v_fmac_f64_e32 v[196:197], v[190:191], v[96:97]
	v_add_f64 v[14:15], v[14:15], v[196:197]
	ds_read_b128 v[196:199], v2 offset:1568
	v_mul_f64 v[202:203], v[206:207], v[202:203]
	v_fma_f64 v[248:249], v[204:205], v[200:201], -v[202:203]
	ds_read_b128 v[200:203], v2 offset:1584
	s_waitcnt vmcnt(2) lgkmcnt(2)
	v_mul_f64 v[204:205], v[192:193], v[94:95]
	v_fmac_f64_e32 v[204:205], v[194:195], v[92:93]
	v_add_f64 v[14:15], v[14:15], v[204:205]
	s_waitcnt vmcnt(1) lgkmcnt(1)
	v_mul_f64 v[204:205], v[196:197], v[102:103]
	v_fmac_f64_e32 v[204:205], v[198:199], v[100:101]
	v_add_f64 v[14:15], v[14:15], v[204:205]
	;; [unrolled: 4-line block ×3, first 2 shown]
	scratch_load_dwordx4 v[204:207], off, off offset:784
	scratch_load_dwordx4 v[232:235], off, off offset:832
	ds_read_b128 v[208:211], v2 offset:1600
	ds_read_b128 v[216:219], v2 offset:1616
	;; [unrolled: 1-line block ×3, first 2 shown]
	s_waitcnt vmcnt(1) lgkmcnt(2)
	v_mul_f64 v[212:213], v[208:209], v[206:207]
	v_fmac_f64_e32 v[212:213], v[210:211], v[204:205]
	v_add_f64 v[14:15], v[14:15], v[212:213]
	scratch_load_dwordx4 v[212:215], off, off offset:800
	s_waitcnt vmcnt(0) lgkmcnt(1)
	v_mul_f64 v[220:221], v[216:217], v[214:215]
	v_fmac_f64_e32 v[220:221], v[218:219], v[212:213]
	v_add_f64 v[14:15], v[14:15], v[220:221]
	scratch_load_dwordx4 v[220:223], off, off offset:816
	s_waitcnt vmcnt(0) lgkmcnt(0)
	v_mul_f64 v[228:229], v[224:225], v[222:223]
	v_fmac_f64_e32 v[228:229], v[226:227], v[220:221]
	v_add_f64 v[14:15], v[14:15], v[228:229]
	ds_read_b128 v[228:231], v2 offset:1648
	s_waitcnt lgkmcnt(0)
	v_mul_f64 v[2:3], v[228:229], v[234:235]
	v_fmac_f64_e32 v[2:3], v[230:231], v[232:233]
	v_add_f64 v[2:3], v[14:15], v[2:3]
	v_add_f64 v[14:15], v[240:241], 0
	;; [unrolled: 1-line block ×5, first 2 shown]
	scratch_load_dwordx4 v[236:239], off, off offset:96
	v_add_f64 v[14:15], v[14:15], v[244:245]
	v_add_f64 v[14:15], v[14:15], v[250:251]
	v_add_f64 v[14:15], v[14:15], v[252:253]
	v_add_f64 v[14:15], v[14:15], v[254:255]
	v_add_f64 v[14:15], v[14:15], v[246:247]
	v_add_f64 v[12:13], v[14:15], v[12:13]
	v_add_f64 v[8:9], v[12:13], v[8:9]
	v_add_f64 v[6:7], v[8:9], v[6:7]
	v_add_f64 v[6:7], v[6:7], v[10:11]
	v_add_f64 v[4:5], v[6:7], v[4:5]
	v_accvgpr_read_b32 v6, a106
	v_add_f64 v[250:251], v[4:5], v[0:1]
	v_accvgpr_read_b32 v0, a118
	v_accvgpr_read_b32 v8, a108
	;; [unrolled: 1-line block ×5, first 2 shown]
	v_mul_f64 v[4:5], v[22:23], v[8:9]
	v_add_f64 v[0:1], v[250:251], v[0:1]
	v_fma_f64 v[4:5], v[20:21], v[6:7], -v[4:5]
	v_accvgpr_read_b32 v6, a110
	v_add_f64 v[0:1], v[0:1], v[248:249]
	v_accvgpr_read_b32 v8, a112
	v_accvgpr_read_b32 v9, a113
	v_add_f64 v[0:1], v[0:1], v[4:5]
	v_accvgpr_read_b32 v7, a111
	v_mul_f64 v[4:5], v[110:111], v[8:9]
	v_fma_f64 v[4:5], v[108:109], v[6:7], -v[4:5]
	v_accvgpr_read_b32 v6, a114
	v_accvgpr_read_b32 v8, a116
	;; [unrolled: 1-line block ×3, first 2 shown]
	v_add_f64 v[0:1], v[0:1], v[4:5]
	v_accvgpr_read_b32 v7, a115
	v_mul_f64 v[4:5], v[114:115], v[8:9]
	v_fma_f64 v[4:5], v[112:113], v[6:7], -v[4:5]
	v_add_f64 v[0:1], v[0:1], v[4:5]
	v_mul_f64 v[4:5], v[118:119], v[18:19]
	v_fma_f64 v[4:5], v[116:117], v[16:17], -v[4:5]
	v_add_f64 v[0:1], v[0:1], v[4:5]
	;; [unrolled: 3-line block ×27, first 2 shown]
	s_waitcnt vmcnt(0)
	v_add_f64 v[4:5], v[236:237], -v[0:1]
	v_accvgpr_read_b32 v0, a104
	v_add_f64 v[6:7], v[238:239], -v[2:3]
	v_cmp_lt_u32_e32 vcc, 4, v0
	scratch_store_dwordx4 off, v[4:7], off offset:96
	s_and_saveexec_b64 s[0:1], vcc
	s_cbranch_execz .LBB115_317
; %bb.316:
	scratch_load_dwordx4 v[2:5], off, s64
	v_mov_b32_e32 v6, 0
	v_mov_b32_e32 v7, v6
	;; [unrolled: 1-line block ×4, first 2 shown]
	v_accvgpr_read_b32 v0, a105
	scratch_store_dwordx4 off, v[6:9], off offset:80
	s_waitcnt vmcnt(1)
	ds_write_b128 v0, v[2:5]
.LBB115_317:
	s_or_b64 exec, exec, s[0:1]
	s_waitcnt lgkmcnt(0)
	; wave barrier
	scratch_load_dwordx4 v[68:71], off, off offset:96
	scratch_load_dwordx4 v[72:75], off, off offset:112
	;; [unrolled: 1-line block ×28, first 2 shown]
	v_mov_b32_e32 v2, 0
	ds_read_b128 v[124:127], v2 offset:912
	ds_read_b128 v[128:131], v2 offset:928
	;; [unrolled: 1-line block ×23, first 2 shown]
	s_waitcnt vmcnt(27) lgkmcnt(14)
	v_mul_f64 v[0:1], v[124:125], v[70:71]
	s_waitcnt vmcnt(26)
	v_mul_f64 v[40:41], v[128:129], v[74:75]
	v_fmac_f64_e32 v[0:1], v[126:127], v[68:69]
	s_waitcnt vmcnt(25)
	v_mul_f64 v[42:43], v[132:133], v[78:79]
	v_fmac_f64_e32 v[40:41], v[130:131], v[72:73]
	v_add_f64 v[0:1], v[0:1], 0
	s_waitcnt vmcnt(24)
	v_mul_f64 v[44:45], v[136:137], v[82:83]
	v_fmac_f64_e32 v[42:43], v[134:135], v[76:77]
	v_add_f64 v[0:1], v[0:1], v[40:41]
	;; [unrolled: 4-line block ×7, first 2 shown]
	s_waitcnt vmcnt(18) lgkmcnt(13)
	v_mul_f64 v[56:57], v[200:201], v[146:147]
	v_fmac_f64_e32 v[54:55], v[194:195], v[112:113]
	v_add_f64 v[0:1], v[0:1], v[52:53]
	s_waitcnt vmcnt(17) lgkmcnt(12)
	v_mul_f64 v[58:59], v[204:205], v[150:151]
	v_fmac_f64_e32 v[56:57], v[202:203], v[144:145]
	v_add_f64 v[0:1], v[0:1], v[54:55]
	;; [unrolled: 4-line block ×7, first 2 shown]
	scratch_load_dwordx4 v[40:43], off, off offset:544
	scratch_load_dwordx4 v[44:47], off, off offset:560
	s_waitcnt vmcnt(13) lgkmcnt(6)
	v_mul_f64 v[102:103], v[228:229], v[186:187]
	v_fmac_f64_e32 v[100:101], v[226:227], v[176:177]
	v_add_f64 v[0:1], v[0:1], v[66:67]
	v_add_f64 v[0:1], v[0:1], v[100:101]
	v_fmac_f64_e32 v[102:103], v[230:231], v[184:185]
	v_add_f64 v[0:1], v[0:1], v[102:103]
	ds_read_b128 v[100:103], v2 offset:1216
	s_waitcnt vmcnt(12) lgkmcnt(6)
	v_mul_f64 v[48:49], v[246:247], v[190:191]
	v_fmac_f64_e32 v[48:49], v[248:249], v[188:189]
	v_add_f64 v[0:1], v[0:1], v[48:49]
	s_waitcnt vmcnt(11) lgkmcnt(5)
	v_mul_f64 v[48:49], v[250:251], v[198:199]
	v_fmac_f64_e32 v[48:49], v[252:253], v[196:197]
	v_add_f64 v[0:1], v[0:1], v[48:49]
	scratch_load_dwordx4 v[48:51], off, off offset:576
	scratch_load_dwordx4 v[52:55], off, off offset:592
	s_waitcnt vmcnt(12) lgkmcnt(0)
	v_mul_f64 v[56:57], v[100:101], v[6:7]
	v_accvgpr_write_b32 a109, v7
	v_fmac_f64_e32 v[56:57], v[102:103], v[4:5]
	v_accvgpr_write_b32 a108, v6
	v_accvgpr_write_b32 a107, v5
	;; [unrolled: 1-line block ×3, first 2 shown]
	s_waitcnt vmcnt(11)
	v_mov_b64_e32 v[4:5], v[8:9]
	v_mov_b64_e32 v[6:7], v[10:11]
	v_add_f64 v[0:1], v[0:1], v[56:57]
	v_mul_f64 v[56:57], v[104:105], v[6:7]
	v_fmac_f64_e32 v[56:57], v[106:107], v[4:5]
	v_add_f64 v[0:1], v[0:1], v[56:57]
	scratch_load_dwordx4 v[56:59], off, off offset:608
	s_waitcnt vmcnt(11)
	v_mov_b64_e32 v[4:5], v[12:13]
	v_mov_b64_e32 v[6:7], v[14:15]
	v_mul_f64 v[60:61], v[108:109], v[6:7]
	v_fmac_f64_e32 v[60:61], v[110:111], v[4:5]
	s_waitcnt vmcnt(10)
	v_mov_b64_e32 v[4:5], v[16:17]
	v_mov_b64_e32 v[6:7], v[18:19]
	v_add_f64 v[0:1], v[0:1], v[60:61]
	scratch_load_dwordx4 v[60:63], off, off offset:624
	v_mul_f64 v[64:65], v[116:117], v[6:7]
	v_fmac_f64_e32 v[64:65], v[118:119], v[4:5]
	v_add_f64 v[0:1], v[0:1], v[64:65]
	scratch_load_dwordx4 v[64:67], off, off offset:640
	v_mul_f64 v[70:71], v[126:127], v[70:71]
	s_waitcnt vmcnt(11)
	v_mov_b64_e32 v[4:5], v[20:21]
	v_fma_f64 v[240:241], v[124:125], v[68:69], -v[70:71]
	v_mov_b64_e32 v[6:7], v[22:23]
	scratch_load_dwordx4 v[68:71], off, off offset:656
	v_mul_f64 v[124:125], v[120:121], v[6:7]
	v_mul_f64 v[74:75], v[130:131], v[74:75]
	v_fmac_f64_e32 v[124:125], v[122:123], v[4:5]
	v_fma_f64 v[242:243], v[128:129], v[72:73], -v[74:75]
	scratch_load_dwordx4 v[72:75], off, off offset:672
	v_mul_f64 v[78:79], v[134:135], v[78:79]
	v_add_f64 v[0:1], v[0:1], v[124:125]
	ds_read_b128 v[124:127], v2 offset:1296
	ds_read_b128 v[128:131], v2 offset:1312
	v_fma_f64 v[244:245], v[132:133], v[76:77], -v[78:79]
	v_mul_f64 v[76:77], v[138:139], v[82:83]
	v_fma_f64 v[254:255], v[136:137], v[80:81], -v[76:77]
	scratch_load_dwordx4 v[76:79], off, off offset:688
	s_waitcnt vmcnt(13) lgkmcnt(1)
	v_mul_f64 v[132:133], v[124:125], v[236:237]
	v_fmac_f64_e32 v[132:133], v[126:127], v[234:235]
	v_add_f64 v[0:1], v[0:1], v[132:133]
	s_waitcnt vmcnt(12) lgkmcnt(0)
	v_mul_f64 v[132:133], v[128:129], v[30:31]
	scratch_load_dwordx4 v[80:83], off, off offset:704
	v_fmac_f64_e32 v[132:133], v[130:131], v[28:29]
	v_mul_f64 v[86:87], v[142:143], v[86:87]
	v_add_f64 v[0:1], v[0:1], v[132:133]
	v_fma_f64 v[232:233], v[140:141], v[84:85], -v[86:87]
	ds_read_b128 v[132:135], v2 offset:1328
	v_mul_f64 v[84:85], v[158:159], v[90:91]
	v_fma_f64 v[24:25], v[156:157], v[88:89], -v[84:85]
	scratch_load_dwordx4 v[88:91], off, off offset:720
	scratch_load_dwordx4 v[84:87], off, off offset:736
	v_accvgpr_write_b32 a125, v23
	v_mul_f64 v[6:7], v[170:171], v[94:95]
	v_accvgpr_write_b32 a124, v22
	v_accvgpr_write_b32 a123, v21
	;; [unrolled: 1-line block ×3, first 2 shown]
	v_fma_f64 v[20:21], v[168:169], v[92:93], -v[6:7]
	s_waitcnt vmcnt(14) lgkmcnt(0)
	v_mul_f64 v[6:7], v[132:133], v[34:35]
	v_fmac_f64_e32 v[6:7], v[134:135], v[32:33]
	v_accvgpr_write_b32 a121, v19
	v_add_f64 v[0:1], v[0:1], v[6:7]
	v_mul_f64 v[6:7], v[182:183], v[98:99]
	v_accvgpr_write_b32 a120, v18
	v_accvgpr_write_b32 a119, v17
	;; [unrolled: 1-line block ×3, first 2 shown]
	ds_read_b128 v[136:139], v2 offset:1344
	v_fma_f64 v[16:17], v[180:181], v[96:97], -v[6:7]
	scratch_load_dwordx4 v[96:99], off, off offset:752
	scratch_load_dwordx4 v[92:95], off, off offset:768
	v_accvgpr_write_b32 a117, v15
	v_mul_f64 v[6:7], v[194:195], v[114:115]
	v_accvgpr_write_b32 a116, v14
	v_accvgpr_write_b32 a115, v13
	;; [unrolled: 1-line block ×3, first 2 shown]
	v_fma_f64 v[12:13], v[192:193], v[112:113], -v[6:7]
	scratch_load_dwordx4 v[112:115], off, off offset:784
	ds_read_b128 v[140:143], v2 offset:1360
	s_waitcnt vmcnt(16) lgkmcnt(1)
	v_mul_f64 v[6:7], v[136:137], v[38:39]
	v_fmac_f64_e32 v[6:7], v[138:139], v[36:37]
	v_add_f64 v[0:1], v[0:1], v[6:7]
	v_mul_f64 v[6:7], v[202:203], v[146:147]
	v_fma_f64 v[14:15], v[200:201], v[144:145], -v[6:7]
	ds_read_b128 v[144:147], v2 offset:1376
	s_waitcnt vmcnt(15) lgkmcnt(1)
	v_mul_f64 v[6:7], v[140:141], v[42:43]
	v_fmac_f64_e32 v[6:7], v[142:143], v[40:41]
	v_accvgpr_write_b32 a113, v11
	v_add_f64 v[0:1], v[0:1], v[6:7]
	v_mul_f64 v[6:7], v[206:207], v[150:151]
	v_accvgpr_write_b32 a112, v10
	v_accvgpr_write_b32 a111, v9
	;; [unrolled: 1-line block ×3, first 2 shown]
	v_fma_f64 v[10:11], v[204:205], v[148:149], -v[6:7]
	ds_read_b128 v[148:151], v2 offset:1392
	v_mul_f64 v[18:19], v[210:211], v[154:155]
	v_fma_f64 v[18:19], v[208:209], v[152:153], -v[18:19]
	ds_read_b128 v[152:155], v2 offset:1408
	s_waitcnt vmcnt(14) lgkmcnt(2)
	v_mul_f64 v[6:7], v[144:145], v[46:47]
	v_fmac_f64_e32 v[6:7], v[146:147], v[44:45]
	v_add_f64 v[0:1], v[0:1], v[6:7]
	s_waitcnt vmcnt(13) lgkmcnt(1)
	v_mul_f64 v[6:7], v[148:149], v[50:51]
	ds_read_b128 v[156:159], v2 offset:1424
	v_fmac_f64_e32 v[6:7], v[150:151], v[48:49]
	v_add_f64 v[0:1], v[0:1], v[6:7]
	s_waitcnt vmcnt(12) lgkmcnt(1)
	v_mul_f64 v[6:7], v[152:153], v[54:55]
	v_fmac_f64_e32 v[6:7], v[154:155], v[52:53]
	v_add_f64 v[0:1], v[0:1], v[6:7]
	v_mul_f64 v[6:7], v[214:215], v[162:163]
	v_fma_f64 v[8:9], v[212:213], v[160:161], -v[6:7]
	ds_read_b128 v[160:163], v2 offset:1440
	s_waitcnt vmcnt(11) lgkmcnt(1)
	v_mul_f64 v[6:7], v[156:157], v[58:59]
	v_fmac_f64_e32 v[6:7], v[158:159], v[56:57]
	v_add_f64 v[0:1], v[0:1], v[6:7]
	v_mul_f64 v[6:7], v[218:219], v[166:167]
	v_fma_f64 v[22:23], v[216:217], v[164:165], -v[6:7]
	ds_read_b128 v[164:167], v2 offset:1456
	ds_read_b128 v[168:171], v2 offset:1472
	s_waitcnt vmcnt(10) lgkmcnt(2)
	v_mul_f64 v[6:7], v[160:161], v[62:63]
	v_fmac_f64_e32 v[6:7], v[162:163], v[60:61]
	v_add_f64 v[0:1], v[0:1], v[6:7]
	s_waitcnt vmcnt(9) lgkmcnt(1)
	v_mul_f64 v[6:7], v[164:165], v[66:67]
	v_fmac_f64_e32 v[6:7], v[166:167], v[64:65]
	v_add_f64 v[0:1], v[0:1], v[6:7]
	v_mul_f64 v[6:7], v[222:223], v[174:175]
	v_fma_f64 v[4:5], v[220:221], v[172:173], -v[6:7]
	ds_read_b128 v[172:175], v2 offset:1488
	v_mul_f64 v[6:7], v[226:227], v[178:179]
	v_fma_f64 v[6:7], v[224:225], v[176:177], -v[6:7]
	ds_read_b128 v[176:179], v2 offset:1504
	s_waitcnt vmcnt(8) lgkmcnt(2)
	v_mul_f64 v[26:27], v[168:169], v[70:71]
	v_fmac_f64_e32 v[26:27], v[170:171], v[68:69]
	v_add_f64 v[0:1], v[0:1], v[26:27]
	s_waitcnt vmcnt(7) lgkmcnt(1)
	v_mul_f64 v[26:27], v[172:173], v[74:75]
	v_fmac_f64_e32 v[26:27], v[174:175], v[72:73]
	v_add_f64 v[0:1], v[0:1], v[26:27]
	s_waitcnt vmcnt(6) lgkmcnt(0)
	v_mul_f64 v[26:27], v[176:177], v[78:79]
	v_fmac_f64_e32 v[26:27], v[178:179], v[76:77]
	ds_read_b128 v[180:183], v2 offset:1520
	v_add_f64 v[26:27], v[0:1], v[26:27]
	v_mul_f64 v[0:1], v[230:231], v[186:187]
	v_fma_f64 v[0:1], v[228:229], v[184:185], -v[0:1]
	ds_read_b128 v[184:187], v2 offset:1536
	s_waitcnt vmcnt(5) lgkmcnt(1)
	v_mul_f64 v[192:193], v[180:181], v[82:83]
	v_fmac_f64_e32 v[192:193], v[182:183], v[80:81]
	v_mul_f64 v[190:191], v[248:249], v[190:191]
	v_add_f64 v[26:27], v[26:27], v[192:193]
	v_fma_f64 v[238:239], v[246:247], v[188:189], -v[190:191]
	ds_read_b128 v[188:191], v2 offset:1552
	s_waitcnt vmcnt(4) lgkmcnt(1)
	v_mul_f64 v[192:193], v[184:185], v[90:91]
	v_fmac_f64_e32 v[192:193], v[186:187], v[88:89]
	v_add_f64 v[26:27], v[26:27], v[192:193]
	ds_read_b128 v[192:195], v2 offset:1568
	v_mul_f64 v[198:199], v[252:253], v[198:199]
	v_fma_f64 v[246:247], v[250:251], v[196:197], -v[198:199]
	ds_read_b128 v[196:199], v2 offset:1584
	ds_read_b128 v[208:211], v2 offset:1616
	s_waitcnt vmcnt(3) lgkmcnt(3)
	v_mul_f64 v[200:201], v[188:189], v[86:87]
	v_fmac_f64_e32 v[200:201], v[190:191], v[84:85]
	v_add_f64 v[26:27], v[26:27], v[200:201]
	s_waitcnt vmcnt(2) lgkmcnt(2)
	v_mul_f64 v[200:201], v[192:193], v[98:99]
	v_fmac_f64_e32 v[200:201], v[194:195], v[96:97]
	v_add_f64 v[26:27], v[26:27], v[200:201]
	;; [unrolled: 4-line block ×3, first 2 shown]
	ds_read_b128 v[200:203], v2 offset:1600
	ds_read_b128 v[216:219], v2 offset:1632
	;; [unrolled: 1-line block ×3, first 2 shown]
	s_waitcnt vmcnt(0) lgkmcnt(2)
	v_mul_f64 v[204:205], v[200:201], v[114:115]
	v_fmac_f64_e32 v[204:205], v[202:203], v[112:113]
	v_add_f64 v[26:27], v[26:27], v[204:205]
	scratch_load_dwordx4 v[204:207], off, off offset:800
	s_waitcnt vmcnt(0)
	v_mul_f64 v[212:213], v[208:209], v[206:207]
	v_fmac_f64_e32 v[212:213], v[210:211], v[204:205]
	v_add_f64 v[26:27], v[26:27], v[212:213]
	scratch_load_dwordx4 v[212:215], off, off offset:816
	s_waitcnt vmcnt(0) lgkmcnt(1)
	v_mul_f64 v[220:221], v[216:217], v[214:215]
	v_fmac_f64_e32 v[220:221], v[218:219], v[212:213]
	v_add_f64 v[26:27], v[26:27], v[220:221]
	scratch_load_dwordx4 v[220:223], off, off offset:832
	s_waitcnt vmcnt(0) lgkmcnt(0)
	v_mul_f64 v[228:229], v[224:225], v[222:223]
	v_fmac_f64_e32 v[228:229], v[226:227], v[220:221]
	v_add_f64 v[250:251], v[26:27], v[228:229]
	scratch_load_dwordx4 v[228:231], off, off offset:80
	v_add_f64 v[26:27], v[240:241], 0
	v_add_f64 v[26:27], v[26:27], v[242:243]
	v_add_f64 v[26:27], v[26:27], v[244:245]
	v_add_f64 v[26:27], v[26:27], v[254:255]
	v_add_f64 v[26:27], v[26:27], v[232:233]
	v_add_f64 v[24:25], v[26:27], v[24:25]
	v_add_f64 v[20:21], v[24:25], v[20:21]
	v_add_f64 v[16:17], v[20:21], v[16:17]
	v_add_f64 v[12:13], v[16:17], v[12:13]
	v_add_f64 v[12:13], v[12:13], v[14:15]
	v_add_f64 v[10:11], v[12:13], v[10:11]
	v_add_f64 v[10:11], v[10:11], v[18:19]
	v_add_f64 v[8:9], v[10:11], v[8:9]
	v_add_f64 v[8:9], v[8:9], v[22:23]
	v_add_f64 v[248:249], v[8:9], v[4:5]
	v_add_f64 v[4:5], v[248:249], v[6:7]
	v_accvgpr_read_b32 v6, a106
	v_accvgpr_read_b32 v8, a108
	;; [unrolled: 1-line block ×3, first 2 shown]
	v_add_f64 v[0:1], v[4:5], v[0:1]
	v_accvgpr_read_b32 v7, a107
	v_mul_f64 v[4:5], v[102:103], v[8:9]
	v_add_f64 v[0:1], v[0:1], v[238:239]
	v_fma_f64 v[4:5], v[100:101], v[6:7], -v[4:5]
	v_accvgpr_read_b32 v6, a110
	v_add_f64 v[0:1], v[0:1], v[246:247]
	v_accvgpr_read_b32 v8, a112
	v_accvgpr_read_b32 v9, a113
	v_add_f64 v[0:1], v[0:1], v[4:5]
	v_accvgpr_read_b32 v7, a111
	v_mul_f64 v[4:5], v[106:107], v[8:9]
	v_fma_f64 v[4:5], v[104:105], v[6:7], -v[4:5]
	v_accvgpr_read_b32 v6, a114
	v_accvgpr_read_b32 v8, a116
	v_accvgpr_read_b32 v9, a117
	v_add_f64 v[0:1], v[0:1], v[4:5]
	v_accvgpr_read_b32 v7, a115
	v_mul_f64 v[4:5], v[110:111], v[8:9]
	v_fma_f64 v[4:5], v[108:109], v[6:7], -v[4:5]
	v_accvgpr_read_b32 v6, a118
	;; [unrolled: 7-line block ×3, first 2 shown]
	v_accvgpr_read_b32 v8, a124
	v_accvgpr_read_b32 v9, a125
	v_add_f64 v[0:1], v[0:1], v[4:5]
	v_accvgpr_read_b32 v7, a123
	v_mul_f64 v[4:5], v[122:123], v[8:9]
	v_fma_f64 v[4:5], v[120:121], v[6:7], -v[4:5]
	v_add_f64 v[0:1], v[0:1], v[4:5]
	v_mul_f64 v[4:5], v[126:127], v[236:237]
	v_fma_f64 v[4:5], v[124:125], v[234:235], -v[4:5]
	v_add_f64 v[0:1], v[0:1], v[4:5]
	;; [unrolled: 3-line block ×24, first 2 shown]
	s_waitcnt vmcnt(0)
	v_add_f64 v[4:5], v[228:229], -v[0:1]
	v_accvgpr_read_b32 v0, a104
	v_add_f64 v[6:7], v[230:231], -v[250:251]
	v_cmp_lt_u32_e32 vcc, 3, v0
	scratch_store_dwordx4 off, v[4:7], off offset:80
	s_and_saveexec_b64 s[0:1], vcc
	s_cbranch_execz .LBB115_319
; %bb.318:
	scratch_load_dwordx4 v[6:9], off, s65
	v_mov_b32_e32 v3, v2
	v_mov_b32_e32 v4, v2
	;; [unrolled: 1-line block ×3, first 2 shown]
	v_accvgpr_read_b32 v0, a105
	scratch_store_dwordx4 off, v[2:5], off offset:64
	s_waitcnt vmcnt(1)
	ds_write_b128 v0, v[6:9]
.LBB115_319:
	s_or_b64 exec, exec, s[0:1]
	s_waitcnt lgkmcnt(0)
	; wave barrier
	scratch_load_dwordx4 v[40:43], off, off offset:80
	scratch_load_dwordx4 v[44:47], off, off offset:96
	;; [unrolled: 1-line block ×18, first 2 shown]
	ds_read_b128 v[164:167], v2 offset:896
	ds_read_b128 v[232:235], v2 offset:912
	ds_read_b128 v[168:171], v2 offset:928
	ds_read_b128 v[220:223], v2 offset:944
	ds_read_b128 v[172:175], v2 offset:960
	ds_read_b128 v[176:179], v2 offset:976
	scratch_load_dwordx4 v[140:143], off, off offset:368
	ds_read_b128 v[224:227], v2 offset:992
	ds_read_b128 v[212:215], v2 offset:1008
	;; [unrolled: 1-line block ×3, first 2 shown]
	scratch_load_dwordx4 v[4:7], off, off offset:384
	ds_read_b128 v[228:231], v2 offset:1040
	ds_read_b128 v[216:219], v2 offset:1056
	;; [unrolled: 1-line block ×5, first 2 shown]
	scratch_load_dwordx4 v[8:11], off, off offset:400
	ds_read_b128 v[208:211], v2 offset:1120
	ds_read_b128 v[196:199], v2 offset:1136
	;; [unrolled: 1-line block ×3, first 2 shown]
	scratch_load_dwordx4 v[12:15], off, off offset:416
	ds_read_b128 v[200:203], v2 offset:1168
	scratch_load_dwordx4 v[16:19], off, off offset:432
	scratch_load_dwordx4 v[20:23], off, off offset:448
	;; [unrolled: 1-line block ×7, first 2 shown]
	ds_read_b128 v[236:239], v2 offset:1184
	ds_read_b128 v[156:159], v2 offset:1248
	;; [unrolled: 1-line block ×4, first 2 shown]
	s_waitcnt vmcnt(28) lgkmcnt(14)
	v_mul_f64 v[0:1], v[164:165], v[42:43]
	s_waitcnt vmcnt(27)
	v_mul_f64 v[108:109], v[232:233], v[46:47]
	v_fmac_f64_e32 v[0:1], v[166:167], v[40:41]
	s_waitcnt vmcnt(26)
	v_mul_f64 v[110:111], v[168:169], v[50:51]
	v_fmac_f64_e32 v[108:109], v[234:235], v[44:45]
	v_add_f64 v[0:1], v[0:1], 0
	s_waitcnt vmcnt(25)
	v_mul_f64 v[116:117], v[220:221], v[54:55]
	v_fmac_f64_e32 v[110:111], v[170:171], v[48:49]
	v_add_f64 v[0:1], v[0:1], v[108:109]
	;; [unrolled: 4-line block ×6, first 2 shown]
	s_waitcnt vmcnt(20) lgkmcnt(13)
	v_mul_f64 v[126:127], v[180:181], v[78:79]
	v_fmac_f64_e32 v[124:125], v[214:215], v[68:69]
	v_add_f64 v[0:1], v[0:1], v[122:123]
	s_waitcnt vmcnt(19) lgkmcnt(12)
	v_mul_f64 v[128:129], v[228:229], v[82:83]
	v_fmac_f64_e32 v[126:127], v[182:183], v[76:77]
	v_add_f64 v[0:1], v[0:1], v[124:125]
	;; [unrolled: 4-line block ×9, first 2 shown]
	v_add_f64 v[0:1], v[0:1], v[148:149]
	v_fmac_f64_e32 v[150:151], v[186:187], v[112:113]
	s_waitcnt vmcnt(11) lgkmcnt(4)
	v_mul_f64 v[116:117], v[200:201], v[138:139]
	v_add_f64 v[0:1], v[0:1], v[150:151]
	v_fmac_f64_e32 v[116:117], v[202:203], v[136:137]
	v_add_f64 v[0:1], v[0:1], v[116:117]
	ds_read_b128 v[144:147], v2 offset:1200
	s_waitcnt vmcnt(10) lgkmcnt(4)
	v_mul_f64 v[116:117], v[236:237], v[142:143]
	scratch_load_dwordx4 v[108:111], off, off offset:544
	v_fmac_f64_e32 v[116:117], v[238:239], v[140:141]
	v_add_f64 v[0:1], v[0:1], v[116:117]
	scratch_load_dwordx4 v[116:119], off, off offset:560
	ds_read_b128 v[148:151], v2 offset:1216
	scratch_load_dwordx4 v[120:123], off, off offset:576
	s_waitcnt vmcnt(12) lgkmcnt(1)
	v_mul_f64 v[124:125], v[144:145], v[6:7]
	v_fmac_f64_e32 v[124:125], v[146:147], v[4:5]
	v_add_f64 v[0:1], v[0:1], v[124:125]
	s_waitcnt vmcnt(11) lgkmcnt(0)
	v_mul_f64 v[124:125], v[148:149], v[10:11]
	v_fmac_f64_e32 v[124:125], v[150:151], v[8:9]
	s_waitcnt vmcnt(10)
	v_mul_f64 v[128:129], v[152:153], v[14:15]
	v_add_f64 v[0:1], v[0:1], v[124:125]
	scratch_load_dwordx4 v[124:127], off, off offset:592
	v_fmac_f64_e32 v[128:129], v[154:155], v[12:13]
	v_add_f64 v[0:1], v[0:1], v[128:129]
	scratch_load_dwordx4 v[128:131], off, off offset:608
	s_waitcnt vmcnt(11)
	v_mul_f64 v[132:133], v[156:157], v[18:19]
	v_fmac_f64_e32 v[132:133], v[158:159], v[16:17]
	v_add_f64 v[0:1], v[0:1], v[132:133]
	scratch_load_dwordx4 v[132:135], off, off offset:624
	v_mul_f64 v[42:43], v[166:167], v[42:43]
	v_fma_f64 v[240:241], v[164:165], v[40:41], -v[42:43]
	scratch_load_dwordx4 v[40:43], off, off offset:640
	v_mul_f64 v[46:47], v[234:235], v[46:47]
	v_fma_f64 v[242:243], v[232:233], v[44:45], -v[46:47]
	;; [unrolled: 3-line block ×3, first 2 shown]
	v_mul_f64 v[48:49], v[222:223], v[54:55]
	v_fma_f64 v[250:251], v[220:221], v[52:53], -v[48:49]
	scratch_load_dwordx4 v[48:51], off, off offset:672
	scratch_load_dwordx4 v[52:55], off, off offset:688
	s_waitcnt vmcnt(15)
	v_mul_f64 v[164:165], v[160:161], v[22:23]
	v_fmac_f64_e32 v[164:165], v[162:163], v[20:21]
	v_add_f64 v[0:1], v[0:1], v[164:165]
	ds_read_b128 v[164:167], v2 offset:1280
	ds_read_b128 v[168:171], v2 offset:1296
	v_mul_f64 v[58:59], v[174:175], v[58:59]
	v_fma_f64 v[252:253], v[172:173], v[56:57], -v[58:59]
	ds_read_b128 v[172:175], v2 offset:1312
	v_mul_f64 v[56:57], v[178:179], v[62:63]
	v_fma_f64 v[254:255], v[176:177], v[60:61], -v[56:57]
	scratch_load_dwordx4 v[60:63], off, off offset:704
	scratch_load_dwordx4 v[56:59], off, off offset:720
	s_waitcnt vmcnt(16) lgkmcnt(2)
	v_mul_f64 v[232:233], v[164:165], v[34:35]
	v_fmac_f64_e32 v[232:233], v[166:167], v[32:33]
	s_waitcnt vmcnt(15) lgkmcnt(1)
	v_mul_f64 v[220:221], v[168:169], v[38:39]
	v_mul_f64 v[66:67], v[226:227], v[66:67]
	v_add_f64 v[0:1], v[0:1], v[232:233]
	v_fmac_f64_e32 v[220:221], v[170:171], v[36:37]
	v_fma_f64 v[246:247], v[224:225], v[64:65], -v[66:67]
	s_waitcnt vmcnt(14) lgkmcnt(0)
	v_mul_f64 v[64:65], v[172:173], v[30:31]
	v_add_f64 v[0:1], v[0:1], v[220:221]
	v_fmac_f64_e32 v[64:65], v[174:175], v[28:29]
	v_accvgpr_write_b32 a133, v23
	v_add_f64 v[0:1], v[0:1], v[64:65]
	v_mul_f64 v[64:65], v[214:215], v[70:71]
	v_accvgpr_write_b32 a132, v22
	v_accvgpr_write_b32 a131, v21
	;; [unrolled: 1-line block ×3, first 2 shown]
	ds_read_b128 v[176:179], v2 offset:1328
	v_fma_f64 v[20:21], v[212:213], v[68:69], -v[64:65]
	scratch_load_dwordx4 v[68:71], off, off offset:736
	scratch_load_dwordx4 v[64:67], off, off offset:752
	v_accvgpr_write_b32 a117, v7
	v_accvgpr_write_b32 a116, v6
	;; [unrolled: 1-line block ×5, first 2 shown]
	v_mul_f64 v[6:7], v[182:183], v[78:79]
	v_accvgpr_write_b32 a128, v18
	v_accvgpr_write_b32 a127, v17
	;; [unrolled: 1-line block ×3, first 2 shown]
	v_fma_f64 v[16:17], v[180:181], v[76:77], -v[6:7]
	s_waitcnt vmcnt(15) lgkmcnt(0)
	v_mul_f64 v[76:77], v[176:177], v[26:27]
	v_fmac_f64_e32 v[76:77], v[178:179], v[24:25]
	v_accvgpr_write_b32 a125, v15
	v_add_f64 v[0:1], v[0:1], v[76:77]
	v_mul_f64 v[76:77], v[230:231], v[82:83]
	v_accvgpr_write_b32 a124, v14
	v_accvgpr_write_b32 a123, v13
	;; [unrolled: 1-line block ×3, first 2 shown]
	v_fma_f64 v[12:13], v[228:229], v[80:81], -v[76:77]
	scratch_load_dwordx4 v[76:79], off, off offset:768
	scratch_load_dwordx4 v[232:235], off, off offset:832
	ds_read_b128 v[180:183], v2 offset:1344
	ds_read_b128 v[80:83], v2 offset:1360
	v_accvgpr_write_b32 a121, v11
	v_accvgpr_write_b32 a120, v10
	;; [unrolled: 1-line block ×4, first 2 shown]
	s_waitcnt vmcnt(16) lgkmcnt(1)
	v_mul_f64 v[10:11], v[180:181], v[74:75]
	v_fmac_f64_e32 v[10:11], v[182:183], v[72:73]
	v_add_f64 v[0:1], v[0:1], v[10:11]
	v_mul_f64 v[10:11], v[218:219], v[86:87]
	v_fma_f64 v[10:11], v[216:217], v[84:85], -v[10:11]
	ds_read_b128 v[84:87], v2 offset:1376
	v_mul_f64 v[90:91], v[190:191], v[90:91]
	v_fma_f64 v[8:9], v[188:189], v[88:89], -v[90:91]
	ds_read_b128 v[88:91], v2 offset:1392
	s_waitcnt vmcnt(15) lgkmcnt(2)
	v_mul_f64 v[212:213], v[80:81], v[110:111]
	v_fmac_f64_e32 v[212:213], v[82:83], v[108:109]
	s_waitcnt vmcnt(14) lgkmcnt(1)
	v_mul_f64 v[14:15], v[84:85], v[118:119]
	v_add_f64 v[0:1], v[0:1], v[212:213]
	v_fmac_f64_e32 v[14:15], v[86:87], v[116:117]
	v_add_f64 v[0:1], v[0:1], v[14:15]
	s_waitcnt vmcnt(13) lgkmcnt(0)
	v_mul_f64 v[14:15], v[88:89], v[122:123]
	v_fmac_f64_e32 v[14:15], v[90:91], v[120:121]
	ds_read_b128 v[188:191], v2 offset:1408
	v_add_f64 v[0:1], v[0:1], v[14:15]
	v_mul_f64 v[14:15], v[206:207], v[94:95]
	v_fma_f64 v[14:15], v[204:205], v[92:93], -v[14:15]
	ds_read_b128 v[92:95], v2 offset:1424
	v_mul_f64 v[98:99], v[194:195], v[98:99]
	v_fma_f64 v[6:7], v[192:193], v[96:97], -v[98:99]
	ds_read_b128 v[96:99], v2 offset:1440
	ds_read_b128 v[192:195], v2 offset:1456
	s_waitcnt vmcnt(12) lgkmcnt(3)
	v_mul_f64 v[204:205], v[188:189], v[126:127]
	v_fmac_f64_e32 v[204:205], v[190:191], v[124:125]
	s_waitcnt vmcnt(11) lgkmcnt(2)
	v_mul_f64 v[18:19], v[92:93], v[130:131]
	v_add_f64 v[0:1], v[0:1], v[204:205]
	v_fmac_f64_e32 v[18:19], v[94:95], v[128:129]
	v_add_f64 v[0:1], v[0:1], v[18:19]
	s_waitcnt vmcnt(10) lgkmcnt(1)
	v_mul_f64 v[18:19], v[96:97], v[134:135]
	v_fmac_f64_e32 v[18:19], v[98:99], v[132:133]
	v_add_f64 v[0:1], v[0:1], v[18:19]
	v_mul_f64 v[18:19], v[210:211], v[102:103]
	v_fma_f64 v[18:19], v[208:209], v[100:101], -v[18:19]
	ds_read_b128 v[100:103], v2 offset:1472
	v_mul_f64 v[106:107], v[198:199], v[106:107]
	v_fma_f64 v[4:5], v[196:197], v[104:105], -v[106:107]
	ds_read_b128 v[104:107], v2 offset:1488
	s_waitcnt vmcnt(9) lgkmcnt(2)
	v_mul_f64 v[204:205], v[192:193], v[42:43]
	v_fmac_f64_e32 v[204:205], v[194:195], v[40:41]
	s_waitcnt vmcnt(8) lgkmcnt(1)
	v_mul_f64 v[22:23], v[100:101], v[46:47]
	v_add_f64 v[0:1], v[0:1], v[204:205]
	v_fmac_f64_e32 v[22:23], v[102:103], v[44:45]
	v_add_f64 v[0:1], v[0:1], v[22:23]
	s_waitcnt vmcnt(7) lgkmcnt(0)
	v_mul_f64 v[22:23], v[104:105], v[50:51]
	ds_read_b128 v[196:199], v2 offset:1504
	v_fmac_f64_e32 v[22:23], v[106:107], v[48:49]
	v_add_f64 v[0:1], v[0:1], v[22:23]
	v_mul_f64 v[22:23], v[186:187], v[114:115]
	v_fma_f64 v[22:23], v[184:185], v[112:113], -v[22:23]
	ds_read_b128 v[112:115], v2 offset:1520
	s_waitcnt vmcnt(6) lgkmcnt(1)
	v_mul_f64 v[184:185], v[196:197], v[54:55]
	v_fmac_f64_e32 v[184:185], v[198:199], v[52:53]
	v_add_f64 v[184:185], v[0:1], v[184:185]
	v_mul_f64 v[0:1], v[202:203], v[138:139]
	v_fma_f64 v[0:1], v[200:201], v[136:137], -v[0:1]
	ds_read_b128 v[136:139], v2 offset:1536
	s_waitcnt vmcnt(5) lgkmcnt(1)
	v_mul_f64 v[186:187], v[112:113], v[62:63]
	v_fmac_f64_e32 v[186:187], v[114:115], v[60:61]
	v_add_f64 v[200:201], v[184:185], v[186:187]
	ds_read_b128 v[184:187], v2 offset:1552
	v_mul_f64 v[142:143], v[238:239], v[142:143]
	v_fma_f64 v[248:249], v[236:237], v[140:141], -v[142:143]
	ds_read_b128 v[140:143], v2 offset:1568
	ds_read_b128 v[208:211], v2 offset:1600
	s_waitcnt vmcnt(4) lgkmcnt(3)
	v_mul_f64 v[202:203], v[136:137], v[58:59]
	v_fmac_f64_e32 v[202:203], v[138:139], v[56:57]
	v_add_f64 v[200:201], v[200:201], v[202:203]
	s_waitcnt vmcnt(3) lgkmcnt(2)
	v_mul_f64 v[202:203], v[184:185], v[70:71]
	v_fmac_f64_e32 v[202:203], v[186:187], v[68:69]
	v_add_f64 v[200:201], v[200:201], v[202:203]
	s_waitcnt vmcnt(2) lgkmcnt(1)
	v_mul_f64 v[202:203], v[140:141], v[66:67]
	v_fmac_f64_e32 v[202:203], v[142:143], v[64:65]
	v_add_f64 v[204:205], v[200:201], v[202:203]
	ds_read_b128 v[200:203], v2 offset:1584
	ds_read_b128 v[216:219], v2 offset:1616
	;; [unrolled: 1-line block ×3, first 2 shown]
	s_waitcnt vmcnt(1) lgkmcnt(2)
	v_mul_f64 v[206:207], v[200:201], v[78:79]
	v_fmac_f64_e32 v[206:207], v[202:203], v[76:77]
	v_add_f64 v[212:213], v[204:205], v[206:207]
	scratch_load_dwordx4 v[204:207], off, off offset:784
	s_waitcnt vmcnt(0)
	v_mul_f64 v[214:215], v[208:209], v[206:207]
	v_fmac_f64_e32 v[214:215], v[210:211], v[204:205]
	v_add_f64 v[220:221], v[212:213], v[214:215]
	scratch_load_dwordx4 v[212:215], off, off offset:800
	s_waitcnt vmcnt(0) lgkmcnt(1)
	v_mul_f64 v[222:223], v[216:217], v[214:215]
	v_fmac_f64_e32 v[222:223], v[218:219], v[212:213]
	v_add_f64 v[228:229], v[220:221], v[222:223]
	scratch_load_dwordx4 v[220:223], off, off offset:816
	s_waitcnt vmcnt(0) lgkmcnt(0)
	v_mul_f64 v[230:231], v[224:225], v[222:223]
	v_fmac_f64_e32 v[230:231], v[226:227], v[220:221]
	v_add_f64 v[236:237], v[228:229], v[230:231]
	ds_read_b128 v[228:231], v2 offset:1648
	s_waitcnt lgkmcnt(0)
	v_mul_f64 v[2:3], v[228:229], v[234:235]
	v_fmac_f64_e32 v[2:3], v[230:231], v[232:233]
	v_add_f64 v[2:3], v[236:237], v[2:3]
	v_add_f64 v[236:237], v[240:241], 0
	;; [unrolled: 1-line block ×9, first 2 shown]
	scratch_load_dwordx4 v[236:239], off, off offset:64
	v_add_f64 v[16:17], v[20:21], v[16:17]
	v_add_f64 v[12:13], v[16:17], v[12:13]
	;; [unrolled: 1-line block ×8, first 2 shown]
	v_accvgpr_read_b32 v6, a114
	v_accvgpr_read_b32 v8, a116
	;; [unrolled: 1-line block ×3, first 2 shown]
	v_add_f64 v[250:251], v[4:5], v[22:23]
	v_accvgpr_read_b32 v7, a115
	v_mul_f64 v[4:5], v[146:147], v[8:9]
	v_add_f64 v[0:1], v[250:251], v[0:1]
	v_fma_f64 v[4:5], v[144:145], v[6:7], -v[4:5]
	v_accvgpr_read_b32 v6, a118
	v_add_f64 v[0:1], v[0:1], v[248:249]
	v_accvgpr_read_b32 v8, a120
	v_accvgpr_read_b32 v9, a121
	v_add_f64 v[0:1], v[0:1], v[4:5]
	v_accvgpr_read_b32 v7, a119
	v_mul_f64 v[4:5], v[150:151], v[8:9]
	v_fma_f64 v[4:5], v[148:149], v[6:7], -v[4:5]
	v_accvgpr_read_b32 v6, a122
	v_accvgpr_read_b32 v8, a124
	v_accvgpr_read_b32 v9, a125
	v_add_f64 v[0:1], v[0:1], v[4:5]
	v_accvgpr_read_b32 v7, a123
	v_mul_f64 v[4:5], v[154:155], v[8:9]
	v_fma_f64 v[4:5], v[152:153], v[6:7], -v[4:5]
	v_accvgpr_read_b32 v6, a126
	;; [unrolled: 7-line block ×3, first 2 shown]
	v_accvgpr_read_b32 v8, a132
	v_accvgpr_read_b32 v9, a133
	v_add_f64 v[0:1], v[0:1], v[4:5]
	v_accvgpr_read_b32 v7, a131
	v_mul_f64 v[4:5], v[162:163], v[8:9]
	v_fma_f64 v[4:5], v[160:161], v[6:7], -v[4:5]
	v_add_f64 v[0:1], v[0:1], v[4:5]
	v_mul_f64 v[4:5], v[166:167], v[34:35]
	v_fma_f64 v[4:5], v[164:165], v[32:33], -v[4:5]
	v_add_f64 v[0:1], v[0:1], v[4:5]
	v_mul_f64 v[4:5], v[170:171], v[38:39]
	v_fma_f64 v[4:5], v[168:169], v[36:37], -v[4:5]
	v_add_f64 v[0:1], v[0:1], v[4:5]
	v_mul_f64 v[4:5], v[174:175], v[30:31]
	v_fma_f64 v[4:5], v[172:173], v[28:29], -v[4:5]
	v_add_f64 v[0:1], v[0:1], v[4:5]
	v_mul_f64 v[4:5], v[178:179], v[26:27]
	v_fma_f64 v[4:5], v[176:177], v[24:25], -v[4:5]
	v_add_f64 v[0:1], v[0:1], v[4:5]
	v_mul_f64 v[4:5], v[182:183], v[74:75]
	v_fma_f64 v[4:5], v[180:181], v[72:73], -v[4:5]
	v_add_f64 v[0:1], v[0:1], v[4:5]
	v_mul_f64 v[4:5], v[82:83], v[110:111]
	v_fma_f64 v[4:5], v[80:81], v[108:109], -v[4:5]
	v_add_f64 v[0:1], v[0:1], v[4:5]
	v_mul_f64 v[4:5], v[86:87], v[118:119]
	v_fma_f64 v[4:5], v[84:85], v[116:117], -v[4:5]
	v_add_f64 v[0:1], v[0:1], v[4:5]
	v_mul_f64 v[4:5], v[90:91], v[122:123]
	v_fma_f64 v[4:5], v[88:89], v[120:121], -v[4:5]
	v_add_f64 v[0:1], v[0:1], v[4:5]
	v_mul_f64 v[4:5], v[190:191], v[126:127]
	v_fma_f64 v[4:5], v[188:189], v[124:125], -v[4:5]
	v_add_f64 v[0:1], v[0:1], v[4:5]
	v_mul_f64 v[4:5], v[94:95], v[130:131]
	v_fma_f64 v[4:5], v[92:93], v[128:129], -v[4:5]
	v_add_f64 v[0:1], v[0:1], v[4:5]
	v_mul_f64 v[4:5], v[98:99], v[134:135]
	v_fma_f64 v[4:5], v[96:97], v[132:133], -v[4:5]
	v_add_f64 v[0:1], v[0:1], v[4:5]
	v_mul_f64 v[4:5], v[194:195], v[42:43]
	v_fma_f64 v[4:5], v[192:193], v[40:41], -v[4:5]
	v_add_f64 v[0:1], v[0:1], v[4:5]
	v_mul_f64 v[4:5], v[102:103], v[46:47]
	v_fma_f64 v[4:5], v[100:101], v[44:45], -v[4:5]
	v_add_f64 v[0:1], v[0:1], v[4:5]
	v_mul_f64 v[4:5], v[106:107], v[50:51]
	v_fma_f64 v[4:5], v[104:105], v[48:49], -v[4:5]
	v_add_f64 v[0:1], v[0:1], v[4:5]
	v_mul_f64 v[4:5], v[198:199], v[54:55]
	v_fma_f64 v[4:5], v[196:197], v[52:53], -v[4:5]
	v_add_f64 v[0:1], v[0:1], v[4:5]
	v_mul_f64 v[4:5], v[114:115], v[62:63]
	v_fma_f64 v[4:5], v[112:113], v[60:61], -v[4:5]
	v_add_f64 v[0:1], v[0:1], v[4:5]
	v_mul_f64 v[4:5], v[138:139], v[58:59]
	v_fma_f64 v[4:5], v[136:137], v[56:57], -v[4:5]
	v_add_f64 v[0:1], v[0:1], v[4:5]
	v_mul_f64 v[4:5], v[186:187], v[70:71]
	v_fma_f64 v[4:5], v[184:185], v[68:69], -v[4:5]
	v_add_f64 v[0:1], v[0:1], v[4:5]
	v_mul_f64 v[4:5], v[142:143], v[66:67]
	v_fma_f64 v[4:5], v[140:141], v[64:65], -v[4:5]
	v_add_f64 v[0:1], v[0:1], v[4:5]
	v_mul_f64 v[4:5], v[202:203], v[78:79]
	v_fma_f64 v[4:5], v[200:201], v[76:77], -v[4:5]
	v_add_f64 v[0:1], v[0:1], v[4:5]
	v_mul_f64 v[4:5], v[210:211], v[206:207]
	v_fma_f64 v[4:5], v[208:209], v[204:205], -v[4:5]
	v_add_f64 v[0:1], v[0:1], v[4:5]
	v_mul_f64 v[4:5], v[218:219], v[214:215]
	v_fma_f64 v[4:5], v[216:217], v[212:213], -v[4:5]
	v_add_f64 v[0:1], v[0:1], v[4:5]
	v_mul_f64 v[4:5], v[226:227], v[222:223]
	v_fma_f64 v[4:5], v[224:225], v[220:221], -v[4:5]
	v_add_f64 v[0:1], v[0:1], v[4:5]
	v_mul_f64 v[4:5], v[230:231], v[234:235]
	v_fma_f64 v[4:5], v[228:229], v[232:233], -v[4:5]
	v_add_f64 v[0:1], v[0:1], v[4:5]
	s_waitcnt vmcnt(0)
	v_add_f64 v[4:5], v[236:237], -v[0:1]
	v_accvgpr_read_b32 v0, a104
	v_add_f64 v[6:7], v[238:239], -v[2:3]
	v_cmp_lt_u32_e32 vcc, 2, v0
	scratch_store_dwordx4 off, v[4:7], off offset:64
	s_and_saveexec_b64 s[0:1], vcc
	s_cbranch_execz .LBB115_321
; %bb.320:
	scratch_load_dwordx4 v[2:5], off, s66
	v_mov_b32_e32 v6, 0
	v_mov_b32_e32 v7, v6
	;; [unrolled: 1-line block ×4, first 2 shown]
	v_accvgpr_read_b32 v0, a105
	scratch_store_dwordx4 off, v[6:9], off offset:48
	s_waitcnt vmcnt(1)
	ds_write_b128 v0, v[2:5]
.LBB115_321:
	s_or_b64 exec, exec, s[0:1]
	s_waitcnt lgkmcnt(0)
	; wave barrier
	scratch_load_dwordx4 v[56:59], off, off offset:64
	scratch_load_dwordx4 v[60:63], off, off offset:80
	;; [unrolled: 1-line block ×28, first 2 shown]
	v_mov_b32_e32 v2, 0
	ds_read_b128 v[116:119], v2 offset:880
	ds_read_b128 v[120:123], v2 offset:896
	;; [unrolled: 1-line block ×22, first 2 shown]
	s_waitcnt vmcnt(27) lgkmcnt(14)
	v_mul_f64 v[0:1], v[116:117], v[58:59]
	s_waitcnt vmcnt(26)
	v_mul_f64 v[32:33], v[120:121], v[62:63]
	v_fmac_f64_e32 v[0:1], v[118:119], v[56:57]
	s_waitcnt vmcnt(25)
	v_mul_f64 v[34:35], v[124:125], v[66:67]
	v_fmac_f64_e32 v[32:33], v[122:123], v[60:61]
	v_add_f64 v[0:1], v[0:1], 0
	v_fmac_f64_e32 v[34:35], v[126:127], v[64:65]
	v_add_f64 v[0:1], v[0:1], v[32:33]
	v_add_f64 v[0:1], v[0:1], v[34:35]
	scratch_load_dwordx4 v[32:35], off, off offset:512
	s_waitcnt vmcnt(25)
	v_mul_f64 v[36:37], v[128:129], v[70:71]
	s_waitcnt vmcnt(24)
	v_mul_f64 v[38:39], v[132:133], v[74:75]
	v_fmac_f64_e32 v[36:37], v[130:131], v[68:69]
	s_waitcnt vmcnt(23)
	v_mul_f64 v[40:41], v[140:141], v[78:79]
	v_fmac_f64_e32 v[38:39], v[134:135], v[72:73]
	v_add_f64 v[0:1], v[0:1], v[36:37]
	s_waitcnt vmcnt(22)
	v_mul_f64 v[42:43], v[152:153], v[82:83]
	v_fmac_f64_e32 v[40:41], v[142:143], v[76:77]
	v_add_f64 v[0:1], v[0:1], v[38:39]
	;; [unrolled: 4-line block ×3, first 2 shown]
	s_waitcnt vmcnt(20) lgkmcnt(13)
	v_mul_f64 v[46:47], v[176:177], v[94:95]
	v_fmac_f64_e32 v[44:45], v[166:167], v[84:85]
	v_add_f64 v[0:1], v[0:1], v[42:43]
	s_waitcnt vmcnt(19) lgkmcnt(12)
	v_mul_f64 v[48:49], v[188:189], v[98:99]
	v_fmac_f64_e32 v[46:47], v[178:179], v[92:93]
	v_add_f64 v[0:1], v[0:1], v[44:45]
	s_waitcnt vmcnt(18) lgkmcnt(11)
	v_mul_f64 v[50:51], v[196:197], v[102:103]
	v_fmac_f64_e32 v[48:49], v[190:191], v[96:97]
	v_add_f64 v[0:1], v[0:1], v[46:47]
	s_waitcnt vmcnt(17) lgkmcnt(10)
	v_mul_f64 v[52:53], v[200:201], v[138:139]
	v_fmac_f64_e32 v[50:51], v[198:199], v[100:101]
	v_add_f64 v[0:1], v[0:1], v[48:49]
	s_waitcnt vmcnt(16) lgkmcnt(9)
	v_mul_f64 v[54:55], v[204:205], v[146:147]
	v_fmac_f64_e32 v[52:53], v[202:203], v[136:137]
	v_add_f64 v[0:1], v[0:1], v[50:51]
	s_waitcnt vmcnt(15) lgkmcnt(8)
	v_mul_f64 v[88:89], v[208:209], v[150:151]
	v_fmac_f64_e32 v[54:55], v[206:207], v[144:145]
	v_add_f64 v[0:1], v[0:1], v[52:53]
	s_waitcnt vmcnt(14) lgkmcnt(7)
	v_mul_f64 v[90:91], v[212:213], v[158:159]
	v_fmac_f64_e32 v[88:89], v[210:211], v[148:149]
	v_add_f64 v[0:1], v[0:1], v[54:55]
	s_waitcnt vmcnt(13) lgkmcnt(6)
	v_mul_f64 v[104:105], v[216:217], v[162:163]
	v_fmac_f64_e32 v[90:91], v[214:215], v[156:157]
	v_add_f64 v[0:1], v[0:1], v[88:89]
	s_waitcnt vmcnt(12) lgkmcnt(5)
	v_mul_f64 v[106:107], v[220:221], v[170:171]
	v_fmac_f64_e32 v[104:105], v[218:219], v[160:161]
	v_add_f64 v[0:1], v[0:1], v[90:91]
	v_add_f64 v[0:1], v[0:1], v[104:105]
	v_fmac_f64_e32 v[106:107], v[222:223], v[168:169]
	s_waitcnt vmcnt(11) lgkmcnt(4)
	v_mul_f64 v[40:41], v[224:225], v[174:175]
	v_add_f64 v[0:1], v[0:1], v[106:107]
	v_fmac_f64_e32 v[40:41], v[226:227], v[172:173]
	scratch_load_dwordx4 v[36:39], off, off offset:528
	v_add_f64 v[0:1], v[0:1], v[40:41]
	s_waitcnt vmcnt(11) lgkmcnt(3)
	v_mul_f64 v[40:41], v[228:229], v[182:183]
	v_fmac_f64_e32 v[40:41], v[230:231], v[180:181]
	s_waitcnt vmcnt(10) lgkmcnt(2)
	v_mul_f64 v[44:45], v[246:247], v[186:187]
	v_add_f64 v[0:1], v[0:1], v[40:41]
	v_fmac_f64_e32 v[44:45], v[248:249], v[184:185]
	scratch_load_dwordx4 v[40:43], off, off offset:544
	ds_read_b128 v[88:91], v2 offset:1216
	v_add_f64 v[0:1], v[0:1], v[44:45]
	s_waitcnt vmcnt(10) lgkmcnt(2)
	v_mul_f64 v[44:45], v[250:251], v[194:195]
	v_fmac_f64_e32 v[44:45], v[252:253], v[192:193]
	v_add_f64 v[0:1], v[0:1], v[44:45]
	scratch_load_dwordx4 v[44:47], off, off offset:560
	ds_read_b128 v[104:107], v2 offset:1232
	s_waitcnt vmcnt(10) lgkmcnt(1)
	v_mul_f64 v[48:49], v[88:89], v[6:7]
	v_accvgpr_write_b32 a109, v7
	v_fmac_f64_e32 v[48:49], v[90:91], v[4:5]
	v_accvgpr_write_b32 a108, v6
	v_accvgpr_write_b32 a107, v5
	;; [unrolled: 1-line block ×3, first 2 shown]
	s_waitcnt vmcnt(9)
	v_mov_b64_e32 v[4:5], v[8:9]
	v_add_f64 v[0:1], v[0:1], v[48:49]
	scratch_load_dwordx4 v[48:51], off, off offset:576
	v_mov_b64_e32 v[6:7], v[10:11]
	s_waitcnt lgkmcnt(0)
	v_mul_f64 v[52:53], v[104:105], v[6:7]
	v_fmac_f64_e32 v[52:53], v[106:107], v[4:5]
	v_add_f64 v[0:1], v[0:1], v[52:53]
	scratch_load_dwordx4 v[52:55], off, off offset:592
	v_mul_f64 v[58:59], v[118:119], v[58:59]
	s_waitcnt vmcnt(10)
	v_mov_b64_e32 v[4:5], v[12:13]
	v_fma_f64 v[240:241], v[116:117], v[56:57], -v[58:59]
	scratch_load_dwordx4 v[56:59], off, off offset:608
	v_mov_b64_e32 v[6:7], v[14:15]
	v_mul_f64 v[112:113], v[108:109], v[6:7]
	v_fmac_f64_e32 v[112:113], v[110:111], v[4:5]
	v_add_f64 v[0:1], v[0:1], v[112:113]
	ds_read_b128 v[112:115], v2 offset:1264
	ds_read_b128 v[116:119], v2 offset:1280
	v_mul_f64 v[62:63], v[122:123], v[62:63]
	v_fma_f64 v[242:243], v[120:121], v[60:61], -v[62:63]
	scratch_load_dwordx4 v[60:63], off, off offset:624
	s_waitcnt vmcnt(11)
	v_mov_b64_e32 v[4:5], v[16:17]
	v_mul_f64 v[66:67], v[126:127], v[66:67]
	v_mov_b64_e32 v[6:7], v[18:19]
	v_fma_f64 v[244:245], v[124:125], v[64:65], -v[66:67]
	scratch_load_dwordx4 v[64:67], off, off offset:640
	s_waitcnt lgkmcnt(1)
	v_mul_f64 v[120:121], v[112:113], v[6:7]
	v_fmac_f64_e32 v[120:121], v[114:115], v[4:5]
	s_waitcnt vmcnt(11)
	v_mov_b64_e32 v[4:5], v[20:21]
	v_mov_b64_e32 v[6:7], v[22:23]
	v_add_f64 v[0:1], v[0:1], v[120:121]
	s_waitcnt lgkmcnt(0)
	v_mul_f64 v[120:121], v[116:117], v[6:7]
	v_fmac_f64_e32 v[120:121], v[118:119], v[4:5]
	v_mul_f64 v[70:71], v[130:131], v[70:71]
	v_add_f64 v[0:1], v[0:1], v[120:121]
	v_fma_f64 v[254:255], v[128:129], v[68:69], -v[70:71]
	scratch_load_dwordx4 v[68:71], off, off offset:656
	ds_read_b128 v[120:123], v2 offset:1296
	ds_read_b128 v[124:127], v2 offset:1312
	v_mul_f64 v[74:75], v[134:135], v[74:75]
	v_accvgpr_write_b32 a113, v11
	v_fma_f64 v[232:233], v[132:133], v[72:73], -v[74:75]
	scratch_load_dwordx4 v[72:75], off, off offset:672
	v_accvgpr_write_b32 a112, v10
	v_accvgpr_write_b32 a111, v9
	;; [unrolled: 1-line block ×3, first 2 shown]
	v_mul_f64 v[78:79], v[142:143], v[78:79]
	s_waitcnt vmcnt(12)
	v_mov_b64_e32 v[8:9], v[24:25]
	v_fma_f64 v[28:29], v[140:141], v[76:77], -v[78:79]
	v_mov_b64_e32 v[10:11], v[26:27]
	scratch_load_dwordx4 v[76:79], off, off offset:688
	s_waitcnt lgkmcnt(1)
	v_mul_f64 v[6:7], v[120:121], v[10:11]
	v_fmac_f64_e32 v[6:7], v[122:123], v[8:9]
	v_accvgpr_write_b32 a129, v27
	v_add_f64 v[0:1], v[0:1], v[6:7]
	v_mul_f64 v[6:7], v[154:155], v[82:83]
	v_accvgpr_write_b32 a128, v26
	v_accvgpr_write_b32 a127, v25
	;; [unrolled: 1-line block ×3, first 2 shown]
	v_fma_f64 v[24:25], v[152:153], v[80:81], -v[6:7]
	s_waitcnt vmcnt(12) lgkmcnt(0)
	v_mul_f64 v[6:7], v[124:125], v[236:237]
	v_fmac_f64_e32 v[6:7], v[126:127], v[234:235]
	scratch_load_dwordx4 v[80:83], off, off offset:704
	v_accvgpr_write_b32 a125, v23
	v_add_f64 v[0:1], v[0:1], v[6:7]
	v_mul_f64 v[6:7], v[166:167], v[86:87]
	v_accvgpr_write_b32 a124, v22
	v_accvgpr_write_b32 a123, v21
	;; [unrolled: 1-line block ×3, first 2 shown]
	v_fma_f64 v[20:21], v[164:165], v[84:85], -v[6:7]
	scratch_load_dwordx4 v[84:87], off, off offset:720
	ds_read_b128 v[132:135], v2 offset:1328
	ds_read_b128 v[128:131], v2 offset:1344
	v_accvgpr_write_b32 a121, v19
	v_mul_f64 v[6:7], v[178:179], v[94:95]
	v_accvgpr_write_b32 a117, v15
	v_accvgpr_write_b32 a120, v18
	;; [unrolled: 1-line block ×4, first 2 shown]
	v_fma_f64 v[16:17], v[176:177], v[92:93], -v[6:7]
	v_mul_f64 v[6:7], v[190:191], v[98:99]
	v_accvgpr_write_b32 a116, v14
	v_accvgpr_write_b32 a115, v13
	;; [unrolled: 1-line block ×3, first 2 shown]
	v_fma_f64 v[14:15], v[188:189], v[96:97], -v[6:7]
	scratch_load_dwordx4 v[96:99], off, off offset:736
	scratch_load_dwordx4 v[92:95], off, off offset:752
	s_waitcnt vmcnt(15) lgkmcnt(1)
	v_mul_f64 v[6:7], v[132:133], v[34:35]
	v_fmac_f64_e32 v[6:7], v[134:135], v[32:33]
	v_add_f64 v[0:1], v[0:1], v[6:7]
	v_mul_f64 v[6:7], v[198:199], v[102:103]
	v_fma_f64 v[12:13], v[196:197], v[100:101], -v[6:7]
	scratch_load_dwordx4 v[100:103], off, off offset:768
	v_mul_f64 v[6:7], v[202:203], v[138:139]
	v_fma_f64 v[18:19], v[200:201], v[136:137], -v[6:7]
	ds_read_b128 v[136:139], v2 offset:1360
	ds_read_b128 v[140:143], v2 offset:1376
	s_waitcnt vmcnt(15) lgkmcnt(2)
	v_mul_f64 v[6:7], v[128:129], v[38:39]
	v_fmac_f64_e32 v[6:7], v[130:131], v[36:37]
	v_add_f64 v[0:1], v[0:1], v[6:7]
	s_waitcnt vmcnt(14) lgkmcnt(1)
	v_mul_f64 v[6:7], v[136:137], v[42:43]
	v_fmac_f64_e32 v[6:7], v[138:139], v[40:41]
	v_add_f64 v[0:1], v[0:1], v[6:7]
	v_mul_f64 v[6:7], v[206:207], v[146:147]
	v_fma_f64 v[10:11], v[204:205], v[144:145], -v[6:7]
	ds_read_b128 v[144:147], v2 offset:1392
	s_waitcnt vmcnt(13) lgkmcnt(1)
	v_mul_f64 v[6:7], v[140:141], v[46:47]
	v_fmac_f64_e32 v[6:7], v[142:143], v[44:45]
	v_add_f64 v[0:1], v[0:1], v[6:7]
	v_mul_f64 v[6:7], v[210:211], v[150:151]
	v_fma_f64 v[22:23], v[208:209], v[148:149], -v[6:7]
	ds_read_b128 v[148:151], v2 offset:1408
	s_waitcnt vmcnt(12) lgkmcnt(1)
	v_mul_f64 v[6:7], v[144:145], v[50:51]
	ds_read_b128 v[152:155], v2 offset:1424
	v_fmac_f64_e32 v[6:7], v[146:147], v[48:49]
	v_add_f64 v[0:1], v[0:1], v[6:7]
	v_mul_f64 v[6:7], v[214:215], v[158:159]
	v_fma_f64 v[8:9], v[212:213], v[156:157], -v[6:7]
	s_waitcnt vmcnt(11) lgkmcnt(1)
	v_mul_f64 v[6:7], v[148:149], v[54:55]
	v_fmac_f64_e32 v[6:7], v[150:151], v[52:53]
	ds_read_b128 v[156:159], v2 offset:1440
	v_add_f64 v[0:1], v[0:1], v[6:7]
	s_waitcnt vmcnt(10) lgkmcnt(1)
	v_mul_f64 v[6:7], v[152:153], v[58:59]
	v_fmac_f64_e32 v[6:7], v[154:155], v[56:57]
	v_add_f64 v[0:1], v[0:1], v[6:7]
	v_mul_f64 v[6:7], v[218:219], v[162:163]
	v_fma_f64 v[26:27], v[216:217], v[160:161], -v[6:7]
	ds_read_b128 v[160:163], v2 offset:1456
	ds_read_b128 v[164:167], v2 offset:1472
	s_waitcnt vmcnt(9) lgkmcnt(2)
	v_mul_f64 v[6:7], v[156:157], v[62:63]
	v_fmac_f64_e32 v[6:7], v[158:159], v[60:61]
	v_add_f64 v[0:1], v[0:1], v[6:7]
	s_waitcnt vmcnt(8) lgkmcnt(1)
	v_mul_f64 v[6:7], v[160:161], v[66:67]
	v_fmac_f64_e32 v[6:7], v[162:163], v[64:65]
	v_add_f64 v[0:1], v[0:1], v[6:7]
	v_mul_f64 v[6:7], v[222:223], v[170:171]
	v_fma_f64 v[4:5], v[220:221], v[168:169], -v[6:7]
	ds_read_b128 v[168:171], v2 offset:1488
	v_mul_f64 v[6:7], v[226:227], v[174:175]
	v_fma_f64 v[6:7], v[224:225], v[172:173], -v[6:7]
	ds_read_b128 v[172:175], v2 offset:1504
	s_waitcnt vmcnt(7) lgkmcnt(2)
	v_mul_f64 v[30:31], v[164:165], v[70:71]
	v_fmac_f64_e32 v[30:31], v[166:167], v[68:69]
	v_add_f64 v[0:1], v[0:1], v[30:31]
	s_waitcnt vmcnt(6) lgkmcnt(1)
	v_mul_f64 v[30:31], v[168:169], v[74:75]
	v_fmac_f64_e32 v[30:31], v[170:171], v[72:73]
	v_add_f64 v[0:1], v[0:1], v[30:31]
	s_waitcnt vmcnt(5) lgkmcnt(0)
	v_mul_f64 v[30:31], v[172:173], v[78:79]
	ds_read_b128 v[176:179], v2 offset:1520
	v_fmac_f64_e32 v[30:31], v[174:175], v[76:77]
	v_add_f64 v[30:31], v[0:1], v[30:31]
	v_mul_f64 v[0:1], v[230:231], v[182:183]
	v_fma_f64 v[0:1], v[228:229], v[180:181], -v[0:1]
	ds_read_b128 v[180:183], v2 offset:1536
	v_mul_f64 v[186:187], v[248:249], v[186:187]
	s_waitcnt vmcnt(4) lgkmcnt(1)
	v_mul_f64 v[188:189], v[176:177], v[82:83]
	v_fma_f64 v[238:239], v[246:247], v[184:185], -v[186:187]
	ds_read_b128 v[184:187], v2 offset:1552
	v_fmac_f64_e32 v[188:189], v[178:179], v[80:81]
	v_add_f64 v[30:31], v[30:31], v[188:189]
	ds_read_b128 v[188:191], v2 offset:1568
	s_waitcnt vmcnt(3) lgkmcnt(2)
	v_mul_f64 v[196:197], v[180:181], v[86:87]
	v_mul_f64 v[194:195], v[252:253], v[194:195]
	v_fmac_f64_e32 v[196:197], v[182:183], v[84:85]
	v_fma_f64 v[246:247], v[250:251], v[192:193], -v[194:195]
	ds_read_b128 v[192:195], v2 offset:1584
	ds_read_b128 v[200:203], v2 offset:1600
	v_add_f64 v[30:31], v[30:31], v[196:197]
	s_waitcnt vmcnt(2) lgkmcnt(3)
	v_mul_f64 v[196:197], v[184:185], v[98:99]
	v_fmac_f64_e32 v[196:197], v[186:187], v[96:97]
	v_add_f64 v[30:31], v[30:31], v[196:197]
	s_waitcnt vmcnt(1) lgkmcnt(2)
	v_mul_f64 v[196:197], v[188:189], v[94:95]
	v_fmac_f64_e32 v[196:197], v[190:191], v[92:93]
	;; [unrolled: 4-line block ×3, first 2 shown]
	v_add_f64 v[30:31], v[30:31], v[196:197]
	scratch_load_dwordx4 v[196:199], off, off offset:784
	ds_read_b128 v[208:211], v2 offset:1616
	ds_read_b128 v[216:219], v2 offset:1632
	ds_read_b128 v[224:227], v2 offset:1648
	s_waitcnt vmcnt(0) lgkmcnt(3)
	v_mul_f64 v[204:205], v[200:201], v[198:199]
	v_fmac_f64_e32 v[204:205], v[202:203], v[196:197]
	v_add_f64 v[30:31], v[30:31], v[204:205]
	scratch_load_dwordx4 v[204:207], off, off offset:800
	s_waitcnt vmcnt(0) lgkmcnt(2)
	v_mul_f64 v[212:213], v[208:209], v[206:207]
	v_fmac_f64_e32 v[212:213], v[210:211], v[204:205]
	v_add_f64 v[30:31], v[30:31], v[212:213]
	scratch_load_dwordx4 v[212:215], off, off offset:816
	;; [unrolled: 5-line block ×3, first 2 shown]
	s_waitcnt vmcnt(0) lgkmcnt(0)
	v_mul_f64 v[228:229], v[224:225], v[222:223]
	v_fmac_f64_e32 v[228:229], v[226:227], v[220:221]
	v_add_f64 v[250:251], v[30:31], v[228:229]
	v_add_f64 v[30:31], v[240:241], 0
	;; [unrolled: 1-line block ×3, first 2 shown]
	scratch_load_dwordx4 v[228:231], off, off offset:48
	v_add_f64 v[30:31], v[30:31], v[244:245]
	v_add_f64 v[30:31], v[30:31], v[254:255]
	v_add_f64 v[30:31], v[30:31], v[232:233]
	v_add_f64 v[28:29], v[30:31], v[28:29]
	v_add_f64 v[24:25], v[28:29], v[24:25]
	v_add_f64 v[20:21], v[24:25], v[20:21]
	v_add_f64 v[16:17], v[20:21], v[16:17]
	v_add_f64 v[14:15], v[16:17], v[14:15]
	v_add_f64 v[12:13], v[14:15], v[12:13]
	v_add_f64 v[12:13], v[12:13], v[18:19]
	v_add_f64 v[10:11], v[12:13], v[10:11]
	v_add_f64 v[10:11], v[10:11], v[22:23]
	v_add_f64 v[8:9], v[10:11], v[8:9]
	v_add_f64 v[8:9], v[8:9], v[26:27]
	v_add_f64 v[248:249], v[8:9], v[4:5]
	v_add_f64 v[4:5], v[248:249], v[6:7]
	v_accvgpr_read_b32 v6, a106
	v_accvgpr_read_b32 v8, a108
	;; [unrolled: 1-line block ×3, first 2 shown]
	v_add_f64 v[0:1], v[4:5], v[0:1]
	v_accvgpr_read_b32 v7, a107
	v_mul_f64 v[4:5], v[90:91], v[8:9]
	v_add_f64 v[0:1], v[0:1], v[238:239]
	v_fma_f64 v[4:5], v[88:89], v[6:7], -v[4:5]
	v_accvgpr_read_b32 v6, a110
	v_add_f64 v[0:1], v[0:1], v[246:247]
	v_accvgpr_read_b32 v8, a112
	v_accvgpr_read_b32 v9, a113
	v_add_f64 v[0:1], v[0:1], v[4:5]
	v_accvgpr_read_b32 v7, a111
	v_mul_f64 v[4:5], v[106:107], v[8:9]
	v_fma_f64 v[4:5], v[104:105], v[6:7], -v[4:5]
	v_accvgpr_read_b32 v6, a114
	v_accvgpr_read_b32 v8, a116
	v_accvgpr_read_b32 v9, a117
	v_add_f64 v[0:1], v[0:1], v[4:5]
	v_accvgpr_read_b32 v7, a115
	v_mul_f64 v[4:5], v[110:111], v[8:9]
	v_fma_f64 v[4:5], v[108:109], v[6:7], -v[4:5]
	v_accvgpr_read_b32 v6, a118
	;; [unrolled: 7-line block ×4, first 2 shown]
	v_accvgpr_read_b32 v8, a128
	v_accvgpr_read_b32 v9, a129
	v_add_f64 v[0:1], v[0:1], v[4:5]
	v_accvgpr_read_b32 v7, a127
	v_mul_f64 v[4:5], v[122:123], v[8:9]
	v_fma_f64 v[4:5], v[120:121], v[6:7], -v[4:5]
	v_add_f64 v[0:1], v[0:1], v[4:5]
	v_mul_f64 v[4:5], v[126:127], v[236:237]
	v_fma_f64 v[4:5], v[124:125], v[234:235], -v[4:5]
	v_add_f64 v[0:1], v[0:1], v[4:5]
	v_mul_f64 v[4:5], v[134:135], v[34:35]
	v_fma_f64 v[4:5], v[132:133], v[32:33], -v[4:5]
	v_add_f64 v[0:1], v[0:1], v[4:5]
	v_mul_f64 v[4:5], v[130:131], v[38:39]
	v_fma_f64 v[4:5], v[128:129], v[36:37], -v[4:5]
	v_add_f64 v[0:1], v[0:1], v[4:5]
	v_mul_f64 v[4:5], v[138:139], v[42:43]
	v_fma_f64 v[4:5], v[136:137], v[40:41], -v[4:5]
	v_add_f64 v[0:1], v[0:1], v[4:5]
	v_mul_f64 v[4:5], v[142:143], v[46:47]
	v_fma_f64 v[4:5], v[140:141], v[44:45], -v[4:5]
	v_add_f64 v[0:1], v[0:1], v[4:5]
	v_mul_f64 v[4:5], v[146:147], v[50:51]
	v_fma_f64 v[4:5], v[144:145], v[48:49], -v[4:5]
	v_add_f64 v[0:1], v[0:1], v[4:5]
	v_mul_f64 v[4:5], v[150:151], v[54:55]
	v_fma_f64 v[4:5], v[148:149], v[52:53], -v[4:5]
	v_add_f64 v[0:1], v[0:1], v[4:5]
	v_mul_f64 v[4:5], v[154:155], v[58:59]
	v_fma_f64 v[4:5], v[152:153], v[56:57], -v[4:5]
	v_add_f64 v[0:1], v[0:1], v[4:5]
	v_mul_f64 v[4:5], v[158:159], v[62:63]
	v_fma_f64 v[4:5], v[156:157], v[60:61], -v[4:5]
	v_add_f64 v[0:1], v[0:1], v[4:5]
	v_mul_f64 v[4:5], v[162:163], v[66:67]
	v_fma_f64 v[4:5], v[160:161], v[64:65], -v[4:5]
	v_add_f64 v[0:1], v[0:1], v[4:5]
	v_mul_f64 v[4:5], v[166:167], v[70:71]
	v_fma_f64 v[4:5], v[164:165], v[68:69], -v[4:5]
	v_add_f64 v[0:1], v[0:1], v[4:5]
	v_mul_f64 v[4:5], v[170:171], v[74:75]
	v_fma_f64 v[4:5], v[168:169], v[72:73], -v[4:5]
	v_add_f64 v[0:1], v[0:1], v[4:5]
	v_mul_f64 v[4:5], v[174:175], v[78:79]
	v_fma_f64 v[4:5], v[172:173], v[76:77], -v[4:5]
	v_add_f64 v[0:1], v[0:1], v[4:5]
	v_mul_f64 v[4:5], v[178:179], v[82:83]
	v_fma_f64 v[4:5], v[176:177], v[80:81], -v[4:5]
	v_add_f64 v[0:1], v[0:1], v[4:5]
	v_mul_f64 v[4:5], v[182:183], v[86:87]
	v_fma_f64 v[4:5], v[180:181], v[84:85], -v[4:5]
	v_add_f64 v[0:1], v[0:1], v[4:5]
	v_mul_f64 v[4:5], v[186:187], v[98:99]
	v_fma_f64 v[4:5], v[184:185], v[96:97], -v[4:5]
	v_add_f64 v[0:1], v[0:1], v[4:5]
	v_mul_f64 v[4:5], v[190:191], v[94:95]
	v_fma_f64 v[4:5], v[188:189], v[92:93], -v[4:5]
	v_add_f64 v[0:1], v[0:1], v[4:5]
	v_mul_f64 v[4:5], v[194:195], v[102:103]
	v_fma_f64 v[4:5], v[192:193], v[100:101], -v[4:5]
	v_add_f64 v[0:1], v[0:1], v[4:5]
	v_mul_f64 v[4:5], v[202:203], v[198:199]
	v_fma_f64 v[4:5], v[200:201], v[196:197], -v[4:5]
	v_add_f64 v[0:1], v[0:1], v[4:5]
	v_mul_f64 v[4:5], v[210:211], v[206:207]
	v_fma_f64 v[4:5], v[208:209], v[204:205], -v[4:5]
	v_add_f64 v[0:1], v[0:1], v[4:5]
	v_mul_f64 v[4:5], v[218:219], v[214:215]
	v_fma_f64 v[4:5], v[216:217], v[212:213], -v[4:5]
	v_add_f64 v[0:1], v[0:1], v[4:5]
	v_mul_f64 v[4:5], v[226:227], v[222:223]
	v_fma_f64 v[4:5], v[224:225], v[220:221], -v[4:5]
	v_add_f64 v[0:1], v[0:1], v[4:5]
	s_waitcnt vmcnt(0)
	v_add_f64 v[4:5], v[228:229], -v[0:1]
	v_accvgpr_read_b32 v0, a104
	v_add_f64 v[6:7], v[230:231], -v[250:251]
	v_cmp_lt_u32_e32 vcc, 1, v0
	scratch_store_dwordx4 off, v[4:7], off offset:48
	s_and_saveexec_b64 s[0:1], vcc
	s_cbranch_execz .LBB115_323
; %bb.322:
	scratch_load_dwordx4 v[6:9], off, s67
	v_mov_b32_e32 v3, v2
	v_mov_b32_e32 v4, v2
	;; [unrolled: 1-line block ×3, first 2 shown]
	v_accvgpr_read_b32 v0, a105
	scratch_store_dwordx4 off, v[2:5], off offset:32
	s_waitcnt vmcnt(1)
	ds_write_b128 v0, v[6:9]
.LBB115_323:
	s_or_b64 exec, exec, s[0:1]
	s_waitcnt lgkmcnt(0)
	; wave barrier
	scratch_load_dwordx4 v[56:59], off, off offset:48
	scratch_load_dwordx4 v[60:63], off, off offset:64
	;; [unrolled: 1-line block ×18, first 2 shown]
	ds_read_b128 v[116:119], v2 offset:864
	ds_read_b128 v[220:223], v2 offset:880
	;; [unrolled: 1-line block ×6, first 2 shown]
	scratch_load_dwordx4 v[180:183], off, off offset:336
	ds_read_b128 v[204:207], v2 offset:960
	ds_read_b128 v[132:135], v2 offset:976
	scratch_load_dwordx4 v[184:187], off, off offset:352
	ds_read_b128 v[224:227], v2 offset:992
	ds_read_b128 v[216:219], v2 offset:1008
	;; [unrolled: 1-line block ×5, first 2 shown]
	scratch_load_dwordx4 v[192:195], off, off offset:368
	ds_read_b128 v[200:203], v2 offset:1072
	ds_read_b128 v[164:167], v2 offset:1088
	scratch_load_dwordx4 v[4:7], off, off offset:384
	ds_read_b128 v[212:215], v2 offset:1104
	ds_read_b128 v[188:191], v2 offset:1120
	;; [unrolled: 1-line block ×3, first 2 shown]
	scratch_load_dwordx4 v[8:11], off, off offset:400
	scratch_load_dwordx4 v[12:15], off, off offset:416
	;; [unrolled: 1-line block ×6, first 2 shown]
	ds_read_b128 v[228:231], v2 offset:1152
	ds_read_b128 v[232:235], v2 offset:1168
	;; [unrolled: 1-line block ×4, first 2 shown]
	s_waitcnt vmcnt(27) lgkmcnt(14)
	v_mul_f64 v[0:1], v[116:117], v[58:59]
	s_waitcnt vmcnt(26)
	v_mul_f64 v[32:33], v[220:221], v[62:63]
	v_fmac_f64_e32 v[0:1], v[118:119], v[56:57]
	s_waitcnt vmcnt(25)
	v_mul_f64 v[34:35], v[208:209], v[66:67]
	v_fmac_f64_e32 v[32:33], v[222:223], v[60:61]
	v_add_f64 v[0:1], v[0:1], 0
	v_fmac_f64_e32 v[34:35], v[210:211], v[64:65]
	v_add_f64 v[0:1], v[0:1], v[32:33]
	v_add_f64 v[0:1], v[0:1], v[34:35]
	scratch_load_dwordx4 v[32:35], off, off offset:496
	s_waitcnt vmcnt(25)
	v_mul_f64 v[36:37], v[120:121], v[70:71]
	s_waitcnt vmcnt(24)
	v_mul_f64 v[38:39], v[128:129], v[74:75]
	v_fmac_f64_e32 v[36:37], v[122:123], v[68:69]
	s_waitcnt vmcnt(23)
	v_mul_f64 v[40:41], v[124:125], v[78:79]
	v_fmac_f64_e32 v[38:39], v[130:131], v[72:73]
	v_add_f64 v[0:1], v[0:1], v[36:37]
	s_waitcnt vmcnt(22)
	v_mul_f64 v[42:43], v[204:205], v[82:83]
	v_fmac_f64_e32 v[40:41], v[126:127], v[76:77]
	v_add_f64 v[0:1], v[0:1], v[38:39]
	;; [unrolled: 4-line block ×3, first 2 shown]
	s_waitcnt vmcnt(20) lgkmcnt(13)
	v_mul_f64 v[46:47], v[224:225], v[94:95]
	v_fmac_f64_e32 v[44:45], v[134:135], v[84:85]
	v_add_f64 v[0:1], v[0:1], v[42:43]
	s_waitcnt vmcnt(19) lgkmcnt(12)
	v_mul_f64 v[48:49], v[216:217], v[98:99]
	v_fmac_f64_e32 v[46:47], v[226:227], v[92:93]
	v_add_f64 v[0:1], v[0:1], v[44:45]
	;; [unrolled: 4-line block ×9, first 2 shown]
	v_fmac_f64_e32 v[106:107], v[190:191], v[168:169]
	v_add_f64 v[0:1], v[0:1], v[104:105]
	s_waitcnt vmcnt(11) lgkmcnt(4)
	v_mul_f64 v[40:41], v[176:177], v[174:175]
	v_add_f64 v[0:1], v[0:1], v[106:107]
	v_fmac_f64_e32 v[40:41], v[178:179], v[172:173]
	scratch_load_dwordx4 v[36:39], off, off offset:512
	v_add_f64 v[0:1], v[0:1], v[40:41]
	s_waitcnt vmcnt(11) lgkmcnt(3)
	v_mul_f64 v[40:41], v[228:229], v[182:183]
	v_fmac_f64_e32 v[40:41], v[230:231], v[180:181]
	v_add_f64 v[0:1], v[0:1], v[40:41]
	scratch_load_dwordx4 v[40:43], off, off offset:528
	ds_read_b128 v[88:91], v2 offset:1200
	s_waitcnt vmcnt(11) lgkmcnt(3)
	v_mul_f64 v[44:45], v[232:233], v[186:187]
	v_fmac_f64_e32 v[44:45], v[234:235], v[184:185]
	v_add_f64 v[0:1], v[0:1], v[44:45]
	s_waitcnt vmcnt(10) lgkmcnt(2)
	v_mul_f64 v[44:45], v[236:237], v[194:195]
	v_fmac_f64_e32 v[44:45], v[238:239], v[192:193]
	s_waitcnt vmcnt(9) lgkmcnt(0)
	v_mul_f64 v[48:49], v[88:89], v[6:7]
	ds_read_b128 v[104:107], v2 offset:1216
	v_add_f64 v[0:1], v[0:1], v[44:45]
	scratch_load_dwordx4 v[44:47], off, off offset:544
	v_fmac_f64_e32 v[48:49], v[90:91], v[4:5]
	v_accvgpr_write_b32 a109, v7
	v_add_f64 v[0:1], v[0:1], v[48:49]
	scratch_load_dwordx4 v[48:51], off, off offset:560
	v_accvgpr_write_b32 a108, v6
	v_accvgpr_write_b32 a107, v5
	;; [unrolled: 1-line block ×3, first 2 shown]
	s_waitcnt vmcnt(10)
	v_mov_b64_e32 v[4:5], v[8:9]
	v_mov_b64_e32 v[6:7], v[10:11]
	s_waitcnt lgkmcnt(0)
	v_mul_f64 v[52:53], v[104:105], v[6:7]
	v_fmac_f64_e32 v[52:53], v[106:107], v[4:5]
	v_add_f64 v[0:1], v[0:1], v[52:53]
	scratch_load_dwordx4 v[52:55], off, off offset:576
	v_mul_f64 v[58:59], v[118:119], v[58:59]
	v_fma_f64 v[240:241], v[116:117], v[56:57], -v[58:59]
	scratch_load_dwordx4 v[56:59], off, off offset:592
	v_mul_f64 v[62:63], v[222:223], v[62:63]
	v_fma_f64 v[242:243], v[220:221], v[60:61], -v[62:63]
	scratch_load_dwordx4 v[60:63], off, off offset:608
	s_waitcnt vmcnt(12)
	v_mov_b64_e32 v[4:5], v[12:13]
	v_mul_f64 v[66:67], v[210:211], v[66:67]
	v_mov_b64_e32 v[6:7], v[14:15]
	v_fma_f64 v[244:245], v[208:209], v[64:65], -v[66:67]
	scratch_load_dwordx4 v[64:67], off, off offset:624
	v_mul_f64 v[112:113], v[108:109], v[6:7]
	v_fmac_f64_e32 v[112:113], v[110:111], v[4:5]
	v_add_f64 v[0:1], v[0:1], v[112:113]
	ds_read_b128 v[112:115], v2 offset:1248
	ds_read_b128 v[116:119], v2 offset:1264
	s_waitcnt vmcnt(12)
	v_mov_b64_e32 v[4:5], v[16:17]
	v_mul_f64 v[70:71], v[122:123], v[70:71]
	v_mov_b64_e32 v[6:7], v[18:19]
	v_fma_f64 v[250:251], v[120:121], v[68:69], -v[70:71]
	scratch_load_dwordx4 v[68:71], off, off offset:640
	v_mul_f64 v[74:75], v[130:131], v[74:75]
	s_waitcnt lgkmcnt(1)
	v_mul_f64 v[220:221], v[112:113], v[6:7]
	v_fma_f64 v[252:253], v[128:129], v[72:73], -v[74:75]
	scratch_load_dwordx4 v[72:75], off, off offset:656
	v_fmac_f64_e32 v[220:221], v[114:115], v[4:5]
	s_waitcnt vmcnt(13)
	v_mov_b64_e32 v[4:5], v[20:21]
	ds_read_b128 v[120:123], v2 offset:1280
	v_mul_f64 v[78:79], v[126:127], v[78:79]
	v_mov_b64_e32 v[6:7], v[22:23]
	v_fma_f64 v[254:255], v[124:125], v[76:77], -v[78:79]
	scratch_load_dwordx4 v[76:79], off, off offset:672
	s_waitcnt lgkmcnt(1)
	v_mul_f64 v[208:209], v[116:117], v[6:7]
	ds_read_b128 v[124:127], v2 offset:1296
	v_fmac_f64_e32 v[208:209], v[118:119], v[4:5]
	s_waitcnt vmcnt(13)
	v_mov_b64_e32 v[4:5], v[24:25]
	v_mul_f64 v[82:83], v[206:207], v[82:83]
	v_mov_b64_e32 v[6:7], v[26:27]
	v_fma_f64 v[246:247], v[204:205], v[80:81], -v[82:83]
	scratch_load_dwordx4 v[80:83], off, off offset:688
	v_add_f64 v[0:1], v[0:1], v[220:221]
	s_waitcnt lgkmcnt(1)
	v_mul_f64 v[128:129], v[120:121], v[6:7]
	v_add_f64 v[0:1], v[0:1], v[208:209]
	v_fmac_f64_e32 v[128:129], v[122:123], v[4:5]
	v_add_f64 v[0:1], v[0:1], v[128:129]
	s_waitcnt vmcnt(13) lgkmcnt(0)
	v_mul_f64 v[128:129], v[124:125], v[30:31]
	v_accvgpr_write_b32 a129, v27
	v_fmac_f64_e32 v[128:129], v[126:127], v[28:29]
	v_mul_f64 v[86:87], v[134:135], v[86:87]
	v_accvgpr_write_b32 a128, v26
	v_accvgpr_write_b32 a127, v25
	;; [unrolled: 1-line block ×3, first 2 shown]
	v_add_f64 v[0:1], v[0:1], v[128:129]
	v_fma_f64 v[24:25], v[132:133], v[84:85], -v[86:87]
	scratch_load_dwordx4 v[84:87], off, off offset:704
	ds_read_b128 v[132:135], v2 offset:1312
	ds_read_b128 v[128:131], v2 offset:1328
	v_accvgpr_write_b32 a125, v23
	v_mul_f64 v[6:7], v[226:227], v[94:95]
	v_accvgpr_write_b32 a121, v19
	v_accvgpr_write_b32 a124, v22
	;; [unrolled: 1-line block ×4, first 2 shown]
	v_fma_f64 v[20:21], v[224:225], v[92:93], -v[6:7]
	v_mul_f64 v[92:93], v[218:219], v[98:99]
	v_accvgpr_write_b32 a113, v11
	v_accvgpr_write_b32 a120, v18
	;; [unrolled: 1-line block ×4, first 2 shown]
	v_fma_f64 v[16:17], v[216:217], v[96:97], -v[92:93]
	scratch_load_dwordx4 v[96:99], off, off offset:720
	scratch_load_dwordx4 v[92:95], off, off offset:736
	v_accvgpr_write_b32 a112, v10
	v_accvgpr_write_b32 a111, v9
	;; [unrolled: 1-line block ×3, first 2 shown]
	s_waitcnt vmcnt(15) lgkmcnt(1)
	v_mul_f64 v[10:11], v[132:133], v[34:35]
	v_fmac_f64_e32 v[10:11], v[134:135], v[32:33]
	v_accvgpr_write_b32 a117, v15
	v_add_f64 v[0:1], v[0:1], v[10:11]
	v_mul_f64 v[10:11], v[198:199], v[102:103]
	v_accvgpr_write_b32 a116, v14
	v_accvgpr_write_b32 a115, v13
	;; [unrolled: 1-line block ×3, first 2 shown]
	v_fma_f64 v[12:13], v[196:197], v[100:101], -v[10:11]
	scratch_load_dwordx4 v[100:103], off, off offset:752
	v_mul_f64 v[138:139], v[142:143], v[138:139]
	v_fma_f64 v[10:11], v[140:141], v[136:137], -v[138:139]
	ds_read_b128 v[136:139], v2 offset:1344
	ds_read_b128 v[140:143], v2 offset:1360
	s_waitcnt vmcnt(15) lgkmcnt(2)
	v_mul_f64 v[14:15], v[128:129], v[38:39]
	v_fmac_f64_e32 v[14:15], v[130:131], v[36:37]
	v_add_f64 v[0:1], v[0:1], v[14:15]
	s_waitcnt vmcnt(14) lgkmcnt(1)
	v_mul_f64 v[14:15], v[136:137], v[42:43]
	v_fmac_f64_e32 v[14:15], v[138:139], v[40:41]
	v_add_f64 v[0:1], v[0:1], v[14:15]
	v_mul_f64 v[14:15], v[154:155], v[146:147]
	v_fma_f64 v[14:15], v[152:153], v[144:145], -v[14:15]
	ds_read_b128 v[144:147], v2 offset:1376
	s_waitcnt vmcnt(13) lgkmcnt(1)
	v_mul_f64 v[152:153], v[140:141], v[46:47]
	v_mul_f64 v[150:151], v[202:203], v[150:151]
	v_fmac_f64_e32 v[152:153], v[142:143], v[44:45]
	v_fma_f64 v[8:9], v[200:201], v[148:149], -v[150:151]
	ds_read_b128 v[148:151], v2 offset:1392
	s_waitcnt vmcnt(12) lgkmcnt(1)
	v_mul_f64 v[18:19], v[144:145], v[50:51]
	v_add_f64 v[0:1], v[0:1], v[152:153]
	v_fmac_f64_e32 v[18:19], v[146:147], v[48:49]
	v_add_f64 v[0:1], v[0:1], v[18:19]
	ds_read_b128 v[152:155], v2 offset:1408
	v_mul_f64 v[18:19], v[166:167], v[158:159]
	v_fma_f64 v[18:19], v[164:165], v[156:157], -v[18:19]
	ds_read_b128 v[156:159], v2 offset:1424
	v_mul_f64 v[162:163], v[214:215], v[162:163]
	s_waitcnt vmcnt(11) lgkmcnt(2)
	v_mul_f64 v[164:165], v[148:149], v[54:55]
	v_fma_f64 v[6:7], v[212:213], v[160:161], -v[162:163]
	ds_read_b128 v[160:163], v2 offset:1440
	v_fmac_f64_e32 v[164:165], v[150:151], v[52:53]
	v_add_f64 v[0:1], v[0:1], v[164:165]
	s_waitcnt vmcnt(10) lgkmcnt(2)
	v_mul_f64 v[164:165], v[152:153], v[58:59]
	v_fmac_f64_e32 v[164:165], v[154:155], v[56:57]
	s_waitcnt vmcnt(9) lgkmcnt(1)
	v_mul_f64 v[22:23], v[156:157], v[62:63]
	v_add_f64 v[0:1], v[0:1], v[164:165]
	v_fmac_f64_e32 v[22:23], v[158:159], v[60:61]
	v_add_f64 v[0:1], v[0:1], v[22:23]
	ds_read_b128 v[164:167], v2 offset:1456
	s_waitcnt vmcnt(8) lgkmcnt(1)
	v_mul_f64 v[22:23], v[160:161], v[66:67]
	v_fmac_f64_e32 v[22:23], v[162:163], v[64:65]
	v_add_f64 v[0:1], v[0:1], v[22:23]
	v_mul_f64 v[22:23], v[190:191], v[170:171]
	v_fma_f64 v[22:23], v[188:189], v[168:169], -v[22:23]
	ds_read_b128 v[168:171], v2 offset:1472
	v_mul_f64 v[174:175], v[178:179], v[174:175]
	v_fma_f64 v[4:5], v[176:177], v[172:173], -v[174:175]
	ds_read_b128 v[172:175], v2 offset:1488
	s_waitcnt vmcnt(7) lgkmcnt(2)
	v_mul_f64 v[188:189], v[164:165], v[70:71]
	v_fmac_f64_e32 v[188:189], v[166:167], v[68:69]
	s_waitcnt vmcnt(6) lgkmcnt(1)
	v_mul_f64 v[26:27], v[168:169], v[74:75]
	ds_read_b128 v[176:179], v2 offset:1504
	v_add_f64 v[0:1], v[0:1], v[188:189]
	v_fmac_f64_e32 v[26:27], v[170:171], v[72:73]
	v_add_f64 v[0:1], v[0:1], v[26:27]
	s_waitcnt vmcnt(5) lgkmcnt(1)
	v_mul_f64 v[26:27], v[172:173], v[78:79]
	v_fmac_f64_e32 v[26:27], v[174:175], v[76:77]
	v_add_f64 v[0:1], v[0:1], v[26:27]
	v_mul_f64 v[26:27], v[230:231], v[182:183]
	v_fma_f64 v[26:27], v[228:229], v[180:181], -v[26:27]
	ds_read_b128 v[180:183], v2 offset:1520
	s_waitcnt vmcnt(4) lgkmcnt(1)
	v_mul_f64 v[188:189], v[176:177], v[82:83]
	v_fmac_f64_e32 v[188:189], v[178:179], v[80:81]
	v_add_f64 v[196:197], v[0:1], v[188:189]
	v_mul_f64 v[0:1], v[234:235], v[186:187]
	v_fma_f64 v[0:1], v[232:233], v[184:185], -v[0:1]
	ds_read_b128 v[184:187], v2 offset:1536
	ds_read_b128 v[188:191], v2 offset:1552
	s_waitcnt vmcnt(3) lgkmcnt(2)
	v_mul_f64 v[198:199], v[180:181], v[86:87]
	v_mul_f64 v[194:195], v[238:239], v[194:195]
	v_fmac_f64_e32 v[198:199], v[182:183], v[84:85]
	v_fma_f64 v[248:249], v[236:237], v[192:193], -v[194:195]
	ds_read_b128 v[192:195], v2 offset:1568
	ds_read_b128 v[200:203], v2 offset:1584
	v_add_f64 v[196:197], v[196:197], v[198:199]
	s_waitcnt vmcnt(2) lgkmcnt(3)
	v_mul_f64 v[198:199], v[184:185], v[98:99]
	v_fmac_f64_e32 v[198:199], v[186:187], v[96:97]
	v_add_f64 v[196:197], v[196:197], v[198:199]
	s_waitcnt vmcnt(1) lgkmcnt(2)
	v_mul_f64 v[198:199], v[188:189], v[94:95]
	v_fmac_f64_e32 v[198:199], v[190:191], v[92:93]
	v_add_f64 v[196:197], v[196:197], v[198:199]
	scratch_load_dwordx4 v[232:235], off, off offset:832
	s_waitcnt vmcnt(1) lgkmcnt(1)
	v_mul_f64 v[198:199], v[192:193], v[102:103]
	v_fmac_f64_e32 v[198:199], v[194:195], v[100:101]
	v_add_f64 v[204:205], v[196:197], v[198:199]
	scratch_load_dwordx4 v[196:199], off, off offset:768
	ds_read_b128 v[208:211], v2 offset:1600
	ds_read_b128 v[216:219], v2 offset:1616
	;; [unrolled: 1-line block ×3, first 2 shown]
	s_waitcnt vmcnt(0) lgkmcnt(3)
	v_mul_f64 v[206:207], v[200:201], v[198:199]
	v_fmac_f64_e32 v[206:207], v[202:203], v[196:197]
	v_add_f64 v[212:213], v[204:205], v[206:207]
	scratch_load_dwordx4 v[204:207], off, off offset:784
	s_waitcnt vmcnt(0) lgkmcnt(2)
	v_mul_f64 v[214:215], v[208:209], v[206:207]
	v_fmac_f64_e32 v[214:215], v[210:211], v[204:205]
	v_add_f64 v[220:221], v[212:213], v[214:215]
	scratch_load_dwordx4 v[212:215], off, off offset:800
	s_waitcnt vmcnt(0) lgkmcnt(1)
	v_mul_f64 v[222:223], v[216:217], v[214:215]
	v_fmac_f64_e32 v[222:223], v[218:219], v[212:213]
	v_add_f64 v[228:229], v[220:221], v[222:223]
	scratch_load_dwordx4 v[220:223], off, off offset:816
	s_waitcnt vmcnt(0) lgkmcnt(0)
	v_mul_f64 v[230:231], v[224:225], v[222:223]
	v_fmac_f64_e32 v[230:231], v[226:227], v[220:221]
	v_add_f64 v[236:237], v[228:229], v[230:231]
	ds_read_b128 v[228:231], v2 offset:1648
	s_waitcnt lgkmcnt(0)
	v_mul_f64 v[2:3], v[228:229], v[234:235]
	v_fmac_f64_e32 v[2:3], v[230:231], v[232:233]
	v_add_f64 v[2:3], v[236:237], v[2:3]
	v_add_f64 v[236:237], v[240:241], 0
	;; [unrolled: 1-line block ×9, first 2 shown]
	scratch_load_dwordx4 v[236:239], off, off offset:32
	v_add_f64 v[20:21], v[24:25], v[20:21]
	v_add_f64 v[16:17], v[20:21], v[16:17]
	;; [unrolled: 1-line block ×10, first 2 shown]
	v_accvgpr_read_b32 v6, a106
	v_accvgpr_read_b32 v8, a108
	;; [unrolled: 1-line block ×3, first 2 shown]
	v_add_f64 v[250:251], v[4:5], v[26:27]
	v_accvgpr_read_b32 v7, a107
	v_mul_f64 v[4:5], v[90:91], v[8:9]
	v_add_f64 v[0:1], v[250:251], v[0:1]
	v_fma_f64 v[4:5], v[88:89], v[6:7], -v[4:5]
	v_accvgpr_read_b32 v6, a110
	v_add_f64 v[0:1], v[0:1], v[248:249]
	v_accvgpr_read_b32 v8, a112
	v_accvgpr_read_b32 v9, a113
	v_add_f64 v[0:1], v[0:1], v[4:5]
	v_accvgpr_read_b32 v7, a111
	v_mul_f64 v[4:5], v[106:107], v[8:9]
	v_fma_f64 v[4:5], v[104:105], v[6:7], -v[4:5]
	v_accvgpr_read_b32 v6, a114
	v_accvgpr_read_b32 v8, a116
	v_accvgpr_read_b32 v9, a117
	v_add_f64 v[0:1], v[0:1], v[4:5]
	v_accvgpr_read_b32 v7, a115
	v_mul_f64 v[4:5], v[110:111], v[8:9]
	v_fma_f64 v[4:5], v[108:109], v[6:7], -v[4:5]
	v_accvgpr_read_b32 v6, a118
	;; [unrolled: 7-line block ×4, first 2 shown]
	v_accvgpr_read_b32 v8, a128
	v_accvgpr_read_b32 v9, a129
	v_add_f64 v[0:1], v[0:1], v[4:5]
	v_accvgpr_read_b32 v7, a127
	v_mul_f64 v[4:5], v[122:123], v[8:9]
	v_fma_f64 v[4:5], v[120:121], v[6:7], -v[4:5]
	v_add_f64 v[0:1], v[0:1], v[4:5]
	v_mul_f64 v[4:5], v[126:127], v[30:31]
	v_fma_f64 v[4:5], v[124:125], v[28:29], -v[4:5]
	v_add_f64 v[0:1], v[0:1], v[4:5]
	;; [unrolled: 3-line block ×24, first 2 shown]
	s_waitcnt vmcnt(0)
	v_add_f64 v[4:5], v[236:237], -v[0:1]
	v_accvgpr_read_b32 v0, a104
	v_add_f64 v[6:7], v[238:239], -v[2:3]
	v_cmp_ne_u32_e32 vcc, 0, v0
	scratch_store_dwordx4 off, v[4:7], off offset:32
	s_and_saveexec_b64 s[0:1], vcc
	s_cbranch_execz .LBB115_325
; %bb.324:
	scratch_load_dwordx4 v[2:5], off, off offset:16
	v_mov_b32_e32 v6, 0
	v_mov_b32_e32 v7, v6
	;; [unrolled: 1-line block ×4, first 2 shown]
	v_accvgpr_read_b32 v0, a105
	scratch_store_dwordx4 off, v[6:9], off offset:16
	s_waitcnt vmcnt(1)
	ds_write_b128 v0, v[2:5]
.LBB115_325:
	s_or_b64 exec, exec, s[0:1]
	s_waitcnt lgkmcnt(0)
	; wave barrier
	scratch_load_dwordx4 v[52:55], off, off offset:32
	scratch_load_dwordx4 v[56:59], off, off offset:48
	;; [unrolled: 1-line block ×28, first 2 shown]
	v_mov_b32_e32 v90, 0
	ds_read_b128 v[108:111], v90 offset:848
	ds_read_b128 v[116:119], v90 offset:864
	;; [unrolled: 1-line block ×18, first 2 shown]
	scratch_load_dwordx4 a[104:107], off, off offset:480
	ds_read_b128 v[224:227], v90 offset:1136
	ds_read_b128 v[228:231], v90 offset:1152
	;; [unrolled: 1-line block ×5, first 2 shown]
	s_and_b64 vcc, exec, s[10:11]
	s_waitcnt vmcnt(28) lgkmcnt(14)
	v_mul_f64 v[24:25], v[108:109], v[54:55]
	s_waitcnt vmcnt(27)
	v_mul_f64 v[26:27], v[116:117], v[58:59]
	v_fmac_f64_e32 v[24:25], v[110:111], v[52:53]
	s_waitcnt vmcnt(26)
	v_mul_f64 v[28:29], v[120:121], v[62:63]
	v_fmac_f64_e32 v[26:27], v[118:119], v[56:57]
	v_add_f64 v[24:25], v[24:25], 0
	s_waitcnt vmcnt(25)
	v_mul_f64 v[30:31], v[124:125], v[66:67]
	v_fmac_f64_e32 v[28:29], v[122:123], v[60:61]
	v_add_f64 v[24:25], v[24:25], v[26:27]
	;; [unrolled: 4-line block ×7, first 2 shown]
	s_waitcnt vmcnt(19) lgkmcnt(13)
	v_mul_f64 v[42:43], v[180:181], v[98:99]
	v_fmac_f64_e32 v[40:41], v[170:171], v[92:93]
	v_add_f64 v[24:25], v[24:25], v[38:39]
	s_waitcnt vmcnt(18) lgkmcnt(12)
	v_mul_f64 v[44:45], v[192:193], v[102:103]
	v_fmac_f64_e32 v[42:43], v[182:183], v[96:97]
	v_add_f64 v[24:25], v[24:25], v[40:41]
	;; [unrolled: 4-line block ×8, first 2 shown]
	v_add_f64 v[28:29], v[24:25], v[86:87]
	v_fmac_f64_e32 v[88:89], v[218:219], v[160:161]
	s_waitcnt vmcnt(11) lgkmcnt(5)
	v_mul_f64 v[34:35], v[220:221], v[166:167]
	v_add_f64 v[32:33], v[28:29], v[88:89]
	v_fmac_f64_e32 v[34:35], v[222:223], v[164:165]
	scratch_load_dwordx4 v[28:31], off, off offset:496
	v_add_f64 v[32:33], v[32:33], v[34:35]
	s_waitcnt vmcnt(11) lgkmcnt(4)
	v_mul_f64 v[34:35], v[224:225], v[174:175]
	v_fmac_f64_e32 v[34:35], v[226:227], v[172:173]
	v_add_f64 v[36:37], v[32:33], v[34:35]
	scratch_load_dwordx4 v[32:35], off, off offset:512
	s_waitcnt vmcnt(11) lgkmcnt(3)
	v_mul_f64 v[38:39], v[228:229], v[178:179]
	v_fmac_f64_e32 v[38:39], v[230:231], v[176:177]
	s_waitcnt vmcnt(10) lgkmcnt(2)
	v_mul_f64 v[42:43], v[232:233], v[186:187]
	v_add_f64 v[40:41], v[36:37], v[38:39]
	v_fmac_f64_e32 v[42:43], v[234:235], v[184:185]
	scratch_load_dwordx4 v[36:39], off, off offset:528
	v_add_f64 v[40:41], v[40:41], v[42:43]
	s_waitcnt vmcnt(10) lgkmcnt(1)
	v_mul_f64 v[42:43], v[246:247], v[190:191]
	ds_read_b128 v[84:87], v90 offset:1200
	ds_read_b128 v[24:27], v90 offset:1216
	v_fmac_f64_e32 v[42:43], v[248:249], v[188:189]
	v_add_f64 v[48:49], v[40:41], v[42:43]
	scratch_load_dwordx4 v[40:43], off, off offset:544
	scratch_load_dwordx4 v[44:47], off, off offset:560
	s_waitcnt vmcnt(11) lgkmcnt(1)
	v_mul_f64 v[50:51], v[84:85], v[2:3]
	v_accvgpr_write_b32 a111, v3
	v_fmac_f64_e32 v[50:51], v[86:87], v[0:1]
	v_accvgpr_write_b32 a110, v2
	v_accvgpr_write_b32 a109, v1
	;; [unrolled: 1-line block ×3, first 2 shown]
	s_waitcnt vmcnt(10)
	v_mov_b64_e32 v[0:1], v[4:5]
	v_mov_b64_e32 v[2:3], v[6:7]
	v_add_f64 v[48:49], v[48:49], v[50:51]
	s_waitcnt lgkmcnt(0)
	v_mul_f64 v[50:51], v[24:25], v[2:3]
	v_fmac_f64_e32 v[50:51], v[26:27], v[0:1]
	v_add_f64 v[236:237], v[48:49], v[50:51]
	scratch_load_dwordx4 v[48:51], off, off offset:576
	s_waitcnt vmcnt(10)
	v_mov_b64_e32 v[0:1], v[8:9]
	v_mul_f64 v[54:55], v[110:111], v[54:55]
	v_mov_b64_e32 v[2:3], v[10:11]
	v_fma_f64 v[240:241], v[108:109], v[52:53], -v[54:55]
	ds_read_b128 v[108:111], v90 offset:1248
	v_mul_f64 v[52:53], v[104:105], v[2:3]
	v_mul_f64 v[54:55], v[118:119], v[58:59]
	v_fmac_f64_e32 v[52:53], v[106:107], v[0:1]
	v_fma_f64 v[242:243], v[116:117], v[56:57], -v[54:55]
	scratch_load_dwordx4 v[56:59], off, off offset:592
	v_add_f64 v[116:117], v[236:237], v[52:53]
	scratch_load_dwordx4 v[52:55], off, off offset:608
	v_mul_f64 v[62:63], v[122:123], v[62:63]
	s_waitcnt vmcnt(11)
	v_mov_b64_e32 v[0:1], v[12:13]
	v_fma_f64 v[244:245], v[120:121], v[60:61], -v[62:63]
	v_mov_b64_e32 v[2:3], v[14:15]
	scratch_load_dwordx4 v[60:63], off, off offset:624
	s_waitcnt lgkmcnt(0)
	v_mul_f64 v[118:119], v[108:109], v[2:3]
	v_mul_f64 v[66:67], v[126:127], v[66:67]
	;; [unrolled: 1-line block ×3, first 2 shown]
	v_fmac_f64_e32 v[118:119], v[110:111], v[0:1]
	v_fma_f64 v[252:253], v[124:125], v[64:65], -v[66:67]
	scratch_load_dwordx4 v[64:67], off, off offset:640
	v_fma_f64 v[254:255], v[128:129], v[68:69], -v[70:71]
	s_waitcnt vmcnt(12)
	v_mov_b64_e32 v[0:1], v[16:17]
	v_mul_f64 v[68:69], v[134:135], v[74:75]
	v_add_f64 v[236:237], v[116:117], v[118:119]
	ds_read_b128 v[116:119], v90 offset:1264
	ds_read_b128 v[120:123], v90 offset:1280
	v_mov_b64_e32 v[2:3], v[18:19]
	v_fma_f64 v[16:17], v[132:133], v[72:73], -v[68:69]
	scratch_load_dwordx4 v[68:71], off, off offset:656
	s_waitcnt lgkmcnt(1)
	v_mul_f64 v[124:125], v[116:117], v[2:3]
	v_fmac_f64_e32 v[124:125], v[118:119], v[0:1]
	v_accvgpr_write_b32 a127, v3
	v_mul_f64 v[72:73], v[138:139], v[78:79]
	v_accvgpr_write_b32 a115, v7
	v_accvgpr_write_b32 a126, v2
	;; [unrolled: 1-line block ×4, first 2 shown]
	v_add_f64 v[2:3], v[236:237], v[124:125]
	v_fma_f64 v[236:237], v[136:137], v[76:77], -v[72:73]
	scratch_load_dwordx4 v[76:79], off, off offset:672
	scratch_load_dwordx4 v[72:75], off, off offset:688
	v_accvgpr_write_b32 a114, v6
	v_accvgpr_write_b32 a113, v5
	;; [unrolled: 1-line block ×3, first 2 shown]
	s_waitcnt vmcnt(14)
	v_mov_b64_e32 v[4:5], v[20:21]
	ds_read_b128 v[124:127], v90 offset:1296
	ds_read_b128 v[128:131], v90 offset:1312
	v_mov_b64_e32 v[6:7], v[22:23]
	v_accvgpr_write_b32 a119, v11
	s_waitcnt lgkmcnt(2)
	v_mul_f64 v[132:133], v[120:121], v[6:7]
	v_mul_f64 v[6:7], v[170:171], v[94:95]
	v_accvgpr_write_b32 a118, v10
	v_accvgpr_write_b32 a117, v9
	;; [unrolled: 1-line block ×3, first 2 shown]
	v_fmac_f64_e32 v[132:133], v[122:123], v[4:5]
	v_fma_f64 v[8:9], v[168:169], v[92:93], -v[6:7]
	s_waitcnt vmcnt(13)
	v_accvgpr_read_b32 v4, a104
	v_accvgpr_write_b32 a123, v15
	v_mul_f64 v[82:83], v[158:159], v[82:83]
	v_accvgpr_read_b32 v6, a106
	v_accvgpr_read_b32 v7, a107
	v_accvgpr_write_b32 a122, v14
	v_accvgpr_write_b32 a121, v13
	;; [unrolled: 1-line block ×3, first 2 shown]
	v_fma_f64 v[12:13], v[156:157], v[80:81], -v[82:83]
	scratch_load_dwordx4 v[80:83], off, off offset:704
	v_accvgpr_read_b32 v5, a105
	s_waitcnt lgkmcnt(1)
	v_mul_f64 v[92:93], v[124:125], v[6:7]
	v_add_f64 v[2:3], v[2:3], v[132:133]
	v_fmac_f64_e32 v[92:93], v[126:127], v[4:5]
	v_add_f64 v[2:3], v[2:3], v[92:93]
	v_mul_f64 v[92:93], v[182:183], v[98:99]
	v_fma_f64 v[6:7], v[180:181], v[96:97], -v[92:93]
	scratch_load_dwordx4 v[92:95], off, off offset:720
	v_mul_f64 v[10:11], v[194:195], v[102:103]
	scratch_load_dwordx4 v[96:99], off, off offset:736
	v_fma_f64 v[10:11], v[192:193], v[100:101], -v[10:11]
	v_mul_f64 v[100:101], v[198:199], v[114:115]
	v_fma_f64 v[4:5], v[196:197], v[112:113], -v[100:101]
	scratch_load_dwordx4 v[100:103], off, off offset:752
	v_mul_f64 v[112:113], v[206:207], v[146:147]
	v_fma_f64 v[0:1], v[204:205], v[144:145], -v[112:113]
	scratch_load_dwordx4 v[112:115], off, off offset:768
	ds_read_b128 v[132:135], v90 offset:1328
	s_waitcnt vmcnt(17) lgkmcnt(1)
	v_mul_f64 v[136:137], v[128:129], v[30:31]
	v_fmac_f64_e32 v[136:137], v[130:131], v[28:29]
	v_add_f64 v[2:3], v[2:3], v[136:137]
	ds_read_b128 v[136:139], v90 offset:1344
	s_waitcnt vmcnt(16) lgkmcnt(1)
	v_mul_f64 v[14:15], v[132:133], v[34:35]
	v_fmac_f64_e32 v[14:15], v[134:135], v[32:33]
	v_add_f64 v[2:3], v[2:3], v[14:15]
	v_mul_f64 v[14:15], v[202:203], v[142:143]
	v_fma_f64 v[14:15], v[200:201], v[140:141], -v[14:15]
	ds_read_b128 v[140:143], v90 offset:1360
	ds_read_b128 v[144:147], v90 offset:1376
	s_waitcnt vmcnt(15) lgkmcnt(2)
	v_mul_f64 v[18:19], v[136:137], v[38:39]
	v_fmac_f64_e32 v[18:19], v[138:139], v[36:37]
	v_add_f64 v[2:3], v[2:3], v[18:19]
	s_waitcnt vmcnt(14) lgkmcnt(1)
	v_mul_f64 v[18:19], v[140:141], v[42:43]
	v_fmac_f64_e32 v[18:19], v[142:143], v[40:41]
	v_add_f64 v[2:3], v[2:3], v[18:19]
	v_mul_f64 v[18:19], v[210:211], v[150:151]
	v_fma_f64 v[18:19], v[208:209], v[148:149], -v[18:19]
	ds_read_b128 v[148:151], v90 offset:1392
	s_waitcnt vmcnt(13) lgkmcnt(1)
	v_mul_f64 v[156:157], v[144:145], v[46:47]
	v_fmac_f64_e32 v[156:157], v[146:147], v[44:45]
	v_mul_f64 v[154:155], v[214:215], v[154:155]
	v_add_f64 v[2:3], v[2:3], v[156:157]
	v_fma_f64 v[250:251], v[212:213], v[152:153], -v[154:155]
	ds_read_b128 v[152:155], v90 offset:1408
	s_waitcnt vmcnt(12) lgkmcnt(1)
	v_mul_f64 v[156:157], v[148:149], v[50:51]
	v_fmac_f64_e32 v[156:157], v[150:151], v[48:49]
	v_add_f64 v[2:3], v[2:3], v[156:157]
	ds_read_b128 v[156:159], v90 offset:1424
	v_accvgpr_write_b32 a131, v23
	s_waitcnt vmcnt(11) lgkmcnt(1)
	v_mul_f64 v[168:169], v[152:153], v[58:59]
	v_mul_f64 v[162:163], v[218:219], v[162:163]
	v_accvgpr_write_b32 a130, v22
	v_accvgpr_write_b32 a129, v21
	;; [unrolled: 1-line block ×3, first 2 shown]
	v_fmac_f64_e32 v[168:169], v[154:155], v[56:57]
	v_fma_f64 v[238:239], v[216:217], v[160:161], -v[162:163]
	ds_read_b128 v[160:163], v90 offset:1440
	s_waitcnt vmcnt(10) lgkmcnt(1)
	v_mul_f64 v[22:23], v[156:157], v[54:55]
	v_add_f64 v[2:3], v[2:3], v[168:169]
	v_fmac_f64_e32 v[22:23], v[158:159], v[52:53]
	v_add_f64 v[2:3], v[2:3], v[22:23]
	v_mul_f64 v[22:23], v[222:223], v[166:167]
	v_fma_f64 v[22:23], v[220:221], v[164:165], -v[22:23]
	ds_read_b128 v[164:167], v90 offset:1456
	ds_read_b128 v[168:171], v90 offset:1472
	s_waitcnt vmcnt(9) lgkmcnt(2)
	v_mul_f64 v[180:181], v[160:161], v[62:63]
	v_fmac_f64_e32 v[180:181], v[162:163], v[60:61]
	v_add_f64 v[2:3], v[2:3], v[180:181]
	s_waitcnt vmcnt(8) lgkmcnt(1)
	v_mul_f64 v[180:181], v[164:165], v[66:67]
	v_fmac_f64_e32 v[180:181], v[166:167], v[64:65]
	v_mul_f64 v[174:175], v[226:227], v[174:175]
	s_waitcnt vmcnt(7) lgkmcnt(0)
	v_mul_f64 v[88:89], v[168:169], v[70:71]
	v_add_f64 v[2:3], v[2:3], v[180:181]
	v_fma_f64 v[20:21], v[224:225], v[172:173], -v[174:175]
	v_fmac_f64_e32 v[88:89], v[170:171], v[68:69]
	ds_read_b128 v[172:175], v90 offset:1488
	v_add_f64 v[2:3], v[2:3], v[88:89]
	v_mul_f64 v[88:89], v[230:231], v[178:179]
	v_fma_f64 v[88:89], v[228:229], v[176:177], -v[88:89]
	ds_read_b128 v[176:179], v90 offset:1504
	s_waitcnt vmcnt(6) lgkmcnt(1)
	v_mul_f64 v[180:181], v[172:173], v[78:79]
	v_fmac_f64_e32 v[180:181], v[174:175], v[76:77]
	v_add_f64 v[2:3], v[2:3], v[180:181]
	ds_read_b128 v[180:183], v90 offset:1520
	s_waitcnt vmcnt(5) lgkmcnt(1)
	v_mul_f64 v[192:193], v[176:177], v[74:75]
	v_fmac_f64_e32 v[192:193], v[178:179], v[72:73]
	v_add_f64 v[192:193], v[2:3], v[192:193]
	v_mul_f64 v[2:3], v[234:235], v[186:187]
	v_fma_f64 v[2:3], v[232:233], v[184:185], -v[2:3]
	ds_read_b128 v[184:187], v90 offset:1536
	v_mul_f64 v[190:191], v[248:249], v[190:191]
	s_waitcnt vmcnt(4) lgkmcnt(1)
	v_mul_f64 v[194:195], v[180:181], v[82:83]
	v_fma_f64 v[246:247], v[246:247], v[188:189], -v[190:191]
	ds_read_b128 v[188:191], v90 offset:1552
	v_fmac_f64_e32 v[194:195], v[182:183], v[80:81]
	v_add_f64 v[196:197], v[192:193], v[194:195]
	ds_read_b128 v[192:195], v90 offset:1568
	s_waitcnt vmcnt(3) lgkmcnt(2)
	v_mul_f64 v[198:199], v[184:185], v[94:95]
	v_fmac_f64_e32 v[198:199], v[186:187], v[92:93]
	v_add_f64 v[196:197], v[196:197], v[198:199]
	s_waitcnt vmcnt(2) lgkmcnt(1)
	v_mul_f64 v[198:199], v[188:189], v[98:99]
	v_fmac_f64_e32 v[198:199], v[190:191], v[96:97]
	v_add_f64 v[196:197], v[196:197], v[198:199]
	;; [unrolled: 4-line block ×3, first 2 shown]
	ds_read_b128 v[196:199], v90 offset:1584
	ds_read_b128 v[204:207], v90 offset:1600
	;; [unrolled: 1-line block ×5, first 2 shown]
	s_waitcnt vmcnt(0) lgkmcnt(4)
	v_mul_f64 v[202:203], v[196:197], v[114:115]
	v_fmac_f64_e32 v[202:203], v[198:199], v[112:113]
	v_add_f64 v[208:209], v[200:201], v[202:203]
	scratch_load_dwordx4 v[200:203], off, off offset:784
	s_waitcnt vmcnt(0) lgkmcnt(3)
	v_mul_f64 v[210:211], v[204:205], v[202:203]
	v_fmac_f64_e32 v[210:211], v[206:207], v[200:201]
	v_add_f64 v[216:217], v[208:209], v[210:211]
	scratch_load_dwordx4 v[208:211], off, off offset:800
	;; [unrolled: 5-line block ×4, first 2 shown]
	s_waitcnt vmcnt(0) lgkmcnt(0)
	v_mul_f64 v[234:235], v[228:229], v[226:227]
	v_fmac_f64_e32 v[234:235], v[230:231], v[224:225]
	v_add_f64 v[232:233], v[232:233], v[234:235]
	v_accvgpr_write_b32 a132, v232
	v_accvgpr_write_b32 a133, v233
	v_add_f64 v[232:233], v[240:241], 0
	v_add_f64 v[232:233], v[232:233], v[242:243]
	;; [unrolled: 1-line block ×7, first 2 shown]
	scratch_load_dwordx4 v[232:235], off, off offset:16
	v_add_f64 v[12:13], v[16:17], v[12:13]
	v_add_f64 v[8:9], v[12:13], v[8:9]
	;; [unrolled: 1-line block ×12, first 2 shown]
	v_accvgpr_read_b32 v4, a108
	v_add_f64 v[248:249], v[0:1], v[88:89]
	v_accvgpr_read_b32 v6, a110
	v_accvgpr_read_b32 v7, a111
	v_add_f64 v[0:1], v[248:249], v[2:3]
	v_accvgpr_read_b32 v5, a109
	v_mul_f64 v[2:3], v[86:87], v[6:7]
	v_fma_f64 v[2:3], v[84:85], v[4:5], -v[2:3]
	v_accvgpr_read_b32 v4, a112
	v_add_f64 v[0:1], v[0:1], v[246:247]
	v_accvgpr_read_b32 v6, a114
	v_accvgpr_read_b32 v7, a115
	v_add_f64 v[0:1], v[0:1], v[2:3]
	v_accvgpr_read_b32 v5, a113
	v_mul_f64 v[2:3], v[26:27], v[6:7]
	v_fma_f64 v[2:3], v[24:25], v[4:5], -v[2:3]
	v_accvgpr_read_b32 v4, a116
	v_accvgpr_read_b32 v6, a118
	v_accvgpr_read_b32 v7, a119
	v_add_f64 v[0:1], v[0:1], v[2:3]
	v_accvgpr_read_b32 v5, a117
	v_mul_f64 v[2:3], v[106:107], v[6:7]
	v_fma_f64 v[2:3], v[104:105], v[4:5], -v[2:3]
	v_accvgpr_read_b32 v4, a120
	;; [unrolled: 7-line block ×5, first 2 shown]
	v_accvgpr_read_b32 v6, a106
	v_accvgpr_read_b32 v7, a107
	v_add_f64 v[0:1], v[0:1], v[2:3]
	v_accvgpr_read_b32 v5, a105
	v_mul_f64 v[2:3], v[126:127], v[6:7]
	v_fma_f64 v[2:3], v[124:125], v[4:5], -v[2:3]
	v_add_f64 v[0:1], v[0:1], v[2:3]
	v_mul_f64 v[2:3], v[130:131], v[30:31]
	v_fma_f64 v[2:3], v[128:129], v[28:29], -v[2:3]
	v_add_f64 v[0:1], v[0:1], v[2:3]
	v_mul_f64 v[2:3], v[134:135], v[34:35]
	v_fma_f64 v[2:3], v[132:133], v[32:33], -v[2:3]
	v_add_f64 v[0:1], v[0:1], v[2:3]
	v_mul_f64 v[2:3], v[138:139], v[38:39]
	v_fma_f64 v[2:3], v[136:137], v[36:37], -v[2:3]
	v_add_f64 v[0:1], v[0:1], v[2:3]
	v_mul_f64 v[2:3], v[142:143], v[42:43]
	v_fma_f64 v[2:3], v[140:141], v[40:41], -v[2:3]
	v_add_f64 v[0:1], v[0:1], v[2:3]
	v_mul_f64 v[2:3], v[146:147], v[46:47]
	v_fma_f64 v[2:3], v[144:145], v[44:45], -v[2:3]
	v_add_f64 v[0:1], v[0:1], v[2:3]
	v_mul_f64 v[2:3], v[150:151], v[50:51]
	v_fma_f64 v[2:3], v[148:149], v[48:49], -v[2:3]
	v_add_f64 v[0:1], v[0:1], v[2:3]
	v_mul_f64 v[2:3], v[154:155], v[58:59]
	v_fma_f64 v[2:3], v[152:153], v[56:57], -v[2:3]
	v_add_f64 v[0:1], v[0:1], v[2:3]
	v_mul_f64 v[2:3], v[158:159], v[54:55]
	v_fma_f64 v[2:3], v[156:157], v[52:53], -v[2:3]
	v_add_f64 v[0:1], v[0:1], v[2:3]
	v_mul_f64 v[2:3], v[162:163], v[62:63]
	v_fma_f64 v[2:3], v[160:161], v[60:61], -v[2:3]
	v_add_f64 v[0:1], v[0:1], v[2:3]
	v_mul_f64 v[2:3], v[166:167], v[66:67]
	v_fma_f64 v[2:3], v[164:165], v[64:65], -v[2:3]
	v_add_f64 v[0:1], v[0:1], v[2:3]
	v_mul_f64 v[2:3], v[170:171], v[70:71]
	v_fma_f64 v[2:3], v[168:169], v[68:69], -v[2:3]
	v_add_f64 v[0:1], v[0:1], v[2:3]
	v_mul_f64 v[2:3], v[174:175], v[78:79]
	v_fma_f64 v[2:3], v[172:173], v[76:77], -v[2:3]
	v_add_f64 v[0:1], v[0:1], v[2:3]
	v_mul_f64 v[2:3], v[178:179], v[74:75]
	v_fma_f64 v[2:3], v[176:177], v[72:73], -v[2:3]
	v_add_f64 v[0:1], v[0:1], v[2:3]
	v_mul_f64 v[2:3], v[182:183], v[82:83]
	v_fma_f64 v[2:3], v[180:181], v[80:81], -v[2:3]
	v_add_f64 v[0:1], v[0:1], v[2:3]
	v_mul_f64 v[2:3], v[186:187], v[94:95]
	v_fma_f64 v[2:3], v[184:185], v[92:93], -v[2:3]
	v_add_f64 v[0:1], v[0:1], v[2:3]
	v_mul_f64 v[2:3], v[190:191], v[98:99]
	v_fma_f64 v[2:3], v[188:189], v[96:97], -v[2:3]
	v_add_f64 v[0:1], v[0:1], v[2:3]
	v_mul_f64 v[2:3], v[194:195], v[102:103]
	v_fma_f64 v[2:3], v[192:193], v[100:101], -v[2:3]
	v_add_f64 v[0:1], v[0:1], v[2:3]
	v_mul_f64 v[2:3], v[198:199], v[114:115]
	v_fma_f64 v[2:3], v[196:197], v[112:113], -v[2:3]
	v_add_f64 v[0:1], v[0:1], v[2:3]
	v_mul_f64 v[2:3], v[206:207], v[202:203]
	v_fma_f64 v[2:3], v[204:205], v[200:201], -v[2:3]
	v_add_f64 v[0:1], v[0:1], v[2:3]
	v_mul_f64 v[2:3], v[214:215], v[210:211]
	v_fma_f64 v[2:3], v[212:213], v[208:209], -v[2:3]
	v_add_f64 v[0:1], v[0:1], v[2:3]
	v_mul_f64 v[2:3], v[222:223], v[218:219]
	v_fma_f64 v[2:3], v[220:221], v[216:217], -v[2:3]
	v_add_f64 v[0:1], v[0:1], v[2:3]
	v_mul_f64 v[2:3], v[230:231], v[226:227]
	v_fma_f64 v[2:3], v[228:229], v[224:225], -v[2:3]
	v_add_f64 v[0:1], v[0:1], v[2:3]
	v_accvgpr_read_b32 v2, a132
	v_accvgpr_read_b32 v3, a133
	s_waitcnt vmcnt(0)
	v_add_f64 v[0:1], v[232:233], -v[0:1]
	v_add_f64 v[2:3], v[234:235], -v[2:3]
	scratch_store_dwordx4 off, v[0:3], off offset:16
	s_cbranch_vccz .LBB115_428
; %bb.326:
	global_load_dword v0, v90, s[8:9] offset:200
	s_waitcnt vmcnt(0)
	v_readfirstlane_b32 s0, v0
	s_add_i32 s0, s0, -1
	s_cmp_lg_u32 s0, 50
	s_cbranch_scc0 .LBB115_328
; %bb.327:
	s_lshl_b32 s0, s0, 4
	s_add_i32 s0, s0, 16
	scratch_load_dwordx4 v[0:3], off, s0
	scratch_load_dwordx4 v[4:7], off, s17
	s_waitcnt vmcnt(1)
	scratch_store_dwordx4 off, v[0:3], s17
	s_waitcnt vmcnt(1)
	scratch_store_dwordx4 off, v[4:7], s0
.LBB115_328:
	v_mov_b32_e32 v0, 0
	global_load_dword v1, v0, s[8:9] offset:196
	s_waitcnt vmcnt(0)
	v_readfirstlane_b32 s0, v1
	s_add_i32 s0, s0, -1
	s_cmp_eq_u32 s0, 49
	s_cbranch_scc1 .LBB115_330
; %bb.329:
	s_lshl_b32 s0, s0, 4
	s_add_i32 s0, s0, 16
	scratch_load_dwordx4 v[2:5], off, s0
	scratch_load_dwordx4 v[6:9], off, s18
	s_waitcnt vmcnt(1)
	scratch_store_dwordx4 off, v[2:5], s18
	s_waitcnt vmcnt(1)
	scratch_store_dwordx4 off, v[6:9], s0
.LBB115_330:
	global_load_dword v0, v0, s[8:9] offset:192
	s_waitcnt vmcnt(0)
	v_readfirstlane_b32 s0, v0
	s_add_i32 s0, s0, -1
	s_cmp_eq_u32 s0, 48
	s_cbranch_scc1 .LBB115_332
; %bb.331:
	s_lshl_b32 s0, s0, 4
	s_add_i32 s0, s0, 16
	scratch_load_dwordx4 v[0:3], off, s0
	scratch_load_dwordx4 v[4:7], off, s19
	s_waitcnt vmcnt(1)
	scratch_store_dwordx4 off, v[0:3], s19
	s_waitcnt vmcnt(1)
	scratch_store_dwordx4 off, v[4:7], s0
.LBB115_332:
	v_mov_b32_e32 v0, 0
	global_load_dword v1, v0, s[8:9] offset:188
	s_waitcnt vmcnt(0)
	v_readfirstlane_b32 s0, v1
	s_add_i32 s0, s0, -1
	s_cmp_eq_u32 s0, 47
	s_cbranch_scc1 .LBB115_334
; %bb.333:
	s_lshl_b32 s0, s0, 4
	s_add_i32 s0, s0, 16
	scratch_load_dwordx4 v[2:5], off, s0
	scratch_load_dwordx4 v[6:9], off, s20
	s_waitcnt vmcnt(1)
	scratch_store_dwordx4 off, v[2:5], s20
	s_waitcnt vmcnt(1)
	scratch_store_dwordx4 off, v[6:9], s0
.LBB115_334:
	global_load_dword v0, v0, s[8:9] offset:184
	s_waitcnt vmcnt(0)
	v_readfirstlane_b32 s0, v0
	s_add_i32 s0, s0, -1
	s_cmp_eq_u32 s0, 46
	s_cbranch_scc1 .LBB115_336
; %bb.335:
	s_lshl_b32 s0, s0, 4
	s_add_i32 s0, s0, 16
	scratch_load_dwordx4 v[0:3], off, s0
	scratch_load_dwordx4 v[4:7], off, s21
	s_waitcnt vmcnt(1)
	scratch_store_dwordx4 off, v[0:3], s21
	s_waitcnt vmcnt(1)
	scratch_store_dwordx4 off, v[4:7], s0
.LBB115_336:
	;; [unrolled: 33-line block ×24, first 2 shown]
	v_mov_b32_e32 v0, 0
	global_load_dword v1, v0, s[8:9] offset:4
	s_waitcnt vmcnt(0)
	v_readfirstlane_b32 s0, v1
	s_add_i32 s0, s0, -1
	s_cmp_eq_u32 s0, 1
	s_cbranch_scc1 .LBB115_426
; %bb.425:
	s_lshl_b32 s0, s0, 4
	s_add_i32 s0, s0, 16
	scratch_load_dwordx4 v[2:5], off, s0
	scratch_load_dwordx4 v[6:9], off, s67
	s_waitcnt vmcnt(1)
	scratch_store_dwordx4 off, v[2:5], s67
	s_waitcnt vmcnt(1)
	scratch_store_dwordx4 off, v[6:9], s0
.LBB115_426:
	global_load_dword v0, v0, s[8:9]
	s_waitcnt vmcnt(0)
	v_readfirstlane_b32 s0, v0
	s_add_i32 s0, s0, -1
	s_cmp_eq_u32 s0, 0
	s_cbranch_scc1 .LBB115_428
; %bb.427:
	s_lshl_b32 s0, s0, 4
	s_add_i32 s0, s0, 16
	scratch_load_dwordx4 v[0:3], off, s0
	scratch_load_dwordx4 v[4:7], off, off offset:16
	s_waitcnt vmcnt(1)
	scratch_store_dwordx4 off, v[0:3], off offset:16
	s_waitcnt vmcnt(1)
	scratch_store_dwordx4 off, v[4:7], s0
.LBB115_428:
	scratch_load_dwordx4 v[0:3], off, off offset:16
	s_nop 0
	v_accvgpr_read_b32 v5, a1
	v_accvgpr_read_b32 v4, a0
	s_waitcnt vmcnt(0)
	flat_store_dwordx4 v[4:5], v[0:3]
	scratch_load_dwordx4 v[0:3], off, s67
	v_accvgpr_read_b32 v5, a3
	v_accvgpr_read_b32 v4, a2
	s_waitcnt vmcnt(0)
	flat_store_dwordx4 v[4:5], v[0:3]
	scratch_load_dwordx4 v[0:3], off, s66
	;; [unrolled: 5-line block ×51, first 2 shown]
	v_accvgpr_read_b32 v4, a102
	v_accvgpr_read_b32 v5, a103
	s_waitcnt vmcnt(0)
	flat_store_dwordx4 v[4:5], v[0:3]
	s_endpgm
	.section	.rodata,"a",@progbits
	.p2align	6, 0x0
	.amdhsa_kernel _ZN9rocsolver6v33100L18getri_kernel_smallILi52E19rocblas_complex_numIdEPKPS3_EEvT1_iilPiilS8_bb
		.amdhsa_group_segment_fixed_size 1672
		.amdhsa_private_segment_fixed_size 864
		.amdhsa_kernarg_size 60
		.amdhsa_user_sgpr_count 2
		.amdhsa_user_sgpr_dispatch_ptr 0
		.amdhsa_user_sgpr_queue_ptr 0
		.amdhsa_user_sgpr_kernarg_segment_ptr 1
		.amdhsa_user_sgpr_dispatch_id 0
		.amdhsa_user_sgpr_kernarg_preload_length 0
		.amdhsa_user_sgpr_kernarg_preload_offset 0
		.amdhsa_user_sgpr_private_segment_size 0
		.amdhsa_uses_dynamic_stack 0
		.amdhsa_enable_private_segment 1
		.amdhsa_system_sgpr_workgroup_id_x 1
		.amdhsa_system_sgpr_workgroup_id_y 0
		.amdhsa_system_sgpr_workgroup_id_z 0
		.amdhsa_system_sgpr_workgroup_info 0
		.amdhsa_system_vgpr_workitem_id 0
		.amdhsa_next_free_vgpr 390
		.amdhsa_next_free_sgpr 88
		.amdhsa_accum_offset 256
		.amdhsa_reserve_vcc 1
		.amdhsa_float_round_mode_32 0
		.amdhsa_float_round_mode_16_64 0
		.amdhsa_float_denorm_mode_32 3
		.amdhsa_float_denorm_mode_16_64 3
		.amdhsa_dx10_clamp 1
		.amdhsa_ieee_mode 1
		.amdhsa_fp16_overflow 0
		.amdhsa_tg_split 0
		.amdhsa_exception_fp_ieee_invalid_op 0
		.amdhsa_exception_fp_denorm_src 0
		.amdhsa_exception_fp_ieee_div_zero 0
		.amdhsa_exception_fp_ieee_overflow 0
		.amdhsa_exception_fp_ieee_underflow 0
		.amdhsa_exception_fp_ieee_inexact 0
		.amdhsa_exception_int_div_zero 0
	.end_amdhsa_kernel
	.section	.text._ZN9rocsolver6v33100L18getri_kernel_smallILi52E19rocblas_complex_numIdEPKPS3_EEvT1_iilPiilS8_bb,"axG",@progbits,_ZN9rocsolver6v33100L18getri_kernel_smallILi52E19rocblas_complex_numIdEPKPS3_EEvT1_iilPiilS8_bb,comdat
.Lfunc_end115:
	.size	_ZN9rocsolver6v33100L18getri_kernel_smallILi52E19rocblas_complex_numIdEPKPS3_EEvT1_iilPiilS8_bb, .Lfunc_end115-_ZN9rocsolver6v33100L18getri_kernel_smallILi52E19rocblas_complex_numIdEPKPS3_EEvT1_iilPiilS8_bb
                                        ; -- End function
	.set _ZN9rocsolver6v33100L18getri_kernel_smallILi52E19rocblas_complex_numIdEPKPS3_EEvT1_iilPiilS8_bb.num_vgpr, 256
	.set _ZN9rocsolver6v33100L18getri_kernel_smallILi52E19rocblas_complex_numIdEPKPS3_EEvT1_iilPiilS8_bb.num_agpr, 134
	.set _ZN9rocsolver6v33100L18getri_kernel_smallILi52E19rocblas_complex_numIdEPKPS3_EEvT1_iilPiilS8_bb.numbered_sgpr, 88
	.set _ZN9rocsolver6v33100L18getri_kernel_smallILi52E19rocblas_complex_numIdEPKPS3_EEvT1_iilPiilS8_bb.num_named_barrier, 0
	.set _ZN9rocsolver6v33100L18getri_kernel_smallILi52E19rocblas_complex_numIdEPKPS3_EEvT1_iilPiilS8_bb.private_seg_size, 864
	.set _ZN9rocsolver6v33100L18getri_kernel_smallILi52E19rocblas_complex_numIdEPKPS3_EEvT1_iilPiilS8_bb.uses_vcc, 1
	.set _ZN9rocsolver6v33100L18getri_kernel_smallILi52E19rocblas_complex_numIdEPKPS3_EEvT1_iilPiilS8_bb.uses_flat_scratch, 0
	.set _ZN9rocsolver6v33100L18getri_kernel_smallILi52E19rocblas_complex_numIdEPKPS3_EEvT1_iilPiilS8_bb.has_dyn_sized_stack, 0
	.set _ZN9rocsolver6v33100L18getri_kernel_smallILi52E19rocblas_complex_numIdEPKPS3_EEvT1_iilPiilS8_bb.has_recursion, 0
	.set _ZN9rocsolver6v33100L18getri_kernel_smallILi52E19rocblas_complex_numIdEPKPS3_EEvT1_iilPiilS8_bb.has_indirect_call, 0
	.section	.AMDGPU.csdata,"",@progbits
; Kernel info:
; codeLenInByte = 114704
; TotalNumSgprs: 94
; NumVgprs: 256
; NumAgprs: 134
; TotalNumVgprs: 390
; ScratchSize: 864
; MemoryBound: 0
; FloatMode: 240
; IeeeMode: 1
; LDSByteSize: 1672 bytes/workgroup (compile time only)
; SGPRBlocks: 11
; VGPRBlocks: 48
; NumSGPRsForWavesPerEU: 94
; NumVGPRsForWavesPerEU: 390
; AccumOffset: 256
; Occupancy: 1
; WaveLimiterHint : 1
; COMPUTE_PGM_RSRC2:SCRATCH_EN: 1
; COMPUTE_PGM_RSRC2:USER_SGPR: 2
; COMPUTE_PGM_RSRC2:TRAP_HANDLER: 0
; COMPUTE_PGM_RSRC2:TGID_X_EN: 1
; COMPUTE_PGM_RSRC2:TGID_Y_EN: 0
; COMPUTE_PGM_RSRC2:TGID_Z_EN: 0
; COMPUTE_PGM_RSRC2:TIDIG_COMP_CNT: 0
; COMPUTE_PGM_RSRC3_GFX90A:ACCUM_OFFSET: 63
; COMPUTE_PGM_RSRC3_GFX90A:TG_SPLIT: 0
	.section	.text._ZN9rocsolver6v33100L18getri_kernel_smallILi53E19rocblas_complex_numIdEPKPS3_EEvT1_iilPiilS8_bb,"axG",@progbits,_ZN9rocsolver6v33100L18getri_kernel_smallILi53E19rocblas_complex_numIdEPKPS3_EEvT1_iilPiilS8_bb,comdat
	.globl	_ZN9rocsolver6v33100L18getri_kernel_smallILi53E19rocblas_complex_numIdEPKPS3_EEvT1_iilPiilS8_bb ; -- Begin function _ZN9rocsolver6v33100L18getri_kernel_smallILi53E19rocblas_complex_numIdEPKPS3_EEvT1_iilPiilS8_bb
	.p2align	8
	.type	_ZN9rocsolver6v33100L18getri_kernel_smallILi53E19rocblas_complex_numIdEPKPS3_EEvT1_iilPiilS8_bb,@function
_ZN9rocsolver6v33100L18getri_kernel_smallILi53E19rocblas_complex_numIdEPKPS3_EEvT1_iilPiilS8_bb: ; @_ZN9rocsolver6v33100L18getri_kernel_smallILi53E19rocblas_complex_numIdEPKPS3_EEvT1_iilPiilS8_bb
; %bb.0:
	v_mov_b32_e32 v240, v0
	v_cmp_gt_u32_e32 vcc, 53, v240
	s_and_saveexec_b64 s[4:5], vcc
	s_cbranch_execz .LBB116_226
; %bb.1:
	s_load_dword s14, s[0:1], 0x38
	s_load_dwordx2 s[8:9], s[0:1], 0x0
	s_load_dwordx4 s[4:7], s[0:1], 0x28
	s_waitcnt lgkmcnt(0)
	s_bitcmp1_b32 s14, 8
	s_cselect_b64 s[10:11], -1, 0
	s_ashr_i32 s3, s2, 31
	s_lshl_b64 s[12:13], s[2:3], 3
	s_add_u32 s8, s8, s12
	s_addc_u32 s9, s9, s13
	s_load_dwordx2 s[12:13], s[8:9], 0x0
	s_bfe_u32 s8, s14, 0x10008
	s_cmp_eq_u32 s8, 0
                                        ; implicit-def: $sgpr8_sgpr9
	s_cbranch_scc1 .LBB116_3
; %bb.2:
	s_load_dword s8, s[0:1], 0x20
	s_load_dwordx2 s[14:15], s[0:1], 0x18
	s_mul_i32 s9, s4, s3
	s_mul_hi_u32 s16, s4, s2
	s_add_i32 s16, s16, s9
	s_mul_i32 s5, s5, s2
	s_add_i32 s5, s16, s5
	s_mul_i32 s4, s4, s2
	s_waitcnt lgkmcnt(0)
	s_ashr_i32 s9, s8, 31
	s_lshl_b64 s[4:5], s[4:5], 2
	s_add_u32 s14, s14, s4
	s_addc_u32 s15, s15, s5
	s_lshl_b64 s[4:5], s[8:9], 2
	s_add_u32 s8, s14, s4
	s_addc_u32 s9, s15, s5
.LBB116_3:
	s_load_dwordx2 s[4:5], s[0:1], 0x8
	s_load_dword s14, s[0:1], 0x38
	v_lshlrev_b32_e32 v14, 4, v240
	v_mov_b32_e32 v15, 0
	s_movk_i32 s15, 0x80
	s_waitcnt lgkmcnt(0)
	s_ashr_i32 s1, s4, 31
	s_mov_b32 s0, s4
	s_lshl_b64 s[0:1], s[0:1], 4
	s_add_u32 s0, s12, s0
	s_addc_u32 s1, s13, s1
	v_lshl_add_u64 v[0:1], s[0:1], 0, v[14:15]
	flat_load_dwordx4 v[2:5], v[0:1]
	s_mov_b32 s12, s5
	s_ashr_i32 s13, s5, 31
	v_accvgpr_write_b32 a0, v0
	v_accvgpr_write_b32 a1, v1
	v_lshl_add_u64 v[0:1], s[12:13], 4, v[0:1]
	s_add_i32 s4, s5, s5
	v_add_u32_e32 v6, s4, v240
	v_accvgpr_write_b32 a3, v1
	v_ashrrev_i32_e32 v7, 31, v6
	v_accvgpr_write_b32 a2, v0
	s_movk_i32 s4, 0x50
	s_movk_i32 s12, 0x60
	;; [unrolled: 1-line block ×44, first 2 shown]
	s_add_i32 s64, s4, 16
	s_add_i32 s63, s12, 16
	;; [unrolled: 1-line block ×25, first 2 shown]
	s_waitcnt vmcnt(0) lgkmcnt(0)
	scratch_store_dwordx4 off, v[2:5], off offset:16
	flat_load_dwordx4 v[2:5], v[0:1]
	v_lshl_add_u64 v[0:1], v[6:7], 4, s[0:1]
	v_add_u32_e32 v6, s5, v6
	v_accvgpr_write_b32 a5, v1
	v_ashrrev_i32_e32 v7, 31, v6
	v_accvgpr_write_b32 a4, v0
	s_add_i32 s36, s69, 16
	s_add_i32 s35, s70, 16
	;; [unrolled: 1-line block ×20, first 2 shown]
	s_mov_b32 s68, 32
	s_mov_b32 s67, 48
	;; [unrolled: 1-line block ×3, first 2 shown]
	s_movk_i32 s65, 0x50
	s_waitcnt vmcnt(0) lgkmcnt(0)
	scratch_store_dwordx4 off, v[2:5], off offset:32
	flat_load_dwordx4 v[2:5], v[0:1]
	v_lshl_add_u64 v[0:1], v[6:7], 4, s[0:1]
	v_add_u32_e32 v6, s5, v6
	v_accvgpr_write_b32 a7, v1
	v_ashrrev_i32_e32 v7, 31, v6
	v_accvgpr_write_b32 a6, v0
	s_waitcnt vmcnt(0) lgkmcnt(0)
	scratch_store_dwordx4 off, v[2:5], off offset:48
	flat_load_dwordx4 v[2:5], v[0:1]
	v_lshl_add_u64 v[0:1], v[6:7], 4, s[0:1]
	v_add_u32_e32 v6, s5, v6
	v_accvgpr_write_b32 a9, v1
	v_ashrrev_i32_e32 v7, 31, v6
	v_accvgpr_write_b32 a8, v0
	;; [unrolled: 8-line block ×49, first 2 shown]
	s_movk_i32 s5, 0x1d0
	s_add_i32 s40, s5, 16
	s_mov_b64 s[4:5], -1
	s_waitcnt vmcnt(0) lgkmcnt(0)
	scratch_store_dwordx4 off, v[2:5], off offset:816
	flat_load_dwordx4 v[2:5], v[0:1]
	v_lshl_add_u64 v[0:1], v[6:7], 4, s[0:1]
	s_movk_i32 s0, 0x1b0
	s_movk_i32 s1, 0x1c0
	v_accvgpr_write_b32 a105, v1
	s_add_i32 s42, s0, 16
	s_add_i32 s41, s1, 16
	v_accvgpr_write_b32 a104, v0
	s_bitcmp0_b32 s14, 0
	s_waitcnt vmcnt(0) lgkmcnt(0)
	scratch_store_dwordx4 off, v[2:5], off offset:832
	flat_load_dwordx4 v[2:5], v[0:1]
	s_waitcnt vmcnt(0) lgkmcnt(0)
	scratch_store_dwordx4 off, v[2:5], off offset:848
	s_cbranch_scc1 .LBB116_224
; %bb.4:
	v_cmp_eq_u32_e64 s[0:1], 0, v240
	s_and_saveexec_b64 s[4:5], s[0:1]
; %bb.5:
	v_mov_b32_e32 v0, 0
	ds_write_b32 v0, v0 offset:1696
; %bb.6:
	s_or_b64 exec, exec, s[4:5]
	s_waitcnt lgkmcnt(0)
	; wave barrier
	scratch_load_dwordx4 v[2:5], v14, off offset:16
	s_waitcnt vmcnt(0)
	v_cmp_eq_f64_e32 vcc, 0, v[2:3]
	v_cmp_eq_f64_e64 s[4:5], 0, v[4:5]
	s_and_b64 s[4:5], vcc, s[4:5]
	s_and_saveexec_b64 s[12:13], s[4:5]
	s_cbranch_execz .LBB116_10
; %bb.7:
	v_mov_b32_e32 v1, 0
	ds_read_b32 v0, v1 offset:1696
	v_add_u32_e32 v2, 1, v240
	s_waitcnt lgkmcnt(0)
	v_readfirstlane_b32 s4, v0
	s_cmp_eq_u32 s4, 0
	s_cselect_b64 s[14:15], -1, 0
	v_cmp_gt_i32_e32 vcc, s4, v2
	s_or_b64 s[14:15], s[14:15], vcc
	s_and_b64 exec, exec, s[14:15]
	s_cbranch_execz .LBB116_10
; %bb.8:
	s_mov_b64 s[14:15], 0
	v_mov_b32_e32 v3, s4
.LBB116_9:                              ; =>This Inner Loop Header: Depth=1
	ds_cmpst_rtn_b32 v3, v1, v3, v2 offset:1696
	s_waitcnt lgkmcnt(0)
	v_cmp_ne_u32_e32 vcc, 0, v3
	v_cmp_le_i32_e64 s[4:5], v3, v2
	s_and_b64 s[4:5], vcc, s[4:5]
	s_and_b64 s[4:5], exec, s[4:5]
	s_or_b64 s[14:15], s[4:5], s[14:15]
	s_andn2_b64 exec, exec, s[14:15]
	s_cbranch_execnz .LBB116_9
.LBB116_10:
	s_or_b64 exec, exec, s[12:13]
	v_mov_b32_e32 v2, 0
	; wave barrier
	ds_read_b32 v1, v2 offset:1696
	s_and_saveexec_b64 s[4:5], s[0:1]
	s_cbranch_execz .LBB116_12
; %bb.11:
	s_lshl_b64 s[12:13], s[2:3], 2
	s_add_u32 s12, s6, s12
	s_addc_u32 s13, s7, s13
	s_waitcnt lgkmcnt(0)
	global_store_dword v2, v1, s[12:13]
.LBB116_12:
	s_or_b64 exec, exec, s[4:5]
	s_waitcnt lgkmcnt(0)
	v_cmp_ne_u32_e32 vcc, 0, v1
	s_mov_b64 s[4:5], 0
	s_cbranch_vccnz .LBB116_224
; %bb.13:
	v_add_u32_e32 v15, 16, v14
	scratch_load_dwordx4 v[2:5], v15, off
                                        ; implicit-def: $vgpr6_vgpr7
                                        ; implicit-def: $vgpr10_vgpr11
	s_waitcnt vmcnt(0)
	v_cmp_ngt_f64_e64 s[4:5], |v[2:3]|, |v[4:5]|
	s_and_saveexec_b64 s[12:13], s[4:5]
	s_xor_b64 s[4:5], exec, s[12:13]
	s_cbranch_execz .LBB116_15
; %bb.14:
	v_div_scale_f64 v[6:7], s[12:13], v[4:5], v[4:5], v[2:3]
	v_rcp_f64_e32 v[8:9], v[6:7]
	v_div_scale_f64 v[10:11], vcc, v[2:3], v[4:5], v[2:3]
	v_fma_f64 v[12:13], -v[6:7], v[8:9], 1.0
	v_fmac_f64_e32 v[8:9], v[8:9], v[12:13]
	v_fma_f64 v[12:13], -v[6:7], v[8:9], 1.0
	v_fmac_f64_e32 v[8:9], v[8:9], v[12:13]
	v_mul_f64 v[12:13], v[10:11], v[8:9]
	v_fma_f64 v[6:7], -v[6:7], v[12:13], v[10:11]
	v_div_fmas_f64 v[6:7], v[6:7], v[8:9], v[12:13]
	v_div_fixup_f64 v[6:7], v[6:7], v[4:5], v[2:3]
	v_fmac_f64_e32 v[4:5], v[2:3], v[6:7]
	v_div_scale_f64 v[2:3], s[12:13], v[4:5], v[4:5], 1.0
	v_rcp_f64_e32 v[8:9], v[2:3]
	s_nop 0
	v_fma_f64 v[10:11], -v[2:3], v[8:9], 1.0
	v_fmac_f64_e32 v[8:9], v[8:9], v[10:11]
	v_fma_f64 v[10:11], -v[2:3], v[8:9], 1.0
	v_fmac_f64_e32 v[8:9], v[8:9], v[10:11]
	v_div_scale_f64 v[10:11], vcc, 1.0, v[4:5], 1.0
	v_mul_f64 v[12:13], v[10:11], v[8:9]
	v_fma_f64 v[2:3], -v[2:3], v[12:13], v[10:11]
	s_nop 1
	v_div_fmas_f64 v[2:3], v[2:3], v[8:9], v[12:13]
	v_div_fixup_f64 v[8:9], v[2:3], v[4:5], 1.0
	v_mul_f64 v[6:7], v[6:7], v[8:9]
	v_xor_b32_e32 v9, 0x80000000, v9
	v_xor_b32_e32 v11, 0x80000000, v7
	v_mov_b32_e32 v10, v6
                                        ; implicit-def: $vgpr2_vgpr3
.LBB116_15:
	s_andn2_saveexec_b64 s[4:5], s[4:5]
	s_cbranch_execz .LBB116_17
; %bb.16:
	v_div_scale_f64 v[6:7], s[12:13], v[2:3], v[2:3], v[4:5]
	v_rcp_f64_e32 v[8:9], v[6:7]
	v_div_scale_f64 v[10:11], vcc, v[4:5], v[2:3], v[4:5]
	v_fma_f64 v[12:13], -v[6:7], v[8:9], 1.0
	v_fmac_f64_e32 v[8:9], v[8:9], v[12:13]
	v_fma_f64 v[12:13], -v[6:7], v[8:9], 1.0
	v_fmac_f64_e32 v[8:9], v[8:9], v[12:13]
	v_mul_f64 v[12:13], v[10:11], v[8:9]
	v_fma_f64 v[6:7], -v[6:7], v[12:13], v[10:11]
	v_div_fmas_f64 v[6:7], v[6:7], v[8:9], v[12:13]
	v_div_fixup_f64 v[8:9], v[6:7], v[2:3], v[4:5]
	v_fmac_f64_e32 v[2:3], v[4:5], v[8:9]
	v_div_scale_f64 v[4:5], s[12:13], v[2:3], v[2:3], 1.0
	v_rcp_f64_e32 v[6:7], v[4:5]
	s_nop 0
	v_fma_f64 v[10:11], -v[4:5], v[6:7], 1.0
	v_fmac_f64_e32 v[6:7], v[6:7], v[10:11]
	v_fma_f64 v[10:11], -v[4:5], v[6:7], 1.0
	v_fmac_f64_e32 v[6:7], v[6:7], v[10:11]
	v_div_scale_f64 v[10:11], vcc, 1.0, v[2:3], 1.0
	v_mul_f64 v[12:13], v[10:11], v[6:7]
	v_fma_f64 v[4:5], -v[4:5], v[12:13], v[10:11]
	s_nop 1
	v_div_fmas_f64 v[4:5], v[4:5], v[6:7], v[12:13]
	v_div_fixup_f64 v[6:7], v[4:5], v[2:3], 1.0
	v_xor_b32_e32 v11, 0x80000000, v7
	v_mov_b32_e32 v10, v6
	v_mul_f64 v[8:9], v[8:9], -v[6:7]
.LBB116_17:
	s_or_b64 exec, exec, s[4:5]
	scratch_store_dwordx4 v15, v[6:9], off
	scratch_load_dwordx4 v[2:5], off, s68
	v_xor_b32_e32 v13, 0x80000000, v9
	v_mov_b32_e32 v12, v8
	v_add_u32_e32 v1, 0x350, v14
	ds_write_b128 v14, v[10:13]
	s_waitcnt vmcnt(0)
	ds_write_b128 v14, v[2:5] offset:848
	s_waitcnt lgkmcnt(0)
	; wave barrier
	s_and_saveexec_b64 s[4:5], s[0:1]
	s_cbranch_execz .LBB116_19
; %bb.18:
	scratch_load_dwordx4 v[2:5], v15, off
	ds_read_b128 v[6:9], v1
	v_mov_b32_e32 v0, 0
	ds_read_b128 v[10:13], v0 offset:16
	s_waitcnt vmcnt(0) lgkmcnt(1)
	v_mul_f64 v[16:17], v[8:9], v[4:5]
	v_mul_f64 v[4:5], v[6:7], v[4:5]
	v_fma_f64 v[6:7], v[6:7], v[2:3], -v[16:17]
	v_fmac_f64_e32 v[4:5], v[8:9], v[2:3]
	v_add_f64 v[2:3], v[6:7], 0
	v_add_f64 v[6:7], v[4:5], 0
	s_waitcnt lgkmcnt(0)
	v_mul_f64 v[8:9], v[6:7], v[12:13]
	v_mul_f64 v[4:5], v[2:3], v[12:13]
	v_fma_f64 v[2:3], v[2:3], v[10:11], -v[8:9]
	v_fmac_f64_e32 v[4:5], v[6:7], v[10:11]
	scratch_store_dwordx4 off, v[2:5], off offset:32
.LBB116_19:
	s_or_b64 exec, exec, s[4:5]
	; wave barrier
	scratch_load_dwordx4 v[2:5], off, s67
	v_cmp_gt_u32_e32 vcc, 2, v240
	s_waitcnt vmcnt(0)
	ds_write_b128 v1, v[2:5]
	s_waitcnt lgkmcnt(0)
	; wave barrier
	s_and_saveexec_b64 s[4:5], vcc
	s_cbranch_execz .LBB116_23
; %bb.20:
	scratch_load_dwordx4 v[2:5], v15, off
	ds_read_b128 v[6:9], v1
	s_waitcnt vmcnt(0) lgkmcnt(0)
	v_mul_f64 v[10:11], v[8:9], v[4:5]
	v_mul_f64 v[12:13], v[6:7], v[4:5]
	v_fma_f64 v[4:5], v[6:7], v[2:3], -v[10:11]
	v_fmac_f64_e32 v[12:13], v[8:9], v[2:3]
	v_add_f64 v[4:5], v[4:5], 0
	v_add_f64 v[2:3], v[12:13], 0
	s_and_saveexec_b64 s[12:13], s[0:1]
	s_cbranch_execz .LBB116_22
; %bb.21:
	scratch_load_dwordx4 v[6:9], off, off offset:32
	v_mov_b32_e32 v0, 0
	ds_read_b128 v[10:13], v0 offset:864
	s_waitcnt vmcnt(0) lgkmcnt(0)
	v_mul_f64 v[16:17], v[10:11], v[8:9]
	v_mul_f64 v[8:9], v[12:13], v[8:9]
	v_fmac_f64_e32 v[16:17], v[12:13], v[6:7]
	v_fma_f64 v[6:7], v[10:11], v[6:7], -v[8:9]
	v_add_f64 v[2:3], v[2:3], v[16:17]
	v_add_f64 v[4:5], v[4:5], v[6:7]
.LBB116_22:
	s_or_b64 exec, exec, s[12:13]
	v_mov_b32_e32 v0, 0
	ds_read_b128 v[6:9], v0 offset:32
	s_waitcnt lgkmcnt(0)
	v_mul_f64 v[12:13], v[2:3], v[8:9]
	v_mul_f64 v[10:11], v[4:5], v[8:9]
	v_fma_f64 v[8:9], v[4:5], v[6:7], -v[12:13]
	v_fmac_f64_e32 v[10:11], v[2:3], v[6:7]
	scratch_store_dwordx4 off, v[8:11], off offset:48
.LBB116_23:
	s_or_b64 exec, exec, s[4:5]
	; wave barrier
	scratch_load_dwordx4 v[2:5], off, s66
	v_cmp_gt_u32_e32 vcc, 3, v240
	v_add_u32_e32 v6, -1, v240
	s_waitcnt vmcnt(0)
	ds_write_b128 v1, v[2:5]
	s_waitcnt lgkmcnt(0)
	; wave barrier
	s_and_saveexec_b64 s[0:1], vcc
	s_cbranch_execz .LBB116_27
; %bb.24:
	v_add_u32_e32 v7, -1, v240
	v_add_u32_e32 v8, 0x350, v14
	v_add_u32_e32 v9, 16, v14
	v_mov_b64_e32 v[2:3], 0
	s_mov_b64 s[4:5], 0
	v_mov_b64_e32 v[4:5], 0
.LBB116_25:                             ; =>This Inner Loop Header: Depth=1
	scratch_load_dwordx4 v[10:13], v9, off
	ds_read_b128 v[16:19], v8
	v_add_u32_e32 v7, 1, v7
	v_cmp_lt_u32_e32 vcc, 1, v7
	v_add_u32_e32 v8, 16, v8
	v_add_u32_e32 v9, 16, v9
	s_or_b64 s[4:5], vcc, s[4:5]
	s_waitcnt vmcnt(0) lgkmcnt(0)
	v_mul_f64 v[20:21], v[18:19], v[12:13]
	v_mul_f64 v[12:13], v[16:17], v[12:13]
	v_fma_f64 v[16:17], v[16:17], v[10:11], -v[20:21]
	v_fmac_f64_e32 v[12:13], v[18:19], v[10:11]
	v_add_f64 v[4:5], v[4:5], v[16:17]
	v_add_f64 v[2:3], v[2:3], v[12:13]
	s_andn2_b64 exec, exec, s[4:5]
	s_cbranch_execnz .LBB116_25
; %bb.26:
	s_or_b64 exec, exec, s[4:5]
	v_mov_b32_e32 v0, 0
	ds_read_b128 v[8:11], v0 offset:48
	s_waitcnt lgkmcnt(0)
	v_mul_f64 v[16:17], v[2:3], v[10:11]
	v_mul_f64 v[12:13], v[4:5], v[10:11]
	v_fma_f64 v[10:11], v[4:5], v[8:9], -v[16:17]
	v_fmac_f64_e32 v[12:13], v[2:3], v[8:9]
	scratch_store_dwordx4 off, v[10:13], off offset:64
.LBB116_27:
	s_or_b64 exec, exec, s[0:1]
	; wave barrier
	scratch_load_dwordx4 v[2:5], off, s65
	v_cmp_gt_u32_e32 vcc, 4, v240
	s_waitcnt vmcnt(0)
	ds_write_b128 v1, v[2:5]
	s_waitcnt lgkmcnt(0)
	; wave barrier
	s_and_saveexec_b64 s[0:1], vcc
	s_cbranch_execz .LBB116_31
; %bb.28:
	v_add_u32_e32 v7, -1, v240
	v_add_u32_e32 v8, 0x350, v14
	v_add_u32_e32 v9, 16, v14
	v_mov_b64_e32 v[2:3], 0
	s_mov_b64 s[4:5], 0
	v_mov_b64_e32 v[4:5], 0
.LBB116_29:                             ; =>This Inner Loop Header: Depth=1
	scratch_load_dwordx4 v[10:13], v9, off
	ds_read_b128 v[16:19], v8
	v_add_u32_e32 v7, 1, v7
	v_cmp_lt_u32_e32 vcc, 2, v7
	v_add_u32_e32 v8, 16, v8
	v_add_u32_e32 v9, 16, v9
	s_or_b64 s[4:5], vcc, s[4:5]
	s_waitcnt vmcnt(0) lgkmcnt(0)
	v_mul_f64 v[20:21], v[18:19], v[12:13]
	v_mul_f64 v[12:13], v[16:17], v[12:13]
	v_fma_f64 v[16:17], v[16:17], v[10:11], -v[20:21]
	v_fmac_f64_e32 v[12:13], v[18:19], v[10:11]
	v_add_f64 v[4:5], v[4:5], v[16:17]
	v_add_f64 v[2:3], v[2:3], v[12:13]
	s_andn2_b64 exec, exec, s[4:5]
	s_cbranch_execnz .LBB116_29
; %bb.30:
	s_or_b64 exec, exec, s[4:5]
	v_mov_b32_e32 v0, 0
	ds_read_b128 v[8:11], v0 offset:64
	s_waitcnt lgkmcnt(0)
	v_mul_f64 v[16:17], v[2:3], v[10:11]
	v_mul_f64 v[12:13], v[4:5], v[10:11]
	v_fma_f64 v[10:11], v[4:5], v[8:9], -v[16:17]
	v_fmac_f64_e32 v[12:13], v[2:3], v[8:9]
	scratch_store_dwordx4 off, v[10:13], off offset:80
.LBB116_31:
	s_or_b64 exec, exec, s[0:1]
	; wave barrier
	scratch_load_dwordx4 v[2:5], off, s64
	v_cmp_gt_u32_e32 vcc, 5, v240
	;; [unrolled: 45-line block ×19, first 2 shown]
	s_waitcnt vmcnt(0)
	ds_write_b128 v1, v[2:5]
	s_waitcnt lgkmcnt(0)
	; wave barrier
	s_and_saveexec_b64 s[0:1], vcc
	s_cbranch_execz .LBB116_103
; %bb.100:
	v_add_u32_e32 v7, -1, v240
	v_add_u32_e32 v8, 0x350, v14
	v_add_u32_e32 v9, 16, v14
	v_mov_b64_e32 v[2:3], 0
	s_mov_b64 s[4:5], 0
	v_mov_b64_e32 v[4:5], 0
.LBB116_101:                            ; =>This Inner Loop Header: Depth=1
	scratch_load_dwordx4 v[10:13], v9, off
	ds_read_b128 v[16:19], v8
	v_add_u32_e32 v7, 1, v7
	v_cmp_lt_u32_e32 vcc, 20, v7
	v_add_u32_e32 v8, 16, v8
	v_add_u32_e32 v9, 16, v9
	s_or_b64 s[4:5], vcc, s[4:5]
	s_waitcnt vmcnt(0) lgkmcnt(0)
	v_mul_f64 v[20:21], v[18:19], v[12:13]
	v_mul_f64 v[12:13], v[16:17], v[12:13]
	v_fma_f64 v[16:17], v[16:17], v[10:11], -v[20:21]
	v_fmac_f64_e32 v[12:13], v[18:19], v[10:11]
	v_add_f64 v[4:5], v[4:5], v[16:17]
	v_add_f64 v[2:3], v[2:3], v[12:13]
	s_andn2_b64 exec, exec, s[4:5]
	s_cbranch_execnz .LBB116_101
; %bb.102:
	s_or_b64 exec, exec, s[4:5]
	v_mov_b32_e32 v0, 0
	ds_read_b128 v[8:11], v0 offset:352
	s_waitcnt lgkmcnt(0)
	v_mul_f64 v[16:17], v[2:3], v[10:11]
	v_mul_f64 v[12:13], v[4:5], v[10:11]
	v_fma_f64 v[10:11], v[4:5], v[8:9], -v[16:17]
	v_fmac_f64_e32 v[12:13], v[2:3], v[8:9]
	scratch_store_dwordx4 off, v[10:13], off offset:368
.LBB116_103:
	s_or_b64 exec, exec, s[0:1]
	; wave barrier
	scratch_load_dwordx4 v[2:5], off, s46
	v_cmp_gt_u32_e32 vcc, 23, v240
	s_waitcnt vmcnt(0)
	ds_write_b128 v1, v[2:5]
	s_waitcnt lgkmcnt(0)
	; wave barrier
	s_and_saveexec_b64 s[0:1], vcc
	s_cbranch_execz .LBB116_107
; %bb.104:
	v_add_u32_e32 v7, -1, v240
	v_add_u32_e32 v8, 0x350, v14
	v_add_u32_e32 v9, 16, v14
	v_mov_b64_e32 v[2:3], 0
	s_mov_b64 s[4:5], 0
	v_mov_b64_e32 v[4:5], 0
.LBB116_105:                            ; =>This Inner Loop Header: Depth=1
	scratch_load_dwordx4 v[10:13], v9, off
	ds_read_b128 v[16:19], v8
	v_add_u32_e32 v7, 1, v7
	v_cmp_lt_u32_e32 vcc, 21, v7
	v_add_u32_e32 v8, 16, v8
	v_add_u32_e32 v9, 16, v9
	s_or_b64 s[4:5], vcc, s[4:5]
	s_waitcnt vmcnt(0) lgkmcnt(0)
	v_mul_f64 v[20:21], v[18:19], v[12:13]
	v_mul_f64 v[12:13], v[16:17], v[12:13]
	v_fma_f64 v[16:17], v[16:17], v[10:11], -v[20:21]
	v_fmac_f64_e32 v[12:13], v[18:19], v[10:11]
	v_add_f64 v[4:5], v[4:5], v[16:17]
	v_add_f64 v[2:3], v[2:3], v[12:13]
	s_andn2_b64 exec, exec, s[4:5]
	s_cbranch_execnz .LBB116_105
; %bb.106:
	s_or_b64 exec, exec, s[4:5]
	v_mov_b32_e32 v0, 0
	ds_read_b128 v[8:11], v0 offset:368
	s_waitcnt lgkmcnt(0)
	v_mul_f64 v[16:17], v[2:3], v[10:11]
	v_mul_f64 v[12:13], v[4:5], v[10:11]
	v_fma_f64 v[10:11], v[4:5], v[8:9], -v[16:17]
	v_fmac_f64_e32 v[12:13], v[2:3], v[8:9]
	scratch_store_dwordx4 off, v[10:13], off offset:384
.LBB116_107:
	s_or_b64 exec, exec, s[0:1]
	; wave barrier
	scratch_load_dwordx4 v[2:5], off, s45
	v_cmp_gt_u32_e32 vcc, 24, v240
	;; [unrolled: 45-line block ×29, first 2 shown]
	s_waitcnt vmcnt(0)
	ds_write_b128 v1, v[2:5]
	s_waitcnt lgkmcnt(0)
	; wave barrier
	s_and_saveexec_b64 s[0:1], vcc
	s_cbranch_execz .LBB116_219
; %bb.216:
	v_add_u32_e32 v7, -1, v240
	v_add_u32_e32 v8, 0x350, v14
	v_add_u32_e32 v9, 16, v14
	v_mov_b64_e32 v[2:3], 0
	s_mov_b64 s[4:5], 0
	v_mov_b64_e32 v[4:5], 0
.LBB116_217:                            ; =>This Inner Loop Header: Depth=1
	scratch_load_dwordx4 v[10:13], v9, off
	ds_read_b128 v[16:19], v8
	v_add_u32_e32 v7, 1, v7
	v_cmp_lt_u32_e32 vcc, 49, v7
	v_add_u32_e32 v8, 16, v8
	v_add_u32_e32 v9, 16, v9
	s_or_b64 s[4:5], vcc, s[4:5]
	s_waitcnt vmcnt(0) lgkmcnt(0)
	v_mul_f64 v[20:21], v[18:19], v[12:13]
	v_mul_f64 v[12:13], v[16:17], v[12:13]
	v_fma_f64 v[16:17], v[16:17], v[10:11], -v[20:21]
	v_fmac_f64_e32 v[12:13], v[18:19], v[10:11]
	v_add_f64 v[4:5], v[4:5], v[16:17]
	v_add_f64 v[2:3], v[2:3], v[12:13]
	s_andn2_b64 exec, exec, s[4:5]
	s_cbranch_execnz .LBB116_217
; %bb.218:
	s_or_b64 exec, exec, s[4:5]
	v_mov_b32_e32 v0, 0
	ds_read_b128 v[8:11], v0 offset:816
	s_waitcnt lgkmcnt(0)
	v_mul_f64 v[16:17], v[2:3], v[10:11]
	v_mul_f64 v[12:13], v[4:5], v[10:11]
	v_fma_f64 v[10:11], v[4:5], v[8:9], -v[16:17]
	v_fmac_f64_e32 v[12:13], v[2:3], v[8:9]
	scratch_store_dwordx4 off, v[10:13], off offset:832
.LBB116_219:
	s_or_b64 exec, exec, s[0:1]
	; wave barrier
	scratch_load_dwordx4 v[2:5], off, s16
	v_cmp_ne_u32_e32 vcc, 52, v240
	s_waitcnt vmcnt(0)
	ds_write_b128 v1, v[2:5]
	s_waitcnt lgkmcnt(0)
	; wave barrier
	s_and_saveexec_b64 s[0:1], vcc
	s_cbranch_execz .LBB116_223
; %bb.220:
	v_add_u32_e32 v1, 0x350, v14
	v_add_u32_e32 v7, 16, v14
	v_mov_b64_e32 v[2:3], 0
	s_mov_b64 s[4:5], 0
	v_mov_b64_e32 v[4:5], 0
.LBB116_221:                            ; =>This Inner Loop Header: Depth=1
	scratch_load_dwordx4 v[8:11], v7, off
	ds_read_b128 v[12:15], v1
	v_add_u32_e32 v6, 1, v6
	v_cmp_lt_u32_e32 vcc, 50, v6
	v_add_u32_e32 v1, 16, v1
	v_add_u32_e32 v7, 16, v7
	s_or_b64 s[4:5], vcc, s[4:5]
	s_waitcnt vmcnt(0) lgkmcnt(0)
	v_mul_f64 v[16:17], v[14:15], v[10:11]
	v_mul_f64 v[10:11], v[12:13], v[10:11]
	v_fma_f64 v[12:13], v[12:13], v[8:9], -v[16:17]
	v_fmac_f64_e32 v[10:11], v[14:15], v[8:9]
	v_add_f64 v[4:5], v[4:5], v[12:13]
	v_add_f64 v[2:3], v[2:3], v[10:11]
	s_andn2_b64 exec, exec, s[4:5]
	s_cbranch_execnz .LBB116_221
; %bb.222:
	s_or_b64 exec, exec, s[4:5]
	v_mov_b32_e32 v0, 0
	ds_read_b128 v[6:9], v0 offset:832
	s_waitcnt lgkmcnt(0)
	v_mul_f64 v[12:13], v[2:3], v[8:9]
	v_mul_f64 v[10:11], v[4:5], v[8:9]
	v_fma_f64 v[8:9], v[4:5], v[6:7], -v[12:13]
	v_fmac_f64_e32 v[10:11], v[2:3], v[6:7]
	scratch_store_dwordx4 off, v[8:11], off offset:848
.LBB116_223:
	s_or_b64 exec, exec, s[0:1]
	s_mov_b64 s[4:5], -1
	; wave barrier
.LBB116_224:
	s_and_b64 vcc, exec, s[4:5]
	s_cbranch_vccz .LBB116_226
; %bb.225:
	s_lshl_b64 s[0:1], s[2:3], 2
	s_add_u32 s0, s6, s0
	s_addc_u32 s1, s7, s1
	v_mov_b32_e32 v0, 0
	global_load_dword v0, v0, s[0:1]
	s_waitcnt vmcnt(0)
	v_cmp_ne_u32_e32 vcc, 0, v0
	s_cbranch_vccz .LBB116_227
.LBB116_226:
	s_endpgm
.LBB116_227:
	v_mov_b32_e32 v0, 0x350
	v_lshl_add_u32 v0, v240, 4, v0
	v_accvgpr_write_b32 a107, v0
	v_cmp_eq_u32_e32 vcc, 52, v240
	s_and_saveexec_b64 s[0:1], vcc
	s_cbranch_execz .LBB116_229
; %bb.228:
	scratch_load_dwordx4 v[2:5], off, s17
	v_mov_b32_e32 v6, 0
	v_mov_b32_e32 v7, v6
	;; [unrolled: 1-line block ×4, first 2 shown]
	v_accvgpr_read_b32 v0, a107
	scratch_store_dwordx4 off, v[6:9], off offset:832
	s_waitcnt vmcnt(1)
	ds_write_b128 v0, v[2:5]
.LBB116_229:
	s_or_b64 exec, exec, s[0:1]
	s_waitcnt lgkmcnt(0)
	; wave barrier
	scratch_load_dwordx4 v[4:7], off, off offset:848
	scratch_load_dwordx4 v[8:11], off, off offset:832
	v_mov_b32_e32 v2, 0
	ds_read_b128 v[12:15], v2 offset:1680
	v_cmp_lt_u32_e32 vcc, 50, v240
	s_waitcnt vmcnt(1) lgkmcnt(0)
	v_mul_f64 v[16:17], v[12:13], v[6:7]
	v_mul_f64 v[6:7], v[14:15], v[6:7]
	v_fmac_f64_e32 v[16:17], v[14:15], v[4:5]
	v_fma_f64 v[4:5], v[12:13], v[4:5], -v[6:7]
	v_add_f64 v[6:7], v[16:17], 0
	v_add_f64 v[4:5], v[4:5], 0
	s_waitcnt vmcnt(0)
	v_add_f64 v[4:5], v[8:9], -v[4:5]
	v_add_f64 v[6:7], v[10:11], -v[6:7]
	scratch_store_dwordx4 off, v[4:7], off offset:832
	s_and_saveexec_b64 s[0:1], vcc
	s_cbranch_execz .LBB116_231
; %bb.230:
	scratch_load_dwordx4 v[6:9], off, s18
	v_mov_b32_e32 v3, v2
	v_mov_b32_e32 v4, v2
	;; [unrolled: 1-line block ×3, first 2 shown]
	v_accvgpr_read_b32 v0, a107
	scratch_store_dwordx4 off, v[2:5], off offset:816
	s_waitcnt vmcnt(1)
	ds_write_b128 v0, v[6:9]
.LBB116_231:
	s_or_b64 exec, exec, s[0:1]
	s_waitcnt lgkmcnt(0)
	; wave barrier
	scratch_load_dwordx4 v[4:7], off, off offset:832
	scratch_load_dwordx4 v[8:11], off, off offset:848
	;; [unrolled: 1-line block ×3, first 2 shown]
	ds_read_b128 v[16:19], v2 offset:1664
	ds_read_b128 v[20:23], v2 offset:1680
	v_cmp_lt_u32_e32 vcc, 49, v240
	s_waitcnt vmcnt(2) lgkmcnt(1)
	v_mul_f64 v[2:3], v[16:17], v[6:7]
	v_mul_f64 v[6:7], v[18:19], v[6:7]
	s_waitcnt vmcnt(1) lgkmcnt(0)
	v_mul_f64 v[24:25], v[20:21], v[10:11]
	v_mul_f64 v[10:11], v[22:23], v[10:11]
	v_fmac_f64_e32 v[2:3], v[18:19], v[4:5]
	v_fma_f64 v[4:5], v[16:17], v[4:5], -v[6:7]
	v_fmac_f64_e32 v[24:25], v[22:23], v[8:9]
	v_fma_f64 v[6:7], v[20:21], v[8:9], -v[10:11]
	v_add_f64 v[2:3], v[2:3], 0
	v_add_f64 v[4:5], v[4:5], 0
	;; [unrolled: 1-line block ×4, first 2 shown]
	s_waitcnt vmcnt(0)
	v_add_f64 v[2:3], v[12:13], -v[2:3]
	v_add_f64 v[4:5], v[14:15], -v[8:9]
	scratch_store_dwordx4 off, v[2:5], off offset:816
	s_and_saveexec_b64 s[0:1], vcc
	s_cbranch_execz .LBB116_233
; %bb.232:
	scratch_load_dwordx4 v[2:5], off, s19
	v_mov_b32_e32 v6, 0
	v_mov_b32_e32 v7, v6
	;; [unrolled: 1-line block ×4, first 2 shown]
	v_accvgpr_read_b32 v0, a107
	scratch_store_dwordx4 off, v[6:9], off offset:800
	s_waitcnt vmcnt(1)
	ds_write_b128 v0, v[2:5]
.LBB116_233:
	s_or_b64 exec, exec, s[0:1]
	s_waitcnt lgkmcnt(0)
	; wave barrier
	scratch_load_dwordx4 v[4:7], off, off offset:816
	scratch_load_dwordx4 v[8:11], off, off offset:832
	scratch_load_dwordx4 v[12:15], off, off offset:848
	scratch_load_dwordx4 v[16:19], off, off offset:800
	v_mov_b32_e32 v2, 0
	ds_read_b128 v[20:23], v2 offset:1648
	ds_read_b128 v[24:27], v2 offset:1664
	;; [unrolled: 1-line block ×3, first 2 shown]
	v_cmp_lt_u32_e32 vcc, 48, v240
	s_waitcnt vmcnt(3) lgkmcnt(2)
	v_mul_f64 v[32:33], v[20:21], v[6:7]
	v_mul_f64 v[6:7], v[22:23], v[6:7]
	s_waitcnt vmcnt(2) lgkmcnt(1)
	v_mul_f64 v[34:35], v[24:25], v[10:11]
	v_mul_f64 v[10:11], v[26:27], v[10:11]
	v_fmac_f64_e32 v[32:33], v[22:23], v[4:5]
	v_fma_f64 v[4:5], v[20:21], v[4:5], -v[6:7]
	s_waitcnt vmcnt(1) lgkmcnt(0)
	v_mul_f64 v[36:37], v[28:29], v[14:15]
	v_mul_f64 v[14:15], v[30:31], v[14:15]
	v_fmac_f64_e32 v[34:35], v[26:27], v[8:9]
	v_fma_f64 v[6:7], v[24:25], v[8:9], -v[10:11]
	v_add_f64 v[10:11], v[32:33], 0
	v_add_f64 v[4:5], v[4:5], 0
	v_fmac_f64_e32 v[36:37], v[30:31], v[12:13]
	v_fma_f64 v[8:9], v[28:29], v[12:13], -v[14:15]
	v_add_f64 v[10:11], v[10:11], v[34:35]
	v_add_f64 v[4:5], v[4:5], v[6:7]
	;; [unrolled: 1-line block ×4, first 2 shown]
	s_waitcnt vmcnt(0)
	v_add_f64 v[4:5], v[16:17], -v[4:5]
	v_add_f64 v[6:7], v[18:19], -v[6:7]
	scratch_store_dwordx4 off, v[4:7], off offset:800
	s_and_saveexec_b64 s[0:1], vcc
	s_cbranch_execz .LBB116_235
; %bb.234:
	scratch_load_dwordx4 v[6:9], off, s20
	v_mov_b32_e32 v3, v2
	v_mov_b32_e32 v4, v2
	v_mov_b32_e32 v5, v2
	v_accvgpr_read_b32 v0, a107
	scratch_store_dwordx4 off, v[2:5], off offset:784
	s_waitcnt vmcnt(1)
	ds_write_b128 v0, v[6:9]
.LBB116_235:
	s_or_b64 exec, exec, s[0:1]
	s_waitcnt lgkmcnt(0)
	; wave barrier
	scratch_load_dwordx4 v[4:7], off, off offset:800
	scratch_load_dwordx4 v[8:11], off, off offset:816
	;; [unrolled: 1-line block ×5, first 2 shown]
	ds_read_b128 v[24:27], v2 offset:1632
	ds_read_b128 v[28:31], v2 offset:1648
	;; [unrolled: 1-line block ×4, first 2 shown]
	v_cmp_lt_u32_e32 vcc, 47, v240
	s_waitcnt vmcnt(4) lgkmcnt(3)
	v_mul_f64 v[2:3], v[24:25], v[6:7]
	v_mul_f64 v[6:7], v[26:27], v[6:7]
	s_waitcnt vmcnt(3) lgkmcnt(2)
	v_mul_f64 v[40:41], v[28:29], v[10:11]
	v_mul_f64 v[10:11], v[30:31], v[10:11]
	v_fmac_f64_e32 v[2:3], v[26:27], v[4:5]
	v_fma_f64 v[4:5], v[24:25], v[4:5], -v[6:7]
	s_waitcnt vmcnt(2) lgkmcnt(1)
	v_mul_f64 v[42:43], v[32:33], v[14:15]
	v_mul_f64 v[14:15], v[34:35], v[14:15]
	v_fmac_f64_e32 v[40:41], v[30:31], v[8:9]
	v_fma_f64 v[6:7], v[28:29], v[8:9], -v[10:11]
	v_add_f64 v[2:3], v[2:3], 0
	v_add_f64 v[4:5], v[4:5], 0
	s_waitcnt vmcnt(1) lgkmcnt(0)
	v_mul_f64 v[44:45], v[36:37], v[18:19]
	v_mul_f64 v[18:19], v[38:39], v[18:19]
	v_fmac_f64_e32 v[42:43], v[34:35], v[12:13]
	v_fma_f64 v[8:9], v[32:33], v[12:13], -v[14:15]
	v_add_f64 v[2:3], v[2:3], v[40:41]
	v_add_f64 v[4:5], v[4:5], v[6:7]
	v_fmac_f64_e32 v[44:45], v[38:39], v[16:17]
	v_fma_f64 v[10:11], v[36:37], v[16:17], -v[18:19]
	v_add_f64 v[2:3], v[2:3], v[42:43]
	v_add_f64 v[4:5], v[4:5], v[8:9]
	;; [unrolled: 1-line block ×4, first 2 shown]
	s_waitcnt vmcnt(0)
	v_add_f64 v[2:3], v[20:21], -v[2:3]
	v_add_f64 v[4:5], v[22:23], -v[6:7]
	scratch_store_dwordx4 off, v[2:5], off offset:784
	s_and_saveexec_b64 s[0:1], vcc
	s_cbranch_execz .LBB116_237
; %bb.236:
	scratch_load_dwordx4 v[2:5], off, s21
	v_mov_b32_e32 v6, 0
	v_mov_b32_e32 v7, v6
	v_mov_b32_e32 v8, v6
	v_mov_b32_e32 v9, v6
	v_accvgpr_read_b32 v0, a107
	scratch_store_dwordx4 off, v[6:9], off offset:768
	s_waitcnt vmcnt(1)
	ds_write_b128 v0, v[2:5]
.LBB116_237:
	s_or_b64 exec, exec, s[0:1]
	s_waitcnt lgkmcnt(0)
	; wave barrier
	scratch_load_dwordx4 v[4:7], off, off offset:784
	scratch_load_dwordx4 v[8:11], off, off offset:800
	;; [unrolled: 1-line block ×6, first 2 shown]
	v_mov_b32_e32 v2, 0
	ds_read_b128 v[28:31], v2 offset:1616
	ds_read_b128 v[32:35], v2 offset:1632
	;; [unrolled: 1-line block ×5, first 2 shown]
	v_cmp_lt_u32_e32 vcc, 46, v240
	s_waitcnt vmcnt(5) lgkmcnt(4)
	v_mul_f64 v[48:49], v[28:29], v[6:7]
	v_mul_f64 v[6:7], v[30:31], v[6:7]
	s_waitcnt vmcnt(4) lgkmcnt(3)
	v_mul_f64 v[50:51], v[32:33], v[10:11]
	s_waitcnt vmcnt(3) lgkmcnt(2)
	v_mul_f64 v[52:53], v[36:37], v[14:15]
	v_mul_f64 v[10:11], v[34:35], v[10:11]
	;; [unrolled: 1-line block ×3, first 2 shown]
	v_fmac_f64_e32 v[48:49], v[30:31], v[4:5]
	v_fma_f64 v[4:5], v[28:29], v[4:5], -v[6:7]
	v_fmac_f64_e32 v[50:51], v[34:35], v[8:9]
	v_fma_f64 v[6:7], v[32:33], v[8:9], -v[10:11]
	v_fma_f64 v[8:9], v[36:37], v[12:13], -v[14:15]
	v_add_f64 v[14:15], v[48:49], 0
	v_add_f64 v[4:5], v[4:5], 0
	s_waitcnt vmcnt(2) lgkmcnt(1)
	v_mul_f64 v[54:55], v[40:41], v[18:19]
	v_mul_f64 v[18:19], v[42:43], v[18:19]
	v_fmac_f64_e32 v[52:53], v[38:39], v[12:13]
	v_add_f64 v[14:15], v[14:15], v[50:51]
	v_add_f64 v[4:5], v[4:5], v[6:7]
	s_waitcnt vmcnt(1) lgkmcnt(0)
	v_mul_f64 v[56:57], v[44:45], v[22:23]
	v_mul_f64 v[22:23], v[46:47], v[22:23]
	v_fmac_f64_e32 v[54:55], v[42:43], v[16:17]
	v_fma_f64 v[10:11], v[40:41], v[16:17], -v[18:19]
	v_add_f64 v[6:7], v[14:15], v[52:53]
	v_add_f64 v[4:5], v[4:5], v[8:9]
	v_fmac_f64_e32 v[56:57], v[46:47], v[20:21]
	v_fma_f64 v[12:13], v[44:45], v[20:21], -v[22:23]
	v_add_f64 v[6:7], v[6:7], v[54:55]
	v_add_f64 v[4:5], v[4:5], v[10:11]
	;; [unrolled: 1-line block ×4, first 2 shown]
	s_waitcnt vmcnt(0)
	v_add_f64 v[4:5], v[24:25], -v[4:5]
	v_add_f64 v[6:7], v[26:27], -v[6:7]
	scratch_store_dwordx4 off, v[4:7], off offset:768
	s_and_saveexec_b64 s[0:1], vcc
	s_cbranch_execz .LBB116_239
; %bb.238:
	scratch_load_dwordx4 v[6:9], off, s22
	v_mov_b32_e32 v3, v2
	v_mov_b32_e32 v4, v2
	;; [unrolled: 1-line block ×3, first 2 shown]
	v_accvgpr_read_b32 v0, a107
	scratch_store_dwordx4 off, v[2:5], off offset:752
	s_waitcnt vmcnt(1)
	ds_write_b128 v0, v[6:9]
.LBB116_239:
	s_or_b64 exec, exec, s[0:1]
	s_waitcnt lgkmcnt(0)
	; wave barrier
	ds_read_b128 v[4:7], v2 offset:1600
	ds_read_b128 v[8:11], v2 offset:1616
	ds_read_b128 v[12:15], v2 offset:1632
	ds_read_b128 v[16:19], v2 offset:1648
	scratch_load_dwordx4 v[20:23], off, off offset:768
	scratch_load_dwordx4 v[40:43], off, off offset:832
	v_cmp_lt_u32_e32 vcc, 45, v240
	scratch_load_dwordx4 v[48:51], off, off offset:848
	s_waitcnt vmcnt(2) lgkmcnt(3)
	v_mul_f64 v[24:25], v[4:5], v[22:23]
	v_fmac_f64_e32 v[24:25], v[6:7], v[20:21]
	v_add_f64 v[28:29], v[24:25], 0
	scratch_load_dwordx4 v[24:27], off, off offset:784
	s_waitcnt vmcnt(0) lgkmcnt(2)
	v_mul_f64 v[30:31], v[8:9], v[26:27]
	v_fmac_f64_e32 v[30:31], v[10:11], v[24:25]
	v_add_f64 v[32:33], v[28:29], v[30:31]
	;; [unrolled: 5-line block ×4, first 2 shown]
	ds_read_b128 v[36:39], v2 offset:1664
	s_waitcnt lgkmcnt(0)
	v_mul_f64 v[46:47], v[36:37], v[42:43]
	v_fmac_f64_e32 v[46:47], v[38:39], v[40:41]
	v_add_f64 v[52:53], v[44:45], v[46:47]
	ds_read_b128 v[44:47], v2 offset:1680
	s_waitcnt lgkmcnt(0)
	v_mul_f64 v[2:3], v[44:45], v[50:51]
	v_fmac_f64_e32 v[2:3], v[46:47], v[48:49]
	v_add_f64 v[52:53], v[52:53], v[2:3]
	v_mul_f64 v[2:3], v[6:7], v[22:23]
	v_fma_f64 v[2:3], v[4:5], v[20:21], -v[2:3]
	v_mul_f64 v[4:5], v[10:11], v[26:27]
	v_add_f64 v[2:3], v[2:3], 0
	v_fma_f64 v[4:5], v[8:9], v[24:25], -v[4:5]
	v_add_f64 v[2:3], v[2:3], v[4:5]
	v_mul_f64 v[4:5], v[14:15], v[30:31]
	v_fma_f64 v[4:5], v[12:13], v[28:29], -v[4:5]
	v_add_f64 v[2:3], v[2:3], v[4:5]
	v_mul_f64 v[4:5], v[18:19], v[34:35]
	;; [unrolled: 3-line block ×4, first 2 shown]
	v_fma_f64 v[4:5], v[44:45], v[48:49], -v[4:5]
	v_add_f64 v[6:7], v[2:3], v[4:5]
	scratch_load_dwordx4 v[2:5], off, off offset:752
	s_waitcnt vmcnt(0)
	v_add_f64 v[2:3], v[2:3], -v[6:7]
	v_add_f64 v[4:5], v[4:5], -v[52:53]
	scratch_store_dwordx4 off, v[2:5], off offset:752
	s_and_saveexec_b64 s[0:1], vcc
	s_cbranch_execz .LBB116_241
; %bb.240:
	scratch_load_dwordx4 v[2:5], off, s23
	v_mov_b32_e32 v6, 0
	v_mov_b32_e32 v7, v6
	;; [unrolled: 1-line block ×4, first 2 shown]
	v_accvgpr_read_b32 v0, a107
	scratch_store_dwordx4 off, v[6:9], off offset:736
	s_waitcnt vmcnt(1)
	ds_write_b128 v0, v[2:5]
.LBB116_241:
	s_or_b64 exec, exec, s[0:1]
	s_waitcnt lgkmcnt(0)
	; wave barrier
	scratch_load_dwordx4 v[4:7], off, off offset:752
	scratch_load_dwordx4 v[8:11], off, off offset:768
	;; [unrolled: 1-line block ×8, first 2 shown]
	v_mov_b32_e32 v2, 0
	ds_read_b128 v[36:39], v2 offset:1584
	ds_read_b128 v[40:43], v2 offset:1600
	;; [unrolled: 1-line block ×7, first 2 shown]
	v_cmp_lt_u32_e32 vcc, 44, v240
	s_waitcnt vmcnt(7) lgkmcnt(6)
	v_mul_f64 v[64:65], v[36:37], v[6:7]
	v_mul_f64 v[6:7], v[38:39], v[6:7]
	s_waitcnt vmcnt(6) lgkmcnt(5)
	v_mul_f64 v[66:67], v[40:41], v[10:11]
	s_waitcnt vmcnt(4) lgkmcnt(3)
	v_mul_f64 v[70:71], v[48:49], v[18:19]
	v_mul_f64 v[10:11], v[42:43], v[10:11]
	;; [unrolled: 1-line block ×3, first 2 shown]
	v_fmac_f64_e32 v[64:65], v[38:39], v[4:5]
	v_fma_f64 v[4:5], v[36:37], v[4:5], -v[6:7]
	v_mul_f64 v[68:69], v[44:45], v[14:15]
	v_mul_f64 v[14:15], v[46:47], v[14:15]
	v_fmac_f64_e32 v[66:67], v[42:43], v[8:9]
	v_fma_f64 v[6:7], v[40:41], v[8:9], -v[10:11]
	v_fma_f64 v[10:11], v[48:49], v[16:17], -v[18:19]
	v_add_f64 v[18:19], v[64:65], 0
	v_add_f64 v[4:5], v[4:5], 0
	v_fmac_f64_e32 v[68:69], v[46:47], v[12:13]
	v_fma_f64 v[8:9], v[44:45], v[12:13], -v[14:15]
	v_add_f64 v[18:19], v[18:19], v[66:67]
	v_add_f64 v[4:5], v[4:5], v[6:7]
	s_waitcnt vmcnt(3) lgkmcnt(2)
	v_mul_f64 v[72:73], v[52:53], v[22:23]
	v_mul_f64 v[22:23], v[54:55], v[22:23]
	v_fmac_f64_e32 v[70:71], v[50:51], v[16:17]
	v_add_f64 v[6:7], v[18:19], v[68:69]
	v_add_f64 v[4:5], v[4:5], v[8:9]
	s_waitcnt vmcnt(2) lgkmcnt(1)
	v_mul_f64 v[74:75], v[56:57], v[26:27]
	v_mul_f64 v[26:27], v[58:59], v[26:27]
	v_fmac_f64_e32 v[72:73], v[54:55], v[20:21]
	v_fma_f64 v[12:13], v[52:53], v[20:21], -v[22:23]
	v_add_f64 v[6:7], v[6:7], v[70:71]
	v_add_f64 v[4:5], v[4:5], v[10:11]
	s_waitcnt vmcnt(1) lgkmcnt(0)
	v_mul_f64 v[76:77], v[60:61], v[30:31]
	v_mul_f64 v[30:31], v[62:63], v[30:31]
	v_fmac_f64_e32 v[74:75], v[58:59], v[24:25]
	v_fma_f64 v[14:15], v[56:57], v[24:25], -v[26:27]
	v_add_f64 v[6:7], v[6:7], v[72:73]
	v_add_f64 v[4:5], v[4:5], v[12:13]
	v_fmac_f64_e32 v[76:77], v[62:63], v[28:29]
	v_fma_f64 v[16:17], v[60:61], v[28:29], -v[30:31]
	v_add_f64 v[6:7], v[6:7], v[74:75]
	v_add_f64 v[4:5], v[4:5], v[14:15]
	;; [unrolled: 1-line block ×4, first 2 shown]
	s_waitcnt vmcnt(0)
	v_add_f64 v[4:5], v[32:33], -v[4:5]
	v_add_f64 v[6:7], v[34:35], -v[6:7]
	scratch_store_dwordx4 off, v[4:7], off offset:736
	s_and_saveexec_b64 s[0:1], vcc
	s_cbranch_execz .LBB116_243
; %bb.242:
	scratch_load_dwordx4 v[6:9], off, s24
	v_mov_b32_e32 v3, v2
	v_mov_b32_e32 v4, v2
	v_mov_b32_e32 v5, v2
	v_accvgpr_read_b32 v0, a107
	scratch_store_dwordx4 off, v[2:5], off offset:720
	s_waitcnt vmcnt(1)
	ds_write_b128 v0, v[6:9]
.LBB116_243:
	s_or_b64 exec, exec, s[0:1]
	s_waitcnt lgkmcnt(0)
	; wave barrier
	scratch_load_dwordx4 v[4:7], off, off offset:736
	scratch_load_dwordx4 v[8:11], off, off offset:752
	;; [unrolled: 1-line block ×9, first 2 shown]
	ds_read_b128 v[40:43], v2 offset:1568
	ds_read_b128 v[44:47], v2 offset:1584
	;; [unrolled: 1-line block ×8, first 2 shown]
	v_cmp_lt_u32_e32 vcc, 43, v240
	s_waitcnt vmcnt(8) lgkmcnt(7)
	v_mul_f64 v[2:3], v[40:41], v[6:7]
	v_mul_f64 v[6:7], v[42:43], v[6:7]
	s_waitcnt vmcnt(7) lgkmcnt(6)
	v_mul_f64 v[72:73], v[44:45], v[10:11]
	v_mul_f64 v[10:11], v[46:47], v[10:11]
	v_fmac_f64_e32 v[2:3], v[42:43], v[4:5]
	v_fma_f64 v[4:5], v[40:41], v[4:5], -v[6:7]
	s_waitcnt vmcnt(6) lgkmcnt(5)
	v_mul_f64 v[74:75], v[48:49], v[14:15]
	v_mul_f64 v[14:15], v[50:51], v[14:15]
	v_fmac_f64_e32 v[72:73], v[46:47], v[8:9]
	v_fma_f64 v[6:7], v[44:45], v[8:9], -v[10:11]
	v_add_f64 v[2:3], v[2:3], 0
	v_add_f64 v[4:5], v[4:5], 0
	s_waitcnt vmcnt(5) lgkmcnt(4)
	v_mul_f64 v[76:77], v[52:53], v[18:19]
	v_mul_f64 v[18:19], v[54:55], v[18:19]
	v_fmac_f64_e32 v[74:75], v[50:51], v[12:13]
	v_fma_f64 v[8:9], v[48:49], v[12:13], -v[14:15]
	v_add_f64 v[2:3], v[2:3], v[72:73]
	v_add_f64 v[4:5], v[4:5], v[6:7]
	;; [unrolled: 7-line block ×6, first 2 shown]
	v_fmac_f64_e32 v[84:85], v[70:71], v[32:33]
	v_fma_f64 v[18:19], v[68:69], v[32:33], -v[34:35]
	v_add_f64 v[2:3], v[2:3], v[82:83]
	v_add_f64 v[4:5], v[4:5], v[16:17]
	;; [unrolled: 1-line block ×4, first 2 shown]
	s_waitcnt vmcnt(0)
	v_add_f64 v[2:3], v[36:37], -v[2:3]
	v_add_f64 v[4:5], v[38:39], -v[6:7]
	scratch_store_dwordx4 off, v[2:5], off offset:720
	s_and_saveexec_b64 s[0:1], vcc
	s_cbranch_execz .LBB116_245
; %bb.244:
	scratch_load_dwordx4 v[2:5], off, s25
	v_mov_b32_e32 v6, 0
	v_mov_b32_e32 v7, v6
	;; [unrolled: 1-line block ×4, first 2 shown]
	v_accvgpr_read_b32 v0, a107
	scratch_store_dwordx4 off, v[6:9], off offset:704
	s_waitcnt vmcnt(1)
	ds_write_b128 v0, v[2:5]
.LBB116_245:
	s_or_b64 exec, exec, s[0:1]
	s_waitcnt lgkmcnt(0)
	; wave barrier
	scratch_load_dwordx4 v[4:7], off, off offset:720
	scratch_load_dwordx4 v[8:11], off, off offset:736
	;; [unrolled: 1-line block ×10, first 2 shown]
	v_mov_b32_e32 v2, 0
	ds_read_b128 v[44:47], v2 offset:1552
	ds_read_b128 v[48:51], v2 offset:1568
	;; [unrolled: 1-line block ×9, first 2 shown]
	v_cmp_lt_u32_e32 vcc, 42, v240
	s_waitcnt vmcnt(9) lgkmcnt(8)
	v_mul_f64 v[80:81], v[44:45], v[6:7]
	v_mul_f64 v[6:7], v[46:47], v[6:7]
	s_waitcnt vmcnt(8) lgkmcnt(7)
	v_mul_f64 v[82:83], v[48:49], v[10:11]
	s_waitcnt vmcnt(7) lgkmcnt(6)
	;; [unrolled: 2-line block ×3, first 2 shown]
	v_mul_f64 v[88:89], v[60:61], v[22:23]
	v_mul_f64 v[10:11], v[50:51], v[10:11]
	;; [unrolled: 1-line block ×4, first 2 shown]
	v_fmac_f64_e32 v[80:81], v[46:47], v[4:5]
	v_fma_f64 v[4:5], v[44:45], v[4:5], -v[6:7]
	v_fmac_f64_e32 v[82:83], v[50:51], v[8:9]
	v_fmac_f64_e32 v[84:85], v[54:55], v[12:13]
	v_fma_f64 v[6:7], v[48:49], v[8:9], -v[10:11]
	v_fma_f64 v[8:9], v[52:53], v[12:13], -v[14:15]
	;; [unrolled: 1-line block ×3, first 2 shown]
	v_add_f64 v[22:23], v[80:81], 0
	v_add_f64 v[4:5], v[4:5], 0
	v_mul_f64 v[86:87], v[56:57], v[18:19]
	v_mul_f64 v[18:19], v[58:59], v[18:19]
	v_add_f64 v[22:23], v[22:23], v[82:83]
	v_add_f64 v[4:5], v[4:5], v[6:7]
	v_fmac_f64_e32 v[86:87], v[58:59], v[16:17]
	v_fma_f64 v[10:11], v[56:57], v[16:17], -v[18:19]
	v_add_f64 v[6:7], v[22:23], v[84:85]
	v_add_f64 v[4:5], v[4:5], v[8:9]
	s_waitcnt vmcnt(4) lgkmcnt(3)
	v_mul_f64 v[90:91], v[64:65], v[26:27]
	v_mul_f64 v[26:27], v[66:67], v[26:27]
	v_fmac_f64_e32 v[88:89], v[62:63], v[20:21]
	v_add_f64 v[6:7], v[6:7], v[86:87]
	v_add_f64 v[4:5], v[4:5], v[10:11]
	s_waitcnt vmcnt(3) lgkmcnt(2)
	v_mul_f64 v[92:93], v[68:69], v[30:31]
	v_mul_f64 v[30:31], v[70:71], v[30:31]
	v_fmac_f64_e32 v[90:91], v[66:67], v[24:25]
	v_fma_f64 v[14:15], v[64:65], v[24:25], -v[26:27]
	v_add_f64 v[6:7], v[6:7], v[88:89]
	v_add_f64 v[4:5], v[4:5], v[12:13]
	s_waitcnt vmcnt(2) lgkmcnt(1)
	v_mul_f64 v[94:95], v[72:73], v[34:35]
	v_mul_f64 v[34:35], v[74:75], v[34:35]
	v_fmac_f64_e32 v[92:93], v[70:71], v[28:29]
	v_fma_f64 v[16:17], v[68:69], v[28:29], -v[30:31]
	;; [unrolled: 7-line block ×3, first 2 shown]
	v_add_f64 v[6:7], v[6:7], v[92:93]
	v_add_f64 v[4:5], v[4:5], v[16:17]
	v_fmac_f64_e32 v[96:97], v[78:79], v[36:37]
	v_fma_f64 v[20:21], v[76:77], v[36:37], -v[38:39]
	v_add_f64 v[6:7], v[6:7], v[94:95]
	v_add_f64 v[4:5], v[4:5], v[18:19]
	;; [unrolled: 1-line block ×4, first 2 shown]
	s_waitcnt vmcnt(0)
	v_add_f64 v[4:5], v[40:41], -v[4:5]
	v_add_f64 v[6:7], v[42:43], -v[6:7]
	scratch_store_dwordx4 off, v[4:7], off offset:704
	s_and_saveexec_b64 s[0:1], vcc
	s_cbranch_execz .LBB116_247
; %bb.246:
	scratch_load_dwordx4 v[6:9], off, s26
	v_mov_b32_e32 v3, v2
	v_mov_b32_e32 v4, v2
	;; [unrolled: 1-line block ×3, first 2 shown]
	v_accvgpr_read_b32 v0, a107
	scratch_store_dwordx4 off, v[2:5], off offset:688
	s_waitcnt vmcnt(1)
	ds_write_b128 v0, v[6:9]
.LBB116_247:
	s_or_b64 exec, exec, s[0:1]
	s_waitcnt lgkmcnt(0)
	; wave barrier
	scratch_load_dwordx4 v[4:7], off, off offset:704
	scratch_load_dwordx4 v[8:11], off, off offset:720
	;; [unrolled: 1-line block ×11, first 2 shown]
	ds_read_b128 v[48:51], v2 offset:1536
	ds_read_b128 v[52:55], v2 offset:1552
	;; [unrolled: 1-line block ×10, first 2 shown]
	v_cmp_lt_u32_e32 vcc, 41, v240
	s_waitcnt vmcnt(10) lgkmcnt(9)
	v_mul_f64 v[2:3], v[48:49], v[6:7]
	v_mul_f64 v[6:7], v[50:51], v[6:7]
	s_waitcnt vmcnt(9) lgkmcnt(8)
	v_mul_f64 v[88:89], v[52:53], v[10:11]
	v_mul_f64 v[10:11], v[54:55], v[10:11]
	v_fmac_f64_e32 v[2:3], v[50:51], v[4:5]
	v_fma_f64 v[4:5], v[48:49], v[4:5], -v[6:7]
	s_waitcnt vmcnt(8) lgkmcnt(7)
	v_mul_f64 v[90:91], v[56:57], v[14:15]
	v_mul_f64 v[14:15], v[58:59], v[14:15]
	v_fmac_f64_e32 v[88:89], v[54:55], v[8:9]
	v_fma_f64 v[6:7], v[52:53], v[8:9], -v[10:11]
	v_add_f64 v[2:3], v[2:3], 0
	v_add_f64 v[4:5], v[4:5], 0
	s_waitcnt vmcnt(7) lgkmcnt(6)
	v_mul_f64 v[92:93], v[60:61], v[18:19]
	v_mul_f64 v[18:19], v[62:63], v[18:19]
	v_fmac_f64_e32 v[90:91], v[58:59], v[12:13]
	v_fma_f64 v[8:9], v[56:57], v[12:13], -v[14:15]
	v_add_f64 v[2:3], v[2:3], v[88:89]
	v_add_f64 v[4:5], v[4:5], v[6:7]
	;; [unrolled: 7-line block ×8, first 2 shown]
	v_fmac_f64_e32 v[104:105], v[86:87], v[40:41]
	v_fma_f64 v[22:23], v[84:85], v[40:41], -v[42:43]
	v_add_f64 v[2:3], v[2:3], v[102:103]
	v_add_f64 v[4:5], v[4:5], v[20:21]
	;; [unrolled: 1-line block ×4, first 2 shown]
	s_waitcnt vmcnt(0)
	v_add_f64 v[2:3], v[44:45], -v[2:3]
	v_add_f64 v[4:5], v[46:47], -v[6:7]
	scratch_store_dwordx4 off, v[2:5], off offset:688
	s_and_saveexec_b64 s[0:1], vcc
	s_cbranch_execz .LBB116_249
; %bb.248:
	scratch_load_dwordx4 v[2:5], off, s27
	v_mov_b32_e32 v6, 0
	v_mov_b32_e32 v7, v6
	;; [unrolled: 1-line block ×4, first 2 shown]
	v_accvgpr_read_b32 v0, a107
	scratch_store_dwordx4 off, v[6:9], off offset:672
	s_waitcnt vmcnt(1)
	ds_write_b128 v0, v[2:5]
.LBB116_249:
	s_or_b64 exec, exec, s[0:1]
	s_waitcnt lgkmcnt(0)
	; wave barrier
	scratch_load_dwordx4 v[4:7], off, off offset:688
	scratch_load_dwordx4 v[8:11], off, off offset:704
	;; [unrolled: 1-line block ×12, first 2 shown]
	v_mov_b32_e32 v2, 0
	ds_read_b128 v[52:55], v2 offset:1520
	ds_read_b128 v[56:59], v2 offset:1536
	;; [unrolled: 1-line block ×11, first 2 shown]
	v_cmp_lt_u32_e32 vcc, 40, v240
	s_waitcnt vmcnt(11) lgkmcnt(10)
	v_mul_f64 v[96:97], v[52:53], v[6:7]
	v_mul_f64 v[6:7], v[54:55], v[6:7]
	s_waitcnt vmcnt(10) lgkmcnt(9)
	v_mul_f64 v[98:99], v[56:57], v[10:11]
	s_waitcnt vmcnt(9) lgkmcnt(8)
	v_mul_f64 v[100:101], v[60:61], v[14:15]
	v_mul_f64 v[10:11], v[58:59], v[10:11]
	s_waitcnt vmcnt(6) lgkmcnt(5)
	v_mul_f64 v[106:107], v[72:73], v[26:27]
	v_mul_f64 v[14:15], v[62:63], v[14:15]
	;; [unrolled: 1-line block ×3, first 2 shown]
	v_fmac_f64_e32 v[96:97], v[54:55], v[4:5]
	v_fma_f64 v[4:5], v[52:53], v[4:5], -v[6:7]
	v_fmac_f64_e32 v[98:99], v[58:59], v[8:9]
	v_fma_f64 v[6:7], v[56:57], v[8:9], -v[10:11]
	v_fma_f64 v[8:9], v[60:61], v[12:13], -v[14:15]
	;; [unrolled: 1-line block ×3, first 2 shown]
	v_add_f64 v[26:27], v[96:97], 0
	v_add_f64 v[4:5], v[4:5], 0
	v_mul_f64 v[102:103], v[64:65], v[18:19]
	v_mul_f64 v[18:19], v[66:67], v[18:19]
	v_fmac_f64_e32 v[100:101], v[62:63], v[12:13]
	v_add_f64 v[26:27], v[26:27], v[98:99]
	v_add_f64 v[4:5], v[4:5], v[6:7]
	v_mul_f64 v[104:105], v[68:69], v[22:23]
	v_mul_f64 v[22:23], v[70:71], v[22:23]
	v_fmac_f64_e32 v[102:103], v[66:67], v[16:17]
	v_fma_f64 v[10:11], v[64:65], v[16:17], -v[18:19]
	v_add_f64 v[6:7], v[26:27], v[100:101]
	v_add_f64 v[4:5], v[4:5], v[8:9]
	v_fmac_f64_e32 v[104:105], v[70:71], v[20:21]
	v_fma_f64 v[12:13], v[68:69], v[20:21], -v[22:23]
	v_add_f64 v[6:7], v[6:7], v[102:103]
	v_add_f64 v[4:5], v[4:5], v[10:11]
	s_waitcnt vmcnt(5) lgkmcnt(4)
	v_mul_f64 v[108:109], v[76:77], v[30:31]
	v_mul_f64 v[30:31], v[78:79], v[30:31]
	v_fmac_f64_e32 v[106:107], v[74:75], v[24:25]
	v_add_f64 v[6:7], v[6:7], v[104:105]
	v_add_f64 v[4:5], v[4:5], v[12:13]
	s_waitcnt vmcnt(4) lgkmcnt(3)
	v_mul_f64 v[110:111], v[80:81], v[34:35]
	v_mul_f64 v[34:35], v[82:83], v[34:35]
	v_fmac_f64_e32 v[108:109], v[78:79], v[28:29]
	v_fma_f64 v[16:17], v[76:77], v[28:29], -v[30:31]
	v_add_f64 v[6:7], v[6:7], v[106:107]
	v_add_f64 v[4:5], v[4:5], v[14:15]
	s_waitcnt vmcnt(3) lgkmcnt(2)
	v_mul_f64 v[112:113], v[84:85], v[38:39]
	v_mul_f64 v[38:39], v[86:87], v[38:39]
	v_fmac_f64_e32 v[110:111], v[82:83], v[32:33]
	v_fma_f64 v[18:19], v[80:81], v[32:33], -v[34:35]
	;; [unrolled: 7-line block ×4, first 2 shown]
	v_add_f64 v[6:7], v[6:7], v[112:113]
	v_add_f64 v[4:5], v[4:5], v[20:21]
	v_fmac_f64_e32 v[116:117], v[94:95], v[44:45]
	v_fma_f64 v[24:25], v[92:93], v[44:45], -v[46:47]
	v_add_f64 v[6:7], v[6:7], v[114:115]
	v_add_f64 v[4:5], v[4:5], v[22:23]
	;; [unrolled: 1-line block ×4, first 2 shown]
	s_waitcnt vmcnt(0)
	v_add_f64 v[4:5], v[48:49], -v[4:5]
	v_add_f64 v[6:7], v[50:51], -v[6:7]
	scratch_store_dwordx4 off, v[4:7], off offset:672
	s_and_saveexec_b64 s[0:1], vcc
	s_cbranch_execz .LBB116_251
; %bb.250:
	scratch_load_dwordx4 v[6:9], off, s28
	v_mov_b32_e32 v3, v2
	v_mov_b32_e32 v4, v2
	;; [unrolled: 1-line block ×3, first 2 shown]
	v_accvgpr_read_b32 v0, a107
	scratch_store_dwordx4 off, v[2:5], off offset:656
	s_waitcnt vmcnt(1)
	ds_write_b128 v0, v[6:9]
.LBB116_251:
	s_or_b64 exec, exec, s[0:1]
	s_waitcnt lgkmcnt(0)
	; wave barrier
	scratch_load_dwordx4 v[4:7], off, off offset:672
	scratch_load_dwordx4 v[8:11], off, off offset:688
	;; [unrolled: 1-line block ×12, first 2 shown]
	ds_read_b128 v[52:55], v2 offset:1504
	ds_read_b128 v[56:59], v2 offset:1520
	;; [unrolled: 1-line block ×4, first 2 shown]
	scratch_load_dwordx4 v[68:71], off, off offset:656
	ds_read_b128 v[72:75], v2 offset:1568
	ds_read_b128 v[76:79], v2 offset:1584
	;; [unrolled: 1-line block ×8, first 2 shown]
	v_cmp_lt_u32_e32 vcc, 39, v240
	s_waitcnt vmcnt(12) lgkmcnt(11)
	v_mul_f64 v[2:3], v[52:53], v[6:7]
	s_waitcnt vmcnt(11) lgkmcnt(10)
	v_mul_f64 v[104:105], v[56:57], v[10:11]
	v_fmac_f64_e32 v[2:3], v[54:55], v[4:5]
	s_waitcnt vmcnt(10) lgkmcnt(9)
	v_mul_f64 v[106:107], v[60:61], v[14:15]
	v_mul_f64 v[6:7], v[54:55], v[6:7]
	v_fmac_f64_e32 v[104:105], v[58:59], v[8:9]
	v_add_f64 v[2:3], v[2:3], 0
	s_waitcnt vmcnt(9) lgkmcnt(8)
	v_mul_f64 v[108:109], v[64:65], v[18:19]
	v_mul_f64 v[10:11], v[58:59], v[10:11]
	v_fmac_f64_e32 v[106:107], v[62:63], v[12:13]
	v_fma_f64 v[4:5], v[52:53], v[4:5], -v[6:7]
	v_add_f64 v[2:3], v[2:3], v[104:105]
	s_waitcnt vmcnt(8) lgkmcnt(7)
	v_mul_f64 v[110:111], v[72:73], v[22:23]
	v_mul_f64 v[14:15], v[62:63], v[14:15]
	v_fmac_f64_e32 v[108:109], v[66:67], v[16:17]
	v_fma_f64 v[6:7], v[56:57], v[8:9], -v[10:11]
	v_add_f64 v[4:5], v[4:5], 0
	v_add_f64 v[2:3], v[2:3], v[106:107]
	s_waitcnt vmcnt(7) lgkmcnt(6)
	v_mul_f64 v[112:113], v[76:77], v[26:27]
	v_mul_f64 v[18:19], v[66:67], v[18:19]
	v_fmac_f64_e32 v[110:111], v[74:75], v[20:21]
	v_fma_f64 v[8:9], v[60:61], v[12:13], -v[14:15]
	v_add_f64 v[4:5], v[4:5], v[6:7]
	;; [unrolled: 7-line block ×8, first 2 shown]
	v_add_f64 v[2:3], v[2:3], v[120:121]
	v_mul_f64 v[46:47], v[98:99], v[46:47]
	v_fmac_f64_e32 v[124:125], v[102:103], v[48:49]
	v_fma_f64 v[22:23], v[92:93], v[40:41], -v[42:43]
	v_add_f64 v[4:5], v[4:5], v[20:21]
	v_add_f64 v[2:3], v[2:3], v[122:123]
	;; [unrolled: 1-line block ×4, first 2 shown]
	v_fma_f64 v[2:3], v[96:97], v[44:45], -v[46:47]
	v_add_f64 v[2:3], v[4:5], v[2:3]
	v_mul_f64 v[4:5], v[102:103], v[50:51]
	v_fma_f64 v[4:5], v[100:101], v[48:49], -v[4:5]
	v_add_f64 v[2:3], v[2:3], v[4:5]
	s_waitcnt vmcnt(0)
	v_add_f64 v[2:3], v[68:69], -v[2:3]
	v_add_f64 v[4:5], v[70:71], -v[6:7]
	scratch_store_dwordx4 off, v[2:5], off offset:656
	s_and_saveexec_b64 s[0:1], vcc
	s_cbranch_execz .LBB116_253
; %bb.252:
	scratch_load_dwordx4 v[2:5], off, s29
	v_mov_b32_e32 v6, 0
	v_mov_b32_e32 v7, v6
	v_mov_b32_e32 v8, v6
	v_mov_b32_e32 v9, v6
	v_accvgpr_read_b32 v0, a107
	scratch_store_dwordx4 off, v[6:9], off offset:640
	s_waitcnt vmcnt(1)
	ds_write_b128 v0, v[2:5]
.LBB116_253:
	s_or_b64 exec, exec, s[0:1]
	s_waitcnt lgkmcnt(0)
	; wave barrier
	scratch_load_dwordx4 v[4:7], off, off offset:656
	scratch_load_dwordx4 v[8:11], off, off offset:672
	;; [unrolled: 1-line block ×14, first 2 shown]
	v_mov_b32_e32 v2, 0
	ds_read_b128 v[60:63], v2 offset:1488
	ds_read_b128 v[64:67], v2 offset:1504
	;; [unrolled: 1-line block ×13, first 2 shown]
	v_cmp_lt_u32_e32 vcc, 38, v240
	s_waitcnt vmcnt(13) lgkmcnt(12)
	v_mul_f64 v[112:113], v[60:61], v[6:7]
	v_mul_f64 v[6:7], v[62:63], v[6:7]
	s_waitcnt vmcnt(12) lgkmcnt(11)
	v_mul_f64 v[114:115], v[64:65], v[10:11]
	v_mul_f64 v[10:11], v[66:67], v[10:11]
	v_fmac_f64_e32 v[112:113], v[62:63], v[4:5]
	v_fma_f64 v[4:5], v[60:61], v[4:5], -v[6:7]
	s_waitcnt vmcnt(11) lgkmcnt(10)
	v_mul_f64 v[116:117], v[68:69], v[14:15]
	v_mul_f64 v[14:15], v[70:71], v[14:15]
	v_fma_f64 v[6:7], v[64:65], v[8:9], -v[10:11]
	v_add_f64 v[4:5], v[4:5], 0
	s_waitcnt vmcnt(10) lgkmcnt(9)
	v_mul_f64 v[118:119], v[72:73], v[18:19]
	v_mul_f64 v[18:19], v[74:75], v[18:19]
	v_fmac_f64_e32 v[114:115], v[66:67], v[8:9]
	v_fma_f64 v[8:9], v[68:69], v[12:13], -v[14:15]
	v_add_f64 v[4:5], v[4:5], v[6:7]
	s_waitcnt vmcnt(9) lgkmcnt(8)
	v_mul_f64 v[120:121], v[76:77], v[22:23]
	v_mul_f64 v[22:23], v[78:79], v[22:23]
	v_fma_f64 v[10:11], v[72:73], v[16:17], -v[18:19]
	v_add_f64 v[4:5], v[4:5], v[8:9]
	s_waitcnt vmcnt(8) lgkmcnt(7)
	v_mul_f64 v[122:123], v[80:81], v[26:27]
	v_mul_f64 v[26:27], v[82:83], v[26:27]
	v_fmac_f64_e32 v[116:117], v[70:71], v[12:13]
	v_fma_f64 v[12:13], v[76:77], v[20:21], -v[22:23]
	v_add_f64 v[22:23], v[112:113], 0
	v_add_f64 v[4:5], v[4:5], v[10:11]
	s_waitcnt vmcnt(7) lgkmcnt(6)
	v_mul_f64 v[124:125], v[84:85], v[30:31]
	v_mul_f64 v[30:31], v[86:87], v[30:31]
	v_fma_f64 v[14:15], v[80:81], v[24:25], -v[26:27]
	v_add_f64 v[22:23], v[22:23], v[114:115]
	v_add_f64 v[4:5], v[4:5], v[12:13]
	s_waitcnt vmcnt(6) lgkmcnt(5)
	v_mul_f64 v[126:127], v[88:89], v[34:35]
	v_mul_f64 v[34:35], v[90:91], v[34:35]
	v_fmac_f64_e32 v[118:119], v[74:75], v[16:17]
	v_fma_f64 v[16:17], v[84:85], v[28:29], -v[30:31]
	v_add_f64 v[6:7], v[22:23], v[116:117]
	v_add_f64 v[4:5], v[4:5], v[14:15]
	s_waitcnt vmcnt(5) lgkmcnt(4)
	v_mul_f64 v[128:129], v[92:93], v[38:39]
	v_mul_f64 v[38:39], v[94:95], v[38:39]
	v_fmac_f64_e32 v[120:121], v[78:79], v[20:21]
	v_fma_f64 v[18:19], v[88:89], v[32:33], -v[34:35]
	v_add_f64 v[6:7], v[6:7], v[118:119]
	v_add_f64 v[4:5], v[4:5], v[16:17]
	v_fmac_f64_e32 v[122:123], v[82:83], v[24:25]
	v_fma_f64 v[20:21], v[92:93], v[36:37], -v[38:39]
	v_add_f64 v[6:7], v[6:7], v[120:121]
	v_add_f64 v[4:5], v[4:5], v[18:19]
	s_waitcnt vmcnt(4) lgkmcnt(3)
	v_mul_f64 v[8:9], v[98:99], v[42:43]
	v_fmac_f64_e32 v[124:125], v[86:87], v[28:29]
	v_add_f64 v[6:7], v[6:7], v[122:123]
	v_add_f64 v[4:5], v[4:5], v[20:21]
	v_fma_f64 v[8:9], v[96:97], v[40:41], -v[8:9]
	v_fmac_f64_e32 v[126:127], v[90:91], v[32:33]
	v_add_f64 v[6:7], v[6:7], v[124:125]
	v_add_f64 v[4:5], v[4:5], v[8:9]
	s_waitcnt vmcnt(3) lgkmcnt(2)
	v_mul_f64 v[8:9], v[102:103], v[46:47]
	v_mul_f64 v[130:131], v[96:97], v[42:43]
	v_fmac_f64_e32 v[128:129], v[94:95], v[36:37]
	v_add_f64 v[6:7], v[6:7], v[126:127]
	v_fma_f64 v[8:9], v[100:101], v[44:45], -v[8:9]
	v_mul_f64 v[132:133], v[100:101], v[46:47]
	v_fmac_f64_e32 v[130:131], v[98:99], v[40:41]
	v_add_f64 v[6:7], v[6:7], v[128:129]
	v_add_f64 v[4:5], v[4:5], v[8:9]
	s_waitcnt vmcnt(2) lgkmcnt(1)
	v_mul_f64 v[8:9], v[106:107], v[50:51]
	v_mul_f64 v[134:135], v[104:105], v[50:51]
	v_fmac_f64_e32 v[132:133], v[102:103], v[44:45]
	v_add_f64 v[6:7], v[6:7], v[130:131]
	v_fma_f64 v[8:9], v[104:105], v[48:49], -v[8:9]
	s_waitcnt vmcnt(1) lgkmcnt(0)
	v_mul_f64 v[136:137], v[108:109], v[54:55]
	v_fmac_f64_e32 v[134:135], v[106:107], v[48:49]
	v_add_f64 v[6:7], v[6:7], v[132:133]
	v_add_f64 v[4:5], v[4:5], v[8:9]
	v_mul_f64 v[8:9], v[110:111], v[54:55]
	v_fmac_f64_e32 v[136:137], v[110:111], v[52:53]
	v_add_f64 v[6:7], v[6:7], v[134:135]
	v_fma_f64 v[8:9], v[108:109], v[52:53], -v[8:9]
	v_add_f64 v[6:7], v[6:7], v[136:137]
	v_add_f64 v[4:5], v[4:5], v[8:9]
	s_waitcnt vmcnt(0)
	v_add_f64 v[4:5], v[56:57], -v[4:5]
	v_add_f64 v[6:7], v[58:59], -v[6:7]
	scratch_store_dwordx4 off, v[4:7], off offset:640
	s_and_saveexec_b64 s[0:1], vcc
	s_cbranch_execz .LBB116_255
; %bb.254:
	scratch_load_dwordx4 v[6:9], off, s30
	v_mov_b32_e32 v3, v2
	v_mov_b32_e32 v4, v2
	;; [unrolled: 1-line block ×3, first 2 shown]
	v_accvgpr_read_b32 v0, a107
	scratch_store_dwordx4 off, v[2:5], off offset:624
	s_waitcnt vmcnt(1)
	ds_write_b128 v0, v[6:9]
.LBB116_255:
	s_or_b64 exec, exec, s[0:1]
	s_waitcnt lgkmcnt(0)
	; wave barrier
	scratch_load_dwordx4 v[4:7], off, off offset:640
	scratch_load_dwordx4 v[8:11], off, off offset:656
	;; [unrolled: 1-line block ×14, first 2 shown]
	ds_read_b128 v[60:63], v2 offset:1472
	ds_read_b128 v[64:67], v2 offset:1488
	;; [unrolled: 1-line block ×14, first 2 shown]
	scratch_load_dwordx4 v[116:119], off, off offset:624
	v_cmp_lt_u32_e32 vcc, 37, v240
	s_waitcnt vmcnt(14) lgkmcnt(13)
	v_mul_f64 v[2:3], v[60:61], v[6:7]
	s_waitcnt vmcnt(13) lgkmcnt(12)
	v_mul_f64 v[120:121], v[64:65], v[10:11]
	v_fmac_f64_e32 v[2:3], v[62:63], v[4:5]
	s_waitcnt vmcnt(12) lgkmcnt(11)
	v_mul_f64 v[122:123], v[68:69], v[14:15]
	v_fmac_f64_e32 v[120:121], v[66:67], v[8:9]
	v_add_f64 v[2:3], v[2:3], 0
	s_waitcnt vmcnt(11) lgkmcnt(10)
	v_mul_f64 v[124:125], v[72:73], v[18:19]
	v_fmac_f64_e32 v[122:123], v[70:71], v[12:13]
	v_add_f64 v[2:3], v[2:3], v[120:121]
	;; [unrolled: 4-line block ×4, first 2 shown]
	s_waitcnt vmcnt(8) lgkmcnt(7)
	v_mul_f64 v[130:131], v[84:85], v[30:31]
	v_mul_f64 v[6:7], v[62:63], v[6:7]
	v_fmac_f64_e32 v[128:129], v[82:83], v[24:25]
	v_add_f64 v[2:3], v[2:3], v[126:127]
	s_waitcnt vmcnt(7) lgkmcnt(6)
	v_mul_f64 v[132:133], v[88:89], v[34:35]
	v_mul_f64 v[10:11], v[66:67], v[10:11]
	v_fmac_f64_e32 v[130:131], v[86:87], v[28:29]
	v_fma_f64 v[4:5], v[60:61], v[4:5], -v[6:7]
	v_add_f64 v[2:3], v[2:3], v[128:129]
	s_waitcnt vmcnt(6) lgkmcnt(5)
	v_mul_f64 v[134:135], v[92:93], v[38:39]
	v_mul_f64 v[14:15], v[70:71], v[14:15]
	v_fmac_f64_e32 v[132:133], v[90:91], v[32:33]
	v_fma_f64 v[6:7], v[64:65], v[8:9], -v[10:11]
	v_add_f64 v[4:5], v[4:5], 0
	v_add_f64 v[2:3], v[2:3], v[130:131]
	s_waitcnt vmcnt(5) lgkmcnt(4)
	v_mul_f64 v[136:137], v[96:97], v[42:43]
	v_mul_f64 v[18:19], v[74:75], v[18:19]
	v_fmac_f64_e32 v[134:135], v[94:95], v[36:37]
	v_fma_f64 v[8:9], v[68:69], v[12:13], -v[14:15]
	v_add_f64 v[4:5], v[4:5], v[6:7]
	;; [unrolled: 7-line block ×6, first 2 shown]
	v_add_f64 v[2:3], v[2:3], v[140:141]
	v_fmac_f64_e32 v[144:145], v[114:115], v[56:57]
	v_fma_f64 v[18:19], v[88:89], v[32:33], -v[34:35]
	v_add_f64 v[4:5], v[4:5], v[16:17]
	v_add_f64 v[2:3], v[2:3], v[142:143]
	;; [unrolled: 1-line block ×4, first 2 shown]
	v_mul_f64 v[4:5], v[94:95], v[38:39]
	v_fma_f64 v[4:5], v[92:93], v[36:37], -v[4:5]
	v_add_f64 v[2:3], v[2:3], v[4:5]
	v_mul_f64 v[4:5], v[98:99], v[42:43]
	v_fma_f64 v[4:5], v[96:97], v[40:41], -v[4:5]
	v_add_f64 v[2:3], v[2:3], v[4:5]
	;; [unrolled: 3-line block ×6, first 2 shown]
	s_waitcnt vmcnt(0)
	v_add_f64 v[2:3], v[116:117], -v[2:3]
	v_add_f64 v[4:5], v[118:119], -v[6:7]
	scratch_store_dwordx4 off, v[2:5], off offset:624
	s_and_saveexec_b64 s[0:1], vcc
	s_cbranch_execz .LBB116_257
; %bb.256:
	scratch_load_dwordx4 v[2:5], off, s31
	v_mov_b32_e32 v6, 0
	v_mov_b32_e32 v7, v6
	;; [unrolled: 1-line block ×4, first 2 shown]
	v_accvgpr_read_b32 v0, a107
	scratch_store_dwordx4 off, v[6:9], off offset:608
	s_waitcnt vmcnt(1)
	ds_write_b128 v0, v[2:5]
.LBB116_257:
	s_or_b64 exec, exec, s[0:1]
	v_mov_b32_e32 v2, 0
	s_waitcnt lgkmcnt(0)
	; wave barrier
	ds_read_b128 v[16:19], v2 offset:1456
	ds_read_b128 v[12:15], v2 offset:1472
	;; [unrolled: 1-line block ×4, first 2 shown]
	scratch_load_dwordx4 v[20:23], off, off offset:624
	scratch_load_dwordx4 v[40:43], off, off offset:688
	scratch_load_dwordx4 v[74:77], off, off offset:752
	scratch_load_dwordx4 v[82:85], off, off offset:768
	scratch_load_dwordx4 v[90:93], off, off offset:784
	scratch_load_dwordx4 v[98:101], off, off offset:800
	scratch_load_dwordx4 v[106:109], off, off offset:816
	scratch_load_dwordx4 v[114:117], off, off offset:832
	scratch_load_dwordx4 v[122:125], off, off offset:848
	v_cmp_lt_u32_e32 vcc, 36, v240
	scratch_load_dwordx4 v[50:53], off, off offset:704
	scratch_load_dwordx4 v[58:61], off, off offset:720
	scratch_load_dwordx4 v[66:69], off, off offset:736
	s_waitcnt vmcnt(11) lgkmcnt(3)
	v_mul_f64 v[24:25], v[16:17], v[22:23]
	v_fmac_f64_e32 v[24:25], v[18:19], v[20:21]
	v_add_f64 v[28:29], v[24:25], 0
	scratch_load_dwordx4 v[24:27], off, off offset:640
	v_mul_f64 v[18:19], v[18:19], v[22:23]
	v_fma_f64 v[16:17], v[16:17], v[20:21], -v[18:19]
	v_add_f64 v[16:17], v[16:17], 0
	s_waitcnt vmcnt(0) lgkmcnt(2)
	v_mul_f64 v[30:31], v[12:13], v[26:27]
	v_fmac_f64_e32 v[30:31], v[14:15], v[24:25]
	v_add_f64 v[32:33], v[28:29], v[30:31]
	scratch_load_dwordx4 v[28:31], off, off offset:656
	v_mul_f64 v[14:15], v[14:15], v[26:27]
	v_fma_f64 v[12:13], v[12:13], v[24:25], -v[14:15]
	v_add_f64 v[12:13], v[16:17], v[12:13]
	;; [unrolled: 8-line block ×3, first 2 shown]
	s_waitcnt vmcnt(0) lgkmcnt(0)
	v_mul_f64 v[38:39], v[4:5], v[34:35]
	v_fmac_f64_e32 v[38:39], v[6:7], v[32:33]
	v_add_f64 v[44:45], v[36:37], v[38:39]
	ds_read_b128 v[36:39], v2 offset:1520
	v_mul_f64 v[6:7], v[6:7], v[34:35]
	v_fma_f64 v[4:5], v[4:5], v[32:33], -v[6:7]
	v_add_f64 v[4:5], v[8:9], v[4:5]
	s_waitcnt lgkmcnt(0)
	v_mul_f64 v[46:47], v[36:37], v[42:43]
	v_fmac_f64_e32 v[46:47], v[38:39], v[40:41]
	v_add_f64 v[48:49], v[44:45], v[46:47]
	ds_read_b128 v[44:47], v2 offset:1536
	v_mul_f64 v[6:7], v[38:39], v[42:43]
	v_fma_f64 v[6:7], v[36:37], v[40:41], -v[6:7]
	v_add_f64 v[4:5], v[4:5], v[6:7]
	s_waitcnt lgkmcnt(0)
	;; [unrolled: 8-line block ×11, first 2 shown]
	v_mul_f64 v[6:7], v[120:121], v[124:125]
	v_fma_f64 v[6:7], v[118:119], v[122:123], -v[6:7]
	v_add_f64 v[8:9], v[4:5], v[6:7]
	scratch_load_dwordx4 v[4:7], off, off offset:608
	v_mul_f64 v[126:127], v[118:119], v[124:125]
	v_fmac_f64_e32 v[126:127], v[120:121], v[122:123]
	v_add_f64 v[48:49], v[48:49], v[126:127]
	s_waitcnt vmcnt(0)
	v_add_f64 v[4:5], v[4:5], -v[8:9]
	v_add_f64 v[6:7], v[6:7], -v[48:49]
	scratch_store_dwordx4 off, v[4:7], off offset:608
	s_and_saveexec_b64 s[0:1], vcc
	s_cbranch_execz .LBB116_259
; %bb.258:
	scratch_load_dwordx4 v[6:9], off, s33
	v_mov_b32_e32 v3, v2
	v_mov_b32_e32 v4, v2
	;; [unrolled: 1-line block ×3, first 2 shown]
	v_accvgpr_read_b32 v0, a107
	scratch_store_dwordx4 off, v[2:5], off offset:592
	s_waitcnt vmcnt(1)
	ds_write_b128 v0, v[6:9]
.LBB116_259:
	s_or_b64 exec, exec, s[0:1]
	s_waitcnt lgkmcnt(0)
	; wave barrier
	ds_read_b128 v[16:19], v2 offset:1440
	ds_read_b128 v[12:15], v2 offset:1456
	;; [unrolled: 1-line block ×4, first 2 shown]
	scratch_load_dwordx4 v[20:23], off, off offset:608
	scratch_load_dwordx4 v[40:43], off, off offset:672
	scratch_load_dwordx4 v[74:77], off, off offset:736
	scratch_load_dwordx4 v[82:85], off, off offset:752
	scratch_load_dwordx4 v[90:93], off, off offset:768
	scratch_load_dwordx4 v[98:101], off, off offset:784
	scratch_load_dwordx4 v[106:109], off, off offset:800
	scratch_load_dwordx4 v[114:117], off, off offset:816
	scratch_load_dwordx4 v[122:125], off, off offset:832
	scratch_load_dwordx4 v[130:133], off, off offset:848
	v_cmp_lt_u32_e32 vcc, 35, v240
	scratch_load_dwordx4 v[48:51], off, off offset:688
	scratch_load_dwordx4 v[56:59], off, off offset:704
	;; [unrolled: 1-line block ×3, first 2 shown]
	s_waitcnt vmcnt(12) lgkmcnt(3)
	v_mul_f64 v[24:25], v[16:17], v[22:23]
	v_fmac_f64_e32 v[24:25], v[18:19], v[20:21]
	v_add_f64 v[28:29], v[24:25], 0
	scratch_load_dwordx4 v[24:27], off, off offset:624
	s_waitcnt vmcnt(0) lgkmcnt(2)
	v_mul_f64 v[30:31], v[12:13], v[26:27]
	v_fmac_f64_e32 v[30:31], v[14:15], v[24:25]
	v_add_f64 v[32:33], v[28:29], v[30:31]
	scratch_load_dwordx4 v[28:31], off, off offset:640
	v_mul_f64 v[14:15], v[14:15], v[26:27]
	v_fma_f64 v[12:13], v[12:13], v[24:25], -v[14:15]
	s_waitcnt vmcnt(0) lgkmcnt(1)
	v_mul_f64 v[34:35], v[8:9], v[30:31]
	v_fmac_f64_e32 v[34:35], v[10:11], v[28:29]
	v_add_f64 v[36:37], v[32:33], v[34:35]
	scratch_load_dwordx4 v[32:35], off, off offset:656
	v_mul_f64 v[10:11], v[10:11], v[30:31]
	v_fma_f64 v[8:9], v[8:9], v[28:29], -v[10:11]
	s_waitcnt vmcnt(0) lgkmcnt(0)
	v_mul_f64 v[38:39], v[4:5], v[34:35]
	v_fmac_f64_e32 v[38:39], v[6:7], v[32:33]
	v_add_f64 v[44:45], v[36:37], v[38:39]
	ds_read_b128 v[36:39], v2 offset:1504
	v_mul_f64 v[6:7], v[6:7], v[34:35]
	v_fma_f64 v[4:5], v[4:5], v[32:33], -v[6:7]
	s_waitcnt lgkmcnt(0)
	v_mul_f64 v[46:47], v[36:37], v[42:43]
	v_fmac_f64_e32 v[46:47], v[38:39], v[40:41]
	v_add_f64 v[52:53], v[44:45], v[46:47]
	ds_read_b128 v[44:47], v2 offset:1520
	s_waitcnt lgkmcnt(0)
	v_mul_f64 v[54:55], v[44:45], v[50:51]
	v_fmac_f64_e32 v[54:55], v[46:47], v[48:49]
	v_add_f64 v[60:61], v[52:53], v[54:55]
	ds_read_b128 v[52:55], v2 offset:1536
	;; [unrolled: 5-line block ×11, first 2 shown]
	s_waitcnt lgkmcnt(0)
	v_mul_f64 v[2:3], v[126:127], v[132:133]
	v_fmac_f64_e32 v[2:3], v[128:129], v[130:131]
	v_add_f64 v[64:65], v[64:65], v[2:3]
	v_mul_f64 v[2:3], v[18:19], v[22:23]
	v_fma_f64 v[2:3], v[16:17], v[20:21], -v[2:3]
	v_add_f64 v[2:3], v[2:3], 0
	v_add_f64 v[2:3], v[2:3], v[12:13]
	;; [unrolled: 1-line block ×4, first 2 shown]
	v_mul_f64 v[4:5], v[38:39], v[42:43]
	v_fma_f64 v[4:5], v[36:37], v[40:41], -v[4:5]
	v_add_f64 v[2:3], v[2:3], v[4:5]
	v_mul_f64 v[4:5], v[46:47], v[50:51]
	v_fma_f64 v[4:5], v[44:45], v[48:49], -v[4:5]
	v_add_f64 v[2:3], v[2:3], v[4:5]
	;; [unrolled: 3-line block ×12, first 2 shown]
	scratch_load_dwordx4 v[2:5], off, off offset:592
	s_waitcnt vmcnt(0)
	v_add_f64 v[2:3], v[2:3], -v[6:7]
	v_add_f64 v[4:5], v[4:5], -v[64:65]
	scratch_store_dwordx4 off, v[2:5], off offset:592
	s_and_saveexec_b64 s[0:1], vcc
	s_cbranch_execz .LBB116_261
; %bb.260:
	scratch_load_dwordx4 v[2:5], off, s34
	v_mov_b32_e32 v6, 0
	v_mov_b32_e32 v7, v6
	;; [unrolled: 1-line block ×4, first 2 shown]
	v_accvgpr_read_b32 v0, a107
	scratch_store_dwordx4 off, v[6:9], off offset:576
	s_waitcnt vmcnt(1)
	ds_write_b128 v0, v[2:5]
.LBB116_261:
	s_or_b64 exec, exec, s[0:1]
	v_mov_b32_e32 v2, 0
	s_waitcnt lgkmcnt(0)
	; wave barrier
	ds_read_b128 v[16:19], v2 offset:1424
	ds_read_b128 v[12:15], v2 offset:1440
	ds_read_b128 v[8:11], v2 offset:1456
	ds_read_b128 v[4:7], v2 offset:1472
	scratch_load_dwordx4 v[20:23], off, off offset:592
	scratch_load_dwordx4 v[40:43], off, off offset:656
	;; [unrolled: 1-line block ×11, first 2 shown]
	v_cmp_lt_u32_e32 vcc, 34, v240
	scratch_load_dwordx4 v[48:51], off, off offset:672
	scratch_load_dwordx4 v[56:59], off, off offset:688
	;; [unrolled: 1-line block ×3, first 2 shown]
	s_waitcnt vmcnt(13) lgkmcnt(3)
	v_mul_f64 v[24:25], v[16:17], v[22:23]
	v_fmac_f64_e32 v[24:25], v[18:19], v[20:21]
	v_add_f64 v[28:29], v[24:25], 0
	scratch_load_dwordx4 v[24:27], off, off offset:608
	v_mul_f64 v[18:19], v[18:19], v[22:23]
	v_fma_f64 v[16:17], v[16:17], v[20:21], -v[18:19]
	v_add_f64 v[16:17], v[16:17], 0
	s_waitcnt vmcnt(0) lgkmcnt(2)
	v_mul_f64 v[30:31], v[12:13], v[26:27]
	v_fmac_f64_e32 v[30:31], v[14:15], v[24:25]
	v_add_f64 v[32:33], v[28:29], v[30:31]
	scratch_load_dwordx4 v[28:31], off, off offset:624
	v_mul_f64 v[14:15], v[14:15], v[26:27]
	v_fma_f64 v[12:13], v[12:13], v[24:25], -v[14:15]
	v_add_f64 v[12:13], v[16:17], v[12:13]
	;; [unrolled: 8-line block ×3, first 2 shown]
	s_waitcnt vmcnt(0) lgkmcnt(0)
	v_mul_f64 v[38:39], v[4:5], v[34:35]
	v_fmac_f64_e32 v[38:39], v[6:7], v[32:33]
	v_add_f64 v[44:45], v[36:37], v[38:39]
	ds_read_b128 v[36:39], v2 offset:1488
	v_mul_f64 v[6:7], v[6:7], v[34:35]
	v_fma_f64 v[4:5], v[4:5], v[32:33], -v[6:7]
	v_add_f64 v[4:5], v[8:9], v[4:5]
	s_waitcnt lgkmcnt(0)
	v_mul_f64 v[46:47], v[36:37], v[42:43]
	v_fmac_f64_e32 v[46:47], v[38:39], v[40:41]
	v_add_f64 v[52:53], v[44:45], v[46:47]
	ds_read_b128 v[44:47], v2 offset:1504
	v_mul_f64 v[6:7], v[38:39], v[42:43]
	v_fma_f64 v[6:7], v[36:37], v[40:41], -v[6:7]
	v_add_f64 v[4:5], v[4:5], v[6:7]
	s_waitcnt lgkmcnt(0)
	;; [unrolled: 8-line block ×13, first 2 shown]
	v_mul_f64 v[6:7], v[136:137], v[140:141]
	v_fma_f64 v[6:7], v[134:135], v[138:139], -v[6:7]
	v_add_f64 v[8:9], v[4:5], v[6:7]
	scratch_load_dwordx4 v[4:7], off, off offset:576
	v_mul_f64 v[142:143], v[134:135], v[140:141]
	v_fmac_f64_e32 v[142:143], v[136:137], v[138:139]
	v_add_f64 v[72:73], v[72:73], v[142:143]
	s_waitcnt vmcnt(0)
	v_add_f64 v[4:5], v[4:5], -v[8:9]
	v_add_f64 v[6:7], v[6:7], -v[72:73]
	scratch_store_dwordx4 off, v[4:7], off offset:576
	s_and_saveexec_b64 s[0:1], vcc
	s_cbranch_execz .LBB116_263
; %bb.262:
	scratch_load_dwordx4 v[6:9], off, s35
	v_mov_b32_e32 v3, v2
	v_mov_b32_e32 v4, v2
	;; [unrolled: 1-line block ×3, first 2 shown]
	v_accvgpr_read_b32 v0, a107
	scratch_store_dwordx4 off, v[2:5], off offset:560
	s_waitcnt vmcnt(1)
	ds_write_b128 v0, v[6:9]
.LBB116_263:
	s_or_b64 exec, exec, s[0:1]
	s_waitcnt lgkmcnt(0)
	; wave barrier
	ds_read_b128 v[16:19], v2 offset:1408
	ds_read_b128 v[12:15], v2 offset:1424
	;; [unrolled: 1-line block ×4, first 2 shown]
	scratch_load_dwordx4 v[20:23], off, off offset:576
	scratch_load_dwordx4 v[40:43], off, off offset:640
	;; [unrolled: 1-line block ×12, first 2 shown]
	v_cmp_lt_u32_e32 vcc, 33, v240
	scratch_load_dwordx4 v[48:51], off, off offset:656
	scratch_load_dwordx4 v[56:59], off, off offset:672
	;; [unrolled: 1-line block ×3, first 2 shown]
	s_waitcnt vmcnt(14) lgkmcnt(3)
	v_mul_f64 v[24:25], v[16:17], v[22:23]
	v_fmac_f64_e32 v[24:25], v[18:19], v[20:21]
	v_add_f64 v[28:29], v[24:25], 0
	scratch_load_dwordx4 v[24:27], off, off offset:592
	s_waitcnt vmcnt(0) lgkmcnt(2)
	v_mul_f64 v[30:31], v[12:13], v[26:27]
	v_fmac_f64_e32 v[30:31], v[14:15], v[24:25]
	v_add_f64 v[32:33], v[28:29], v[30:31]
	scratch_load_dwordx4 v[28:31], off, off offset:608
	v_mul_f64 v[14:15], v[14:15], v[26:27]
	v_fma_f64 v[12:13], v[12:13], v[24:25], -v[14:15]
	s_waitcnt vmcnt(0) lgkmcnt(1)
	v_mul_f64 v[34:35], v[8:9], v[30:31]
	v_fmac_f64_e32 v[34:35], v[10:11], v[28:29]
	v_add_f64 v[36:37], v[32:33], v[34:35]
	scratch_load_dwordx4 v[32:35], off, off offset:624
	v_mul_f64 v[10:11], v[10:11], v[30:31]
	v_fma_f64 v[8:9], v[8:9], v[28:29], -v[10:11]
	s_waitcnt vmcnt(0) lgkmcnt(0)
	v_mul_f64 v[38:39], v[4:5], v[34:35]
	v_fmac_f64_e32 v[38:39], v[6:7], v[32:33]
	v_add_f64 v[44:45], v[36:37], v[38:39]
	ds_read_b128 v[36:39], v2 offset:1472
	v_mul_f64 v[6:7], v[6:7], v[34:35]
	v_fma_f64 v[4:5], v[4:5], v[32:33], -v[6:7]
	s_waitcnt lgkmcnt(0)
	v_mul_f64 v[46:47], v[36:37], v[42:43]
	v_fmac_f64_e32 v[46:47], v[38:39], v[40:41]
	v_add_f64 v[52:53], v[44:45], v[46:47]
	ds_read_b128 v[44:47], v2 offset:1488
	s_waitcnt lgkmcnt(0)
	v_mul_f64 v[54:55], v[44:45], v[50:51]
	v_fmac_f64_e32 v[54:55], v[46:47], v[48:49]
	v_add_f64 v[60:61], v[52:53], v[54:55]
	ds_read_b128 v[52:55], v2 offset:1504
	;; [unrolled: 5-line block ×13, first 2 shown]
	s_waitcnt lgkmcnt(0)
	v_mul_f64 v[2:3], v[142:143], v[148:149]
	v_fmac_f64_e32 v[2:3], v[144:145], v[146:147]
	v_add_f64 v[80:81], v[80:81], v[2:3]
	v_mul_f64 v[2:3], v[18:19], v[22:23]
	v_fma_f64 v[2:3], v[16:17], v[20:21], -v[2:3]
	v_add_f64 v[2:3], v[2:3], 0
	v_add_f64 v[2:3], v[2:3], v[12:13]
	;; [unrolled: 1-line block ×4, first 2 shown]
	v_mul_f64 v[4:5], v[38:39], v[42:43]
	v_fma_f64 v[4:5], v[36:37], v[40:41], -v[4:5]
	v_add_f64 v[2:3], v[2:3], v[4:5]
	v_mul_f64 v[4:5], v[46:47], v[50:51]
	v_fma_f64 v[4:5], v[44:45], v[48:49], -v[4:5]
	v_add_f64 v[2:3], v[2:3], v[4:5]
	;; [unrolled: 3-line block ×14, first 2 shown]
	scratch_load_dwordx4 v[2:5], off, off offset:560
	s_waitcnt vmcnt(0)
	v_add_f64 v[2:3], v[2:3], -v[6:7]
	v_add_f64 v[4:5], v[4:5], -v[80:81]
	scratch_store_dwordx4 off, v[2:5], off offset:560
	s_and_saveexec_b64 s[0:1], vcc
	s_cbranch_execz .LBB116_265
; %bb.264:
	scratch_load_dwordx4 v[2:5], off, s36
	v_mov_b32_e32 v6, 0
	v_mov_b32_e32 v7, v6
	;; [unrolled: 1-line block ×4, first 2 shown]
	v_accvgpr_read_b32 v0, a107
	scratch_store_dwordx4 off, v[6:9], off offset:544
	s_waitcnt vmcnt(1)
	ds_write_b128 v0, v[2:5]
.LBB116_265:
	s_or_b64 exec, exec, s[0:1]
	v_mov_b32_e32 v2, 0
	s_waitcnt lgkmcnt(0)
	; wave barrier
	ds_read_b128 v[16:19], v2 offset:1392
	ds_read_b128 v[12:15], v2 offset:1408
	;; [unrolled: 1-line block ×4, first 2 shown]
	scratch_load_dwordx4 v[20:23], off, off offset:560
	scratch_load_dwordx4 v[40:43], off, off offset:624
	;; [unrolled: 1-line block ×13, first 2 shown]
	v_cmp_lt_u32_e32 vcc, 32, v240
	scratch_load_dwordx4 v[48:51], off, off offset:640
	scratch_load_dwordx4 v[56:59], off, off offset:656
	;; [unrolled: 1-line block ×3, first 2 shown]
	s_waitcnt vmcnt(15) lgkmcnt(3)
	v_mul_f64 v[24:25], v[16:17], v[22:23]
	v_fmac_f64_e32 v[24:25], v[18:19], v[20:21]
	v_add_f64 v[28:29], v[24:25], 0
	scratch_load_dwordx4 v[24:27], off, off offset:576
	v_mul_f64 v[18:19], v[18:19], v[22:23]
	v_fma_f64 v[16:17], v[16:17], v[20:21], -v[18:19]
	v_add_f64 v[16:17], v[16:17], 0
	s_waitcnt vmcnt(0) lgkmcnt(2)
	v_mul_f64 v[30:31], v[12:13], v[26:27]
	v_fmac_f64_e32 v[30:31], v[14:15], v[24:25]
	v_add_f64 v[32:33], v[28:29], v[30:31]
	scratch_load_dwordx4 v[28:31], off, off offset:592
	v_mul_f64 v[14:15], v[14:15], v[26:27]
	v_fma_f64 v[12:13], v[12:13], v[24:25], -v[14:15]
	v_add_f64 v[12:13], v[16:17], v[12:13]
	;; [unrolled: 8-line block ×3, first 2 shown]
	s_waitcnt vmcnt(0) lgkmcnt(0)
	v_mul_f64 v[38:39], v[4:5], v[34:35]
	v_fmac_f64_e32 v[38:39], v[6:7], v[32:33]
	v_add_f64 v[44:45], v[36:37], v[38:39]
	ds_read_b128 v[36:39], v2 offset:1456
	v_mul_f64 v[6:7], v[6:7], v[34:35]
	v_fma_f64 v[4:5], v[4:5], v[32:33], -v[6:7]
	v_add_f64 v[4:5], v[8:9], v[4:5]
	s_waitcnt lgkmcnt(0)
	v_mul_f64 v[46:47], v[36:37], v[42:43]
	v_fmac_f64_e32 v[46:47], v[38:39], v[40:41]
	v_add_f64 v[52:53], v[44:45], v[46:47]
	ds_read_b128 v[44:47], v2 offset:1472
	v_mul_f64 v[6:7], v[38:39], v[42:43]
	v_fma_f64 v[6:7], v[36:37], v[40:41], -v[6:7]
	v_add_f64 v[4:5], v[4:5], v[6:7]
	s_waitcnt lgkmcnt(0)
	v_mul_f64 v[54:55], v[44:45], v[50:51]
	v_fmac_f64_e32 v[54:55], v[46:47], v[48:49]
	v_add_f64 v[60:61], v[52:53], v[54:55]
	ds_read_b128 v[52:55], v2 offset:1488
	v_mul_f64 v[6:7], v[46:47], v[50:51]
	v_fma_f64 v[6:7], v[44:45], v[48:49], -v[6:7]
	v_add_f64 v[4:5], v[4:5], v[6:7]
	s_waitcnt lgkmcnt(0)
	v_mul_f64 v[62:63], v[52:53], v[58:59]
	v_fmac_f64_e32 v[62:63], v[54:55], v[56:57]
	v_add_f64 v[68:69], v[60:61], v[62:63]
	ds_read_b128 v[60:63], v2 offset:1504
	v_mul_f64 v[6:7], v[54:55], v[58:59]
	v_fma_f64 v[6:7], v[52:53], v[56:57], -v[6:7]
	v_add_f64 v[4:5], v[4:5], v[6:7]
	s_waitcnt lgkmcnt(0)
	v_mul_f64 v[70:71], v[60:61], v[66:67]
	v_fmac_f64_e32 v[70:71], v[62:63], v[64:65]
	v_add_f64 v[76:77], v[68:69], v[70:71]
	ds_read_b128 v[68:71], v2 offset:1520
	v_mul_f64 v[6:7], v[62:63], v[66:67]
	v_fma_f64 v[6:7], v[60:61], v[64:65], -v[6:7]
	v_add_f64 v[4:5], v[4:5], v[6:7]
	s_waitcnt lgkmcnt(0)
	v_mul_f64 v[78:79], v[68:69], v[74:75]
	v_fmac_f64_e32 v[78:79], v[70:71], v[72:73]
	v_add_f64 v[84:85], v[76:77], v[78:79]
	ds_read_b128 v[76:79], v2 offset:1536
	v_mul_f64 v[6:7], v[70:71], v[74:75]
	v_fma_f64 v[6:7], v[68:69], v[72:73], -v[6:7]
	v_add_f64 v[4:5], v[4:5], v[6:7]
	s_waitcnt lgkmcnt(0)
	v_mul_f64 v[86:87], v[76:77], v[82:83]
	v_fmac_f64_e32 v[86:87], v[78:79], v[80:81]
	v_add_f64 v[88:89], v[84:85], v[86:87]
	ds_read_b128 v[84:87], v2 offset:1552
	v_mul_f64 v[6:7], v[78:79], v[82:83]
	v_fma_f64 v[6:7], v[76:77], v[80:81], -v[6:7]
	v_add_f64 v[4:5], v[4:5], v[6:7]
	s_waitcnt lgkmcnt(0)
	v_mul_f64 v[94:95], v[84:85], v[92:93]
	v_fmac_f64_e32 v[94:95], v[86:87], v[90:91]
	v_add_f64 v[88:89], v[88:89], v[94:95]
	ds_read_b128 v[94:97], v2 offset:1568
	v_mul_f64 v[6:7], v[86:87], v[92:93]
	v_fma_f64 v[6:7], v[84:85], v[90:91], -v[6:7]
	v_add_f64 v[4:5], v[4:5], v[6:7]
	s_waitcnt lgkmcnt(0)
	v_mul_f64 v[102:103], v[94:95], v[100:101]
	v_fmac_f64_e32 v[102:103], v[96:97], v[98:99]
	v_add_f64 v[88:89], v[88:89], v[102:103]
	ds_read_b128 v[102:105], v2 offset:1584
	v_mul_f64 v[6:7], v[96:97], v[100:101]
	v_fma_f64 v[6:7], v[94:95], v[98:99], -v[6:7]
	v_add_f64 v[4:5], v[4:5], v[6:7]
	s_waitcnt lgkmcnt(0)
	v_mul_f64 v[110:111], v[102:103], v[108:109]
	v_fmac_f64_e32 v[110:111], v[104:105], v[106:107]
	v_add_f64 v[88:89], v[88:89], v[110:111]
	ds_read_b128 v[110:113], v2 offset:1600
	v_mul_f64 v[6:7], v[104:105], v[108:109]
	v_fma_f64 v[6:7], v[102:103], v[106:107], -v[6:7]
	v_add_f64 v[4:5], v[4:5], v[6:7]
	s_waitcnt lgkmcnt(0)
	v_mul_f64 v[118:119], v[110:111], v[116:117]
	v_fmac_f64_e32 v[118:119], v[112:113], v[114:115]
	v_add_f64 v[88:89], v[88:89], v[118:119]
	ds_read_b128 v[118:121], v2 offset:1616
	v_mul_f64 v[6:7], v[112:113], v[116:117]
	v_fma_f64 v[6:7], v[110:111], v[114:115], -v[6:7]
	v_add_f64 v[4:5], v[4:5], v[6:7]
	s_waitcnt lgkmcnt(0)
	v_mul_f64 v[126:127], v[118:119], v[124:125]
	v_fmac_f64_e32 v[126:127], v[120:121], v[122:123]
	v_add_f64 v[88:89], v[88:89], v[126:127]
	ds_read_b128 v[126:129], v2 offset:1632
	v_mul_f64 v[6:7], v[120:121], v[124:125]
	v_fma_f64 v[6:7], v[118:119], v[122:123], -v[6:7]
	v_add_f64 v[4:5], v[4:5], v[6:7]
	s_waitcnt lgkmcnt(0)
	v_mul_f64 v[134:135], v[126:127], v[132:133]
	v_fmac_f64_e32 v[134:135], v[128:129], v[130:131]
	v_add_f64 v[88:89], v[88:89], v[134:135]
	ds_read_b128 v[134:137], v2 offset:1648
	v_mul_f64 v[6:7], v[128:129], v[132:133]
	v_fma_f64 v[6:7], v[126:127], v[130:131], -v[6:7]
	v_add_f64 v[4:5], v[4:5], v[6:7]
	s_waitcnt lgkmcnt(0)
	v_mul_f64 v[142:143], v[134:135], v[140:141]
	v_fmac_f64_e32 v[142:143], v[136:137], v[138:139]
	v_add_f64 v[88:89], v[88:89], v[142:143]
	ds_read_b128 v[142:145], v2 offset:1664
	v_mul_f64 v[6:7], v[136:137], v[140:141]
	v_fma_f64 v[6:7], v[134:135], v[138:139], -v[6:7]
	v_add_f64 v[4:5], v[4:5], v[6:7]
	s_waitcnt lgkmcnt(0)
	v_mul_f64 v[150:151], v[142:143], v[148:149]
	v_fmac_f64_e32 v[150:151], v[144:145], v[146:147]
	v_add_f64 v[88:89], v[88:89], v[150:151]
	ds_read_b128 v[150:153], v2 offset:1680
	v_mul_f64 v[6:7], v[144:145], v[148:149]
	v_fma_f64 v[6:7], v[142:143], v[146:147], -v[6:7]
	v_add_f64 v[4:5], v[4:5], v[6:7]
	s_waitcnt lgkmcnt(0)
	v_mul_f64 v[6:7], v[152:153], v[156:157]
	v_fma_f64 v[6:7], v[150:151], v[154:155], -v[6:7]
	v_add_f64 v[8:9], v[4:5], v[6:7]
	scratch_load_dwordx4 v[4:7], off, off offset:544
	v_mul_f64 v[158:159], v[150:151], v[156:157]
	v_fmac_f64_e32 v[158:159], v[152:153], v[154:155]
	v_add_f64 v[88:89], v[88:89], v[158:159]
	s_waitcnt vmcnt(0)
	v_add_f64 v[4:5], v[4:5], -v[8:9]
	v_add_f64 v[6:7], v[6:7], -v[88:89]
	scratch_store_dwordx4 off, v[4:7], off offset:544
	s_and_saveexec_b64 s[0:1], vcc
	s_cbranch_execz .LBB116_267
; %bb.266:
	scratch_load_dwordx4 v[6:9], off, s37
	v_mov_b32_e32 v3, v2
	v_mov_b32_e32 v4, v2
	;; [unrolled: 1-line block ×3, first 2 shown]
	v_accvgpr_read_b32 v0, a107
	scratch_store_dwordx4 off, v[2:5], off offset:528
	s_waitcnt vmcnt(1)
	ds_write_b128 v0, v[6:9]
.LBB116_267:
	s_or_b64 exec, exec, s[0:1]
	s_waitcnt lgkmcnt(0)
	; wave barrier
	ds_read_b128 v[16:19], v2 offset:1376
	ds_read_b128 v[12:15], v2 offset:1392
	ds_read_b128 v[8:11], v2 offset:1408
	ds_read_b128 v[4:7], v2 offset:1424
	scratch_load_dwordx4 v[20:23], off, off offset:544
	scratch_load_dwordx4 v[40:43], off, off offset:608
	;; [unrolled: 1-line block ×14, first 2 shown]
	v_cmp_lt_u32_e32 vcc, 31, v240
	scratch_load_dwordx4 v[48:51], off, off offset:624
	scratch_load_dwordx4 v[56:59], off, off offset:640
	scratch_load_dwordx4 v[64:67], off, off offset:656
	s_waitcnt vmcnt(16) lgkmcnt(3)
	v_mul_f64 v[24:25], v[16:17], v[22:23]
	v_fmac_f64_e32 v[24:25], v[18:19], v[20:21]
	v_add_f64 v[28:29], v[24:25], 0
	scratch_load_dwordx4 v[24:27], off, off offset:560
	s_waitcnt vmcnt(0) lgkmcnt(2)
	v_mul_f64 v[30:31], v[12:13], v[26:27]
	v_fmac_f64_e32 v[30:31], v[14:15], v[24:25]
	v_add_f64 v[32:33], v[28:29], v[30:31]
	scratch_load_dwordx4 v[28:31], off, off offset:576
	v_mul_f64 v[14:15], v[14:15], v[26:27]
	v_fma_f64 v[12:13], v[12:13], v[24:25], -v[14:15]
	s_waitcnt vmcnt(0) lgkmcnt(1)
	v_mul_f64 v[34:35], v[8:9], v[30:31]
	v_fmac_f64_e32 v[34:35], v[10:11], v[28:29]
	v_add_f64 v[36:37], v[32:33], v[34:35]
	scratch_load_dwordx4 v[32:35], off, off offset:592
	v_mul_f64 v[10:11], v[10:11], v[30:31]
	v_fma_f64 v[8:9], v[8:9], v[28:29], -v[10:11]
	s_waitcnt vmcnt(0) lgkmcnt(0)
	v_mul_f64 v[38:39], v[4:5], v[34:35]
	v_fmac_f64_e32 v[38:39], v[6:7], v[32:33]
	v_add_f64 v[44:45], v[36:37], v[38:39]
	ds_read_b128 v[36:39], v2 offset:1440
	v_mul_f64 v[6:7], v[6:7], v[34:35]
	v_fma_f64 v[4:5], v[4:5], v[32:33], -v[6:7]
	s_waitcnt lgkmcnt(0)
	v_mul_f64 v[46:47], v[36:37], v[42:43]
	v_fmac_f64_e32 v[46:47], v[38:39], v[40:41]
	v_add_f64 v[52:53], v[44:45], v[46:47]
	ds_read_b128 v[44:47], v2 offset:1456
	s_waitcnt lgkmcnt(0)
	v_mul_f64 v[54:55], v[44:45], v[50:51]
	v_fmac_f64_e32 v[54:55], v[46:47], v[48:49]
	v_add_f64 v[60:61], v[52:53], v[54:55]
	ds_read_b128 v[52:55], v2 offset:1472
	;; [unrolled: 5-line block ×15, first 2 shown]
	s_waitcnt lgkmcnt(0)
	v_mul_f64 v[2:3], v[158:159], v[164:165]
	v_fmac_f64_e32 v[2:3], v[160:161], v[162:163]
	v_add_f64 v[96:97], v[96:97], v[2:3]
	v_mul_f64 v[2:3], v[18:19], v[22:23]
	v_fma_f64 v[2:3], v[16:17], v[20:21], -v[2:3]
	v_add_f64 v[2:3], v[2:3], 0
	v_add_f64 v[2:3], v[2:3], v[12:13]
	;; [unrolled: 1-line block ×4, first 2 shown]
	v_mul_f64 v[4:5], v[38:39], v[42:43]
	v_fma_f64 v[4:5], v[36:37], v[40:41], -v[4:5]
	v_add_f64 v[2:3], v[2:3], v[4:5]
	v_mul_f64 v[4:5], v[46:47], v[50:51]
	v_fma_f64 v[4:5], v[44:45], v[48:49], -v[4:5]
	v_add_f64 v[2:3], v[2:3], v[4:5]
	;; [unrolled: 3-line block ×16, first 2 shown]
	scratch_load_dwordx4 v[2:5], off, off offset:528
	s_waitcnt vmcnt(0)
	v_add_f64 v[2:3], v[2:3], -v[6:7]
	v_add_f64 v[4:5], v[4:5], -v[96:97]
	scratch_store_dwordx4 off, v[2:5], off offset:528
	s_and_saveexec_b64 s[0:1], vcc
	s_cbranch_execz .LBB116_269
; %bb.268:
	scratch_load_dwordx4 v[2:5], off, s38
	v_mov_b32_e32 v6, 0
	v_mov_b32_e32 v7, v6
	;; [unrolled: 1-line block ×4, first 2 shown]
	v_accvgpr_read_b32 v0, a107
	scratch_store_dwordx4 off, v[6:9], off offset:512
	s_waitcnt vmcnt(1)
	ds_write_b128 v0, v[2:5]
.LBB116_269:
	s_or_b64 exec, exec, s[0:1]
	v_mov_b32_e32 v2, 0
	s_waitcnt lgkmcnt(0)
	; wave barrier
	ds_read_b128 v[16:19], v2 offset:1360
	ds_read_b128 v[12:15], v2 offset:1376
	;; [unrolled: 1-line block ×4, first 2 shown]
	scratch_load_dwordx4 v[20:23], off, off offset:528
	scratch_load_dwordx4 v[40:43], off, off offset:592
	scratch_load_dwordx4 v[72:75], off, off offset:656
	scratch_load_dwordx4 v[80:83], off, off offset:672
	scratch_load_dwordx4 v[88:91], off, off offset:688
	scratch_load_dwordx4 v[96:99], off, off offset:704
	scratch_load_dwordx4 v[106:109], off, off offset:720
	scratch_load_dwordx4 v[114:117], off, off offset:736
	scratch_load_dwordx4 v[122:125], off, off offset:752
	scratch_load_dwordx4 v[130:133], off, off offset:768
	scratch_load_dwordx4 v[138:141], off, off offset:784
	scratch_load_dwordx4 v[146:149], off, off offset:800
	scratch_load_dwordx4 v[154:157], off, off offset:816
	scratch_load_dwordx4 v[162:165], off, off offset:832
	scratch_load_dwordx4 v[170:173], off, off offset:848
	v_cmp_lt_u32_e32 vcc, 30, v240
	scratch_load_dwordx4 v[48:51], off, off offset:608
	scratch_load_dwordx4 v[56:59], off, off offset:624
	;; [unrolled: 1-line block ×3, first 2 shown]
	s_waitcnt vmcnt(17) lgkmcnt(3)
	v_mul_f64 v[24:25], v[16:17], v[22:23]
	v_fmac_f64_e32 v[24:25], v[18:19], v[20:21]
	v_add_f64 v[28:29], v[24:25], 0
	scratch_load_dwordx4 v[24:27], off, off offset:544
	v_mul_f64 v[18:19], v[18:19], v[22:23]
	v_fma_f64 v[16:17], v[16:17], v[20:21], -v[18:19]
	v_add_f64 v[16:17], v[16:17], 0
	s_waitcnt vmcnt(0) lgkmcnt(2)
	v_mul_f64 v[30:31], v[12:13], v[26:27]
	v_fmac_f64_e32 v[30:31], v[14:15], v[24:25]
	v_add_f64 v[32:33], v[28:29], v[30:31]
	scratch_load_dwordx4 v[28:31], off, off offset:560
	v_mul_f64 v[14:15], v[14:15], v[26:27]
	v_fma_f64 v[12:13], v[12:13], v[24:25], -v[14:15]
	v_add_f64 v[12:13], v[16:17], v[12:13]
	s_waitcnt vmcnt(0) lgkmcnt(1)
	v_mul_f64 v[34:35], v[8:9], v[30:31]
	v_fmac_f64_e32 v[34:35], v[10:11], v[28:29]
	v_add_f64 v[36:37], v[32:33], v[34:35]
	scratch_load_dwordx4 v[32:35], off, off offset:576
	v_mul_f64 v[10:11], v[10:11], v[30:31]
	v_fma_f64 v[8:9], v[8:9], v[28:29], -v[10:11]
	v_add_f64 v[8:9], v[12:13], v[8:9]
	s_waitcnt vmcnt(0) lgkmcnt(0)
	v_mul_f64 v[38:39], v[4:5], v[34:35]
	v_fmac_f64_e32 v[38:39], v[6:7], v[32:33]
	v_add_f64 v[44:45], v[36:37], v[38:39]
	ds_read_b128 v[36:39], v2 offset:1424
	v_mul_f64 v[6:7], v[6:7], v[34:35]
	v_fma_f64 v[4:5], v[4:5], v[32:33], -v[6:7]
	v_add_f64 v[4:5], v[8:9], v[4:5]
	s_waitcnt lgkmcnt(0)
	v_mul_f64 v[46:47], v[36:37], v[42:43]
	v_fmac_f64_e32 v[46:47], v[38:39], v[40:41]
	v_add_f64 v[52:53], v[44:45], v[46:47]
	ds_read_b128 v[44:47], v2 offset:1440
	v_mul_f64 v[6:7], v[38:39], v[42:43]
	v_fma_f64 v[6:7], v[36:37], v[40:41], -v[6:7]
	v_add_f64 v[4:5], v[4:5], v[6:7]
	s_waitcnt lgkmcnt(0)
	v_mul_f64 v[54:55], v[44:45], v[50:51]
	v_fmac_f64_e32 v[54:55], v[46:47], v[48:49]
	v_add_f64 v[60:61], v[52:53], v[54:55]
	ds_read_b128 v[52:55], v2 offset:1456
	v_mul_f64 v[6:7], v[46:47], v[50:51]
	v_fma_f64 v[6:7], v[44:45], v[48:49], -v[6:7]
	v_add_f64 v[4:5], v[4:5], v[6:7]
	s_waitcnt lgkmcnt(0)
	v_mul_f64 v[62:63], v[52:53], v[58:59]
	v_fmac_f64_e32 v[62:63], v[54:55], v[56:57]
	v_add_f64 v[68:69], v[60:61], v[62:63]
	ds_read_b128 v[60:63], v2 offset:1472
	v_mul_f64 v[6:7], v[54:55], v[58:59]
	v_fma_f64 v[6:7], v[52:53], v[56:57], -v[6:7]
	v_add_f64 v[4:5], v[4:5], v[6:7]
	s_waitcnt lgkmcnt(0)
	v_mul_f64 v[70:71], v[60:61], v[66:67]
	v_fmac_f64_e32 v[70:71], v[62:63], v[64:65]
	v_add_f64 v[76:77], v[68:69], v[70:71]
	ds_read_b128 v[68:71], v2 offset:1488
	v_mul_f64 v[6:7], v[62:63], v[66:67]
	v_fma_f64 v[6:7], v[60:61], v[64:65], -v[6:7]
	v_add_f64 v[4:5], v[4:5], v[6:7]
	s_waitcnt lgkmcnt(0)
	v_mul_f64 v[78:79], v[68:69], v[74:75]
	v_fmac_f64_e32 v[78:79], v[70:71], v[72:73]
	v_add_f64 v[84:85], v[76:77], v[78:79]
	ds_read_b128 v[76:79], v2 offset:1504
	v_mul_f64 v[6:7], v[70:71], v[74:75]
	v_fma_f64 v[6:7], v[68:69], v[72:73], -v[6:7]
	v_add_f64 v[4:5], v[4:5], v[6:7]
	s_waitcnt lgkmcnt(0)
	v_mul_f64 v[86:87], v[76:77], v[82:83]
	v_fmac_f64_e32 v[86:87], v[78:79], v[80:81]
	v_add_f64 v[92:93], v[84:85], v[86:87]
	ds_read_b128 v[84:87], v2 offset:1520
	v_mul_f64 v[6:7], v[78:79], v[82:83]
	v_fma_f64 v[6:7], v[76:77], v[80:81], -v[6:7]
	v_add_f64 v[4:5], v[4:5], v[6:7]
	s_waitcnt lgkmcnt(0)
	v_mul_f64 v[94:95], v[84:85], v[90:91]
	v_fmac_f64_e32 v[94:95], v[86:87], v[88:89]
	v_add_f64 v[100:101], v[92:93], v[94:95]
	ds_read_b128 v[92:95], v2 offset:1536
	v_mul_f64 v[6:7], v[86:87], v[90:91]
	v_fma_f64 v[6:7], v[84:85], v[88:89], -v[6:7]
	v_add_f64 v[4:5], v[4:5], v[6:7]
	s_waitcnt lgkmcnt(0)
	v_mul_f64 v[102:103], v[92:93], v[98:99]
	v_fmac_f64_e32 v[102:103], v[94:95], v[96:97]
	v_add_f64 v[104:105], v[100:101], v[102:103]
	ds_read_b128 v[100:103], v2 offset:1552
	v_mul_f64 v[6:7], v[94:95], v[98:99]
	v_fma_f64 v[6:7], v[92:93], v[96:97], -v[6:7]
	v_add_f64 v[4:5], v[4:5], v[6:7]
	s_waitcnt lgkmcnt(0)
	v_mul_f64 v[110:111], v[100:101], v[108:109]
	v_fmac_f64_e32 v[110:111], v[102:103], v[106:107]
	v_add_f64 v[104:105], v[104:105], v[110:111]
	ds_read_b128 v[110:113], v2 offset:1568
	v_mul_f64 v[6:7], v[102:103], v[108:109]
	v_fma_f64 v[6:7], v[100:101], v[106:107], -v[6:7]
	v_add_f64 v[4:5], v[4:5], v[6:7]
	s_waitcnt lgkmcnt(0)
	v_mul_f64 v[118:119], v[110:111], v[116:117]
	v_fmac_f64_e32 v[118:119], v[112:113], v[114:115]
	v_add_f64 v[104:105], v[104:105], v[118:119]
	ds_read_b128 v[118:121], v2 offset:1584
	v_mul_f64 v[6:7], v[112:113], v[116:117]
	v_fma_f64 v[6:7], v[110:111], v[114:115], -v[6:7]
	v_add_f64 v[4:5], v[4:5], v[6:7]
	s_waitcnt lgkmcnt(0)
	v_mul_f64 v[126:127], v[118:119], v[124:125]
	v_fmac_f64_e32 v[126:127], v[120:121], v[122:123]
	v_add_f64 v[104:105], v[104:105], v[126:127]
	ds_read_b128 v[126:129], v2 offset:1600
	v_mul_f64 v[6:7], v[120:121], v[124:125]
	v_fma_f64 v[6:7], v[118:119], v[122:123], -v[6:7]
	v_add_f64 v[4:5], v[4:5], v[6:7]
	s_waitcnt lgkmcnt(0)
	v_mul_f64 v[134:135], v[126:127], v[132:133]
	v_fmac_f64_e32 v[134:135], v[128:129], v[130:131]
	v_add_f64 v[104:105], v[104:105], v[134:135]
	ds_read_b128 v[134:137], v2 offset:1616
	v_mul_f64 v[6:7], v[128:129], v[132:133]
	v_fma_f64 v[6:7], v[126:127], v[130:131], -v[6:7]
	v_add_f64 v[4:5], v[4:5], v[6:7]
	s_waitcnt lgkmcnt(0)
	v_mul_f64 v[142:143], v[134:135], v[140:141]
	v_fmac_f64_e32 v[142:143], v[136:137], v[138:139]
	v_add_f64 v[104:105], v[104:105], v[142:143]
	ds_read_b128 v[142:145], v2 offset:1632
	v_mul_f64 v[6:7], v[136:137], v[140:141]
	v_fma_f64 v[6:7], v[134:135], v[138:139], -v[6:7]
	v_add_f64 v[4:5], v[4:5], v[6:7]
	s_waitcnt lgkmcnt(0)
	v_mul_f64 v[150:151], v[142:143], v[148:149]
	v_fmac_f64_e32 v[150:151], v[144:145], v[146:147]
	v_add_f64 v[104:105], v[104:105], v[150:151]
	ds_read_b128 v[150:153], v2 offset:1648
	v_mul_f64 v[6:7], v[144:145], v[148:149]
	v_fma_f64 v[6:7], v[142:143], v[146:147], -v[6:7]
	v_add_f64 v[4:5], v[4:5], v[6:7]
	s_waitcnt lgkmcnt(0)
	v_mul_f64 v[158:159], v[150:151], v[156:157]
	v_fmac_f64_e32 v[158:159], v[152:153], v[154:155]
	v_add_f64 v[104:105], v[104:105], v[158:159]
	ds_read_b128 v[158:161], v2 offset:1664
	v_mul_f64 v[6:7], v[152:153], v[156:157]
	v_fma_f64 v[6:7], v[150:151], v[154:155], -v[6:7]
	v_add_f64 v[4:5], v[4:5], v[6:7]
	s_waitcnt lgkmcnt(0)
	v_mul_f64 v[166:167], v[158:159], v[164:165]
	v_fmac_f64_e32 v[166:167], v[160:161], v[162:163]
	v_add_f64 v[104:105], v[104:105], v[166:167]
	ds_read_b128 v[166:169], v2 offset:1680
	v_mul_f64 v[6:7], v[160:161], v[164:165]
	v_fma_f64 v[6:7], v[158:159], v[162:163], -v[6:7]
	v_add_f64 v[4:5], v[4:5], v[6:7]
	s_waitcnt lgkmcnt(0)
	v_mul_f64 v[6:7], v[168:169], v[172:173]
	v_fma_f64 v[6:7], v[166:167], v[170:171], -v[6:7]
	v_add_f64 v[8:9], v[4:5], v[6:7]
	scratch_load_dwordx4 v[4:7], off, off offset:512
	v_mul_f64 v[174:175], v[166:167], v[172:173]
	v_fmac_f64_e32 v[174:175], v[168:169], v[170:171]
	v_add_f64 v[104:105], v[104:105], v[174:175]
	s_waitcnt vmcnt(0)
	v_add_f64 v[4:5], v[4:5], -v[8:9]
	v_add_f64 v[6:7], v[6:7], -v[104:105]
	scratch_store_dwordx4 off, v[4:7], off offset:512
	s_and_saveexec_b64 s[0:1], vcc
	s_cbranch_execz .LBB116_271
; %bb.270:
	scratch_load_dwordx4 v[6:9], off, s39
	v_mov_b32_e32 v3, v2
	v_mov_b32_e32 v4, v2
	;; [unrolled: 1-line block ×3, first 2 shown]
	v_accvgpr_read_b32 v0, a107
	scratch_store_dwordx4 off, v[2:5], off offset:496
	s_waitcnt vmcnt(1)
	ds_write_b128 v0, v[6:9]
.LBB116_271:
	s_or_b64 exec, exec, s[0:1]
	s_waitcnt lgkmcnt(0)
	; wave barrier
	ds_read_b128 v[16:19], v2 offset:1344
	ds_read_b128 v[12:15], v2 offset:1360
	;; [unrolled: 1-line block ×4, first 2 shown]
	scratch_load_dwordx4 v[20:23], off, off offset:512
	scratch_load_dwordx4 v[40:43], off, off offset:576
	scratch_load_dwordx4 v[72:75], off, off offset:640
	scratch_load_dwordx4 v[80:83], off, off offset:656
	scratch_load_dwordx4 v[88:91], off, off offset:672
	scratch_load_dwordx4 v[96:99], off, off offset:688
	scratch_load_dwordx4 v[104:107], off, off offset:704
	scratch_load_dwordx4 v[112:115], off, off offset:720
	scratch_load_dwordx4 v[122:125], off, off offset:736
	scratch_load_dwordx4 v[130:133], off, off offset:752
	scratch_load_dwordx4 v[138:141], off, off offset:768
	scratch_load_dwordx4 v[146:149], off, off offset:784
	scratch_load_dwordx4 v[154:157], off, off offset:800
	scratch_load_dwordx4 v[162:165], off, off offset:816
	scratch_load_dwordx4 v[170:173], off, off offset:832
	scratch_load_dwordx4 v[178:181], off, off offset:848
	v_cmp_lt_u32_e32 vcc, 29, v240
	scratch_load_dwordx4 v[48:51], off, off offset:592
	scratch_load_dwordx4 v[56:59], off, off offset:608
	;; [unrolled: 1-line block ×3, first 2 shown]
	s_waitcnt vmcnt(18) lgkmcnt(3)
	v_mul_f64 v[24:25], v[16:17], v[22:23]
	v_fmac_f64_e32 v[24:25], v[18:19], v[20:21]
	v_add_f64 v[28:29], v[24:25], 0
	scratch_load_dwordx4 v[24:27], off, off offset:528
	s_waitcnt vmcnt(0) lgkmcnt(2)
	v_mul_f64 v[30:31], v[12:13], v[26:27]
	v_fmac_f64_e32 v[30:31], v[14:15], v[24:25]
	v_add_f64 v[32:33], v[28:29], v[30:31]
	scratch_load_dwordx4 v[28:31], off, off offset:544
	v_mul_f64 v[14:15], v[14:15], v[26:27]
	v_fma_f64 v[12:13], v[12:13], v[24:25], -v[14:15]
	s_waitcnt vmcnt(0) lgkmcnt(1)
	v_mul_f64 v[34:35], v[8:9], v[30:31]
	v_fmac_f64_e32 v[34:35], v[10:11], v[28:29]
	v_add_f64 v[36:37], v[32:33], v[34:35]
	scratch_load_dwordx4 v[32:35], off, off offset:560
	v_mul_f64 v[10:11], v[10:11], v[30:31]
	v_fma_f64 v[8:9], v[8:9], v[28:29], -v[10:11]
	s_waitcnt vmcnt(0) lgkmcnt(0)
	v_mul_f64 v[38:39], v[4:5], v[34:35]
	v_fmac_f64_e32 v[38:39], v[6:7], v[32:33]
	v_add_f64 v[44:45], v[36:37], v[38:39]
	ds_read_b128 v[36:39], v2 offset:1408
	v_mul_f64 v[6:7], v[6:7], v[34:35]
	v_fma_f64 v[4:5], v[4:5], v[32:33], -v[6:7]
	s_waitcnt lgkmcnt(0)
	v_mul_f64 v[46:47], v[36:37], v[42:43]
	v_fmac_f64_e32 v[46:47], v[38:39], v[40:41]
	v_add_f64 v[52:53], v[44:45], v[46:47]
	ds_read_b128 v[44:47], v2 offset:1424
	s_waitcnt lgkmcnt(0)
	v_mul_f64 v[54:55], v[44:45], v[50:51]
	v_fmac_f64_e32 v[54:55], v[46:47], v[48:49]
	v_add_f64 v[60:61], v[52:53], v[54:55]
	ds_read_b128 v[52:55], v2 offset:1440
	;; [unrolled: 5-line block ×17, first 2 shown]
	s_waitcnt lgkmcnt(0)
	v_mul_f64 v[2:3], v[174:175], v[180:181]
	v_fmac_f64_e32 v[2:3], v[176:177], v[178:179]
	v_add_f64 v[120:121], v[120:121], v[2:3]
	v_mul_f64 v[2:3], v[18:19], v[22:23]
	v_fma_f64 v[2:3], v[16:17], v[20:21], -v[2:3]
	v_add_f64 v[2:3], v[2:3], 0
	v_add_f64 v[2:3], v[2:3], v[12:13]
	;; [unrolled: 1-line block ×4, first 2 shown]
	v_mul_f64 v[4:5], v[38:39], v[42:43]
	v_fma_f64 v[4:5], v[36:37], v[40:41], -v[4:5]
	v_add_f64 v[2:3], v[2:3], v[4:5]
	v_mul_f64 v[4:5], v[46:47], v[50:51]
	v_fma_f64 v[4:5], v[44:45], v[48:49], -v[4:5]
	v_add_f64 v[2:3], v[2:3], v[4:5]
	;; [unrolled: 3-line block ×18, first 2 shown]
	scratch_load_dwordx4 v[2:5], off, off offset:496
	s_waitcnt vmcnt(0)
	v_add_f64 v[2:3], v[2:3], -v[6:7]
	v_add_f64 v[4:5], v[4:5], -v[120:121]
	scratch_store_dwordx4 off, v[2:5], off offset:496
	s_and_saveexec_b64 s[0:1], vcc
	s_cbranch_execz .LBB116_273
; %bb.272:
	scratch_load_dwordx4 v[2:5], off, s40
	v_mov_b32_e32 v6, 0
	v_mov_b32_e32 v7, v6
	;; [unrolled: 1-line block ×4, first 2 shown]
	v_accvgpr_read_b32 v0, a107
	scratch_store_dwordx4 off, v[6:9], off offset:480
	s_waitcnt vmcnt(1)
	ds_write_b128 v0, v[2:5]
.LBB116_273:
	s_or_b64 exec, exec, s[0:1]
	v_mov_b32_e32 v2, 0
	s_waitcnt lgkmcnt(0)
	; wave barrier
	ds_read_b128 v[16:19], v2 offset:1328
	ds_read_b128 v[12:15], v2 offset:1344
	;; [unrolled: 1-line block ×4, first 2 shown]
	scratch_load_dwordx4 v[20:23], off, off offset:496
	scratch_load_dwordx4 v[40:43], off, off offset:560
	;; [unrolled: 1-line block ×17, first 2 shown]
	v_cmp_lt_u32_e32 vcc, 28, v240
	scratch_load_dwordx4 v[48:51], off, off offset:576
	scratch_load_dwordx4 v[56:59], off, off offset:592
	;; [unrolled: 1-line block ×3, first 2 shown]
	s_waitcnt vmcnt(19) lgkmcnt(3)
	v_mul_f64 v[24:25], v[16:17], v[22:23]
	v_fmac_f64_e32 v[24:25], v[18:19], v[20:21]
	v_add_f64 v[28:29], v[24:25], 0
	scratch_load_dwordx4 v[24:27], off, off offset:512
	v_mul_f64 v[18:19], v[18:19], v[22:23]
	v_fma_f64 v[16:17], v[16:17], v[20:21], -v[18:19]
	v_add_f64 v[16:17], v[16:17], 0
	s_waitcnt vmcnt(0) lgkmcnt(2)
	v_mul_f64 v[30:31], v[12:13], v[26:27]
	v_fmac_f64_e32 v[30:31], v[14:15], v[24:25]
	v_add_f64 v[32:33], v[28:29], v[30:31]
	scratch_load_dwordx4 v[28:31], off, off offset:528
	v_mul_f64 v[14:15], v[14:15], v[26:27]
	v_fma_f64 v[12:13], v[12:13], v[24:25], -v[14:15]
	v_add_f64 v[12:13], v[16:17], v[12:13]
	;; [unrolled: 8-line block ×3, first 2 shown]
	s_waitcnt vmcnt(0) lgkmcnt(0)
	v_mul_f64 v[38:39], v[4:5], v[34:35]
	v_fmac_f64_e32 v[38:39], v[6:7], v[32:33]
	v_add_f64 v[44:45], v[36:37], v[38:39]
	ds_read_b128 v[36:39], v2 offset:1392
	v_mul_f64 v[6:7], v[6:7], v[34:35]
	v_fma_f64 v[4:5], v[4:5], v[32:33], -v[6:7]
	v_add_f64 v[4:5], v[8:9], v[4:5]
	s_waitcnt lgkmcnt(0)
	v_mul_f64 v[46:47], v[36:37], v[42:43]
	v_fmac_f64_e32 v[46:47], v[38:39], v[40:41]
	v_add_f64 v[52:53], v[44:45], v[46:47]
	ds_read_b128 v[44:47], v2 offset:1408
	v_mul_f64 v[6:7], v[38:39], v[42:43]
	v_fma_f64 v[6:7], v[36:37], v[40:41], -v[6:7]
	v_add_f64 v[4:5], v[4:5], v[6:7]
	s_waitcnt lgkmcnt(0)
	;; [unrolled: 8-line block ×19, first 2 shown]
	v_mul_f64 v[6:7], v[184:185], v[188:189]
	v_fma_f64 v[6:7], v[182:183], v[186:187], -v[6:7]
	v_add_f64 v[8:9], v[4:5], v[6:7]
	scratch_load_dwordx4 v[4:7], off, off offset:480
	v_mul_f64 v[190:191], v[182:183], v[188:189]
	v_fmac_f64_e32 v[190:191], v[184:185], v[186:187]
	v_add_f64 v[128:129], v[128:129], v[190:191]
	s_waitcnt vmcnt(0)
	v_add_f64 v[4:5], v[4:5], -v[8:9]
	v_add_f64 v[6:7], v[6:7], -v[128:129]
	scratch_store_dwordx4 off, v[4:7], off offset:480
	s_and_saveexec_b64 s[0:1], vcc
	s_cbranch_execz .LBB116_275
; %bb.274:
	scratch_load_dwordx4 v[6:9], off, s41
	v_mov_b32_e32 v3, v2
	v_mov_b32_e32 v4, v2
	;; [unrolled: 1-line block ×3, first 2 shown]
	v_accvgpr_read_b32 v0, a107
	scratch_store_dwordx4 off, v[2:5], off offset:464
	s_waitcnt vmcnt(1)
	ds_write_b128 v0, v[6:9]
.LBB116_275:
	s_or_b64 exec, exec, s[0:1]
	s_waitcnt lgkmcnt(0)
	; wave barrier
	ds_read_b128 v[16:19], v2 offset:1312
	ds_read_b128 v[12:15], v2 offset:1328
	;; [unrolled: 1-line block ×4, first 2 shown]
	scratch_load_dwordx4 v[20:23], off, off offset:480
	scratch_load_dwordx4 v[40:43], off, off offset:544
	;; [unrolled: 1-line block ×18, first 2 shown]
	v_cmp_lt_u32_e32 vcc, 27, v240
	scratch_load_dwordx4 v[48:51], off, off offset:560
	scratch_load_dwordx4 v[56:59], off, off offset:576
	;; [unrolled: 1-line block ×3, first 2 shown]
	s_waitcnt vmcnt(20) lgkmcnt(3)
	v_mul_f64 v[24:25], v[16:17], v[22:23]
	v_fmac_f64_e32 v[24:25], v[18:19], v[20:21]
	v_add_f64 v[28:29], v[24:25], 0
	scratch_load_dwordx4 v[24:27], off, off offset:496
	s_waitcnt vmcnt(0) lgkmcnt(2)
	v_mul_f64 v[30:31], v[12:13], v[26:27]
	v_fmac_f64_e32 v[30:31], v[14:15], v[24:25]
	v_add_f64 v[32:33], v[28:29], v[30:31]
	scratch_load_dwordx4 v[28:31], off, off offset:512
	v_mul_f64 v[14:15], v[14:15], v[26:27]
	v_fma_f64 v[12:13], v[12:13], v[24:25], -v[14:15]
	s_waitcnt vmcnt(0) lgkmcnt(1)
	v_mul_f64 v[34:35], v[8:9], v[30:31]
	v_fmac_f64_e32 v[34:35], v[10:11], v[28:29]
	v_add_f64 v[36:37], v[32:33], v[34:35]
	scratch_load_dwordx4 v[32:35], off, off offset:528
	v_mul_f64 v[10:11], v[10:11], v[30:31]
	v_fma_f64 v[8:9], v[8:9], v[28:29], -v[10:11]
	s_waitcnt vmcnt(0) lgkmcnt(0)
	v_mul_f64 v[38:39], v[4:5], v[34:35]
	v_fmac_f64_e32 v[38:39], v[6:7], v[32:33]
	v_add_f64 v[44:45], v[36:37], v[38:39]
	ds_read_b128 v[36:39], v2 offset:1376
	v_mul_f64 v[6:7], v[6:7], v[34:35]
	v_fma_f64 v[4:5], v[4:5], v[32:33], -v[6:7]
	s_waitcnt lgkmcnt(0)
	v_mul_f64 v[46:47], v[36:37], v[42:43]
	v_fmac_f64_e32 v[46:47], v[38:39], v[40:41]
	v_add_f64 v[52:53], v[44:45], v[46:47]
	ds_read_b128 v[44:47], v2 offset:1392
	s_waitcnt lgkmcnt(0)
	v_mul_f64 v[54:55], v[44:45], v[50:51]
	v_fmac_f64_e32 v[54:55], v[46:47], v[48:49]
	v_add_f64 v[60:61], v[52:53], v[54:55]
	ds_read_b128 v[52:55], v2 offset:1408
	;; [unrolled: 5-line block ×19, first 2 shown]
	s_waitcnt lgkmcnt(0)
	v_mul_f64 v[2:3], v[190:191], v[196:197]
	v_fmac_f64_e32 v[2:3], v[192:193], v[194:195]
	v_add_f64 v[148:149], v[148:149], v[2:3]
	v_mul_f64 v[2:3], v[18:19], v[22:23]
	v_fma_f64 v[2:3], v[16:17], v[20:21], -v[2:3]
	v_add_f64 v[2:3], v[2:3], 0
	v_add_f64 v[2:3], v[2:3], v[12:13]
	;; [unrolled: 1-line block ×4, first 2 shown]
	v_mul_f64 v[4:5], v[38:39], v[42:43]
	v_fma_f64 v[4:5], v[36:37], v[40:41], -v[4:5]
	v_add_f64 v[2:3], v[2:3], v[4:5]
	v_mul_f64 v[4:5], v[46:47], v[50:51]
	v_fma_f64 v[4:5], v[44:45], v[48:49], -v[4:5]
	v_add_f64 v[2:3], v[2:3], v[4:5]
	;; [unrolled: 3-line block ×20, first 2 shown]
	scratch_load_dwordx4 v[2:5], off, off offset:464
	s_waitcnt vmcnt(0)
	v_add_f64 v[2:3], v[2:3], -v[6:7]
	v_add_f64 v[4:5], v[4:5], -v[148:149]
	scratch_store_dwordx4 off, v[2:5], off offset:464
	s_and_saveexec_b64 s[0:1], vcc
	s_cbranch_execz .LBB116_277
; %bb.276:
	scratch_load_dwordx4 v[2:5], off, s42
	v_mov_b32_e32 v6, 0
	v_mov_b32_e32 v7, v6
	;; [unrolled: 1-line block ×4, first 2 shown]
	v_accvgpr_read_b32 v0, a107
	scratch_store_dwordx4 off, v[6:9], off offset:448
	s_waitcnt vmcnt(1)
	ds_write_b128 v0, v[2:5]
.LBB116_277:
	s_or_b64 exec, exec, s[0:1]
	v_mov_b32_e32 v2, 0
	s_waitcnt lgkmcnt(0)
	; wave barrier
	ds_read_b128 v[16:19], v2 offset:1296
	ds_read_b128 v[12:15], v2 offset:1312
	;; [unrolled: 1-line block ×4, first 2 shown]
	scratch_load_dwordx4 v[20:23], off, off offset:464
	scratch_load_dwordx4 v[40:43], off, off offset:528
	;; [unrolled: 1-line block ×19, first 2 shown]
	v_cmp_lt_u32_e32 vcc, 26, v240
	scratch_load_dwordx4 v[48:51], off, off offset:544
	scratch_load_dwordx4 v[56:59], off, off offset:560
	;; [unrolled: 1-line block ×3, first 2 shown]
	s_waitcnt vmcnt(21) lgkmcnt(3)
	v_mul_f64 v[24:25], v[16:17], v[22:23]
	v_fmac_f64_e32 v[24:25], v[18:19], v[20:21]
	v_add_f64 v[28:29], v[24:25], 0
	scratch_load_dwordx4 v[24:27], off, off offset:480
	v_mul_f64 v[18:19], v[18:19], v[22:23]
	v_fma_f64 v[16:17], v[16:17], v[20:21], -v[18:19]
	v_add_f64 v[16:17], v[16:17], 0
	s_waitcnt vmcnt(0) lgkmcnt(2)
	v_mul_f64 v[30:31], v[12:13], v[26:27]
	v_fmac_f64_e32 v[30:31], v[14:15], v[24:25]
	v_add_f64 v[32:33], v[28:29], v[30:31]
	scratch_load_dwordx4 v[28:31], off, off offset:496
	v_mul_f64 v[14:15], v[14:15], v[26:27]
	v_fma_f64 v[12:13], v[12:13], v[24:25], -v[14:15]
	v_add_f64 v[12:13], v[16:17], v[12:13]
	;; [unrolled: 8-line block ×3, first 2 shown]
	s_waitcnt vmcnt(0) lgkmcnt(0)
	v_mul_f64 v[38:39], v[4:5], v[34:35]
	v_fmac_f64_e32 v[38:39], v[6:7], v[32:33]
	v_add_f64 v[44:45], v[36:37], v[38:39]
	ds_read_b128 v[36:39], v2 offset:1360
	v_mul_f64 v[6:7], v[6:7], v[34:35]
	v_fma_f64 v[4:5], v[4:5], v[32:33], -v[6:7]
	v_add_f64 v[4:5], v[8:9], v[4:5]
	s_waitcnt lgkmcnt(0)
	v_mul_f64 v[46:47], v[36:37], v[42:43]
	v_fmac_f64_e32 v[46:47], v[38:39], v[40:41]
	v_add_f64 v[52:53], v[44:45], v[46:47]
	ds_read_b128 v[44:47], v2 offset:1376
	v_mul_f64 v[6:7], v[38:39], v[42:43]
	v_fma_f64 v[6:7], v[36:37], v[40:41], -v[6:7]
	v_add_f64 v[4:5], v[4:5], v[6:7]
	s_waitcnt lgkmcnt(0)
	;; [unrolled: 8-line block ×21, first 2 shown]
	v_mul_f64 v[6:7], v[200:201], v[204:205]
	v_fma_f64 v[6:7], v[198:199], v[202:203], -v[6:7]
	v_add_f64 v[8:9], v[4:5], v[6:7]
	scratch_load_dwordx4 v[4:7], off, off offset:448
	v_mul_f64 v[206:207], v[198:199], v[204:205]
	v_fmac_f64_e32 v[206:207], v[200:201], v[202:203]
	v_add_f64 v[144:145], v[144:145], v[206:207]
	s_waitcnt vmcnt(0)
	v_add_f64 v[4:5], v[4:5], -v[8:9]
	v_add_f64 v[6:7], v[6:7], -v[144:145]
	scratch_store_dwordx4 off, v[4:7], off offset:448
	s_and_saveexec_b64 s[0:1], vcc
	s_cbranch_execz .LBB116_279
; %bb.278:
	scratch_load_dwordx4 v[6:9], off, s43
	v_mov_b32_e32 v3, v2
	v_mov_b32_e32 v4, v2
	;; [unrolled: 1-line block ×3, first 2 shown]
	v_accvgpr_read_b32 v0, a107
	scratch_store_dwordx4 off, v[2:5], off offset:432
	s_waitcnt vmcnt(1)
	ds_write_b128 v0, v[6:9]
.LBB116_279:
	s_or_b64 exec, exec, s[0:1]
	s_waitcnt lgkmcnt(0)
	; wave barrier
	ds_read_b128 v[16:19], v2 offset:1280
	ds_read_b128 v[12:15], v2 offset:1296
	;; [unrolled: 1-line block ×4, first 2 shown]
	scratch_load_dwordx4 v[20:23], off, off offset:448
	scratch_load_dwordx4 v[40:43], off, off offset:512
	;; [unrolled: 1-line block ×20, first 2 shown]
	v_cmp_lt_u32_e32 vcc, 25, v240
	scratch_load_dwordx4 v[48:51], off, off offset:528
	scratch_load_dwordx4 v[56:59], off, off offset:544
	;; [unrolled: 1-line block ×3, first 2 shown]
	s_waitcnt vmcnt(22) lgkmcnt(3)
	v_mul_f64 v[24:25], v[16:17], v[22:23]
	v_fmac_f64_e32 v[24:25], v[18:19], v[20:21]
	v_add_f64 v[28:29], v[24:25], 0
	scratch_load_dwordx4 v[24:27], off, off offset:464
	s_waitcnt vmcnt(0) lgkmcnt(2)
	v_mul_f64 v[30:31], v[12:13], v[26:27]
	v_fmac_f64_e32 v[30:31], v[14:15], v[24:25]
	v_add_f64 v[32:33], v[28:29], v[30:31]
	scratch_load_dwordx4 v[28:31], off, off offset:480
	v_mul_f64 v[14:15], v[14:15], v[26:27]
	v_fma_f64 v[12:13], v[12:13], v[24:25], -v[14:15]
	s_waitcnt vmcnt(0) lgkmcnt(1)
	v_mul_f64 v[34:35], v[8:9], v[30:31]
	v_fmac_f64_e32 v[34:35], v[10:11], v[28:29]
	v_add_f64 v[36:37], v[32:33], v[34:35]
	scratch_load_dwordx4 v[32:35], off, off offset:496
	v_mul_f64 v[10:11], v[10:11], v[30:31]
	v_fma_f64 v[8:9], v[8:9], v[28:29], -v[10:11]
	s_waitcnt vmcnt(0) lgkmcnt(0)
	v_mul_f64 v[38:39], v[4:5], v[34:35]
	v_fmac_f64_e32 v[38:39], v[6:7], v[32:33]
	v_add_f64 v[44:45], v[36:37], v[38:39]
	ds_read_b128 v[36:39], v2 offset:1344
	v_mul_f64 v[6:7], v[6:7], v[34:35]
	v_fma_f64 v[4:5], v[4:5], v[32:33], -v[6:7]
	s_waitcnt lgkmcnt(0)
	v_mul_f64 v[46:47], v[36:37], v[42:43]
	v_fmac_f64_e32 v[46:47], v[38:39], v[40:41]
	v_add_f64 v[52:53], v[44:45], v[46:47]
	ds_read_b128 v[44:47], v2 offset:1360
	s_waitcnt lgkmcnt(0)
	v_mul_f64 v[54:55], v[44:45], v[50:51]
	v_fmac_f64_e32 v[54:55], v[46:47], v[48:49]
	v_add_f64 v[60:61], v[52:53], v[54:55]
	ds_read_b128 v[52:55], v2 offset:1376
	;; [unrolled: 5-line block ×21, first 2 shown]
	s_waitcnt lgkmcnt(0)
	v_mul_f64 v[2:3], v[206:207], v[212:213]
	v_fmac_f64_e32 v[2:3], v[208:209], v[210:211]
	v_add_f64 v[168:169], v[168:169], v[2:3]
	v_mul_f64 v[2:3], v[18:19], v[22:23]
	v_fma_f64 v[2:3], v[16:17], v[20:21], -v[2:3]
	v_add_f64 v[2:3], v[2:3], 0
	v_add_f64 v[2:3], v[2:3], v[12:13]
	;; [unrolled: 1-line block ×4, first 2 shown]
	v_mul_f64 v[4:5], v[38:39], v[42:43]
	v_fma_f64 v[4:5], v[36:37], v[40:41], -v[4:5]
	v_add_f64 v[2:3], v[2:3], v[4:5]
	v_mul_f64 v[4:5], v[46:47], v[50:51]
	v_fma_f64 v[4:5], v[44:45], v[48:49], -v[4:5]
	v_add_f64 v[2:3], v[2:3], v[4:5]
	;; [unrolled: 3-line block ×22, first 2 shown]
	scratch_load_dwordx4 v[2:5], off, off offset:432
	s_waitcnt vmcnt(0)
	v_add_f64 v[2:3], v[2:3], -v[6:7]
	v_add_f64 v[4:5], v[4:5], -v[168:169]
	scratch_store_dwordx4 off, v[2:5], off offset:432
	s_and_saveexec_b64 s[0:1], vcc
	s_cbranch_execz .LBB116_281
; %bb.280:
	scratch_load_dwordx4 v[2:5], off, s44
	v_mov_b32_e32 v6, 0
	v_mov_b32_e32 v7, v6
	;; [unrolled: 1-line block ×4, first 2 shown]
	v_accvgpr_read_b32 v0, a107
	scratch_store_dwordx4 off, v[6:9], off offset:416
	s_waitcnt vmcnt(1)
	ds_write_b128 v0, v[2:5]
.LBB116_281:
	s_or_b64 exec, exec, s[0:1]
	v_mov_b32_e32 v2, 0
	s_waitcnt lgkmcnt(0)
	; wave barrier
	ds_read_b128 v[16:19], v2 offset:1264
	ds_read_b128 v[12:15], v2 offset:1280
	;; [unrolled: 1-line block ×4, first 2 shown]
	scratch_load_dwordx4 v[20:23], off, off offset:432
	scratch_load_dwordx4 v[40:43], off, off offset:496
	;; [unrolled: 1-line block ×21, first 2 shown]
	v_cmp_lt_u32_e32 vcc, 24, v240
	scratch_load_dwordx4 v[48:51], off, off offset:512
	scratch_load_dwordx4 v[56:59], off, off offset:528
	;; [unrolled: 1-line block ×3, first 2 shown]
	s_waitcnt vmcnt(23) lgkmcnt(3)
	v_mul_f64 v[24:25], v[16:17], v[22:23]
	v_fmac_f64_e32 v[24:25], v[18:19], v[20:21]
	v_add_f64 v[28:29], v[24:25], 0
	scratch_load_dwordx4 v[24:27], off, off offset:448
	v_mul_f64 v[18:19], v[18:19], v[22:23]
	v_fma_f64 v[16:17], v[16:17], v[20:21], -v[18:19]
	v_add_f64 v[16:17], v[16:17], 0
	s_waitcnt vmcnt(0) lgkmcnt(2)
	v_mul_f64 v[30:31], v[12:13], v[26:27]
	v_fmac_f64_e32 v[30:31], v[14:15], v[24:25]
	v_add_f64 v[32:33], v[28:29], v[30:31]
	scratch_load_dwordx4 v[28:31], off, off offset:464
	v_mul_f64 v[14:15], v[14:15], v[26:27]
	v_fma_f64 v[12:13], v[12:13], v[24:25], -v[14:15]
	v_add_f64 v[12:13], v[16:17], v[12:13]
	;; [unrolled: 8-line block ×3, first 2 shown]
	s_waitcnt vmcnt(0) lgkmcnt(0)
	v_mul_f64 v[38:39], v[4:5], v[34:35]
	v_fmac_f64_e32 v[38:39], v[6:7], v[32:33]
	v_add_f64 v[44:45], v[36:37], v[38:39]
	ds_read_b128 v[36:39], v2 offset:1328
	v_mul_f64 v[6:7], v[6:7], v[34:35]
	v_fma_f64 v[4:5], v[4:5], v[32:33], -v[6:7]
	v_add_f64 v[4:5], v[8:9], v[4:5]
	s_waitcnt lgkmcnt(0)
	v_mul_f64 v[46:47], v[36:37], v[42:43]
	v_fmac_f64_e32 v[46:47], v[38:39], v[40:41]
	v_add_f64 v[52:53], v[44:45], v[46:47]
	ds_read_b128 v[44:47], v2 offset:1344
	v_mul_f64 v[6:7], v[38:39], v[42:43]
	v_fma_f64 v[6:7], v[36:37], v[40:41], -v[6:7]
	v_add_f64 v[4:5], v[4:5], v[6:7]
	s_waitcnt lgkmcnt(0)
	;; [unrolled: 8-line block ×23, first 2 shown]
	v_mul_f64 v[6:7], v[216:217], v[220:221]
	v_fma_f64 v[6:7], v[214:215], v[218:219], -v[6:7]
	v_add_f64 v[8:9], v[4:5], v[6:7]
	scratch_load_dwordx4 v[4:7], off, off offset:416
	v_mul_f64 v[222:223], v[214:215], v[220:221]
	v_fmac_f64_e32 v[222:223], v[216:217], v[218:219]
	v_add_f64 v[160:161], v[160:161], v[222:223]
	s_waitcnt vmcnt(0)
	v_add_f64 v[4:5], v[4:5], -v[8:9]
	v_add_f64 v[6:7], v[6:7], -v[160:161]
	scratch_store_dwordx4 off, v[4:7], off offset:416
	s_and_saveexec_b64 s[0:1], vcc
	s_cbranch_execz .LBB116_283
; %bb.282:
	scratch_load_dwordx4 v[6:9], off, s45
	v_mov_b32_e32 v3, v2
	v_mov_b32_e32 v4, v2
	;; [unrolled: 1-line block ×3, first 2 shown]
	v_accvgpr_read_b32 v0, a107
	scratch_store_dwordx4 off, v[2:5], off offset:400
	s_waitcnt vmcnt(1)
	ds_write_b128 v0, v[6:9]
.LBB116_283:
	s_or_b64 exec, exec, s[0:1]
	s_waitcnt lgkmcnt(0)
	; wave barrier
	ds_read_b128 v[16:19], v2 offset:1248
	ds_read_b128 v[12:15], v2 offset:1264
	;; [unrolled: 1-line block ×4, first 2 shown]
	scratch_load_dwordx4 v[20:23], off, off offset:416
	scratch_load_dwordx4 v[40:43], off, off offset:480
	;; [unrolled: 1-line block ×22, first 2 shown]
	v_cmp_lt_u32_e32 vcc, 23, v240
	scratch_load_dwordx4 v[48:51], off, off offset:496
	scratch_load_dwordx4 v[56:59], off, off offset:512
	;; [unrolled: 1-line block ×3, first 2 shown]
	s_waitcnt vmcnt(24) lgkmcnt(3)
	v_mul_f64 v[24:25], v[16:17], v[22:23]
	v_fmac_f64_e32 v[24:25], v[18:19], v[20:21]
	v_add_f64 v[28:29], v[24:25], 0
	scratch_load_dwordx4 v[24:27], off, off offset:432
	s_waitcnt vmcnt(0) lgkmcnt(2)
	v_mul_f64 v[30:31], v[12:13], v[26:27]
	v_fmac_f64_e32 v[30:31], v[14:15], v[24:25]
	v_add_f64 v[32:33], v[28:29], v[30:31]
	scratch_load_dwordx4 v[28:31], off, off offset:448
	v_mul_f64 v[14:15], v[14:15], v[26:27]
	v_fma_f64 v[12:13], v[12:13], v[24:25], -v[14:15]
	s_waitcnt vmcnt(0) lgkmcnt(1)
	v_mul_f64 v[34:35], v[8:9], v[30:31]
	v_fmac_f64_e32 v[34:35], v[10:11], v[28:29]
	v_add_f64 v[36:37], v[32:33], v[34:35]
	scratch_load_dwordx4 v[32:35], off, off offset:464
	v_mul_f64 v[10:11], v[10:11], v[30:31]
	v_fma_f64 v[8:9], v[8:9], v[28:29], -v[10:11]
	s_waitcnt vmcnt(0) lgkmcnt(0)
	v_mul_f64 v[38:39], v[4:5], v[34:35]
	v_fmac_f64_e32 v[38:39], v[6:7], v[32:33]
	v_add_f64 v[44:45], v[36:37], v[38:39]
	ds_read_b128 v[36:39], v2 offset:1312
	v_mul_f64 v[6:7], v[6:7], v[34:35]
	v_fma_f64 v[4:5], v[4:5], v[32:33], -v[6:7]
	s_waitcnt lgkmcnt(0)
	v_mul_f64 v[46:47], v[36:37], v[42:43]
	v_fmac_f64_e32 v[46:47], v[38:39], v[40:41]
	v_add_f64 v[52:53], v[44:45], v[46:47]
	ds_read_b128 v[44:47], v2 offset:1328
	s_waitcnt lgkmcnt(0)
	v_mul_f64 v[54:55], v[44:45], v[50:51]
	v_fmac_f64_e32 v[54:55], v[46:47], v[48:49]
	v_add_f64 v[60:61], v[52:53], v[54:55]
	ds_read_b128 v[52:55], v2 offset:1344
	;; [unrolled: 5-line block ×23, first 2 shown]
	s_waitcnt lgkmcnt(0)
	v_mul_f64 v[2:3], v[222:223], v[228:229]
	v_fmac_f64_e32 v[2:3], v[224:225], v[226:227]
	v_add_f64 v[176:177], v[176:177], v[2:3]
	v_mul_f64 v[2:3], v[18:19], v[22:23]
	v_fma_f64 v[2:3], v[16:17], v[20:21], -v[2:3]
	v_add_f64 v[2:3], v[2:3], 0
	v_add_f64 v[2:3], v[2:3], v[12:13]
	;; [unrolled: 1-line block ×4, first 2 shown]
	v_mul_f64 v[4:5], v[38:39], v[42:43]
	v_fma_f64 v[4:5], v[36:37], v[40:41], -v[4:5]
	v_add_f64 v[2:3], v[2:3], v[4:5]
	v_mul_f64 v[4:5], v[46:47], v[50:51]
	v_fma_f64 v[4:5], v[44:45], v[48:49], -v[4:5]
	v_add_f64 v[2:3], v[2:3], v[4:5]
	;; [unrolled: 3-line block ×24, first 2 shown]
	scratch_load_dwordx4 v[2:5], off, off offset:400
	s_waitcnt vmcnt(0)
	v_add_f64 v[2:3], v[2:3], -v[6:7]
	v_add_f64 v[4:5], v[4:5], -v[176:177]
	scratch_store_dwordx4 off, v[2:5], off offset:400
	s_and_saveexec_b64 s[0:1], vcc
	s_cbranch_execz .LBB116_285
; %bb.284:
	scratch_load_dwordx4 v[2:5], off, s46
	v_mov_b32_e32 v6, 0
	v_mov_b32_e32 v7, v6
	;; [unrolled: 1-line block ×4, first 2 shown]
	v_accvgpr_read_b32 v0, a107
	scratch_store_dwordx4 off, v[6:9], off offset:384
	s_waitcnt vmcnt(1)
	ds_write_b128 v0, v[2:5]
.LBB116_285:
	s_or_b64 exec, exec, s[0:1]
	v_mov_b32_e32 v2, 0
	s_waitcnt lgkmcnt(0)
	; wave barrier
	ds_read_b128 v[16:19], v2 offset:1232
	ds_read_b128 v[12:15], v2 offset:1248
	;; [unrolled: 1-line block ×4, first 2 shown]
	scratch_load_dwordx4 v[20:23], off, off offset:400
	scratch_load_dwordx4 v[40:43], off, off offset:464
	;; [unrolled: 1-line block ×23, first 2 shown]
	v_cmp_lt_u32_e32 vcc, 22, v240
	scratch_load_dwordx4 v[48:51], off, off offset:480
	scratch_load_dwordx4 v[56:59], off, off offset:496
	;; [unrolled: 1-line block ×3, first 2 shown]
	s_waitcnt vmcnt(25) lgkmcnt(3)
	v_mul_f64 v[24:25], v[16:17], v[22:23]
	v_fmac_f64_e32 v[24:25], v[18:19], v[20:21]
	v_add_f64 v[28:29], v[24:25], 0
	scratch_load_dwordx4 v[24:27], off, off offset:416
	v_mul_f64 v[18:19], v[18:19], v[22:23]
	v_fma_f64 v[16:17], v[16:17], v[20:21], -v[18:19]
	v_add_f64 v[16:17], v[16:17], 0
	s_waitcnt vmcnt(0) lgkmcnt(2)
	v_mul_f64 v[30:31], v[12:13], v[26:27]
	v_fmac_f64_e32 v[30:31], v[14:15], v[24:25]
	v_add_f64 v[32:33], v[28:29], v[30:31]
	scratch_load_dwordx4 v[28:31], off, off offset:432
	v_mul_f64 v[14:15], v[14:15], v[26:27]
	v_fma_f64 v[12:13], v[12:13], v[24:25], -v[14:15]
	v_add_f64 v[12:13], v[16:17], v[12:13]
	;; [unrolled: 8-line block ×3, first 2 shown]
	s_waitcnt vmcnt(0) lgkmcnt(0)
	v_mul_f64 v[38:39], v[4:5], v[34:35]
	v_fmac_f64_e32 v[38:39], v[6:7], v[32:33]
	v_add_f64 v[44:45], v[36:37], v[38:39]
	ds_read_b128 v[36:39], v2 offset:1296
	v_mul_f64 v[6:7], v[6:7], v[34:35]
	v_fma_f64 v[4:5], v[4:5], v[32:33], -v[6:7]
	v_add_f64 v[4:5], v[8:9], v[4:5]
	s_waitcnt lgkmcnt(0)
	v_mul_f64 v[46:47], v[36:37], v[42:43]
	v_fmac_f64_e32 v[46:47], v[38:39], v[40:41]
	v_add_f64 v[52:53], v[44:45], v[46:47]
	ds_read_b128 v[44:47], v2 offset:1312
	v_mul_f64 v[6:7], v[38:39], v[42:43]
	v_fma_f64 v[6:7], v[36:37], v[40:41], -v[6:7]
	v_add_f64 v[4:5], v[4:5], v[6:7]
	s_waitcnt lgkmcnt(0)
	;; [unrolled: 8-line block ×25, first 2 shown]
	v_mul_f64 v[6:7], v[232:233], v[236:237]
	v_fma_f64 v[6:7], v[230:231], v[234:235], -v[6:7]
	v_add_f64 v[8:9], v[4:5], v[6:7]
	scratch_load_dwordx4 v[4:7], off, off offset:384
	v_mul_f64 v[238:239], v[230:231], v[236:237]
	v_fmac_f64_e32 v[238:239], v[232:233], v[234:235]
	v_add_f64 v[176:177], v[176:177], v[238:239]
	s_waitcnt vmcnt(0)
	v_add_f64 v[4:5], v[4:5], -v[8:9]
	v_add_f64 v[6:7], v[6:7], -v[176:177]
	scratch_store_dwordx4 off, v[4:7], off offset:384
	s_and_saveexec_b64 s[0:1], vcc
	s_cbranch_execz .LBB116_287
; %bb.286:
	scratch_load_dwordx4 v[6:9], off, s47
	v_mov_b32_e32 v3, v2
	v_mov_b32_e32 v4, v2
	;; [unrolled: 1-line block ×3, first 2 shown]
	v_accvgpr_read_b32 v0, a107
	scratch_store_dwordx4 off, v[2:5], off offset:368
	s_waitcnt vmcnt(1)
	ds_write_b128 v0, v[6:9]
.LBB116_287:
	s_or_b64 exec, exec, s[0:1]
	s_waitcnt lgkmcnt(0)
	; wave barrier
	ds_read_b128 v[16:19], v2 offset:1216
	ds_read_b128 v[12:15], v2 offset:1232
	;; [unrolled: 1-line block ×4, first 2 shown]
	scratch_load_dwordx4 v[20:23], off, off offset:384
	scratch_load_dwordx4 v[40:43], off, off offset:448
	scratch_load_dwordx4 v[72:75], off, off offset:512
	scratch_load_dwordx4 v[80:83], off, off offset:528
	scratch_load_dwordx4 v[88:91], off, off offset:544
	scratch_load_dwordx4 v[96:99], off, off offset:560
	scratch_load_dwordx4 v[104:107], off, off offset:576
	scratch_load_dwordx4 v[112:115], off, off offset:592
	scratch_load_dwordx4 v[120:123], off, off offset:608
	scratch_load_dwordx4 v[128:131], off, off offset:624
	scratch_load_dwordx4 v[136:139], off, off offset:640
	scratch_load_dwordx4 v[144:147], off, off offset:656
	scratch_load_dwordx4 v[152:155], off, off offset:672
	scratch_load_dwordx4 v[160:163], off, off offset:688
	scratch_load_dwordx4 v[168:171], off, off offset:704
	scratch_load_dwordx4 v[176:179], off, off offset:720
	scratch_load_dwordx4 v[186:189], off, off offset:736
	scratch_load_dwordx4 v[194:197], off, off offset:752
	scratch_load_dwordx4 v[202:205], off, off offset:768
	scratch_load_dwordx4 v[210:213], off, off offset:784
	scratch_load_dwordx4 v[218:221], off, off offset:800
	scratch_load_dwordx4 v[226:229], off, off offset:816
	scratch_load_dwordx4 v[234:237], off, off offset:832
	scratch_load_dwordx4 v[252:255], off, off offset:848
	v_cmp_lt_u32_e32 vcc, 21, v240
	scratch_load_dwordx4 v[48:51], off, off offset:464
	scratch_load_dwordx4 v[56:59], off, off offset:480
	;; [unrolled: 1-line block ×3, first 2 shown]
	ds_read_b128 v[248:251], v2 offset:1680
	s_waitcnt vmcnt(26) lgkmcnt(4)
	v_mul_f64 v[24:25], v[16:17], v[22:23]
	v_fmac_f64_e32 v[24:25], v[18:19], v[20:21]
	v_add_f64 v[28:29], v[24:25], 0
	scratch_load_dwordx4 v[24:27], off, off offset:400
	s_waitcnt vmcnt(0) lgkmcnt(3)
	v_mul_f64 v[30:31], v[12:13], v[26:27]
	v_fmac_f64_e32 v[30:31], v[14:15], v[24:25]
	v_add_f64 v[32:33], v[28:29], v[30:31]
	scratch_load_dwordx4 v[28:31], off, off offset:416
	v_mul_f64 v[14:15], v[14:15], v[26:27]
	v_fma_f64 v[12:13], v[12:13], v[24:25], -v[14:15]
	s_waitcnt vmcnt(0) lgkmcnt(2)
	v_mul_f64 v[34:35], v[8:9], v[30:31]
	v_fmac_f64_e32 v[34:35], v[10:11], v[28:29]
	v_add_f64 v[36:37], v[32:33], v[34:35]
	scratch_load_dwordx4 v[32:35], off, off offset:432
	v_mul_f64 v[10:11], v[10:11], v[30:31]
	v_fma_f64 v[8:9], v[8:9], v[28:29], -v[10:11]
	s_waitcnt vmcnt(0) lgkmcnt(1)
	v_mul_f64 v[38:39], v[4:5], v[34:35]
	v_fmac_f64_e32 v[38:39], v[6:7], v[32:33]
	v_add_f64 v[44:45], v[36:37], v[38:39]
	ds_read_b128 v[36:39], v2 offset:1280
	v_mul_f64 v[6:7], v[6:7], v[34:35]
	v_fma_f64 v[4:5], v[4:5], v[32:33], -v[6:7]
	s_waitcnt lgkmcnt(0)
	v_mul_f64 v[46:47], v[36:37], v[42:43]
	v_fmac_f64_e32 v[46:47], v[38:39], v[40:41]
	v_add_f64 v[52:53], v[44:45], v[46:47]
	ds_read_b128 v[44:47], v2 offset:1296
	s_waitcnt lgkmcnt(0)
	v_mul_f64 v[54:55], v[44:45], v[50:51]
	v_fmac_f64_e32 v[54:55], v[46:47], v[48:49]
	v_add_f64 v[60:61], v[52:53], v[54:55]
	ds_read_b128 v[52:55], v2 offset:1312
	;; [unrolled: 5-line block ×24, first 2 shown]
	v_mul_f64 v[2:3], v[248:249], v[254:255]
	v_fmac_f64_e32 v[2:3], v[250:251], v[252:253]
	s_waitcnt lgkmcnt(0)
	v_mul_f64 v[238:239], v[230:231], v[236:237]
	v_fmac_f64_e32 v[238:239], v[232:233], v[234:235]
	v_add_f64 v[184:185], v[184:185], v[238:239]
	v_add_f64 v[184:185], v[184:185], v[2:3]
	v_mul_f64 v[2:3], v[18:19], v[22:23]
	v_fma_f64 v[2:3], v[16:17], v[20:21], -v[2:3]
	v_add_f64 v[2:3], v[2:3], 0
	v_add_f64 v[2:3], v[2:3], v[12:13]
	;; [unrolled: 1-line block ×4, first 2 shown]
	v_mul_f64 v[4:5], v[38:39], v[42:43]
	v_fma_f64 v[4:5], v[36:37], v[40:41], -v[4:5]
	v_add_f64 v[2:3], v[2:3], v[4:5]
	v_mul_f64 v[4:5], v[46:47], v[50:51]
	v_fma_f64 v[4:5], v[44:45], v[48:49], -v[4:5]
	v_add_f64 v[2:3], v[2:3], v[4:5]
	;; [unrolled: 3-line block ×26, first 2 shown]
	scratch_load_dwordx4 v[2:5], off, off offset:368
	s_waitcnt vmcnt(0)
	v_add_f64 v[2:3], v[2:3], -v[6:7]
	v_add_f64 v[4:5], v[4:5], -v[184:185]
	scratch_store_dwordx4 off, v[2:5], off offset:368
	s_and_saveexec_b64 s[0:1], vcc
	s_cbranch_execz .LBB116_289
; %bb.288:
	scratch_load_dwordx4 v[2:5], off, s48
	v_mov_b32_e32 v6, 0
	v_mov_b32_e32 v7, v6
	;; [unrolled: 1-line block ×4, first 2 shown]
	v_accvgpr_read_b32 v0, a107
	scratch_store_dwordx4 off, v[6:9], off offset:352
	s_waitcnt vmcnt(1)
	ds_write_b128 v0, v[2:5]
.LBB116_289:
	s_or_b64 exec, exec, s[0:1]
	s_waitcnt lgkmcnt(0)
	; wave barrier
	scratch_load_dwordx4 v[16:19], off, off offset:368
	scratch_load_dwordx4 v[12:15], off, off offset:384
	;; [unrolled: 1-line block ×32, first 2 shown]
	v_mov_b32_e32 v2, 0
	ds_read_b128 v[132:135], v2 offset:1200
	ds_read_b128 v[136:139], v2 offset:1216
	;; [unrolled: 1-line block ×17, first 2 shown]
	v_cmp_lt_u32_e32 vcc, 20, v240
	s_waitcnt vmcnt(31) lgkmcnt(14)
	v_mul_f64 v[200:201], v[132:133], v[18:19]
	s_waitcnt vmcnt(30)
	v_mul_f64 v[202:203], v[136:137], v[14:15]
	v_fmac_f64_e32 v[200:201], v[134:135], v[16:17]
	s_waitcnt vmcnt(29)
	v_mul_f64 v[204:205], v[140:141], v[10:11]
	v_fmac_f64_e32 v[202:203], v[138:139], v[12:13]
	v_add_f64 v[200:201], v[200:201], 0
	s_waitcnt vmcnt(28) lgkmcnt(13)
	v_mul_f64 v[206:207], v[144:145], v[6:7]
	v_fmac_f64_e32 v[204:205], v[142:143], v[8:9]
	v_add_f64 v[200:201], v[200:201], v[202:203]
	s_waitcnt vmcnt(27) lgkmcnt(12)
	;; [unrolled: 4-line block ×12, first 2 shown]
	v_mul_f64 v[228:229], v[188:189], v[62:63]
	v_fmac_f64_e32 v[226:227], v[186:187], v[56:57]
	v_add_f64 v[200:201], v[200:201], v[224:225]
	v_fmac_f64_e32 v[228:229], v[190:191], v[60:61]
	v_add_f64 v[200:201], v[200:201], v[226:227]
	s_waitcnt vmcnt(16) lgkmcnt(1)
	v_mul_f64 v[202:203], v[192:193], v[66:67]
	v_add_f64 v[200:201], v[200:201], v[228:229]
	v_fmac_f64_e32 v[202:203], v[194:195], v[64:65]
	s_waitcnt vmcnt(15) lgkmcnt(0)
	v_mul_f64 v[206:207], v[196:197], v[70:71]
	v_add_f64 v[204:205], v[200:201], v[202:203]
	ds_read_b128 v[200:203], v2 offset:1472
	v_fmac_f64_e32 v[206:207], v[198:199], v[68:69]
	v_add_f64 v[208:209], v[204:205], v[206:207]
	ds_read_b128 v[204:207], v2 offset:1488
	v_mul_f64 v[18:19], v[134:135], v[18:19]
	s_waitcnt vmcnt(14) lgkmcnt(1)
	v_mul_f64 v[210:211], v[200:201], v[74:75]
	v_fmac_f64_e32 v[210:211], v[202:203], v[72:73]
	v_add_f64 v[212:213], v[208:209], v[210:211]
	s_waitcnt vmcnt(13) lgkmcnt(0)
	v_mul_f64 v[214:215], v[204:205], v[78:79]
	ds_read_b128 v[208:211], v2 offset:1504
	v_fmac_f64_e32 v[214:215], v[206:207], v[76:77]
	v_add_f64 v[216:217], v[212:213], v[214:215]
	ds_read_b128 v[212:215], v2 offset:1520
	v_fma_f64 v[250:251], v[132:133], v[16:17], -v[18:19]
	s_waitcnt vmcnt(12) lgkmcnt(1)
	v_mul_f64 v[218:219], v[208:209], v[82:83]
	v_fmac_f64_e32 v[218:219], v[210:211], v[80:81]
	v_add_f64 v[220:221], v[216:217], v[218:219]
	s_waitcnt vmcnt(11) lgkmcnt(0)
	v_mul_f64 v[222:223], v[212:213], v[86:87]
	ds_read_b128 v[216:219], v2 offset:1536
	v_fmac_f64_e32 v[222:223], v[214:215], v[84:85]
	v_add_f64 v[224:225], v[220:221], v[222:223]
	ds_read_b128 v[220:223], v2 offset:1552
	ds_read_b128 v[16:19], v2 offset:1632
	s_waitcnt vmcnt(10) lgkmcnt(2)
	v_mul_f64 v[226:227], v[216:217], v[90:91]
	v_fmac_f64_e32 v[226:227], v[218:219], v[88:89]
	v_add_f64 v[228:229], v[224:225], v[226:227]
	s_waitcnt vmcnt(9) lgkmcnt(1)
	v_mul_f64 v[230:231], v[220:221], v[94:95]
	ds_read_b128 v[224:227], v2 offset:1568
	v_fmac_f64_e32 v[230:231], v[222:223], v[92:93]
	v_add_f64 v[232:233], v[228:229], v[230:231]
	ds_read_b128 v[228:231], v2 offset:1584
	v_mul_f64 v[14:15], v[138:139], v[14:15]
	s_waitcnt vmcnt(8) lgkmcnt(1)
	v_mul_f64 v[234:235], v[224:225], v[98:99]
	v_fmac_f64_e32 v[234:235], v[226:227], v[96:97]
	v_add_f64 v[236:237], v[232:233], v[234:235]
	s_waitcnt vmcnt(7) lgkmcnt(0)
	v_mul_f64 v[238:239], v[228:229], v[102:103]
	ds_read_b128 v[232:235], v2 offset:1600
	v_fmac_f64_e32 v[238:239], v[230:231], v[100:101]
	v_add_f64 v[248:249], v[236:237], v[238:239]
	ds_read_b128 v[236:239], v2 offset:1616
	v_fma_f64 v[136:137], v[136:137], v[12:13], -v[14:15]
	s_waitcnt vmcnt(6) lgkmcnt(1)
	v_mul_f64 v[132:133], v[232:233], v[106:107]
	v_fmac_f64_e32 v[132:133], v[234:235], v[104:105]
	v_add_f64 v[132:133], v[248:249], v[132:133]
	s_waitcnt vmcnt(5) lgkmcnt(0)
	v_mul_f64 v[134:135], v[236:237], v[110:111]
	v_fmac_f64_e32 v[134:135], v[238:239], v[108:109]
	v_add_f64 v[132:133], v[132:133], v[134:135]
	ds_read_b128 v[12:15], v2 offset:1648
	s_waitcnt vmcnt(4)
	v_mul_f64 v[134:135], v[16:17], v[114:115]
	v_fmac_f64_e32 v[134:135], v[18:19], v[112:113]
	v_add_f64 v[138:139], v[132:133], v[134:135]
	ds_read_b128 v[132:135], v2 offset:1664
	v_mul_f64 v[10:11], v[142:143], v[10:11]
	v_fma_f64 v[140:141], v[140:141], v[8:9], -v[10:11]
	ds_read_b128 v[8:11], v2 offset:1680
	s_waitcnt vmcnt(3) lgkmcnt(2)
	v_mul_f64 v[142:143], v[12:13], v[118:119]
	v_fmac_f64_e32 v[142:143], v[14:15], v[116:117]
	v_add_f64 v[138:139], v[138:139], v[142:143]
	s_waitcnt vmcnt(2) lgkmcnt(1)
	v_mul_f64 v[142:143], v[132:133], v[122:123]
	v_fmac_f64_e32 v[142:143], v[134:135], v[120:121]
	v_add_f64 v[138:139], v[138:139], v[142:143]
	;; [unrolled: 4-line block ×3, first 2 shown]
	v_add_f64 v[142:143], v[250:251], 0
	v_add_f64 v[136:137], v[142:143], v[136:137]
	v_mul_f64 v[6:7], v[146:147], v[6:7]
	v_add_f64 v[136:137], v[136:137], v[140:141]
	v_fma_f64 v[4:5], v[144:145], v[4:5], -v[6:7]
	v_mul_f64 v[6:7], v[150:151], v[22:23]
	v_add_f64 v[4:5], v[136:137], v[4:5]
	v_fma_f64 v[6:7], v[148:149], v[20:21], -v[6:7]
	v_add_f64 v[4:5], v[4:5], v[6:7]
	v_mul_f64 v[6:7], v[154:155], v[26:27]
	v_fma_f64 v[6:7], v[152:153], v[24:25], -v[6:7]
	v_add_f64 v[4:5], v[4:5], v[6:7]
	v_mul_f64 v[6:7], v[158:159], v[30:31]
	v_fma_f64 v[6:7], v[156:157], v[28:29], -v[6:7]
	v_add_f64 v[4:5], v[4:5], v[6:7]
	v_mul_f64 v[6:7], v[162:163], v[34:35]
	v_fma_f64 v[6:7], v[160:161], v[32:33], -v[6:7]
	v_add_f64 v[4:5], v[4:5], v[6:7]
	v_mul_f64 v[6:7], v[166:167], v[38:39]
	v_fma_f64 v[6:7], v[164:165], v[36:37], -v[6:7]
	v_add_f64 v[4:5], v[4:5], v[6:7]
	v_mul_f64 v[6:7], v[170:171], v[42:43]
	v_fma_f64 v[6:7], v[168:169], v[40:41], -v[6:7]
	v_add_f64 v[4:5], v[4:5], v[6:7]
	v_mul_f64 v[6:7], v[174:175], v[46:47]
	v_fma_f64 v[6:7], v[172:173], v[44:45], -v[6:7]
	v_add_f64 v[4:5], v[4:5], v[6:7]
	v_mul_f64 v[6:7], v[178:179], v[50:51]
	v_fma_f64 v[6:7], v[176:177], v[48:49], -v[6:7]
	v_add_f64 v[4:5], v[4:5], v[6:7]
	v_mul_f64 v[6:7], v[182:183], v[54:55]
	v_fma_f64 v[6:7], v[180:181], v[52:53], -v[6:7]
	v_add_f64 v[4:5], v[4:5], v[6:7]
	v_mul_f64 v[6:7], v[186:187], v[58:59]
	v_fma_f64 v[6:7], v[184:185], v[56:57], -v[6:7]
	v_add_f64 v[4:5], v[4:5], v[6:7]
	v_mul_f64 v[6:7], v[190:191], v[62:63]
	v_fma_f64 v[6:7], v[188:189], v[60:61], -v[6:7]
	v_add_f64 v[4:5], v[4:5], v[6:7]
	v_mul_f64 v[6:7], v[194:195], v[66:67]
	v_fma_f64 v[6:7], v[192:193], v[64:65], -v[6:7]
	v_add_f64 v[4:5], v[4:5], v[6:7]
	v_mul_f64 v[6:7], v[198:199], v[70:71]
	v_fma_f64 v[6:7], v[196:197], v[68:69], -v[6:7]
	v_add_f64 v[4:5], v[4:5], v[6:7]
	v_mul_f64 v[6:7], v[202:203], v[74:75]
	v_fma_f64 v[6:7], v[200:201], v[72:73], -v[6:7]
	v_add_f64 v[4:5], v[4:5], v[6:7]
	v_mul_f64 v[6:7], v[206:207], v[78:79]
	v_fma_f64 v[6:7], v[204:205], v[76:77], -v[6:7]
	v_add_f64 v[4:5], v[4:5], v[6:7]
	v_mul_f64 v[6:7], v[210:211], v[82:83]
	v_fma_f64 v[6:7], v[208:209], v[80:81], -v[6:7]
	v_add_f64 v[4:5], v[4:5], v[6:7]
	v_mul_f64 v[6:7], v[214:215], v[86:87]
	v_fma_f64 v[6:7], v[212:213], v[84:85], -v[6:7]
	v_add_f64 v[4:5], v[4:5], v[6:7]
	v_mul_f64 v[6:7], v[218:219], v[90:91]
	v_fma_f64 v[6:7], v[216:217], v[88:89], -v[6:7]
	v_add_f64 v[4:5], v[4:5], v[6:7]
	v_mul_f64 v[6:7], v[222:223], v[94:95]
	v_fma_f64 v[6:7], v[220:221], v[92:93], -v[6:7]
	v_add_f64 v[4:5], v[4:5], v[6:7]
	v_mul_f64 v[6:7], v[226:227], v[98:99]
	v_fma_f64 v[6:7], v[224:225], v[96:97], -v[6:7]
	v_add_f64 v[4:5], v[4:5], v[6:7]
	v_mul_f64 v[6:7], v[230:231], v[102:103]
	v_fma_f64 v[6:7], v[228:229], v[100:101], -v[6:7]
	v_add_f64 v[4:5], v[4:5], v[6:7]
	v_mul_f64 v[6:7], v[234:235], v[106:107]
	v_fma_f64 v[6:7], v[232:233], v[104:105], -v[6:7]
	v_add_f64 v[4:5], v[4:5], v[6:7]
	v_mul_f64 v[6:7], v[238:239], v[110:111]
	v_fma_f64 v[6:7], v[236:237], v[108:109], -v[6:7]
	v_add_f64 v[4:5], v[4:5], v[6:7]
	v_mul_f64 v[6:7], v[18:19], v[114:115]
	v_fma_f64 v[6:7], v[16:17], v[112:113], -v[6:7]
	v_add_f64 v[4:5], v[4:5], v[6:7]
	v_mul_f64 v[6:7], v[14:15], v[118:119]
	v_fma_f64 v[6:7], v[12:13], v[116:117], -v[6:7]
	v_add_f64 v[4:5], v[4:5], v[6:7]
	v_mul_f64 v[6:7], v[134:135], v[122:123]
	v_fma_f64 v[6:7], v[132:133], v[120:121], -v[6:7]
	v_add_f64 v[4:5], v[4:5], v[6:7]
	v_mul_f64 v[6:7], v[10:11], v[126:127]
	v_fma_f64 v[6:7], v[8:9], v[124:125], -v[6:7]
	v_add_f64 v[4:5], v[4:5], v[6:7]
	s_waitcnt vmcnt(0)
	v_add_f64 v[4:5], v[128:129], -v[4:5]
	v_add_f64 v[6:7], v[130:131], -v[138:139]
	scratch_store_dwordx4 off, v[4:7], off offset:352
	s_and_saveexec_b64 s[0:1], vcc
	s_cbranch_execz .LBB116_291
; %bb.290:
	scratch_load_dwordx4 v[6:9], off, s49
	v_mov_b32_e32 v3, v2
	v_mov_b32_e32 v4, v2
	;; [unrolled: 1-line block ×3, first 2 shown]
	v_accvgpr_read_b32 v0, a107
	scratch_store_dwordx4 off, v[2:5], off offset:336
	s_waitcnt vmcnt(1)
	ds_write_b128 v0, v[6:9]
.LBB116_291:
	s_or_b64 exec, exec, s[0:1]
	s_waitcnt lgkmcnt(0)
	; wave barrier
	scratch_load_dwordx4 v[140:143], off, off offset:352
	scratch_load_dwordx4 v[148:151], off, off offset:368
	;; [unrolled: 1-line block ×16, first 2 shown]
	ds_read_b128 v[188:191], v2 offset:1184
	ds_read_b128 v[184:187], v2 offset:1200
	scratch_load_dwordx4 v[56:59], off, off offset:608
	ds_read_b128 v[192:195], v2 offset:1216
	ds_read_b128 v[68:71], v2 offset:1232
	scratch_load_dwordx4 v[60:63], off, off offset:624
	ds_read_b128 v[88:91], v2 offset:1248
	ds_read_b128 v[84:87], v2 offset:1264
	;; [unrolled: 1-line block ×4, first 2 shown]
	scratch_load_dwordx4 v[64:67], off, off offset:640
	ds_read_b128 v[100:103], v2 offset:1312
	ds_read_b128 v[96:99], v2 offset:1328
	scratch_load_dwordx4 v[72:75], off, off offset:656
	ds_read_b128 v[116:119], v2 offset:1344
	ds_read_b128 v[112:115], v2 offset:1360
	ds_read_b128 v[108:111], v2 offset:1376
	ds_read_b128 v[104:107], v2 offset:1392
	scratch_load_dwordx4 v[92:95], off, off offset:672
	ds_read_b128 v[132:135], v2 offset:1408
	ds_read_b128 v[128:131], v2 offset:1424
	;; [unrolled: 1-line block ×3, first 2 shown]
	scratch_load_dwordx4 v[120:123], off, off offset:688
	scratch_load_dwordx4 v[136:139], off, off offset:704
	;; [unrolled: 1-line block ×11, first 2 shown]
	v_cmp_lt_u32_e32 vcc, 19, v240
	s_waitcnt vmcnt(31) lgkmcnt(14)
	v_mul_f64 v[200:201], v[188:189], v[142:143]
	s_waitcnt vmcnt(30)
	v_mul_f64 v[202:203], v[184:185], v[150:151]
	v_fmac_f64_e32 v[200:201], v[190:191], v[140:141]
	s_waitcnt vmcnt(29)
	v_mul_f64 v[204:205], v[192:193], v[154:155]
	v_fmac_f64_e32 v[202:203], v[186:187], v[148:149]
	v_add_f64 v[200:201], v[200:201], 0
	s_waitcnt vmcnt(28) lgkmcnt(13)
	v_mul_f64 v[206:207], v[68:69], v[6:7]
	v_fmac_f64_e32 v[204:205], v[194:195], v[152:153]
	v_add_f64 v[200:201], v[200:201], v[202:203]
	s_waitcnt vmcnt(27) lgkmcnt(12)
	;; [unrolled: 4-line block ×13, first 2 shown]
	v_mul_f64 v[230:231], v[128:129], v[54:55]
	v_fmac_f64_e32 v[228:229], v[134:135], v[48:49]
	v_add_f64 v[200:201], v[200:201], v[226:227]
	v_add_f64 v[200:201], v[200:201], v[228:229]
	v_fmac_f64_e32 v[230:231], v[130:131], v[52:53]
	v_add_f64 v[204:205], v[200:201], v[230:231]
	ds_read_b128 v[200:203], v2 offset:1456
	s_waitcnt vmcnt(15) lgkmcnt(1)
	v_mul_f64 v[206:207], v[124:125], v[58:59]
	v_fmac_f64_e32 v[206:207], v[126:127], v[56:57]
	v_add_f64 v[208:209], v[204:205], v[206:207]
	ds_read_b128 v[204:207], v2 offset:1472
	s_waitcnt vmcnt(14) lgkmcnt(1)
	v_mul_f64 v[210:211], v[200:201], v[62:63]
	;; [unrolled: 5-line block ×10, first 2 shown]
	v_fmac_f64_e32 v[250:251], v[234:235], v[160:161]
	v_mul_f64 v[142:143], v[190:191], v[142:143]
	v_add_f64 v[250:251], v[248:249], v[250:251]
	v_fma_f64 v[248:249], v[188:189], v[140:141], -v[142:143]
	ds_read_b128 v[140:143], v2 offset:1616
	s_waitcnt vmcnt(5) lgkmcnt(1)
	v_mul_f64 v[188:189], v[236:237], v[166:167]
	v_fmac_f64_e32 v[188:189], v[238:239], v[164:165]
	v_mul_f64 v[150:151], v[186:187], v[150:151]
	v_add_f64 v[188:189], v[250:251], v[188:189]
	v_fma_f64 v[250:251], v[184:185], v[148:149], -v[150:151]
	ds_read_b128 v[148:151], v2 offset:1632
	s_waitcnt vmcnt(4) lgkmcnt(1)
	v_mul_f64 v[184:185], v[140:141], v[170:171]
	v_fmac_f64_e32 v[184:185], v[142:143], v[168:169]
	v_add_f64 v[188:189], v[188:189], v[184:185]
	ds_read_b128 v[184:187], v2 offset:1648
	v_mul_f64 v[154:155], v[194:195], v[154:155]
	s_waitcnt vmcnt(3) lgkmcnt(1)
	v_mul_f64 v[190:191], v[148:149], v[174:175]
	v_fma_f64 v[254:255], v[192:193], v[152:153], -v[154:155]
	ds_read_b128 v[152:155], v2 offset:1664
	v_fmac_f64_e32 v[190:191], v[150:151], v[172:173]
	v_add_f64 v[252:253], v[188:189], v[190:191]
	ds_read_b128 v[188:191], v2 offset:1680
	s_waitcnt vmcnt(2) lgkmcnt(2)
	v_mul_f64 v[192:193], v[184:185], v[178:179]
	v_fmac_f64_e32 v[192:193], v[186:187], v[176:177]
	v_add_f64 v[2:3], v[252:253], v[192:193]
	s_waitcnt vmcnt(1) lgkmcnt(1)
	v_mul_f64 v[192:193], v[152:153], v[182:183]
	v_fmac_f64_e32 v[192:193], v[154:155], v[180:181]
	v_add_f64 v[2:3], v[2:3], v[192:193]
	;; [unrolled: 4-line block ×3, first 2 shown]
	scratch_load_dwordx4 v[192:195], off, off offset:336
	v_add_f64 v[248:249], v[248:249], 0
	v_add_f64 v[248:249], v[248:249], v[250:251]
	v_mul_f64 v[6:7], v[70:71], v[6:7]
	v_add_f64 v[248:249], v[248:249], v[254:255]
	v_fma_f64 v[4:5], v[68:69], v[4:5], -v[6:7]
	v_mul_f64 v[6:7], v[90:91], v[10:11]
	v_add_f64 v[4:5], v[248:249], v[4:5]
	v_fma_f64 v[6:7], v[88:89], v[8:9], -v[6:7]
	v_add_f64 v[4:5], v[4:5], v[6:7]
	v_mul_f64 v[6:7], v[86:87], v[14:15]
	v_fma_f64 v[6:7], v[84:85], v[12:13], -v[6:7]
	v_add_f64 v[4:5], v[4:5], v[6:7]
	v_mul_f64 v[6:7], v[82:83], v[18:19]
	;; [unrolled: 3-line block ×27, first 2 shown]
	v_fma_f64 v[6:7], v[188:189], v[196:197], -v[6:7]
	v_add_f64 v[4:5], v[4:5], v[6:7]
	s_waitcnt vmcnt(0)
	v_add_f64 v[4:5], v[192:193], -v[4:5]
	v_add_f64 v[6:7], v[194:195], -v[2:3]
	scratch_store_dwordx4 off, v[4:7], off offset:336
	s_and_saveexec_b64 s[0:1], vcc
	s_cbranch_execz .LBB116_293
; %bb.292:
	scratch_load_dwordx4 v[2:5], off, s50
	v_mov_b32_e32 v6, 0
	v_mov_b32_e32 v7, v6
	;; [unrolled: 1-line block ×4, first 2 shown]
	v_accvgpr_read_b32 v0, a107
	scratch_store_dwordx4 off, v[6:9], off offset:320
	s_waitcnt vmcnt(1)
	ds_write_b128 v0, v[2:5]
.LBB116_293:
	s_or_b64 exec, exec, s[0:1]
	s_waitcnt lgkmcnt(0)
	; wave barrier
	scratch_load_dwordx4 v[108:111], off, off offset:336
	scratch_load_dwordx4 v[116:119], off, off offset:352
	;; [unrolled: 1-line block ×33, first 2 shown]
	v_mov_b32_e32 v2, 0
	ds_read_b128 v[220:223], v2 offset:1168
	ds_read_b128 v[224:227], v2 offset:1184
	;; [unrolled: 1-line block ×16, first 2 shown]
	v_cmp_lt_u32_e32 vcc, 18, v240
	s_waitcnt vmcnt(32) lgkmcnt(14)
	v_mul_f64 v[180:181], v[220:221], v[110:111]
	s_waitcnt vmcnt(31)
	v_mul_f64 v[182:183], v[224:225], v[118:119]
	v_fmac_f64_e32 v[180:181], v[222:223], v[108:109]
	s_waitcnt vmcnt(30) lgkmcnt(13)
	v_mul_f64 v[184:185], v[234:235], v[122:123]
	v_fmac_f64_e32 v[182:183], v[226:227], v[116:117]
	v_add_f64 v[180:181], v[180:181], 0
	s_waitcnt vmcnt(29) lgkmcnt(12)
	v_mul_f64 v[186:187], v[248:249], v[126:127]
	v_fmac_f64_e32 v[184:185], v[236:237], v[120:121]
	v_add_f64 v[180:181], v[180:181], v[182:183]
	;; [unrolled: 4-line block ×13, first 2 shown]
	v_fmac_f64_e32 v[208:209], v[142:143], v[40:41]
	v_add_f64 v[180:181], v[180:181], v[206:207]
	v_add_f64 v[184:185], v[180:181], v[208:209]
	ds_read_b128 v[180:183], v2 offset:1424
	s_waitcnt vmcnt(17) lgkmcnt(1)
	v_mul_f64 v[186:187], v[136:137], v[46:47]
	v_fmac_f64_e32 v[186:187], v[138:139], v[44:45]
	v_add_f64 v[188:189], v[184:185], v[186:187]
	ds_read_b128 v[184:187], v2 offset:1440
	s_waitcnt vmcnt(16) lgkmcnt(1)
	v_mul_f64 v[190:191], v[180:181], v[50:51]
	v_fmac_f64_e32 v[190:191], v[182:183], v[48:49]
	;; [unrolled: 5-line block ×10, first 2 shown]
	v_mul_f64 v[110:111], v[222:223], v[110:111]
	v_add_f64 v[228:229], v[228:229], v[230:231]
	v_fma_f64 v[230:231], v[220:221], v[108:109], -v[110:111]
	ds_read_b128 v[108:111], v2 offset:1584
	s_waitcnt vmcnt(7) lgkmcnt(1)
	v_mul_f64 v[220:221], v[216:217], v[86:87]
	v_mul_f64 v[118:119], v[226:227], v[118:119]
	v_fmac_f64_e32 v[220:221], v[218:219], v[84:85]
	v_fma_f64 v[232:233], v[224:225], v[116:117], -v[118:119]
	ds_read_b128 v[116:119], v2 offset:1600
	s_waitcnt vmcnt(6) lgkmcnt(1)
	v_mul_f64 v[222:223], v[108:109], v[90:91]
	v_add_f64 v[220:221], v[228:229], v[220:221]
	v_fmac_f64_e32 v[222:223], v[110:111], v[88:89]
	v_add_f64 v[224:225], v[220:221], v[222:223]
	ds_read_b128 v[220:223], v2 offset:1616
	v_mul_f64 v[122:123], v[236:237], v[122:123]
	v_fma_f64 v[234:235], v[234:235], v[120:121], -v[122:123]
	ds_read_b128 v[120:123], v2 offset:1632
	s_waitcnt vmcnt(5) lgkmcnt(2)
	v_mul_f64 v[226:227], v[116:117], v[94:95]
	v_fmac_f64_e32 v[226:227], v[118:119], v[92:93]
	v_mul_f64 v[126:127], v[250:251], v[126:127]
	v_add_f64 v[224:225], v[224:225], v[226:227]
	s_waitcnt vmcnt(4) lgkmcnt(1)
	v_mul_f64 v[226:227], v[220:221], v[98:99]
	v_fma_f64 v[236:237], v[248:249], v[124:125], -v[126:127]
	ds_read_b128 v[124:127], v2 offset:1648
	v_fmac_f64_e32 v[226:227], v[222:223], v[96:97]
	v_add_f64 v[228:229], v[224:225], v[226:227]
	s_waitcnt vmcnt(3) lgkmcnt(1)
	v_mul_f64 v[238:239], v[120:121], v[102:103]
	ds_read_b128 v[224:227], v2 offset:1664
	v_fmac_f64_e32 v[238:239], v[122:123], v[100:101]
	v_mul_f64 v[130:131], v[254:255], v[130:131]
	v_add_f64 v[228:229], v[228:229], v[238:239]
	v_fma_f64 v[238:239], v[252:253], v[128:129], -v[130:131]
	ds_read_b128 v[128:131], v2 offset:1680
	s_waitcnt vmcnt(2) lgkmcnt(2)
	v_mul_f64 v[248:249], v[124:125], v[106:107]
	v_fmac_f64_e32 v[248:249], v[126:127], v[104:105]
	v_add_f64 v[228:229], v[228:229], v[248:249]
	s_waitcnt vmcnt(1) lgkmcnt(1)
	v_mul_f64 v[248:249], v[224:225], v[114:115]
	v_fmac_f64_e32 v[248:249], v[226:227], v[112:113]
	v_add_f64 v[228:229], v[228:229], v[248:249]
	;; [unrolled: 4-line block ×3, first 2 shown]
	scratch_load_dwordx4 v[248:251], off, off offset:320
	v_add_f64 v[230:231], v[230:231], 0
	v_add_f64 v[230:231], v[230:231], v[232:233]
	;; [unrolled: 1-line block ×4, first 2 shown]
	v_mul_f64 v[6:7], v[178:179], v[6:7]
	v_add_f64 v[230:231], v[230:231], v[238:239]
	v_fma_f64 v[4:5], v[176:177], v[4:5], -v[6:7]
	v_mul_f64 v[6:7], v[174:175], v[10:11]
	v_add_f64 v[4:5], v[230:231], v[4:5]
	v_fma_f64 v[6:7], v[172:173], v[8:9], -v[6:7]
	v_add_f64 v[4:5], v[4:5], v[6:7]
	v_mul_f64 v[6:7], v[170:171], v[14:15]
	v_fma_f64 v[6:7], v[168:169], v[12:13], -v[6:7]
	v_add_f64 v[4:5], v[4:5], v[6:7]
	v_mul_f64 v[6:7], v[166:167], v[18:19]
	;; [unrolled: 3-line block ×26, first 2 shown]
	v_fma_f64 v[6:7], v[128:129], v[132:133], -v[6:7]
	v_add_f64 v[4:5], v[4:5], v[6:7]
	s_waitcnt vmcnt(0)
	v_add_f64 v[4:5], v[248:249], -v[4:5]
	v_add_f64 v[6:7], v[250:251], -v[228:229]
	scratch_store_dwordx4 off, v[4:7], off offset:320
	s_and_saveexec_b64 s[0:1], vcc
	s_cbranch_execz .LBB116_295
; %bb.294:
	scratch_load_dwordx4 v[6:9], off, s51
	v_mov_b32_e32 v3, v2
	v_mov_b32_e32 v4, v2
	;; [unrolled: 1-line block ×3, first 2 shown]
	v_accvgpr_read_b32 v0, a107
	scratch_store_dwordx4 off, v[2:5], off offset:304
	s_waitcnt vmcnt(1)
	ds_write_b128 v0, v[6:9]
.LBB116_295:
	s_or_b64 exec, exec, s[0:1]
	s_waitcnt lgkmcnt(0)
	; wave barrier
	scratch_load_dwordx4 v[144:147], off, off offset:320
	scratch_load_dwordx4 v[152:155], off, off offset:336
	;; [unrolled: 1-line block ×16, first 2 shown]
	ds_read_b128 v[196:199], v2 offset:1152
	ds_read_b128 v[188:191], v2 offset:1168
	ds_read_b128 v[180:183], v2 offset:1184
	scratch_load_dwordx4 v[48:51], off, off offset:576
	ds_read_b128 v[192:195], v2 offset:1200
	ds_read_b128 v[184:187], v2 offset:1216
	ds_read_b128 v[64:67], v2 offset:1232
	scratch_load_dwordx4 v[52:55], off, off offset:592
	;; [unrolled: 4-line block ×5, first 2 shown]
	ds_read_b128 v[116:119], v2 offset:1392
	ds_read_b128 v[112:115], v2 offset:1408
	scratch_load_dwordx4 v[108:111], off, off offset:656
	scratch_load_dwordx4 v[120:123], off, off offset:672
	;; [unrolled: 1-line block ×12, first 2 shown]
	v_cmp_lt_u32_e32 vcc, 17, v240
	s_waitcnt vmcnt(32) lgkmcnt(14)
	v_mul_f64 v[204:205], v[196:197], v[146:147]
	s_waitcnt vmcnt(31)
	v_mul_f64 v[206:207], v[188:189], v[154:155]
	v_fmac_f64_e32 v[204:205], v[198:199], v[144:145]
	s_waitcnt vmcnt(30)
	v_mul_f64 v[208:209], v[180:181], v[158:159]
	v_fmac_f64_e32 v[206:207], v[190:191], v[152:153]
	v_add_f64 v[204:205], v[204:205], 0
	s_waitcnt vmcnt(29) lgkmcnt(13)
	v_mul_f64 v[210:211], v[192:193], v[162:163]
	v_fmac_f64_e32 v[208:209], v[182:183], v[156:157]
	v_add_f64 v[204:205], v[204:205], v[206:207]
	s_waitcnt vmcnt(28) lgkmcnt(12)
	;; [unrolled: 4-line block ×12, first 2 shown]
	v_mul_f64 v[232:233], v[96:97], v[42:43]
	v_fmac_f64_e32 v[230:231], v[102:103], v[36:37]
	v_add_f64 v[204:205], v[204:205], v[228:229]
	v_fmac_f64_e32 v[232:233], v[98:99], v[40:41]
	v_add_f64 v[204:205], v[204:205], v[230:231]
	s_waitcnt vmcnt(17) lgkmcnt(1)
	v_mul_f64 v[206:207], v[116:117], v[46:47]
	v_add_f64 v[204:205], v[204:205], v[232:233]
	v_fmac_f64_e32 v[206:207], v[118:119], v[44:45]
	s_waitcnt vmcnt(16) lgkmcnt(0)
	v_mul_f64 v[210:211], v[112:113], v[50:51]
	v_add_f64 v[208:209], v[204:205], v[206:207]
	ds_read_b128 v[204:207], v2 offset:1424
	v_fmac_f64_e32 v[210:211], v[114:115], v[48:49]
	v_add_f64 v[212:213], v[208:209], v[210:211]
	ds_read_b128 v[208:211], v2 offset:1440
	v_mul_f64 v[146:147], v[198:199], v[146:147]
	s_waitcnt vmcnt(15) lgkmcnt(1)
	v_mul_f64 v[214:215], v[204:205], v[54:55]
	v_fmac_f64_e32 v[214:215], v[206:207], v[52:53]
	v_add_f64 v[216:217], v[212:213], v[214:215]
	s_waitcnt vmcnt(14) lgkmcnt(0)
	v_mul_f64 v[218:219], v[208:209], v[58:59]
	ds_read_b128 v[212:215], v2 offset:1456
	v_fmac_f64_e32 v[218:219], v[210:211], v[56:57]
	v_add_f64 v[220:221], v[216:217], v[218:219]
	ds_read_b128 v[216:219], v2 offset:1472
	v_mul_f64 v[154:155], v[190:191], v[154:155]
	s_waitcnt vmcnt(13) lgkmcnt(1)
	v_mul_f64 v[222:223], v[212:213], v[62:63]
	v_fmac_f64_e32 v[222:223], v[214:215], v[60:61]
	v_add_f64 v[224:225], v[220:221], v[222:223]
	s_waitcnt vmcnt(12) lgkmcnt(0)
	v_mul_f64 v[226:227], v[216:217], v[94:95]
	ds_read_b128 v[220:223], v2 offset:1488
	v_fmac_f64_e32 v[226:227], v[218:219], v[92:93]
	v_add_f64 v[228:229], v[224:225], v[226:227]
	ds_read_b128 v[224:227], v2 offset:1504
	v_fma_f64 v[252:253], v[188:189], v[152:153], -v[154:155]
	s_waitcnt vmcnt(11) lgkmcnt(1)
	v_mul_f64 v[230:231], v[220:221], v[110:111]
	v_fmac_f64_e32 v[230:231], v[222:223], v[108:109]
	v_add_f64 v[232:233], v[228:229], v[230:231]
	s_waitcnt vmcnt(10) lgkmcnt(0)
	v_mul_f64 v[234:235], v[224:225], v[122:123]
	ds_read_b128 v[228:231], v2 offset:1520
	v_fmac_f64_e32 v[234:235], v[226:227], v[120:121]
	v_add_f64 v[236:237], v[232:233], v[234:235]
	ds_read_b128 v[232:235], v2 offset:1536
	ds_read_b128 v[152:155], v2 offset:1584
	s_waitcnt vmcnt(9) lgkmcnt(2)
	v_mul_f64 v[238:239], v[228:229], v[126:127]
	v_fmac_f64_e32 v[238:239], v[230:231], v[124:125]
	v_add_f64 v[248:249], v[236:237], v[238:239]
	s_waitcnt vmcnt(8) lgkmcnt(1)
	v_mul_f64 v[250:251], v[232:233], v[130:131]
	ds_read_b128 v[236:239], v2 offset:1552
	v_fmac_f64_e32 v[250:251], v[234:235], v[128:129]
	v_add_f64 v[248:249], v[248:249], v[250:251]
	v_fma_f64 v[250:251], v[196:197], v[144:145], -v[146:147]
	ds_read_b128 v[144:147], v2 offset:1568
	s_waitcnt vmcnt(7) lgkmcnt(1)
	v_mul_f64 v[196:197], v[236:237], v[134:135]
	v_fmac_f64_e32 v[196:197], v[238:239], v[132:133]
	v_add_f64 v[188:189], v[248:249], v[196:197]
	v_mul_f64 v[158:159], v[182:183], v[158:159]
	s_waitcnt vmcnt(6) lgkmcnt(0)
	v_mul_f64 v[190:191], v[144:145], v[138:139]
	v_fmac_f64_e32 v[190:191], v[146:147], v[136:137]
	v_add_f64 v[196:197], v[188:189], v[190:191]
	ds_read_b128 v[188:191], v2 offset:1600
	v_fma_f64 v[248:249], v[180:181], v[156:157], -v[158:159]
	ds_read_b128 v[156:159], v2 offset:1616
	s_waitcnt vmcnt(5)
	v_mul_f64 v[198:199], v[152:153], v[142:143]
	v_fmac_f64_e32 v[198:199], v[154:155], v[140:141]
	s_waitcnt vmcnt(4) lgkmcnt(1)
	v_mul_f64 v[180:181], v[188:189], v[150:151]
	v_add_f64 v[196:197], v[196:197], v[198:199]
	v_fmac_f64_e32 v[180:181], v[190:191], v[148:149]
	v_mul_f64 v[162:163], v[194:195], v[162:163]
	v_add_f64 v[198:199], v[196:197], v[180:181]
	v_fma_f64 v[196:197], v[192:193], v[160:161], -v[162:163]
	ds_read_b128 v[160:163], v2 offset:1632
	s_waitcnt vmcnt(3) lgkmcnt(1)
	v_mul_f64 v[192:193], v[156:157], v[166:167]
	ds_read_b128 v[180:183], v2 offset:1648
	v_fmac_f64_e32 v[192:193], v[158:159], v[164:165]
	v_mul_f64 v[170:171], v[186:187], v[170:171]
	v_add_f64 v[192:193], v[198:199], v[192:193]
	v_fma_f64 v[198:199], v[184:185], v[168:169], -v[170:171]
	ds_read_b128 v[168:171], v2 offset:1664
	s_waitcnt vmcnt(2) lgkmcnt(2)
	v_mul_f64 v[184:185], v[160:161], v[174:175]
	v_fmac_f64_e32 v[184:185], v[162:163], v[172:173]
	s_waitcnt vmcnt(1) lgkmcnt(1)
	v_mul_f64 v[186:187], v[180:181], v[178:179]
	v_add_f64 v[184:185], v[192:193], v[184:185]
	v_fmac_f64_e32 v[186:187], v[182:183], v[176:177]
	v_add_f64 v[184:185], v[184:185], v[186:187]
	s_waitcnt vmcnt(0) lgkmcnt(0)
	v_mul_f64 v[186:187], v[168:169], v[202:203]
	v_fmac_f64_e32 v[186:187], v[170:171], v[200:201]
	v_add_f64 v[254:255], v[184:185], v[186:187]
	scratch_load_dwordx4 v[184:187], off, off offset:848
	v_add_f64 v[250:251], v[250:251], 0
	v_add_f64 v[250:251], v[250:251], v[252:253]
	;; [unrolled: 1-line block ×3, first 2 shown]
	scratch_load_dwordx4 v[250:253], off, off offset:304
	v_add_f64 v[196:197], v[248:249], v[196:197]
	v_mul_f64 v[6:7], v[66:67], v[6:7]
	v_add_f64 v[196:197], v[196:197], v[198:199]
	v_fma_f64 v[4:5], v[64:65], v[4:5], -v[6:7]
	v_mul_f64 v[6:7], v[78:79], v[10:11]
	v_add_f64 v[4:5], v[196:197], v[4:5]
	v_fma_f64 v[6:7], v[76:77], v[8:9], -v[6:7]
	v_add_f64 v[4:5], v[4:5], v[6:7]
	v_mul_f64 v[6:7], v[74:75], v[14:15]
	v_fma_f64 v[6:7], v[72:73], v[12:13], -v[6:7]
	v_add_f64 v[4:5], v[4:5], v[6:7]
	v_mul_f64 v[6:7], v[70:71], v[18:19]
	;; [unrolled: 3-line block ×24, first 2 shown]
	ds_read_b128 v[192:195], v2 offset:1680
	v_fma_f64 v[6:7], v[160:161], v[172:173], -v[6:7]
	v_add_f64 v[4:5], v[4:5], v[6:7]
	v_mul_f64 v[6:7], v[182:183], v[178:179]
	v_fma_f64 v[6:7], v[180:181], v[176:177], -v[6:7]
	v_add_f64 v[4:5], v[4:5], v[6:7]
	v_mul_f64 v[6:7], v[170:171], v[202:203]
	v_fma_f64 v[6:7], v[168:169], v[200:201], -v[6:7]
	s_waitcnt vmcnt(1) lgkmcnt(0)
	v_mul_f64 v[2:3], v[192:193], v[186:187]
	v_add_f64 v[4:5], v[4:5], v[6:7]
	v_mul_f64 v[6:7], v[194:195], v[186:187]
	v_fmac_f64_e32 v[2:3], v[194:195], v[184:185]
	v_fma_f64 v[6:7], v[192:193], v[184:185], -v[6:7]
	v_add_f64 v[2:3], v[254:255], v[2:3]
	v_add_f64 v[4:5], v[4:5], v[6:7]
	s_waitcnt vmcnt(0)
	v_add_f64 v[4:5], v[250:251], -v[4:5]
	v_add_f64 v[6:7], v[252:253], -v[2:3]
	scratch_store_dwordx4 off, v[4:7], off offset:304
	s_and_saveexec_b64 s[0:1], vcc
	s_cbranch_execz .LBB116_297
; %bb.296:
	scratch_load_dwordx4 v[2:5], off, s52
	v_mov_b32_e32 v6, 0
	v_mov_b32_e32 v7, v6
	v_mov_b32_e32 v8, v6
	v_mov_b32_e32 v9, v6
	v_accvgpr_read_b32 v0, a107
	scratch_store_dwordx4 off, v[6:9], off offset:288
	s_waitcnt vmcnt(1)
	ds_write_b128 v0, v[2:5]
.LBB116_297:
	s_or_b64 exec, exec, s[0:1]
	s_waitcnt lgkmcnt(0)
	; wave barrier
	scratch_load_dwordx4 v[184:187], off, off offset:304
	scratch_load_dwordx4 v[188:191], off, off offset:320
	scratch_load_dwordx4 v[196:199], off, off offset:336
	scratch_load_dwordx4 v[200:203], off, off offset:352
	scratch_load_dwordx4 v[208:211], off, off offset:368
	scratch_load_dwordx4 v[212:215], off, off offset:384
	scratch_load_dwordx4 v[220:223], off, off offset:400
	scratch_load_dwordx4 v[4:7], off, off offset:416
	scratch_load_dwordx4 v[8:11], off, off offset:432
	scratch_load_dwordx4 v[12:15], off, off offset:448
	scratch_load_dwordx4 v[16:19], off, off offset:464
	scratch_load_dwordx4 v[20:23], off, off offset:480
	scratch_load_dwordx4 v[24:27], off, off offset:496
	scratch_load_dwordx4 v[28:31], off, off offset:512
	scratch_load_dwordx4 v[32:35], off, off offset:528
	scratch_load_dwordx4 v[36:39], off, off offset:544
	scratch_load_dwordx4 v[40:43], off, off offset:560
	scratch_load_dwordx4 v[44:47], off, off offset:576
	scratch_load_dwordx4 v[48:51], off, off offset:592
	scratch_load_dwordx4 v[52:55], off, off offset:608
	scratch_load_dwordx4 v[56:59], off, off offset:624
	scratch_load_dwordx4 v[60:63], off, off offset:640
	scratch_load_dwordx4 v[64:67], off, off offset:656
	scratch_load_dwordx4 v[68:71], off, off offset:672
	scratch_load_dwordx4 v[72:75], off, off offset:688
	scratch_load_dwordx4 v[76:79], off, off offset:704
	scratch_load_dwordx4 v[80:83], off, off offset:720
	scratch_load_dwordx4 v[84:87], off, off offset:736
	scratch_load_dwordx4 v[88:91], off, off offset:752
	scratch_load_dwordx4 v[92:95], off, off offset:768
	scratch_load_dwordx4 v[100:103], off, off offset:784
	scratch_load_dwordx4 v[96:99], off, off offset:800
	v_mov_b32_e32 v2, 0
	ds_read_b128 v[192:195], v2 offset:1136
	ds_read_b128 v[204:207], v2 offset:1152
	;; [unrolled: 1-line block ×16, first 2 shown]
	v_cmp_lt_u32_e32 vcc, 16, v240
	s_waitcnt vmcnt(31) lgkmcnt(14)
	v_mul_f64 v[104:105], v[192:193], v[186:187]
	s_waitcnt vmcnt(30)
	v_mul_f64 v[106:107], v[204:205], v[190:191]
	v_fmac_f64_e32 v[104:105], v[194:195], v[184:185]
	s_waitcnt vmcnt(29) lgkmcnt(13)
	v_mul_f64 v[112:113], v[216:217], v[198:199]
	v_fmac_f64_e32 v[106:107], v[206:207], v[188:189]
	v_add_f64 v[104:105], v[104:105], 0
	s_waitcnt vmcnt(28) lgkmcnt(12)
	v_mul_f64 v[114:115], v[224:225], v[202:203]
	v_fmac_f64_e32 v[112:113], v[218:219], v[196:197]
	v_add_f64 v[104:105], v[104:105], v[106:107]
	s_waitcnt vmcnt(27) lgkmcnt(11)
	v_mul_f64 v[128:129], v[228:229], v[210:211]
	v_fmac_f64_e32 v[114:115], v[226:227], v[200:201]
	v_add_f64 v[104:105], v[104:105], v[112:113]
	s_waitcnt vmcnt(26) lgkmcnt(10)
	v_mul_f64 v[130:131], v[248:249], v[214:215]
	v_fmac_f64_e32 v[128:129], v[230:231], v[208:209]
	v_add_f64 v[104:105], v[104:105], v[114:115]
	s_waitcnt vmcnt(25) lgkmcnt(9)
	v_mul_f64 v[152:153], v[252:253], v[222:223]
	v_fmac_f64_e32 v[130:131], v[250:251], v[212:213]
	v_add_f64 v[104:105], v[104:105], v[128:129]
	s_waitcnt vmcnt(24) lgkmcnt(8)
	v_mul_f64 v[154:155], v[148:149], v[6:7]
	v_fmac_f64_e32 v[152:153], v[254:255], v[220:221]
	v_add_f64 v[104:105], v[104:105], v[130:131]
	s_waitcnt vmcnt(23) lgkmcnt(7)
	v_mul_f64 v[156:157], v[144:145], v[10:11]
	v_fmac_f64_e32 v[154:155], v[150:151], v[4:5]
	v_add_f64 v[104:105], v[104:105], v[152:153]
	s_waitcnt vmcnt(22) lgkmcnt(6)
	v_mul_f64 v[158:159], v[140:141], v[14:15]
	v_fmac_f64_e32 v[156:157], v[146:147], v[8:9]
	v_add_f64 v[104:105], v[104:105], v[154:155]
	s_waitcnt vmcnt(21) lgkmcnt(5)
	v_mul_f64 v[160:161], v[136:137], v[18:19]
	v_fmac_f64_e32 v[158:159], v[142:143], v[12:13]
	v_add_f64 v[104:105], v[104:105], v[156:157]
	s_waitcnt vmcnt(20) lgkmcnt(4)
	v_mul_f64 v[162:163], v[132:133], v[22:23]
	v_fmac_f64_e32 v[160:161], v[138:139], v[16:17]
	v_add_f64 v[104:105], v[104:105], v[158:159]
	ds_read_b128 v[152:155], v2 offset:1392
	ds_read_b128 v[156:159], v2 offset:1408
	s_waitcnt vmcnt(19) lgkmcnt(5)
	v_mul_f64 v[164:165], v[124:125], v[26:27]
	v_fmac_f64_e32 v[162:163], v[134:135], v[20:21]
	v_add_f64 v[104:105], v[104:105], v[160:161]
	s_waitcnt vmcnt(18) lgkmcnt(4)
	v_mul_f64 v[166:167], v[120:121], v[30:31]
	v_fmac_f64_e32 v[164:165], v[126:127], v[24:25]
	v_add_f64 v[104:105], v[104:105], v[162:163]
	;; [unrolled: 4-line block ×4, first 2 shown]
	v_add_f64 v[112:113], v[104:105], v[168:169]
	v_fmac_f64_e32 v[170:171], v[110:111], v[36:37]
	scratch_load_dwordx4 v[104:107], off, off offset:816
	s_waitcnt vmcnt(16) lgkmcnt(1)
	v_mul_f64 v[114:115], v[152:153], v[42:43]
	v_add_f64 v[112:113], v[112:113], v[170:171]
	v_fmac_f64_e32 v[114:115], v[154:155], v[40:41]
	v_add_f64 v[128:129], v[112:113], v[114:115]
	scratch_load_dwordx4 v[112:115], off, off offset:832
	s_waitcnt vmcnt(16) lgkmcnt(0)
	v_mul_f64 v[130:131], v[156:157], v[46:47]
	v_fmac_f64_e32 v[130:131], v[158:159], v[44:45]
	v_add_f64 v[168:169], v[128:129], v[130:131]
	scratch_load_dwordx4 v[128:131], off, off offset:848
	ds_read_b128 v[160:163], v2 offset:1424
	ds_read_b128 v[164:167], v2 offset:1440
	v_mul_f64 v[186:187], v[194:195], v[186:187]
	v_fma_f64 v[242:243], v[192:193], v[184:185], -v[186:187]
	ds_read_b128 v[184:187], v2 offset:1520
	s_waitcnt vmcnt(16) lgkmcnt(2)
	v_mul_f64 v[170:171], v[160:161], v[50:51]
	v_fmac_f64_e32 v[170:171], v[162:163], v[48:49]
	s_waitcnt vmcnt(15) lgkmcnt(1)
	v_mul_f64 v[174:175], v[164:165], v[54:55]
	v_add_f64 v[172:173], v[168:169], v[170:171]
	ds_read_b128 v[168:171], v2 offset:1456
	v_fmac_f64_e32 v[174:175], v[166:167], v[52:53]
	v_add_f64 v[176:177], v[172:173], v[174:175]
	ds_read_b128 v[172:175], v2 offset:1472
	v_mul_f64 v[190:191], v[206:207], v[190:191]
	s_waitcnt vmcnt(14) lgkmcnt(1)
	v_mul_f64 v[178:179], v[168:169], v[58:59]
	v_fmac_f64_e32 v[178:179], v[170:171], v[56:57]
	v_add_f64 v[180:181], v[176:177], v[178:179]
	s_waitcnt vmcnt(13) lgkmcnt(0)
	v_mul_f64 v[182:183], v[172:173], v[62:63]
	ds_read_b128 v[176:179], v2 offset:1488
	v_fmac_f64_e32 v[182:183], v[174:175], v[60:61]
	v_add_f64 v[232:233], v[180:181], v[182:183]
	ds_read_b128 v[180:183], v2 offset:1504
	v_fma_f64 v[244:245], v[204:205], v[188:189], -v[190:191]
	s_waitcnt vmcnt(12) lgkmcnt(1)
	v_mul_f64 v[234:235], v[176:177], v[66:67]
	v_fmac_f64_e32 v[234:235], v[178:179], v[64:65]
	v_add_f64 v[232:233], v[232:233], v[234:235]
	s_waitcnt vmcnt(11) lgkmcnt(0)
	v_mul_f64 v[192:193], v[180:181], v[70:71]
	v_fmac_f64_e32 v[192:193], v[182:183], v[68:69]
	ds_read_b128 v[188:191], v2 offset:1536
	s_waitcnt vmcnt(10)
	v_mul_f64 v[194:195], v[184:185], v[74:75]
	v_add_f64 v[192:193], v[232:233], v[192:193]
	v_fmac_f64_e32 v[194:195], v[186:187], v[72:73]
	v_add_f64 v[204:205], v[192:193], v[194:195]
	ds_read_b128 v[192:195], v2 offset:1552
	v_mul_f64 v[198:199], v[218:219], v[198:199]
	v_fma_f64 v[246:247], v[216:217], v[196:197], -v[198:199]
	ds_read_b128 v[196:199], v2 offset:1568
	s_waitcnt vmcnt(9) lgkmcnt(2)
	v_mul_f64 v[206:207], v[188:189], v[78:79]
	v_fmac_f64_e32 v[206:207], v[190:191], v[76:77]
	v_add_f64 v[204:205], v[204:205], v[206:207]
	s_waitcnt vmcnt(8) lgkmcnt(1)
	v_mul_f64 v[206:207], v[192:193], v[82:83]
	v_fmac_f64_e32 v[206:207], v[194:195], v[80:81]
	v_mul_f64 v[202:203], v[226:227], v[202:203]
	v_add_f64 v[204:205], v[204:205], v[206:207]
	v_fma_f64 v[234:235], v[224:225], v[200:201], -v[202:203]
	ds_read_b128 v[200:203], v2 offset:1584
	s_waitcnt vmcnt(7) lgkmcnt(1)
	v_mul_f64 v[206:207], v[196:197], v[86:87]
	v_fmac_f64_e32 v[206:207], v[198:199], v[84:85]
	v_add_f64 v[216:217], v[204:205], v[206:207]
	ds_read_b128 v[204:207], v2 offset:1600
	v_mul_f64 v[210:211], v[230:231], v[210:211]
	v_fma_f64 v[236:237], v[228:229], v[208:209], -v[210:211]
	ds_read_b128 v[208:211], v2 offset:1616
	s_waitcnt vmcnt(6) lgkmcnt(2)
	v_mul_f64 v[218:219], v[200:201], v[90:91]
	v_fmac_f64_e32 v[218:219], v[202:203], v[88:89]
	v_add_f64 v[216:217], v[216:217], v[218:219]
	s_waitcnt vmcnt(5) lgkmcnt(1)
	v_mul_f64 v[218:219], v[204:205], v[94:95]
	v_fmac_f64_e32 v[218:219], v[206:207], v[92:93]
	v_mul_f64 v[214:215], v[250:251], v[214:215]
	v_fma_f64 v[238:239], v[248:249], v[212:213], -v[214:215]
	ds_read_b128 v[212:215], v2 offset:1632
	v_add_f64 v[216:217], v[216:217], v[218:219]
	s_waitcnt vmcnt(4) lgkmcnt(1)
	v_mul_f64 v[218:219], v[208:209], v[102:103]
	v_fmac_f64_e32 v[218:219], v[210:211], v[100:101]
	v_add_f64 v[224:225], v[216:217], v[218:219]
	ds_read_b128 v[216:219], v2 offset:1648
	v_mul_f64 v[222:223], v[254:255], v[222:223]
	v_fma_f64 v[248:249], v[252:253], v[220:221], -v[222:223]
	ds_read_b128 v[220:223], v2 offset:1664
	s_waitcnt vmcnt(3) lgkmcnt(2)
	v_mul_f64 v[226:227], v[212:213], v[98:99]
	v_fmac_f64_e32 v[226:227], v[214:215], v[96:97]
	v_add_f64 v[224:225], v[224:225], v[226:227]
	s_waitcnt vmcnt(2) lgkmcnt(1)
	v_mul_f64 v[226:227], v[216:217], v[106:107]
	v_fmac_f64_e32 v[226:227], v[218:219], v[104:105]
	v_add_f64 v[224:225], v[224:225], v[226:227]
	;; [unrolled: 4-line block ×3, first 2 shown]
	ds_read_b128 v[224:227], v2 offset:1680
	v_mul_f64 v[6:7], v[150:151], v[6:7]
	v_fma_f64 v[4:5], v[148:149], v[4:5], -v[6:7]
	v_mul_f64 v[6:7], v[146:147], v[10:11]
	v_fma_f64 v[6:7], v[144:145], v[8:9], -v[6:7]
	s_waitcnt vmcnt(0) lgkmcnt(0)
	v_mul_f64 v[230:231], v[224:225], v[130:131]
	v_fmac_f64_e32 v[230:231], v[226:227], v[128:129]
	v_add_f64 v[232:233], v[228:229], v[230:231]
	v_add_f64 v[228:229], v[242:243], 0
	;; [unrolled: 1-line block ×4, first 2 shown]
	scratch_load_dwordx4 v[228:231], off, off offset:288
	v_add_f64 v[234:235], v[250:251], v[234:235]
	v_add_f64 v[234:235], v[234:235], v[236:237]
	;; [unrolled: 1-line block ×6, first 2 shown]
	v_mul_f64 v[6:7], v[142:143], v[14:15]
	v_fma_f64 v[6:7], v[140:141], v[12:13], -v[6:7]
	v_add_f64 v[4:5], v[4:5], v[6:7]
	v_mul_f64 v[6:7], v[138:139], v[18:19]
	v_fma_f64 v[6:7], v[136:137], v[16:17], -v[6:7]
	v_add_f64 v[4:5], v[4:5], v[6:7]
	;; [unrolled: 3-line block ×26, first 2 shown]
	s_waitcnt vmcnt(0)
	v_add_f64 v[4:5], v[228:229], -v[4:5]
	v_add_f64 v[6:7], v[230:231], -v[232:233]
	scratch_store_dwordx4 off, v[4:7], off offset:288
	s_and_saveexec_b64 s[0:1], vcc
	s_cbranch_execz .LBB116_299
; %bb.298:
	scratch_load_dwordx4 v[6:9], off, s53
	v_mov_b32_e32 v3, v2
	v_mov_b32_e32 v4, v2
	;; [unrolled: 1-line block ×3, first 2 shown]
	v_accvgpr_read_b32 v0, a107
	scratch_store_dwordx4 off, v[2:5], off offset:272
	s_waitcnt vmcnt(1)
	ds_write_b128 v0, v[6:9]
.LBB116_299:
	s_or_b64 exec, exec, s[0:1]
	s_waitcnt lgkmcnt(0)
	; wave barrier
	scratch_load_dwordx4 v[140:143], off, off offset:288
	scratch_load_dwordx4 v[144:147], off, off offset:304
	;; [unrolled: 1-line block ×16, first 2 shown]
	ds_read_b128 v[208:211], v2 offset:1120
	ds_read_b128 v[200:203], v2 offset:1136
	;; [unrolled: 1-line block ×3, first 2 shown]
	scratch_load_dwordx4 v[40:43], off, off offset:544
	ds_read_b128 v[204:207], v2 offset:1168
	ds_read_b128 v[192:195], v2 offset:1184
	;; [unrolled: 1-line block ×3, first 2 shown]
	scratch_load_dwordx4 v[44:47], off, off offset:560
	ds_read_b128 v[196:199], v2 offset:1216
	ds_read_b128 v[64:67], v2 offset:1232
	;; [unrolled: 1-line block ×4, first 2 shown]
	scratch_load_dwordx4 v[48:51], off, off offset:576
	ds_read_b128 v[72:75], v2 offset:1280
	ds_read_b128 v[68:71], v2 offset:1296
	scratch_load_dwordx4 v[56:59], off, off offset:592
	ds_read_b128 v[92:95], v2 offset:1312
	ds_read_b128 v[88:91], v2 offset:1328
	;; [unrolled: 1-line block ×4, first 2 shown]
	scratch_load_dwordx4 v[76:79], off, off offset:608
	scratch_load_dwordx4 v[96:99], off, off offset:624
	;; [unrolled: 1-line block ×12, first 2 shown]
	ds_read_b128 v[168:171], v2 offset:1376
	v_accvgpr_write_b32 a106, v240
	v_cmp_lt_u32_e32 vcc, 15, v240
	s_waitcnt vmcnt(31) lgkmcnt(14)
	v_mul_f64 v[172:173], v[208:209], v[142:143]
	s_waitcnt vmcnt(30)
	v_mul_f64 v[174:175], v[200:201], v[146:147]
	v_fmac_f64_e32 v[172:173], v[210:211], v[140:141]
	s_waitcnt vmcnt(29)
	v_mul_f64 v[176:177], v[188:189], v[150:151]
	v_fmac_f64_e32 v[174:175], v[202:203], v[144:145]
	v_add_f64 v[172:173], v[172:173], 0
	s_waitcnt vmcnt(28) lgkmcnt(13)
	v_mul_f64 v[178:179], v[204:205], v[154:155]
	v_fmac_f64_e32 v[176:177], v[190:191], v[148:149]
	v_add_f64 v[172:173], v[172:173], v[174:175]
	s_waitcnt vmcnt(27) lgkmcnt(12)
	;; [unrolled: 4-line block ×10, first 2 shown]
	v_mul_f64 v[224:225], v[92:93], v[26:27]
	v_fmac_f64_e32 v[222:223], v[70:71], v[20:21]
	v_add_f64 v[172:173], v[172:173], v[220:221]
	ds_read_b128 v[212:215], v2 offset:1392
	s_waitcnt vmcnt(18) lgkmcnt(4)
	v_mul_f64 v[226:227], v[88:89], v[30:31]
	v_fmac_f64_e32 v[224:225], v[94:95], v[24:25]
	v_add_f64 v[172:173], v[172:173], v[222:223]
	ds_read_b128 v[216:219], v2 offset:1408
	ds_read_b128 v[220:223], v2 offset:1424
	s_waitcnt vmcnt(17) lgkmcnt(5)
	v_mul_f64 v[228:229], v[84:85], v[34:35]
	v_fmac_f64_e32 v[226:227], v[90:91], v[28:29]
	v_add_f64 v[172:173], v[172:173], v[224:225]
	s_waitcnt vmcnt(16) lgkmcnt(4)
	v_mul_f64 v[230:231], v[80:81], v[38:39]
	v_fmac_f64_e32 v[228:229], v[86:87], v[32:33]
	v_add_f64 v[172:173], v[172:173], v[226:227]
	v_add_f64 v[176:177], v[172:173], v[228:229]
	v_fmac_f64_e32 v[230:231], v[82:83], v[36:37]
	s_waitcnt vmcnt(15) lgkmcnt(3)
	v_mul_f64 v[178:179], v[168:169], v[42:43]
	v_add_f64 v[176:177], v[176:177], v[230:231]
	v_fmac_f64_e32 v[178:179], v[170:171], v[40:41]
	s_waitcnt vmcnt(14) lgkmcnt(2)
	v_mul_f64 v[182:183], v[212:213], v[46:47]
	;; [unrolled: 4-line block ×3, first 2 shown]
	v_add_f64 v[224:225], v[180:181], v[182:183]
	v_fmac_f64_e32 v[226:227], v[218:219], v[48:49]
	v_add_f64 v[228:229], v[224:225], v[226:227]
	ds_read_b128 v[224:227], v2 offset:1440
	s_waitcnt vmcnt(12) lgkmcnt(1)
	v_mul_f64 v[230:231], v[220:221], v[58:59]
	v_fmac_f64_e32 v[230:231], v[222:223], v[56:57]
	v_add_f64 v[232:233], v[228:229], v[230:231]
	ds_read_b128 v[228:231], v2 offset:1456
	s_waitcnt vmcnt(11) lgkmcnt(1)
	v_mul_f64 v[234:235], v[224:225], v[78:79]
	;; [unrolled: 5-line block ×4, first 2 shown]
	v_fmac_f64_e32 v[244:245], v[234:235], v[100:101]
	v_mul_f64 v[142:143], v[210:211], v[142:143]
	v_add_f64 v[242:243], v[242:243], v[244:245]
	v_fma_f64 v[244:245], v[208:209], v[140:141], -v[142:143]
	ds_read_b128 v[140:143], v2 offset:1504
	s_waitcnt vmcnt(8) lgkmcnt(1)
	v_mul_f64 v[208:209], v[236:237], v[106:107]
	v_fmac_f64_e32 v[208:209], v[238:239], v[104:105]
	v_mul_f64 v[146:147], v[202:203], v[146:147]
	v_add_f64 v[208:209], v[242:243], v[208:209]
	v_fma_f64 v[242:243], v[200:201], v[144:145], -v[146:147]
	ds_read_b128 v[144:147], v2 offset:1520
	s_waitcnt vmcnt(7) lgkmcnt(1)
	v_mul_f64 v[200:201], v[140:141], v[110:111]
	scratch_load_dwordx4 v[172:175], off, off offset:800
	scratch_load_dwordx4 v[176:179], off, off offset:816
	v_fmac_f64_e32 v[200:201], v[142:143], v[108:109]
	v_add_f64 v[208:209], v[208:209], v[200:201]
	ds_read_b128 v[200:203], v2 offset:1536
	v_mul_f64 v[150:151], v[190:191], v[150:151]
	v_fma_f64 v[246:247], v[188:189], v[148:149], -v[150:151]
	ds_read_b128 v[148:151], v2 offset:1552
	s_waitcnt vmcnt(8) lgkmcnt(2)
	v_mul_f64 v[210:211], v[144:145], v[114:115]
	v_fmac_f64_e32 v[210:211], v[146:147], v[112:113]
	s_waitcnt vmcnt(7) lgkmcnt(1)
	v_mul_f64 v[188:189], v[200:201], v[118:119]
	v_add_f64 v[208:209], v[208:209], v[210:211]
	v_fmac_f64_e32 v[188:189], v[202:203], v[116:117]
	v_mul_f64 v[154:155], v[206:207], v[154:155]
	s_waitcnt vmcnt(6) lgkmcnt(0)
	v_mul_f64 v[190:191], v[148:149], v[122:123]
	v_add_f64 v[188:189], v[208:209], v[188:189]
	v_fma_f64 v[248:249], v[204:205], v[152:153], -v[154:155]
	ds_read_b128 v[152:155], v2 offset:1568
	v_fmac_f64_e32 v[190:191], v[150:151], v[120:121]
	scratch_load_dwordx4 v[180:183], off, off offset:832
	v_add_f64 v[204:205], v[188:189], v[190:191]
	ds_read_b128 v[188:191], v2 offset:1584
	s_waitcnt vmcnt(6) lgkmcnt(1)
	v_mul_f64 v[206:207], v[152:153], v[126:127]
	v_mul_f64 v[158:159], v[194:195], v[158:159]
	v_fmac_f64_e32 v[206:207], v[154:155], v[124:125]
	v_fma_f64 v[250:251], v[192:193], v[156:157], -v[158:159]
	s_waitcnt vmcnt(5) lgkmcnt(0)
	v_mul_f64 v[192:193], v[188:189], v[130:131]
	v_add_f64 v[204:205], v[204:205], v[206:207]
	v_fmac_f64_e32 v[192:193], v[190:191], v[128:129]
	v_mul_f64 v[162:163], v[186:187], v[162:163]
	v_fma_f64 v[208:209], v[184:185], v[160:161], -v[162:163]
	v_add_f64 v[184:185], v[204:205], v[192:193]
	scratch_load_dwordx4 v[204:207], off, off offset:848
	ds_read_b128 v[156:159], v2 offset:1600
	ds_read_b128 v[160:163], v2 offset:1616
	v_mul_f64 v[166:167], v[198:199], v[166:167]
	v_fma_f64 v[210:211], v[196:197], v[164:165], -v[166:167]
	ds_read_b128 v[164:167], v2 offset:1648
	s_waitcnt vmcnt(5) lgkmcnt(2)
	v_mul_f64 v[186:187], v[156:157], v[138:139]
	v_fmac_f64_e32 v[186:187], v[158:159], v[136:137]
	v_add_f64 v[192:193], v[184:185], v[186:187]
	ds_read_b128 v[184:187], v2 offset:1632
	s_waitcnt vmcnt(4) lgkmcnt(2)
	v_mul_f64 v[194:195], v[160:161], v[134:135]
	v_fmac_f64_e32 v[194:195], v[162:163], v[132:133]
	v_add_f64 v[192:193], v[192:193], v[194:195]
	v_add_f64 v[244:245], v[244:245], 0
	;; [unrolled: 1-line block ×7, first 2 shown]
	v_mul_f64 v[6:7], v[66:67], v[6:7]
	v_add_f64 v[208:209], v[208:209], v[210:211]
	v_fma_f64 v[4:5], v[64:65], v[4:5], -v[6:7]
	v_mul_f64 v[6:7], v[62:63], v[10:11]
	v_add_f64 v[4:5], v[208:209], v[4:5]
	v_fma_f64 v[6:7], v[60:61], v[8:9], -v[6:7]
	v_add_f64 v[4:5], v[4:5], v[6:7]
	v_mul_f64 v[6:7], v[54:55], v[14:15]
	v_fma_f64 v[6:7], v[52:53], v[12:13], -v[6:7]
	v_add_f64 v[4:5], v[4:5], v[6:7]
	v_mul_f64 v[6:7], v[74:75], v[18:19]
	;; [unrolled: 3-line block ×8, first 2 shown]
	s_waitcnt vmcnt(3) lgkmcnt(0)
	v_mul_f64 v[194:195], v[184:185], v[174:175]
	v_fmac_f64_e32 v[194:195], v[186:187], v[172:173]
	v_add_f64 v[192:193], v[192:193], v[194:195]
	s_waitcnt vmcnt(2)
	v_mul_f64 v[194:195], v[164:165], v[178:179]
	v_fmac_f64_e32 v[194:195], v[166:167], v[176:177]
	v_add_f64 v[196:197], v[192:193], v[194:195]
	ds_read_b128 v[192:195], v2 offset:1664
	v_fma_f64 v[6:7], v[168:169], v[40:41], -v[6:7]
	v_add_f64 v[4:5], v[4:5], v[6:7]
	v_mul_f64 v[6:7], v[214:215], v[46:47]
	v_fma_f64 v[6:7], v[212:213], v[44:45], -v[6:7]
	v_add_f64 v[4:5], v[4:5], v[6:7]
	v_mul_f64 v[6:7], v[218:219], v[50:51]
	;; [unrolled: 3-line block ×4, first 2 shown]
	s_waitcnt vmcnt(1) lgkmcnt(0)
	v_mul_f64 v[198:199], v[192:193], v[182:183]
	v_fmac_f64_e32 v[198:199], v[194:195], v[180:181]
	v_add_f64 v[252:253], v[196:197], v[198:199]
	ds_read_b128 v[196:199], v2 offset:1680
	v_fma_f64 v[6:7], v[224:225], v[76:77], -v[6:7]
	v_add_f64 v[4:5], v[4:5], v[6:7]
	v_mul_f64 v[6:7], v[230:231], v[98:99]
	v_fma_f64 v[6:7], v[228:229], v[96:97], -v[6:7]
	v_add_f64 v[4:5], v[4:5], v[6:7]
	v_mul_f64 v[6:7], v[234:235], v[102:103]
	;; [unrolled: 3-line block ×3, first 2 shown]
	s_waitcnt vmcnt(0) lgkmcnt(0)
	v_mul_f64 v[2:3], v[196:197], v[206:207]
	v_fmac_f64_e32 v[2:3], v[198:199], v[204:205]
	v_add_f64 v[2:3], v[252:253], v[2:3]
	scratch_load_dwordx4 v[250:253], off, off offset:272
	v_fma_f64 v[6:7], v[236:237], v[104:105], -v[6:7]
	v_add_f64 v[4:5], v[4:5], v[6:7]
	v_mul_f64 v[6:7], v[142:143], v[110:111]
	v_fma_f64 v[6:7], v[140:141], v[108:109], -v[6:7]
	v_add_f64 v[4:5], v[4:5], v[6:7]
	v_mul_f64 v[6:7], v[146:147], v[114:115]
	;; [unrolled: 3-line block ×12, first 2 shown]
	v_fma_f64 v[6:7], v[196:197], v[204:205], -v[6:7]
	v_add_f64 v[4:5], v[4:5], v[6:7]
	s_waitcnt vmcnt(0)
	v_add_f64 v[4:5], v[250:251], -v[4:5]
	v_add_f64 v[6:7], v[252:253], -v[2:3]
	scratch_store_dwordx4 off, v[4:7], off offset:272
	s_and_saveexec_b64 s[0:1], vcc
	s_cbranch_execz .LBB116_301
; %bb.300:
	scratch_load_dwordx4 v[2:5], off, s54
	v_mov_b32_e32 v6, 0
	v_mov_b32_e32 v7, v6
	;; [unrolled: 1-line block ×4, first 2 shown]
	v_accvgpr_read_b32 v0, a107
	scratch_store_dwordx4 off, v[6:9], off offset:256
	s_waitcnt vmcnt(1)
	ds_write_b128 v0, v[2:5]
.LBB116_301:
	s_or_b64 exec, exec, s[0:1]
	s_waitcnt lgkmcnt(0)
	; wave barrier
	scratch_load_dwordx4 v[168:171], off, off offset:272
	scratch_load_dwordx4 v[172:175], off, off offset:288
	;; [unrolled: 1-line block ×32, first 2 shown]
	v_mov_b32_e32 v2, 0
	ds_read_b128 v[176:179], v2 offset:1104
	ds_read_b128 v[188:191], v2 offset:1120
	ds_read_b128 v[200:203], v2 offset:1136
	ds_read_b128 v[212:215], v2 offset:1152
	ds_read_b128 v[220:223], v2 offset:1168
	ds_read_b128 v[224:227], v2 offset:1184
	ds_read_b128 v[228:231], v2 offset:1200
	ds_read_b128 v[248:251], v2 offset:1216
	ds_read_b128 v[252:255], v2 offset:1232
	ds_read_b128 v[140:143], v2 offset:1248
	ds_read_b128 v[136:139], v2 offset:1264
	ds_read_b128 v[128:131], v2 offset:1280
	ds_read_b128 v[124:127], v2 offset:1296
	ds_read_b128 v[116:119], v2 offset:1312
	ds_read_b128 v[112:115], v2 offset:1328
	ds_read_b128 v[100:103], v2 offset:1344
	ds_read_b128 v[96:99], v2 offset:1360
	v_accvgpr_read_b32 v0, a106
	v_cmp_lt_u32_e32 vcc, 14, v0
	s_waitcnt vmcnt(31) lgkmcnt(14)
	v_mul_f64 v[104:105], v[176:177], v[170:171]
	s_waitcnt vmcnt(30)
	v_mul_f64 v[106:107], v[188:189], v[174:175]
	v_fmac_f64_e32 v[104:105], v[178:179], v[168:169]
	s_waitcnt vmcnt(29)
	v_mul_f64 v[108:109], v[200:201], v[182:183]
	v_fmac_f64_e32 v[106:107], v[190:191], v[172:173]
	v_add_f64 v[104:105], v[104:105], 0
	s_waitcnt vmcnt(28) lgkmcnt(13)
	v_mul_f64 v[110:111], v[212:213], v[186:187]
	v_fmac_f64_e32 v[108:109], v[202:203], v[180:181]
	v_add_f64 v[104:105], v[104:105], v[106:107]
	s_waitcnt vmcnt(27) lgkmcnt(12)
	v_mul_f64 v[120:121], v[220:221], v[194:195]
	v_fmac_f64_e32 v[110:111], v[214:215], v[184:185]
	v_add_f64 v[104:105], v[104:105], v[108:109]
	s_waitcnt vmcnt(26) lgkmcnt(11)
	v_mul_f64 v[122:123], v[224:225], v[198:199]
	v_fmac_f64_e32 v[120:121], v[222:223], v[192:193]
	v_add_f64 v[104:105], v[104:105], v[110:111]
	s_waitcnt vmcnt(25) lgkmcnt(10)
	v_mul_f64 v[132:133], v[228:229], v[206:207]
	v_fmac_f64_e32 v[122:123], v[226:227], v[196:197]
	v_add_f64 v[104:105], v[104:105], v[120:121]
	s_waitcnt vmcnt(24) lgkmcnt(9)
	v_mul_f64 v[134:135], v[248:249], v[210:211]
	v_fmac_f64_e32 v[132:133], v[230:231], v[204:205]
	v_add_f64 v[104:105], v[104:105], v[122:123]
	s_waitcnt vmcnt(23) lgkmcnt(8)
	v_mul_f64 v[144:145], v[252:253], v[218:219]
	v_fmac_f64_e32 v[134:135], v[250:251], v[208:209]
	v_add_f64 v[104:105], v[104:105], v[132:133]
	s_waitcnt vmcnt(22) lgkmcnt(7)
	v_mul_f64 v[146:147], v[140:141], v[6:7]
	v_fmac_f64_e32 v[144:145], v[254:255], v[216:217]
	v_add_f64 v[104:105], v[104:105], v[134:135]
	s_waitcnt vmcnt(21) lgkmcnt(6)
	v_mul_f64 v[148:149], v[136:137], v[10:11]
	v_fmac_f64_e32 v[146:147], v[142:143], v[4:5]
	v_add_f64 v[104:105], v[104:105], v[144:145]
	s_waitcnt vmcnt(20) lgkmcnt(5)
	v_mul_f64 v[150:151], v[128:129], v[14:15]
	v_fmac_f64_e32 v[148:149], v[138:139], v[8:9]
	v_add_f64 v[104:105], v[104:105], v[146:147]
	s_waitcnt vmcnt(19) lgkmcnt(4)
	v_mul_f64 v[152:153], v[124:125], v[18:19]
	v_fmac_f64_e32 v[150:151], v[130:131], v[12:13]
	v_add_f64 v[104:105], v[104:105], v[148:149]
	s_waitcnt vmcnt(18) lgkmcnt(3)
	v_mul_f64 v[154:155], v[116:117], v[22:23]
	v_fmac_f64_e32 v[152:153], v[126:127], v[16:17]
	v_add_f64 v[104:105], v[104:105], v[150:151]
	s_waitcnt vmcnt(17) lgkmcnt(2)
	v_mul_f64 v[156:157], v[112:113], v[26:27]
	v_fmac_f64_e32 v[154:155], v[118:119], v[20:21]
	v_add_f64 v[104:105], v[104:105], v[152:153]
	v_fmac_f64_e32 v[156:157], v[114:115], v[24:25]
	v_add_f64 v[104:105], v[104:105], v[154:155]
	s_waitcnt vmcnt(16) lgkmcnt(1)
	v_mul_f64 v[106:107], v[100:101], v[30:31]
	v_add_f64 v[104:105], v[104:105], v[156:157]
	v_fmac_f64_e32 v[106:107], v[102:103], v[28:29]
	v_add_f64 v[108:109], v[104:105], v[106:107]
	ds_read_b128 v[144:147], v2 offset:1376
	ds_read_b128 v[148:151], v2 offset:1392
	scratch_load_dwordx4 v[104:107], off, off offset:784
	s_waitcnt vmcnt(16) lgkmcnt(2)
	v_mul_f64 v[110:111], v[96:97], v[34:35]
	v_fmac_f64_e32 v[110:111], v[98:99], v[32:33]
	v_add_f64 v[120:121], v[108:109], v[110:111]
	scratch_load_dwordx4 v[108:111], off, off offset:800
	s_waitcnt vmcnt(16) lgkmcnt(1)
	v_mul_f64 v[122:123], v[144:145], v[38:39]
	v_fmac_f64_e32 v[122:123], v[146:147], v[36:37]
	v_add_f64 v[132:133], v[120:121], v[122:123]
	s_waitcnt vmcnt(15) lgkmcnt(0)
	v_mul_f64 v[134:135], v[148:149], v[42:43]
	scratch_load_dwordx4 v[120:123], off, off offset:816
	v_fmac_f64_e32 v[134:135], v[150:151], v[40:41]
	v_add_f64 v[160:161], v[132:133], v[134:135]
	scratch_load_dwordx4 v[132:135], off, off offset:832
	ds_read_b128 v[152:155], v2 offset:1408
	ds_read_b128 v[156:159], v2 offset:1424
	v_mul_f64 v[170:171], v[178:179], v[170:171]
	v_fma_f64 v[242:243], v[176:177], v[168:169], -v[170:171]
	ds_read_b128 v[168:171], v2 offset:1472
	s_waitcnt vmcnt(16) lgkmcnt(2)
	v_mul_f64 v[162:163], v[152:153], v[46:47]
	v_fmac_f64_e32 v[162:163], v[154:155], v[44:45]
	s_waitcnt vmcnt(15) lgkmcnt(1)
	v_mul_f64 v[166:167], v[156:157], v[50:51]
	v_add_f64 v[164:165], v[160:161], v[162:163]
	ds_read_b128 v[160:163], v2 offset:1440
	v_fmac_f64_e32 v[166:167], v[158:159], v[48:49]
	v_add_f64 v[232:233], v[164:165], v[166:167]
	ds_read_b128 v[164:167], v2 offset:1456
	v_mul_f64 v[174:175], v[190:191], v[174:175]
	s_waitcnt vmcnt(14) lgkmcnt(1)
	v_mul_f64 v[234:235], v[160:161], v[54:55]
	v_fmac_f64_e32 v[234:235], v[162:163], v[52:53]
	v_add_f64 v[232:233], v[232:233], v[234:235]
	s_waitcnt vmcnt(13) lgkmcnt(0)
	v_mul_f64 v[176:177], v[164:165], v[58:59]
	v_fmac_f64_e32 v[176:177], v[166:167], v[56:57]
	v_fma_f64 v[244:245], v[188:189], v[172:173], -v[174:175]
	ds_read_b128 v[172:175], v2 offset:1488
	s_waitcnt vmcnt(12)
	v_mul_f64 v[178:179], v[168:169], v[62:63]
	v_add_f64 v[176:177], v[232:233], v[176:177]
	v_fmac_f64_e32 v[178:179], v[170:171], v[60:61]
	v_add_f64 v[188:189], v[176:177], v[178:179]
	ds_read_b128 v[176:179], v2 offset:1504
	v_mul_f64 v[182:183], v[202:203], v[182:183]
	v_fma_f64 v[246:247], v[200:201], v[180:181], -v[182:183]
	ds_read_b128 v[180:183], v2 offset:1520
	s_waitcnt vmcnt(11) lgkmcnt(2)
	v_mul_f64 v[190:191], v[172:173], v[66:67]
	v_fmac_f64_e32 v[190:191], v[174:175], v[64:65]
	v_add_f64 v[188:189], v[188:189], v[190:191]
	s_waitcnt vmcnt(10) lgkmcnt(1)
	v_mul_f64 v[190:191], v[176:177], v[70:71]
	v_fmac_f64_e32 v[190:191], v[178:179], v[68:69]
	v_mul_f64 v[186:187], v[214:215], v[186:187]
	v_fma_f64 v[240:241], v[212:213], v[184:185], -v[186:187]
	ds_read_b128 v[184:187], v2 offset:1536
	v_add_f64 v[188:189], v[188:189], v[190:191]
	s_waitcnt vmcnt(9) lgkmcnt(1)
	v_mul_f64 v[190:191], v[180:181], v[74:75]
	v_fmac_f64_e32 v[190:191], v[182:183], v[72:73]
	v_add_f64 v[200:201], v[188:189], v[190:191]
	ds_read_b128 v[188:191], v2 offset:1552
	v_mul_f64 v[194:195], v[222:223], v[194:195]
	v_fma_f64 v[232:233], v[220:221], v[192:193], -v[194:195]
	ds_read_b128 v[192:195], v2 offset:1568
	s_waitcnt vmcnt(8) lgkmcnt(2)
	v_mul_f64 v[202:203], v[184:185], v[78:79]
	v_fmac_f64_e32 v[202:203], v[186:187], v[76:77]
	v_add_f64 v[200:201], v[200:201], v[202:203]
	s_waitcnt vmcnt(7) lgkmcnt(1)
	v_mul_f64 v[202:203], v[188:189], v[82:83]
	v_fmac_f64_e32 v[202:203], v[190:191], v[80:81]
	v_mul_f64 v[198:199], v[226:227], v[198:199]
	v_add_f64 v[200:201], v[200:201], v[202:203]
	v_fma_f64 v[234:235], v[224:225], v[196:197], -v[198:199]
	ds_read_b128 v[196:199], v2 offset:1584
	s_waitcnt vmcnt(6) lgkmcnt(1)
	v_mul_f64 v[202:203], v[192:193], v[86:87]
	v_fmac_f64_e32 v[202:203], v[194:195], v[84:85]
	v_add_f64 v[212:213], v[200:201], v[202:203]
	ds_read_b128 v[200:203], v2 offset:1600
	v_mul_f64 v[206:207], v[230:231], v[206:207]
	v_fma_f64 v[236:237], v[228:229], v[204:205], -v[206:207]
	ds_read_b128 v[204:207], v2 offset:1616
	s_waitcnt vmcnt(5) lgkmcnt(2)
	v_mul_f64 v[214:215], v[196:197], v[94:95]
	v_fmac_f64_e32 v[214:215], v[198:199], v[92:93]
	v_add_f64 v[212:213], v[212:213], v[214:215]
	s_waitcnt vmcnt(4) lgkmcnt(1)
	v_mul_f64 v[214:215], v[200:201], v[90:91]
	v_fmac_f64_e32 v[214:215], v[202:203], v[88:89]
	v_mul_f64 v[210:211], v[250:251], v[210:211]
	v_fma_f64 v[238:239], v[248:249], v[208:209], -v[210:211]
	ds_read_b128 v[208:211], v2 offset:1632
	v_add_f64 v[212:213], v[212:213], v[214:215]
	s_waitcnt vmcnt(3) lgkmcnt(1)
	v_mul_f64 v[214:215], v[204:205], v[106:107]
	v_fmac_f64_e32 v[214:215], v[206:207], v[104:105]
	v_add_f64 v[220:221], v[212:213], v[214:215]
	ds_read_b128 v[212:215], v2 offset:1648
	v_mul_f64 v[218:219], v[254:255], v[218:219]
	v_fma_f64 v[248:249], v[252:253], v[216:217], -v[218:219]
	ds_read_b128 v[216:219], v2 offset:1664
	ds_read_b128 v[224:227], v2 offset:1680
	s_waitcnt vmcnt(2) lgkmcnt(3)
	v_mul_f64 v[222:223], v[208:209], v[110:111]
	v_fmac_f64_e32 v[222:223], v[210:211], v[108:109]
	v_add_f64 v[220:221], v[220:221], v[222:223]
	s_waitcnt vmcnt(1) lgkmcnt(2)
	v_mul_f64 v[222:223], v[212:213], v[122:123]
	v_fmac_f64_e32 v[222:223], v[214:215], v[120:121]
	v_add_f64 v[220:221], v[220:221], v[222:223]
	;; [unrolled: 4-line block ×3, first 2 shown]
	scratch_load_dwordx4 v[220:223], off, off offset:848
	v_mul_f64 v[6:7], v[142:143], v[6:7]
	v_fma_f64 v[4:5], v[140:141], v[4:5], -v[6:7]
	v_mul_f64 v[6:7], v[138:139], v[10:11]
	v_fma_f64 v[6:7], v[136:137], v[8:9], -v[6:7]
	s_waitcnt vmcnt(0) lgkmcnt(0)
	v_mul_f64 v[230:231], v[224:225], v[222:223]
	v_fmac_f64_e32 v[230:231], v[226:227], v[220:221]
	v_add_f64 v[252:253], v[228:229], v[230:231]
	v_add_f64 v[228:229], v[242:243], 0
	;; [unrolled: 1-line block ×6, first 2 shown]
	scratch_load_dwordx4 v[228:231], off, off offset:256
	v_add_f64 v[232:233], v[250:251], v[234:235]
	v_add_f64 v[232:233], v[232:233], v[236:237]
	;; [unrolled: 1-line block ×6, first 2 shown]
	v_mul_f64 v[6:7], v[130:131], v[14:15]
	v_fma_f64 v[6:7], v[128:129], v[12:13], -v[6:7]
	v_add_f64 v[4:5], v[4:5], v[6:7]
	v_mul_f64 v[6:7], v[126:127], v[18:19]
	v_fma_f64 v[6:7], v[124:125], v[16:17], -v[6:7]
	v_add_f64 v[4:5], v[4:5], v[6:7]
	;; [unrolled: 3-line block ×26, first 2 shown]
	s_waitcnt vmcnt(0)
	v_add_f64 v[4:5], v[228:229], -v[4:5]
	v_add_f64 v[6:7], v[230:231], -v[252:253]
	scratch_store_dwordx4 off, v[4:7], off offset:256
	s_and_saveexec_b64 s[0:1], vcc
	s_cbranch_execz .LBB116_303
; %bb.302:
	scratch_load_dwordx4 v[6:9], off, s55
	v_mov_b32_e32 v3, v2
	v_mov_b32_e32 v4, v2
	v_mov_b32_e32 v5, v2
	v_accvgpr_read_b32 v0, a107
	scratch_store_dwordx4 off, v[2:5], off offset:240
	s_waitcnt vmcnt(1)
	ds_write_b128 v0, v[6:9]
.LBB116_303:
	s_or_b64 exec, exec, s[0:1]
	s_waitcnt lgkmcnt(0)
	; wave barrier
	scratch_load_dwordx4 v[168:171], off, off offset:256
	scratch_load_dwordx4 v[172:175], off, off offset:272
	;; [unrolled: 1-line block ×16, first 2 shown]
	ds_read_b128 v[232:235], v2 offset:1088
	ds_read_b128 v[176:179], v2 offset:1104
	scratch_load_dwordx4 v[32:35], off, off offset:512
	ds_read_b128 v[236:239], v2 offset:1120
	ds_read_b128 v[188:191], v2 offset:1136
	;; [unrolled: 1-line block ×5, first 2 shown]
	scratch_load_dwordx4 v[36:39], off, off offset:528
	ds_read_b128 v[224:227], v2 offset:1200
	ds_read_b128 v[220:223], v2 offset:1216
	ds_read_b128 v[44:47], v2 offset:1232
	scratch_load_dwordx4 v[40:43], off, off offset:544
	ds_read_b128 v[64:67], v2 offset:1248
	ds_read_b128 v[60:63], v2 offset:1264
	;; [unrolled: 1-line block ×4, first 2 shown]
	scratch_load_dwordx4 v[48:51], off, off offset:560
	ds_read_b128 v[80:83], v2 offset:1312
	ds_read_b128 v[72:75], v2 offset:1328
	;; [unrolled: 1-line block ×3, first 2 shown]
	scratch_load_dwordx4 v[76:79], off, off offset:576
	scratch_load_dwordx4 v[84:87], off, off offset:592
	scratch_load_dwordx4 v[88:91], off, off offset:608
	scratch_load_dwordx4 v[92:95], off, off offset:624
	scratch_load_dwordx4 v[96:99], off, off offset:640
	scratch_load_dwordx4 v[100:103], off, off offset:656
	scratch_load_dwordx4 v[104:107], off, off offset:672
	scratch_load_dwordx4 v[108:111], off, off offset:688
	scratch_load_dwordx4 v[112:115], off, off offset:704
	scratch_load_dwordx4 v[116:119], off, off offset:720
	scratch_load_dwordx4 v[124:127], off, off offset:736
	scratch_load_dwordx4 v[120:123], off, off offset:752
	v_accvgpr_read_b32 v0, a106
	v_cmp_lt_u32_e32 vcc, 13, v0
	s_waitcnt vmcnt(31) lgkmcnt(14)
	v_mul_f64 v[128:129], v[232:233], v[170:171]
	s_waitcnt vmcnt(30)
	v_mul_f64 v[130:131], v[176:177], v[174:175]
	v_fmac_f64_e32 v[128:129], v[234:235], v[168:169]
	s_waitcnt vmcnt(29)
	v_mul_f64 v[132:133], v[236:237], v[182:183]
	v_fmac_f64_e32 v[130:131], v[178:179], v[172:173]
	v_add_f64 v[128:129], v[128:129], 0
	s_waitcnt vmcnt(28) lgkmcnt(13)
	v_mul_f64 v[134:135], v[188:189], v[186:187]
	v_fmac_f64_e32 v[132:133], v[238:239], v[180:181]
	v_add_f64 v[128:129], v[128:129], v[130:131]
	s_waitcnt vmcnt(27) lgkmcnt(12)
	;; [unrolled: 4-line block ×13, first 2 shown]
	v_mul_f64 v[158:159], v[72:73], v[30:31]
	v_fmac_f64_e32 v[156:157], v[82:83], v[24:25]
	v_add_f64 v[128:129], v[128:129], v[154:155]
	v_add_f64 v[128:129], v[128:129], v[156:157]
	v_fmac_f64_e32 v[158:159], v[74:75], v[28:29]
	v_add_f64 v[132:133], v[128:129], v[158:159]
	ds_read_b128 v[144:147], v2 offset:1360
	ds_read_b128 v[148:151], v2 offset:1376
	scratch_load_dwordx4 v[128:131], off, off offset:768
	s_waitcnt vmcnt(16) lgkmcnt(2)
	v_mul_f64 v[134:135], v[68:69], v[34:35]
	v_fmac_f64_e32 v[134:135], v[70:71], v[32:33]
	s_waitcnt vmcnt(15) lgkmcnt(1)
	v_mul_f64 v[138:139], v[144:145], v[38:39]
	v_add_f64 v[136:137], v[132:133], v[134:135]
	scratch_load_dwordx4 v[132:135], off, off offset:784
	v_fmac_f64_e32 v[138:139], v[146:147], v[36:37]
	v_add_f64 v[140:141], v[136:137], v[138:139]
	s_waitcnt vmcnt(15) lgkmcnt(0)
	v_mul_f64 v[142:143], v[148:149], v[42:43]
	scratch_load_dwordx4 v[136:139], off, off offset:800
	v_fmac_f64_e32 v[142:143], v[150:151], v[40:41]
	v_add_f64 v[160:161], v[140:141], v[142:143]
	scratch_load_dwordx4 v[140:143], off, off offset:816
	ds_read_b128 v[152:155], v2 offset:1392
	ds_read_b128 v[156:159], v2 offset:1408
	v_mul_f64 v[170:171], v[234:235], v[170:171]
	v_mul_f64 v[174:175], v[178:179], v[174:175]
	;; [unrolled: 1-line block ×3, first 2 shown]
	s_waitcnt vmcnt(16) lgkmcnt(1)
	v_mul_f64 v[162:163], v[152:153], v[50:51]
	v_fmac_f64_e32 v[162:163], v[154:155], v[48:49]
	v_add_f64 v[164:165], v[160:161], v[162:163]
	ds_read_b128 v[160:163], v2 offset:1424
	s_waitcnt vmcnt(15) lgkmcnt(1)
	v_mul_f64 v[166:167], v[156:157], v[78:79]
	v_fmac_f64_e32 v[166:167], v[158:159], v[76:77]
	v_add_f64 v[240:241], v[164:165], v[166:167]
	ds_read_b128 v[164:167], v2 offset:1440
	s_waitcnt vmcnt(14) lgkmcnt(1)
	v_mul_f64 v[242:243], v[160:161], v[86:87]
	v_fmac_f64_e32 v[242:243], v[162:163], v[84:85]
	v_add_f64 v[240:241], v[240:241], v[242:243]
	v_fma_f64 v[242:243], v[232:233], v[168:169], -v[170:171]
	ds_read_b128 v[168:171], v2 offset:1456
	s_waitcnt vmcnt(13) lgkmcnt(1)
	v_mul_f64 v[232:233], v[164:165], v[90:91]
	v_fmac_f64_e32 v[232:233], v[166:167], v[88:89]
	v_add_f64 v[232:233], v[240:241], v[232:233]
	v_fma_f64 v[240:241], v[176:177], v[172:173], -v[174:175]
	ds_read_b128 v[172:175], v2 offset:1472
	s_waitcnt vmcnt(12) lgkmcnt(1)
	v_mul_f64 v[176:177], v[168:169], v[94:95]
	v_fmac_f64_e32 v[176:177], v[170:171], v[92:93]
	v_add_f64 v[232:233], v[232:233], v[176:177]
	ds_read_b128 v[176:179], v2 offset:1488
	v_fma_f64 v[236:237], v[236:237], v[180:181], -v[182:183]
	ds_read_b128 v[180:183], v2 offset:1504
	s_waitcnt vmcnt(11) lgkmcnt(2)
	v_mul_f64 v[234:235], v[172:173], v[98:99]
	v_fmac_f64_e32 v[234:235], v[174:175], v[96:97]
	v_add_f64 v[232:233], v[232:233], v[234:235]
	s_waitcnt vmcnt(10) lgkmcnt(1)
	v_mul_f64 v[234:235], v[176:177], v[102:103]
	v_fmac_f64_e32 v[234:235], v[178:179], v[100:101]
	v_mul_f64 v[186:187], v[190:191], v[186:187]
	s_waitcnt vmcnt(9) lgkmcnt(0)
	v_mul_f64 v[190:191], v[180:181], v[106:107]
	v_fma_f64 v[238:239], v[188:189], v[184:185], -v[186:187]
	ds_read_b128 v[184:187], v2 offset:1520
	v_add_f64 v[188:189], v[232:233], v[234:235]
	v_fmac_f64_e32 v[190:191], v[182:183], v[104:105]
	v_add_f64 v[232:233], v[188:189], v[190:191]
	ds_read_b128 v[188:191], v2 offset:1536
	v_mul_f64 v[194:195], v[230:231], v[194:195]
	v_fma_f64 v[244:245], v[228:229], v[192:193], -v[194:195]
	ds_read_b128 v[192:195], v2 offset:1552
	s_waitcnt vmcnt(8) lgkmcnt(2)
	v_mul_f64 v[234:235], v[184:185], v[110:111]
	v_fmac_f64_e32 v[234:235], v[186:187], v[108:109]
	s_waitcnt vmcnt(7) lgkmcnt(1)
	v_mul_f64 v[228:229], v[188:189], v[114:115]
	v_mul_f64 v[198:199], v[202:203], v[198:199]
	v_add_f64 v[232:233], v[232:233], v[234:235]
	v_fmac_f64_e32 v[228:229], v[190:191], v[112:113]
	v_fma_f64 v[246:247], v[200:201], v[196:197], -v[198:199]
	ds_read_b128 v[196:199], v2 offset:1568
	s_waitcnt vmcnt(6) lgkmcnt(1)
	v_mul_f64 v[200:201], v[192:193], v[118:119]
	v_add_f64 v[228:229], v[232:233], v[228:229]
	v_fmac_f64_e32 v[200:201], v[194:195], v[116:117]
	v_add_f64 v[228:229], v[228:229], v[200:201]
	ds_read_b128 v[200:203], v2 offset:1584
	v_mul_f64 v[206:207], v[214:215], v[206:207]
	v_add_f64 v[242:243], v[242:243], 0
	v_fma_f64 v[252:253], v[212:213], v[204:205], -v[206:207]
	ds_read_b128 v[204:207], v2 offset:1600
	v_add_f64 v[240:241], v[242:243], v[240:241]
	v_add_f64 v[236:237], v[240:241], v[236:237]
	;; [unrolled: 1-line block ×3, first 2 shown]
	s_waitcnt vmcnt(5) lgkmcnt(2)
	v_mul_f64 v[230:231], v[196:197], v[126:127]
	v_add_f64 v[236:237], v[236:237], v[244:245]
	v_fmac_f64_e32 v[230:231], v[198:199], v[124:125]
	s_waitcnt vmcnt(4) lgkmcnt(1)
	v_mul_f64 v[212:213], v[200:201], v[122:123]
	v_add_f64 v[236:237], v[236:237], v[246:247]
	v_add_f64 v[228:229], v[228:229], v[230:231]
	v_fmac_f64_e32 v[212:213], v[202:203], v[120:121]
	v_mul_f64 v[210:211], v[226:227], v[210:211]
	v_add_f64 v[252:253], v[236:237], v[252:253]
	scratch_load_dwordx4 v[236:239], off, off offset:240
	s_waitcnt vmcnt(4) lgkmcnt(0)
	v_mul_f64 v[214:215], v[204:205], v[130:131]
	v_fma_f64 v[248:249], v[224:225], v[208:209], -v[210:211]
	ds_read_b128 v[208:211], v2 offset:1616
	v_add_f64 v[212:213], v[228:229], v[212:213]
	v_fmac_f64_e32 v[214:215], v[206:207], v[128:129]
	v_add_f64 v[224:225], v[212:213], v[214:215]
	ds_read_b128 v[212:215], v2 offset:1632
	v_mul_f64 v[218:219], v[222:223], v[218:219]
	v_fma_f64 v[250:251], v[220:221], v[216:217], -v[218:219]
	ds_read_b128 v[216:219], v2 offset:1648
	s_waitcnt vmcnt(3) lgkmcnt(2)
	v_mul_f64 v[220:221], v[208:209], v[134:135]
	v_fmac_f64_e32 v[220:221], v[210:211], v[132:133]
	s_waitcnt vmcnt(2) lgkmcnt(1)
	v_mul_f64 v[222:223], v[212:213], v[138:139]
	v_add_f64 v[220:221], v[224:225], v[220:221]
	v_fmac_f64_e32 v[222:223], v[214:215], v[136:137]
	v_add_f64 v[220:221], v[220:221], v[222:223]
	ds_read_b128 v[224:227], v2 offset:1664
	scratch_load_dwordx4 v[232:235], off, off offset:848
	s_waitcnt vmcnt(2) lgkmcnt(1)
	v_mul_f64 v[222:223], v[216:217], v[142:143]
	v_fmac_f64_e32 v[222:223], v[218:219], v[140:141]
	v_add_f64 v[228:229], v[220:221], v[222:223]
	scratch_load_dwordx4 v[220:223], off, off offset:832
	v_add_f64 v[240:241], v[252:253], v[248:249]
	v_mul_f64 v[6:7], v[46:47], v[6:7]
	v_add_f64 v[240:241], v[240:241], v[250:251]
	v_fma_f64 v[4:5], v[44:45], v[4:5], -v[6:7]
	v_mul_f64 v[6:7], v[66:67], v[10:11]
	v_add_f64 v[4:5], v[240:241], v[4:5]
	v_fma_f64 v[6:7], v[64:65], v[8:9], -v[6:7]
	v_add_f64 v[4:5], v[4:5], v[6:7]
	v_mul_f64 v[6:7], v[62:63], v[14:15]
	v_fma_f64 v[6:7], v[60:61], v[12:13], -v[6:7]
	v_add_f64 v[4:5], v[4:5], v[6:7]
	v_mul_f64 v[6:7], v[58:59], v[18:19]
	;; [unrolled: 3-line block ×24, first 2 shown]
	v_fma_f64 v[6:7], v[212:213], v[136:137], -v[6:7]
	s_waitcnt vmcnt(0) lgkmcnt(0)
	v_mul_f64 v[230:231], v[224:225], v[222:223]
	v_fmac_f64_e32 v[230:231], v[226:227], v[220:221]
	v_add_f64 v[254:255], v[228:229], v[230:231]
	ds_read_b128 v[228:231], v2 offset:1680
	v_add_f64 v[4:5], v[4:5], v[6:7]
	v_mul_f64 v[6:7], v[218:219], v[142:143]
	v_fma_f64 v[6:7], v[216:217], v[140:141], -v[6:7]
	v_add_f64 v[4:5], v[4:5], v[6:7]
	v_mul_f64 v[6:7], v[226:227], v[222:223]
	v_fma_f64 v[6:7], v[224:225], v[220:221], -v[6:7]
	s_waitcnt lgkmcnt(0)
	v_mul_f64 v[2:3], v[228:229], v[234:235]
	v_add_f64 v[4:5], v[4:5], v[6:7]
	v_mul_f64 v[6:7], v[230:231], v[234:235]
	v_fmac_f64_e32 v[2:3], v[230:231], v[232:233]
	v_fma_f64 v[6:7], v[228:229], v[232:233], -v[6:7]
	v_add_f64 v[2:3], v[254:255], v[2:3]
	v_add_f64 v[4:5], v[4:5], v[6:7]
	v_add_f64 v[4:5], v[236:237], -v[4:5]
	v_add_f64 v[6:7], v[238:239], -v[2:3]
	scratch_store_dwordx4 off, v[4:7], off offset:240
	s_and_saveexec_b64 s[0:1], vcc
	s_cbranch_execz .LBB116_305
; %bb.304:
	scratch_load_dwordx4 v[2:5], off, s56
	v_mov_b32_e32 v6, 0
	v_mov_b32_e32 v7, v6
	;; [unrolled: 1-line block ×4, first 2 shown]
	v_accvgpr_read_b32 v0, a107
	scratch_store_dwordx4 off, v[6:9], off offset:224
	s_waitcnt vmcnt(1)
	ds_write_b128 v0, v[2:5]
.LBB116_305:
	s_or_b64 exec, exec, s[0:1]
	s_waitcnt lgkmcnt(0)
	; wave barrier
	scratch_load_dwordx4 v[80:83], off, off offset:240
	scratch_load_dwordx4 v[84:87], off, off offset:256
	scratch_load_dwordx4 v[88:91], off, off offset:272
	scratch_load_dwordx4 v[92:95], off, off offset:288
	scratch_load_dwordx4 v[96:99], off, off offset:304
	scratch_load_dwordx4 v[100:103], off, off offset:320
	scratch_load_dwordx4 v[104:107], off, off offset:336
	scratch_load_dwordx4 v[108:111], off, off offset:352
	scratch_load_dwordx4 v[112:115], off, off offset:368
	scratch_load_dwordx4 v[116:119], off, off offset:384
	scratch_load_dwordx4 v[120:123], off, off offset:400
	scratch_load_dwordx4 v[234:237], off, off offset:416
	scratch_load_dwordx4 v[8:11], off, off offset:432
	scratch_load_dwordx4 v[12:15], off, off offset:448
	scratch_load_dwordx4 v[16:19], off, off offset:464
	scratch_load_dwordx4 v[20:23], off, off offset:480
	scratch_load_dwordx4 v[24:27], off, off offset:496
	scratch_load_dwordx4 v[28:31], off, off offset:512
	scratch_load_dwordx4 v[32:35], off, off offset:528
	scratch_load_dwordx4 v[36:39], off, off offset:544
	scratch_load_dwordx4 v[40:43], off, off offset:560
	scratch_load_dwordx4 v[44:47], off, off offset:576
	scratch_load_dwordx4 v[48:51], off, off offset:592
	scratch_load_dwordx4 v[52:55], off, off offset:608
	scratch_load_dwordx4 v[56:59], off, off offset:624
	scratch_load_dwordx4 v[60:63], off, off offset:640
	scratch_load_dwordx4 v[64:67], off, off offset:656
	scratch_load_dwordx4 v[68:71], off, off offset:672
	scratch_load_dwordx4 v[72:75], off, off offset:688
	scratch_load_dwordx4 v[76:79], off, off offset:704
	scratch_load_dwordx4 v[124:127], off, off offset:720
	v_mov_b32_e32 v2, 0
	ds_read_b128 v[196:199], v2 offset:1072
	ds_read_b128 v[200:203], v2 offset:1088
	ds_read_b128 v[204:207], v2 offset:1104
	ds_read_b128 v[208:211], v2 offset:1120
	ds_read_b128 v[212:215], v2 offset:1136
	ds_read_b128 v[216:219], v2 offset:1152
	ds_read_b128 v[220:223], v2 offset:1168
	ds_read_b128 v[224:227], v2 offset:1184
	ds_read_b128 v[228:231], v2 offset:1200
	ds_read_b128 v[248:251], v2 offset:1216
	ds_read_b128 v[252:255], v2 offset:1232
	ds_read_b128 v[156:159], v2 offset:1248
	ds_read_b128 v[148:151], v2 offset:1264
	ds_read_b128 v[144:147], v2 offset:1280
	ds_read_b128 v[136:139], v2 offset:1296
	ds_read_b128 v[132:135], v2 offset:1312
	ds_read_b128 v[128:131], v2 offset:1328
	ds_read_b128 v[184:187], v2 offset:1376
	ds_read_b128 v[188:191], v2 offset:1392
	ds_read_b128 v[192:195], v2 offset:1408
	s_waitcnt vmcnt(30) lgkmcnt(14)
	v_mul_f64 v[140:141], v[196:197], v[82:83]
	s_waitcnt vmcnt(29)
	v_mul_f64 v[142:143], v[200:201], v[86:87]
	v_fmac_f64_e32 v[140:141], v[198:199], v[80:81]
	s_waitcnt vmcnt(28)
	v_mul_f64 v[152:153], v[204:205], v[90:91]
	v_fmac_f64_e32 v[142:143], v[202:203], v[84:85]
	v_add_f64 v[140:141], v[140:141], 0
	s_waitcnt vmcnt(27)
	v_mul_f64 v[154:155], v[208:209], v[94:95]
	v_fmac_f64_e32 v[152:153], v[206:207], v[88:89]
	v_add_f64 v[140:141], v[140:141], v[142:143]
	;; [unrolled: 4-line block ×4, first 2 shown]
	s_waitcnt vmcnt(24) lgkmcnt(13)
	v_mul_f64 v[164:165], v[220:221], v[106:107]
	v_fmac_f64_e32 v[162:163], v[218:219], v[100:101]
	v_add_f64 v[140:141], v[140:141], v[160:161]
	s_waitcnt vmcnt(23) lgkmcnt(12)
	v_mul_f64 v[166:167], v[224:225], v[110:111]
	v_fmac_f64_e32 v[164:165], v[222:223], v[104:105]
	v_add_f64 v[140:141], v[140:141], v[162:163]
	;; [unrolled: 4-line block ×8, first 2 shown]
	v_fmac_f64_e32 v[178:179], v[146:147], v[12:13]
	v_add_f64 v[140:141], v[140:141], v[176:177]
	v_add_f64 v[140:141], v[140:141], v[178:179]
	ds_read_b128 v[176:179], v2 offset:1344
	s_waitcnt vmcnt(16) lgkmcnt(6)
	v_mul_f64 v[180:181], v[136:137], v[18:19]
	s_waitcnt vmcnt(15) lgkmcnt(5)
	v_mul_f64 v[182:183], v[132:133], v[22:23]
	v_fmac_f64_e32 v[180:181], v[138:139], v[16:17]
	v_add_f64 v[152:153], v[140:141], v[180:181]
	v_fmac_f64_e32 v[182:183], v[134:135], v[20:21]
	scratch_load_dwordx4 v[140:143], off, off offset:736
	s_waitcnt vmcnt(15) lgkmcnt(4)
	v_mul_f64 v[154:155], v[128:129], v[26:27]
	v_add_f64 v[152:153], v[152:153], v[182:183]
	v_fmac_f64_e32 v[154:155], v[130:131], v[24:25]
	v_add_f64 v[160:161], v[152:153], v[154:155]
	ds_read_b128 v[180:183], v2 offset:1360
	s_waitcnt vmcnt(14) lgkmcnt(1)
	v_mul_f64 v[162:163], v[176:177], v[30:31]
	scratch_load_dwordx4 v[152:155], off, off offset:752
	v_fmac_f64_e32 v[162:163], v[178:179], v[28:29]
	v_add_f64 v[164:165], v[160:161], v[162:163]
	scratch_load_dwordx4 v[160:163], off, off offset:768
	s_waitcnt vmcnt(15) lgkmcnt(0)
	v_mul_f64 v[166:167], v[180:181], v[34:35]
	v_fmac_f64_e32 v[166:167], v[182:183], v[32:33]
	v_add_f64 v[168:169], v[164:165], v[166:167]
	s_waitcnt vmcnt(14)
	v_mul_f64 v[170:171], v[184:185], v[38:39]
	scratch_load_dwordx4 v[164:167], off, off offset:784
	v_fmac_f64_e32 v[170:171], v[186:187], v[36:37]
	v_add_f64 v[168:169], v[168:169], v[170:171]
	s_waitcnt vmcnt(14)
	v_mul_f64 v[170:171], v[188:189], v[42:43]
	scratch_load_dwordx4 v[172:175], off, off offset:800
	v_fmac_f64_e32 v[170:171], v[190:191], v[40:41]
	v_add_f64 v[232:233], v[168:169], v[170:171]
	scratch_load_dwordx4 v[168:171], off, off offset:816
	v_mul_f64 v[82:83], v[198:199], v[82:83]
	v_fma_f64 v[240:241], v[196:197], v[80:81], -v[82:83]
	ds_read_b128 v[196:199], v2 offset:1424
	s_waitcnt vmcnt(15)
	v_mul_f64 v[80:81], v[192:193], v[46:47]
	v_fmac_f64_e32 v[80:81], v[194:195], v[44:45]
	v_add_f64 v[232:233], v[232:233], v[80:81]
	v_mul_f64 v[80:81], v[202:203], v[86:87]
	v_fma_f64 v[242:243], v[200:201], v[84:85], -v[80:81]
	scratch_load_dwordx4 v[80:83], off, off offset:832
	ds_read_b128 v[84:87], v2 offset:1440
	v_mul_f64 v[90:91], v[206:207], v[90:91]
	v_fma_f64 v[244:245], v[204:205], v[88:89], -v[90:91]
	ds_read_b128 v[88:91], v2 offset:1456
	s_waitcnt vmcnt(15) lgkmcnt(2)
	v_mul_f64 v[200:201], v[196:197], v[50:51]
	v_fmac_f64_e32 v[200:201], v[198:199], v[48:49]
	s_waitcnt vmcnt(14) lgkmcnt(1)
	v_mul_f64 v[202:203], v[84:85], v[54:55]
	v_add_f64 v[200:201], v[232:233], v[200:201]
	v_fmac_f64_e32 v[202:203], v[86:87], v[52:53]
	v_mul_f64 v[94:95], v[210:211], v[94:95]
	v_fma_f64 v[246:247], v[208:209], v[92:93], -v[94:95]
	ds_read_b128 v[92:95], v2 offset:1472
	v_add_f64 v[200:201], v[200:201], v[202:203]
	s_waitcnt vmcnt(13) lgkmcnt(1)
	v_mul_f64 v[202:203], v[88:89], v[58:59]
	v_fmac_f64_e32 v[202:203], v[90:91], v[56:57]
	v_add_f64 v[204:205], v[200:201], v[202:203]
	ds_read_b128 v[200:203], v2 offset:1488
	v_mul_f64 v[98:99], v[214:215], v[98:99]
	v_fma_f64 v[232:233], v[212:213], v[96:97], -v[98:99]
	ds_read_b128 v[96:99], v2 offset:1504
	s_waitcnt vmcnt(12) lgkmcnt(2)
	v_mul_f64 v[206:207], v[92:93], v[62:63]
	v_fmac_f64_e32 v[206:207], v[94:95], v[60:61]
	v_add_f64 v[204:205], v[204:205], v[206:207]
	s_waitcnt vmcnt(11) lgkmcnt(1)
	v_mul_f64 v[206:207], v[200:201], v[66:67]
	v_fmac_f64_e32 v[206:207], v[202:203], v[64:65]
	v_mul_f64 v[102:103], v[218:219], v[102:103]
	v_add_f64 v[204:205], v[204:205], v[206:207]
	v_fma_f64 v[4:5], v[216:217], v[100:101], -v[102:103]
	ds_read_b128 v[100:103], v2 offset:1520
	s_waitcnt vmcnt(10) lgkmcnt(1)
	v_mul_f64 v[206:207], v[96:97], v[70:71]
	v_fmac_f64_e32 v[206:207], v[98:99], v[68:69]
	v_add_f64 v[208:209], v[204:205], v[206:207]
	ds_read_b128 v[204:207], v2 offset:1536
	v_mul_f64 v[106:107], v[222:223], v[106:107]
	v_fma_f64 v[0:1], v[220:221], v[104:105], -v[106:107]
	ds_read_b128 v[104:107], v2 offset:1552
	s_waitcnt vmcnt(9) lgkmcnt(2)
	v_mul_f64 v[210:211], v[100:101], v[74:75]
	v_fmac_f64_e32 v[210:211], v[102:103], v[72:73]
	v_add_f64 v[208:209], v[208:209], v[210:211]
	s_waitcnt vmcnt(8) lgkmcnt(1)
	v_mul_f64 v[210:211], v[204:205], v[78:79]
	v_fmac_f64_e32 v[210:211], v[206:207], v[76:77]
	v_mul_f64 v[6:7], v[226:227], v[110:111]
	v_fma_f64 v[6:7], v[224:225], v[108:109], -v[6:7]
	ds_read_b128 v[108:111], v2 offset:1568
	v_add_f64 v[208:209], v[208:209], v[210:211]
	s_waitcnt vmcnt(7) lgkmcnt(1)
	v_mul_f64 v[210:211], v[104:105], v[126:127]
	v_fmac_f64_e32 v[210:211], v[106:107], v[124:125]
	v_mul_f64 v[114:115], v[230:231], v[114:115]
	v_add_f64 v[212:213], v[208:209], v[210:211]
	ds_read_b128 v[208:211], v2 offset:1584
	v_fma_f64 v[112:113], v[228:229], v[112:113], -v[114:115]
	v_accvgpr_write_b32 a108, v112
	v_accvgpr_write_b32 a109, v113
	ds_read_b128 v[112:115], v2 offset:1600
	s_waitcnt vmcnt(6) lgkmcnt(2)
	v_mul_f64 v[214:215], v[108:109], v[142:143]
	v_fmac_f64_e32 v[214:215], v[110:111], v[140:141]
	v_add_f64 v[212:213], v[212:213], v[214:215]
	s_waitcnt vmcnt(5) lgkmcnt(1)
	v_mul_f64 v[214:215], v[208:209], v[154:155]
	v_fmac_f64_e32 v[214:215], v[210:211], v[152:153]
	v_mul_f64 v[118:119], v[250:251], v[118:119]
	v_add_f64 v[212:213], v[212:213], v[214:215]
	v_fma_f64 v[238:239], v[248:249], v[116:117], -v[118:119]
	ds_read_b128 v[116:119], v2 offset:1616
	s_waitcnt vmcnt(4) lgkmcnt(1)
	v_mul_f64 v[214:215], v[112:113], v[162:163]
	v_fmac_f64_e32 v[214:215], v[114:115], v[160:161]
	v_add_f64 v[216:217], v[212:213], v[214:215]
	ds_read_b128 v[212:215], v2 offset:1632
	v_mul_f64 v[122:123], v[254:255], v[122:123]
	v_fma_f64 v[248:249], v[252:253], v[120:121], -v[122:123]
	ds_read_b128 v[120:123], v2 offset:1648
	s_waitcnt vmcnt(3) lgkmcnt(2)
	v_mul_f64 v[218:219], v[116:117], v[166:167]
	v_fmac_f64_e32 v[218:219], v[118:119], v[164:165]
	v_add_f64 v[216:217], v[216:217], v[218:219]
	s_waitcnt vmcnt(2) lgkmcnt(1)
	v_mul_f64 v[218:219], v[212:213], v[174:175]
	v_fmac_f64_e32 v[218:219], v[214:215], v[172:173]
	v_add_f64 v[216:217], v[216:217], v[218:219]
	;; [unrolled: 4-line block ×3, first 2 shown]
	ds_read_b128 v[216:219], v2 offset:1664
	ds_read_b128 v[224:227], v2 offset:1680
	s_waitcnt vmcnt(0) lgkmcnt(1)
	v_mul_f64 v[222:223], v[216:217], v[82:83]
	v_fmac_f64_e32 v[222:223], v[218:219], v[80:81]
	v_add_f64 v[228:229], v[220:221], v[222:223]
	scratch_load_dwordx4 v[220:223], off, off offset:848
	s_waitcnt vmcnt(0) lgkmcnt(0)
	v_mul_f64 v[230:231], v[224:225], v[222:223]
	v_fmac_f64_e32 v[230:231], v[226:227], v[220:221]
	v_add_f64 v[252:253], v[228:229], v[230:231]
	v_add_f64 v[228:229], v[240:241], 0
	;; [unrolled: 1-line block ×7, first 2 shown]
	scratch_load_dwordx4 v[228:231], off, off offset:224
	v_add_f64 v[250:251], v[4:5], v[0:1]
	v_accvgpr_read_b32 v4, a108
	v_add_f64 v[0:1], v[250:251], v[6:7]
	v_accvgpr_read_b32 v5, a109
	v_add_f64 v[0:1], v[0:1], v[4:5]
	v_add_f64 v[0:1], v[0:1], v[238:239]
	v_mul_f64 v[4:5], v[158:159], v[236:237]
	v_add_f64 v[0:1], v[0:1], v[248:249]
	v_fma_f64 v[4:5], v[156:157], v[234:235], -v[4:5]
	v_add_f64 v[0:1], v[0:1], v[4:5]
	v_mul_f64 v[4:5], v[150:151], v[10:11]
	v_fma_f64 v[4:5], v[148:149], v[8:9], -v[4:5]
	v_add_f64 v[0:1], v[0:1], v[4:5]
	v_mul_f64 v[4:5], v[146:147], v[14:15]
	;; [unrolled: 3-line block ×27, first 2 shown]
	v_fma_f64 v[4:5], v[224:225], v[220:221], -v[4:5]
	v_add_f64 v[0:1], v[0:1], v[4:5]
	s_waitcnt vmcnt(0)
	v_add_f64 v[4:5], v[228:229], -v[0:1]
	v_accvgpr_read_b32 v0, a106
	v_add_f64 v[6:7], v[230:231], -v[252:253]
	v_cmp_lt_u32_e32 vcc, 12, v0
	scratch_store_dwordx4 off, v[4:7], off offset:224
	s_and_saveexec_b64 s[0:1], vcc
	s_cbranch_execz .LBB116_307
; %bb.306:
	scratch_load_dwordx4 v[6:9], off, s57
	v_mov_b32_e32 v3, v2
	v_mov_b32_e32 v4, v2
	;; [unrolled: 1-line block ×3, first 2 shown]
	v_accvgpr_read_b32 v0, a107
	scratch_store_dwordx4 off, v[2:5], off offset:208
	s_waitcnt vmcnt(1)
	ds_write_b128 v0, v[6:9]
.LBB116_307:
	s_or_b64 exec, exec, s[0:1]
	s_waitcnt lgkmcnt(0)
	; wave barrier
	scratch_load_dwordx4 v[132:135], off, off offset:224
	scratch_load_dwordx4 v[160:163], off, off offset:240
	;; [unrolled: 1-line block ×16, first 2 shown]
	ds_read_b128 v[156:159], v2 offset:1056
	ds_read_b128 v[172:175], v2 offset:1072
	scratch_load_dwordx4 v[24:27], off, off offset:480
	ds_read_b128 v[232:235], v2 offset:1088
	ds_read_b128 v[228:231], v2 offset:1104
	scratch_load_dwordx4 v[28:31], off, off offset:496
	ds_read_b128 v[236:239], v2 offset:1120
	ds_read_b128 v[184:187], v2 offset:1136
	;; [unrolled: 1-line block ×5, first 2 shown]
	scratch_load_dwordx4 v[32:35], off, off offset:512
	ds_read_b128 v[220:223], v2 offset:1200
	ds_read_b128 v[216:219], v2 offset:1216
	;; [unrolled: 1-line block ×3, first 2 shown]
	scratch_load_dwordx4 v[36:39], off, off offset:528
	ds_read_b128 v[64:67], v2 offset:1248
	ds_read_b128 v[60:63], v2 offset:1264
	;; [unrolled: 1-line block ×5, first 2 shown]
	scratch_load_dwordx4 v[52:55], off, off offset:544
	scratch_load_dwordx4 v[68:71], off, off offset:560
	scratch_load_dwordx4 v[72:75], off, off offset:576
	scratch_load_dwordx4 v[76:79], off, off offset:592
	scratch_load_dwordx4 v[80:83], off, off offset:608
	scratch_load_dwordx4 v[84:87], off, off offset:624
	scratch_load_dwordx4 v[88:91], off, off offset:640
	scratch_load_dwordx4 v[92:95], off, off offset:656
	scratch_load_dwordx4 v[96:99], off, off offset:672
	scratch_load_dwordx4 v[100:103], off, off offset:688
	scratch_load_dwordx4 v[104:107], off, off offset:704
	ds_read_b128 v[144:147], v2 offset:1360
	ds_read_b128 v[148:151], v2 offset:1376
	;; [unrolled: 1-line block ×3, first 2 shown]
	s_waitcnt vmcnt(30) lgkmcnt(14)
	v_mul_f64 v[0:1], v[156:157], v[134:135]
	s_waitcnt vmcnt(29)
	v_mul_f64 v[108:109], v[172:173], v[162:163]
	v_fmac_f64_e32 v[0:1], v[158:159], v[132:133]
	s_waitcnt vmcnt(28)
	v_mul_f64 v[110:111], v[232:233], v[166:167]
	v_fmac_f64_e32 v[108:109], v[174:175], v[160:161]
	v_add_f64 v[0:1], v[0:1], 0
	s_waitcnt vmcnt(27)
	v_mul_f64 v[112:113], v[228:229], v[170:171]
	v_fmac_f64_e32 v[110:111], v[234:235], v[164:165]
	v_add_f64 v[0:1], v[0:1], v[108:109]
	;; [unrolled: 4-line block ×4, first 2 shown]
	s_waitcnt vmcnt(24) lgkmcnt(13)
	v_mul_f64 v[118:119], v[224:225], v[190:191]
	v_fmac_f64_e32 v[116:117], v[186:187], v[180:181]
	v_add_f64 v[0:1], v[0:1], v[114:115]
	s_waitcnt vmcnt(23) lgkmcnt(12)
	v_mul_f64 v[120:121], v[196:197], v[194:195]
	v_fmac_f64_e32 v[118:119], v[226:227], v[188:189]
	v_add_f64 v[0:1], v[0:1], v[116:117]
	;; [unrolled: 4-line block ×9, first 2 shown]
	v_fmac_f64_e32 v[138:139], v[58:59], v[16:17]
	v_add_f64 v[0:1], v[0:1], v[136:137]
	v_add_f64 v[0:1], v[0:1], v[138:139]
	ds_read_b128 v[136:139], v2 offset:1328
	s_waitcnt vmcnt(15) lgkmcnt(5)
	v_mul_f64 v[140:141], v[48:49], v[22:23]
	v_fmac_f64_e32 v[140:141], v[50:51], v[20:21]
	s_waitcnt vmcnt(14) lgkmcnt(4)
	v_mul_f64 v[112:113], v[44:45], v[26:27]
	scratch_load_dwordx4 v[108:111], off, off offset:720
	v_add_f64 v[0:1], v[0:1], v[140:141]
	v_fmac_f64_e32 v[112:113], v[46:47], v[24:25]
	v_add_f64 v[0:1], v[0:1], v[112:113]
	scratch_load_dwordx4 v[112:115], off, off offset:736
	ds_read_b128 v[140:143], v2 offset:1344
	s_waitcnt vmcnt(15) lgkmcnt(1)
	v_mul_f64 v[116:117], v[136:137], v[30:31]
	v_fmac_f64_e32 v[116:117], v[138:139], v[28:29]
	v_add_f64 v[0:1], v[0:1], v[116:117]
	scratch_load_dwordx4 v[116:119], off, off offset:752
	s_waitcnt vmcnt(15) lgkmcnt(0)
	v_mul_f64 v[120:121], v[140:141], v[34:35]
	v_fmac_f64_e32 v[120:121], v[142:143], v[32:33]
	s_waitcnt vmcnt(14)
	v_mul_f64 v[124:125], v[144:145], v[38:39]
	v_add_f64 v[0:1], v[0:1], v[120:121]
	scratch_load_dwordx4 v[120:123], off, off offset:768
	v_fmac_f64_e32 v[124:125], v[146:147], v[36:37]
	v_add_f64 v[0:1], v[0:1], v[124:125]
	s_waitcnt vmcnt(14)
	v_mul_f64 v[124:125], v[148:149], v[54:55]
	scratch_load_dwordx4 v[128:131], off, off offset:784
	v_fmac_f64_e32 v[124:125], v[150:151], v[52:53]
	v_add_f64 v[0:1], v[0:1], v[124:125]
	scratch_load_dwordx4 v[124:127], off, off offset:800
	v_mul_f64 v[134:135], v[158:159], v[134:135]
	v_fma_f64 v[240:241], v[156:157], v[132:133], -v[134:135]
	ds_read_b128 v[156:159], v2 offset:1408
	s_waitcnt vmcnt(15)
	v_mul_f64 v[132:133], v[152:153], v[70:71]
	v_fmac_f64_e32 v[132:133], v[154:155], v[68:69]
	v_add_f64 v[0:1], v[0:1], v[132:133]
	v_mul_f64 v[132:133], v[174:175], v[162:163]
	v_fma_f64 v[242:243], v[172:173], v[160:161], -v[132:133]
	scratch_load_dwordx4 v[132:135], off, off offset:816
	ds_read_b128 v[160:163], v2 offset:1424
	v_mul_f64 v[166:167], v[234:235], v[166:167]
	v_fma_f64 v[244:245], v[232:233], v[164:165], -v[166:167]
	ds_read_b128 v[164:167], v2 offset:1440
	s_waitcnt vmcnt(15) lgkmcnt(2)
	v_mul_f64 v[172:173], v[156:157], v[74:75]
	v_fmac_f64_e32 v[172:173], v[158:159], v[72:73]
	v_add_f64 v[0:1], v[0:1], v[172:173]
	s_waitcnt vmcnt(14) lgkmcnt(1)
	v_mul_f64 v[172:173], v[160:161], v[78:79]
	v_fmac_f64_e32 v[172:173], v[162:163], v[76:77]
	v_mul_f64 v[170:171], v[230:231], v[170:171]
	v_fma_f64 v[246:247], v[228:229], v[168:169], -v[170:171]
	ds_read_b128 v[168:171], v2 offset:1456
	v_add_f64 v[0:1], v[0:1], v[172:173]
	s_waitcnt vmcnt(13) lgkmcnt(1)
	v_mul_f64 v[172:173], v[164:165], v[82:83]
	v_fmac_f64_e32 v[172:173], v[166:167], v[80:81]
	v_add_f64 v[0:1], v[0:1], v[172:173]
	ds_read_b128 v[172:175], v2 offset:1472
	v_mul_f64 v[178:179], v[238:239], v[178:179]
	v_fma_f64 v[236:237], v[236:237], v[176:177], -v[178:179]
	ds_read_b128 v[176:179], v2 offset:1488
	s_waitcnt vmcnt(12) lgkmcnt(2)
	v_mul_f64 v[228:229], v[168:169], v[86:87]
	v_fmac_f64_e32 v[228:229], v[170:171], v[84:85]
	v_add_f64 v[0:1], v[0:1], v[228:229]
	s_waitcnt vmcnt(11) lgkmcnt(1)
	v_mul_f64 v[228:229], v[172:173], v[90:91]
	v_mul_f64 v[182:183], v[186:187], v[182:183]
	v_fmac_f64_e32 v[228:229], v[174:175], v[88:89]
	v_fma_f64 v[238:239], v[184:185], v[180:181], -v[182:183]
	ds_read_b128 v[180:183], v2 offset:1504
	s_waitcnt vmcnt(10) lgkmcnt(1)
	v_mul_f64 v[184:185], v[176:177], v[94:95]
	v_add_f64 v[0:1], v[0:1], v[228:229]
	v_fmac_f64_e32 v[184:185], v[178:179], v[92:93]
	v_add_f64 v[0:1], v[0:1], v[184:185]
	ds_read_b128 v[184:187], v2 offset:1520
	v_mul_f64 v[190:191], v[226:227], v[190:191]
	v_fma_f64 v[252:253], v[224:225], v[188:189], -v[190:191]
	ds_read_b128 v[188:191], v2 offset:1536
	s_waitcnt vmcnt(9) lgkmcnt(2)
	v_mul_f64 v[228:229], v[180:181], v[98:99]
	v_fmac_f64_e32 v[228:229], v[182:183], v[96:97]
	s_waitcnt vmcnt(8) lgkmcnt(1)
	v_mul_f64 v[224:225], v[184:185], v[102:103]
	v_mul_f64 v[194:195], v[198:199], v[194:195]
	v_add_f64 v[0:1], v[0:1], v[228:229]
	v_fmac_f64_e32 v[224:225], v[186:187], v[100:101]
	v_fma_f64 v[254:255], v[196:197], v[192:193], -v[194:195]
	s_waitcnt vmcnt(7) lgkmcnt(0)
	v_mul_f64 v[196:197], v[188:189], v[106:107]
	ds_read_b128 v[192:195], v2 offset:1552
	v_add_f64 v[0:1], v[0:1], v[224:225]
	v_fmac_f64_e32 v[196:197], v[190:191], v[104:105]
	v_add_f64 v[0:1], v[0:1], v[196:197]
	ds_read_b128 v[196:199], v2 offset:1568
	v_mul_f64 v[202:203], v[210:211], v[202:203]
	v_fma_f64 v[248:249], v[208:209], v[200:201], -v[202:203]
	ds_read_b128 v[200:203], v2 offset:1584
	s_waitcnt vmcnt(6) lgkmcnt(2)
	v_mul_f64 v[224:225], v[192:193], v[110:111]
	v_fmac_f64_e32 v[224:225], v[194:195], v[108:109]
	s_waitcnt vmcnt(5) lgkmcnt(1)
	v_mul_f64 v[208:209], v[196:197], v[114:115]
	v_add_f64 v[0:1], v[0:1], v[224:225]
	v_fmac_f64_e32 v[208:209], v[198:199], v[112:113]
	v_add_f64 v[208:209], v[0:1], v[208:209]
	v_mul_f64 v[0:1], v[222:223], v[206:207]
	v_fma_f64 v[0:1], v[220:221], v[204:205], -v[0:1]
	ds_read_b128 v[204:207], v2 offset:1600
	s_waitcnt vmcnt(4) lgkmcnt(1)
	v_mul_f64 v[210:211], v[200:201], v[118:119]
	v_fmac_f64_e32 v[210:211], v[202:203], v[116:117]
	v_add_f64 v[220:221], v[208:209], v[210:211]
	ds_read_b128 v[208:211], v2 offset:1616
	v_mul_f64 v[214:215], v[218:219], v[214:215]
	v_fma_f64 v[250:251], v[216:217], v[212:213], -v[214:215]
	ds_read_b128 v[212:215], v2 offset:1632
	s_waitcnt vmcnt(3) lgkmcnt(2)
	v_mul_f64 v[216:217], v[204:205], v[122:123]
	v_fmac_f64_e32 v[216:217], v[206:207], v[120:121]
	s_waitcnt vmcnt(2) lgkmcnt(1)
	v_mul_f64 v[218:219], v[208:209], v[130:131]
	v_add_f64 v[216:217], v[220:221], v[216:217]
	v_fmac_f64_e32 v[218:219], v[210:211], v[128:129]
	v_add_f64 v[216:217], v[216:217], v[218:219]
	s_waitcnt vmcnt(1) lgkmcnt(0)
	v_mul_f64 v[218:219], v[212:213], v[126:127]
	v_fmac_f64_e32 v[218:219], v[214:215], v[124:125]
	v_add_f64 v[220:221], v[216:217], v[218:219]
	ds_read_b128 v[216:219], v2 offset:1648
	ds_read_b128 v[224:227], v2 offset:1664
	scratch_load_dwordx4 v[232:235], off, off offset:848
	v_accvgpr_write_b32 a109, v1
	v_accvgpr_write_b32 a108, v0
	s_waitcnt vmcnt(1) lgkmcnt(1)
	v_mul_f64 v[222:223], v[216:217], v[134:135]
	v_fmac_f64_e32 v[222:223], v[218:219], v[132:133]
	v_add_f64 v[228:229], v[220:221], v[222:223]
	scratch_load_dwordx4 v[220:223], off, off offset:832
	v_mul_f64 v[6:7], v[42:43], v[6:7]
	v_fma_f64 v[4:5], v[40:41], v[4:5], -v[6:7]
	s_waitcnt vmcnt(0) lgkmcnt(0)
	v_mul_f64 v[230:231], v[224:225], v[222:223]
	v_fmac_f64_e32 v[230:231], v[226:227], v[220:221]
	v_add_f64 v[0:1], v[228:229], v[230:231]
	ds_read_b128 v[228:231], v2 offset:1680
	s_waitcnt lgkmcnt(0)
	v_mul_f64 v[2:3], v[228:229], v[234:235]
	v_fmac_f64_e32 v[2:3], v[230:231], v[232:233]
	v_add_f64 v[2:3], v[0:1], v[2:3]
	v_add_f64 v[0:1], v[240:241], 0
	;; [unrolled: 1-line block ×7, first 2 shown]
	scratch_load_dwordx4 v[236:239], off, off offset:208
	v_add_f64 v[0:1], v[0:1], v[252:253]
	v_add_f64 v[0:1], v[0:1], v[254:255]
	;; [unrolled: 1-line block ×3, first 2 shown]
	v_accvgpr_read_b32 v0, a108
	v_accvgpr_read_b32 v1, a109
	v_add_f64 v[0:1], v[252:253], v[0:1]
	v_add_f64 v[0:1], v[0:1], v[250:251]
	;; [unrolled: 1-line block ×3, first 2 shown]
	v_mul_f64 v[4:5], v[66:67], v[10:11]
	v_fma_f64 v[4:5], v[64:65], v[8:9], -v[4:5]
	v_add_f64 v[0:1], v[0:1], v[4:5]
	v_mul_f64 v[4:5], v[62:63], v[14:15]
	v_fma_f64 v[4:5], v[60:61], v[12:13], -v[4:5]
	v_add_f64 v[0:1], v[0:1], v[4:5]
	;; [unrolled: 3-line block ×28, first 2 shown]
	s_waitcnt vmcnt(0)
	v_add_f64 v[4:5], v[236:237], -v[0:1]
	v_accvgpr_read_b32 v0, a106
	v_add_f64 v[6:7], v[238:239], -v[2:3]
	v_cmp_lt_u32_e32 vcc, 11, v0
	scratch_store_dwordx4 off, v[4:7], off offset:208
	s_and_saveexec_b64 s[0:1], vcc
	s_cbranch_execz .LBB116_309
; %bb.308:
	scratch_load_dwordx4 v[2:5], off, s58
	v_mov_b32_e32 v6, 0
	v_mov_b32_e32 v7, v6
	;; [unrolled: 1-line block ×4, first 2 shown]
	v_accvgpr_read_b32 v0, a107
	scratch_store_dwordx4 off, v[6:9], off offset:192
	s_waitcnt vmcnt(1)
	ds_write_b128 v0, v[2:5]
.LBB116_309:
	s_or_b64 exec, exec, s[0:1]
	s_waitcnt lgkmcnt(0)
	; wave barrier
	scratch_load_dwordx4 v[112:115], off, off offset:208
	scratch_load_dwordx4 v[116:119], off, off offset:224
	;; [unrolled: 1-line block ×30, first 2 shown]
	v_mov_b32_e32 v2, 0
	ds_read_b128 v[144:147], v2 offset:1040
	ds_read_b128 v[156:159], v2 offset:1056
	ds_read_b128 v[168:171], v2 offset:1072
	ds_read_b128 v[180:183], v2 offset:1088
	ds_read_b128 v[192:195], v2 offset:1104
	ds_read_b128 v[204:207], v2 offset:1120
	ds_read_b128 v[212:215], v2 offset:1136
	ds_read_b128 v[216:219], v2 offset:1152
	ds_read_b128 v[220:223], v2 offset:1168
	ds_read_b128 v[224:227], v2 offset:1184
	ds_read_b128 v[228:231], v2 offset:1200
	ds_read_b128 v[248:251], v2 offset:1216
	ds_read_b128 v[252:255], v2 offset:1232
	ds_read_b128 v[84:87], v2 offset:1248
	ds_read_b128 v[80:83], v2 offset:1264
	ds_read_b128 v[76:79], v2 offset:1280
	ds_read_b128 v[72:75], v2 offset:1296
	ds_read_b128 v[132:135], v2 offset:1344
	ds_read_b128 v[136:139], v2 offset:1360
	ds_read_b128 v[140:143], v2 offset:1376
	s_waitcnt vmcnt(29) lgkmcnt(14)
	v_mul_f64 v[0:1], v[144:145], v[114:115]
	s_waitcnt vmcnt(28)
	v_mul_f64 v[88:89], v[156:157], v[118:119]
	v_fmac_f64_e32 v[0:1], v[146:147], v[112:113]
	s_waitcnt vmcnt(27)
	v_mul_f64 v[90:91], v[168:169], v[122:123]
	v_fmac_f64_e32 v[88:89], v[158:159], v[116:117]
	v_add_f64 v[0:1], v[0:1], 0
	s_waitcnt vmcnt(26)
	v_mul_f64 v[92:93], v[180:181], v[154:155]
	v_fmac_f64_e32 v[90:91], v[170:171], v[120:121]
	v_add_f64 v[0:1], v[0:1], v[88:89]
	;; [unrolled: 4-line block ×4, first 2 shown]
	s_waitcnt vmcnt(23) lgkmcnt(13)
	v_mul_f64 v[98:99], v[212:213], v[174:175]
	v_fmac_f64_e32 v[96:97], v[206:207], v[164:165]
	v_add_f64 v[0:1], v[0:1], v[94:95]
	s_waitcnt vmcnt(22) lgkmcnt(12)
	v_mul_f64 v[100:101], v[216:217], v[178:179]
	v_fmac_f64_e32 v[98:99], v[214:215], v[172:173]
	v_add_f64 v[0:1], v[0:1], v[96:97]
	;; [unrolled: 4-line block ×9, first 2 shown]
	v_fmac_f64_e32 v[126:127], v[82:83], v[8:9]
	v_add_f64 v[0:1], v[0:1], v[124:125]
	scratch_load_dwordx4 v[88:91], off, off offset:688
	s_waitcnt vmcnt(15) lgkmcnt(4)
	v_mul_f64 v[128:129], v[76:77], v[236:237]
	v_add_f64 v[0:1], v[0:1], v[126:127]
	ds_read_b128 v[124:127], v2 offset:1312
	v_fmac_f64_e32 v[128:129], v[78:79], v[234:235]
	v_add_f64 v[0:1], v[0:1], v[128:129]
	ds_read_b128 v[128:131], v2 offset:1328
	s_waitcnt vmcnt(14) lgkmcnt(5)
	v_mul_f64 v[92:93], v[72:73], v[18:19]
	v_fmac_f64_e32 v[92:93], v[74:75], v[16:17]
	v_add_f64 v[0:1], v[0:1], v[92:93]
	s_waitcnt vmcnt(13) lgkmcnt(1)
	v_mul_f64 v[96:97], v[124:125], v[22:23]
	scratch_load_dwordx4 v[92:95], off, off offset:704
	v_fmac_f64_e32 v[96:97], v[126:127], v[20:21]
	v_add_f64 v[0:1], v[0:1], v[96:97]
	s_waitcnt vmcnt(13) lgkmcnt(0)
	v_mul_f64 v[100:101], v[128:129], v[26:27]
	scratch_load_dwordx4 v[96:99], off, off offset:720
	v_fmac_f64_e32 v[100:101], v[130:131], v[24:25]
	v_add_f64 v[0:1], v[0:1], v[100:101]
	scratch_load_dwordx4 v[100:103], off, off offset:736
	s_waitcnt vmcnt(14)
	v_mul_f64 v[104:105], v[132:133], v[30:31]
	v_fmac_f64_e32 v[104:105], v[134:135], v[28:29]
	v_add_f64 v[0:1], v[0:1], v[104:105]
	s_waitcnt vmcnt(13)
	v_mul_f64 v[104:105], v[136:137], v[34:35]
	v_fmac_f64_e32 v[104:105], v[138:139], v[32:33]
	v_add_f64 v[0:1], v[0:1], v[104:105]
	scratch_load_dwordx4 v[104:107], off, off offset:752
	s_waitcnt vmcnt(13)
	v_mul_f64 v[108:109], v[140:141], v[38:39]
	v_fmac_f64_e32 v[108:109], v[142:143], v[36:37]
	v_add_f64 v[0:1], v[0:1], v[108:109]
	scratch_load_dwordx4 v[108:111], off, off offset:768
	v_mul_f64 v[114:115], v[146:147], v[114:115]
	v_fma_f64 v[240:241], v[144:145], v[112:113], -v[114:115]
	v_mul_f64 v[112:113], v[158:159], v[118:119]
	ds_read_b128 v[148:151], v2 offset:1392
	ds_read_b128 v[144:147], v2 offset:1408
	v_fma_f64 v[242:243], v[156:157], v[116:117], -v[112:113]
	scratch_load_dwordx4 v[116:119], off, off offset:784
	scratch_load_dwordx4 v[112:115], off, off offset:800
	v_mul_f64 v[122:123], v[170:171], v[122:123]
	v_fma_f64 v[244:245], v[168:169], v[120:121], -v[122:123]
	scratch_load_dwordx4 v[120:123], off, off offset:816
	s_waitcnt vmcnt(16) lgkmcnt(1)
	v_mul_f64 v[156:157], v[148:149], v[42:43]
	v_fmac_f64_e32 v[156:157], v[150:151], v[40:41]
	v_mul_f64 v[154:155], v[182:183], v[154:155]
	v_add_f64 v[0:1], v[0:1], v[156:157]
	v_fma_f64 v[246:247], v[180:181], v[152:153], -v[154:155]
	ds_read_b128 v[152:155], v2 offset:1424
	s_waitcnt vmcnt(15) lgkmcnt(1)
	v_mul_f64 v[156:157], v[144:145], v[46:47]
	v_fmac_f64_e32 v[156:157], v[146:147], v[44:45]
	v_add_f64 v[0:1], v[0:1], v[156:157]
	ds_read_b128 v[156:159], v2 offset:1440
	v_mul_f64 v[162:163], v[194:195], v[162:163]
	v_fma_f64 v[232:233], v[192:193], v[160:161], -v[162:163]
	ds_read_b128 v[160:163], v2 offset:1456
	s_waitcnt vmcnt(14) lgkmcnt(2)
	v_mul_f64 v[168:169], v[152:153], v[50:51]
	v_fmac_f64_e32 v[168:169], v[154:155], v[48:49]
	v_mul_f64 v[166:167], v[206:207], v[166:167]
	v_add_f64 v[0:1], v[0:1], v[168:169]
	s_waitcnt vmcnt(13) lgkmcnt(1)
	v_mul_f64 v[168:169], v[156:157], v[54:55]
	v_fma_f64 v[12:13], v[204:205], v[164:165], -v[166:167]
	ds_read_b128 v[164:167], v2 offset:1472
	v_accvgpr_write_b32 a111, v7
	v_fmac_f64_e32 v[168:169], v[158:159], v[52:53]
	v_accvgpr_write_b32 a110, v6
	v_accvgpr_write_b32 a109, v5
	v_accvgpr_write_b32 a108, v4
	v_add_f64 v[0:1], v[0:1], v[168:169]
	s_waitcnt vmcnt(12) lgkmcnt(1)
	v_mul_f64 v[6:7], v[160:161], v[58:59]
	ds_read_b128 v[168:171], v2 offset:1488
	v_fmac_f64_e32 v[6:7], v[162:163], v[56:57]
	v_accvgpr_write_b32 a115, v11
	v_add_f64 v[0:1], v[0:1], v[6:7]
	v_mul_f64 v[6:7], v[214:215], v[174:175]
	v_accvgpr_write_b32 a114, v10
	v_accvgpr_write_b32 a113, v9
	;; [unrolled: 1-line block ×3, first 2 shown]
	v_fma_f64 v[8:9], v[212:213], v[172:173], -v[6:7]
	s_waitcnt vmcnt(11) lgkmcnt(1)
	v_mul_f64 v[6:7], v[164:165], v[62:63]
	v_fmac_f64_e32 v[6:7], v[166:167], v[60:61]
	ds_read_b128 v[172:175], v2 offset:1504
	v_add_f64 v[0:1], v[0:1], v[6:7]
	s_waitcnt vmcnt(10) lgkmcnt(1)
	v_mul_f64 v[6:7], v[168:169], v[66:67]
	v_fmac_f64_e32 v[6:7], v[170:171], v[64:65]
	v_add_f64 v[0:1], v[0:1], v[6:7]
	v_mul_f64 v[6:7], v[218:219], v[178:179]
	v_fma_f64 v[10:11], v[216:217], v[176:177], -v[6:7]
	ds_read_b128 v[176:179], v2 offset:1520
	ds_read_b128 v[180:183], v2 offset:1536
	s_waitcnt vmcnt(9) lgkmcnt(2)
	v_mul_f64 v[6:7], v[172:173], v[70:71]
	v_fmac_f64_e32 v[6:7], v[174:175], v[68:69]
	v_add_f64 v[0:1], v[0:1], v[6:7]
	s_waitcnt vmcnt(8) lgkmcnt(1)
	v_mul_f64 v[6:7], v[176:177], v[90:91]
	v_fmac_f64_e32 v[6:7], v[178:179], v[88:89]
	v_add_f64 v[0:1], v[0:1], v[6:7]
	v_mul_f64 v[6:7], v[222:223], v[186:187]
	v_fma_f64 v[4:5], v[220:221], v[184:185], -v[6:7]
	ds_read_b128 v[184:187], v2 offset:1552
	v_mul_f64 v[6:7], v[226:227], v[190:191]
	v_fma_f64 v[6:7], v[224:225], v[188:189], -v[6:7]
	ds_read_b128 v[188:191], v2 offset:1568
	s_waitcnt vmcnt(7) lgkmcnt(2)
	v_mul_f64 v[14:15], v[180:181], v[94:95]
	v_fmac_f64_e32 v[14:15], v[182:183], v[92:93]
	v_add_f64 v[0:1], v[0:1], v[14:15]
	s_waitcnt vmcnt(6) lgkmcnt(1)
	v_mul_f64 v[14:15], v[184:185], v[98:99]
	v_fmac_f64_e32 v[14:15], v[186:187], v[96:97]
	v_add_f64 v[0:1], v[0:1], v[14:15]
	s_waitcnt vmcnt(5) lgkmcnt(0)
	v_mul_f64 v[14:15], v[188:189], v[102:103]
	ds_read_b128 v[192:195], v2 offset:1584
	v_fmac_f64_e32 v[14:15], v[190:191], v[100:101]
	v_add_f64 v[14:15], v[0:1], v[14:15]
	v_mul_f64 v[0:1], v[230:231], v[198:199]
	v_fma_f64 v[0:1], v[228:229], v[196:197], -v[0:1]
	ds_read_b128 v[196:199], v2 offset:1600
	v_mul_f64 v[202:203], v[250:251], v[202:203]
	s_waitcnt vmcnt(4) lgkmcnt(1)
	v_mul_f64 v[204:205], v[192:193], v[106:107]
	v_fma_f64 v[238:239], v[248:249], v[200:201], -v[202:203]
	ds_read_b128 v[200:203], v2 offset:1616
	v_fmac_f64_e32 v[204:205], v[194:195], v[104:105]
	v_add_f64 v[14:15], v[14:15], v[204:205]
	ds_read_b128 v[204:207], v2 offset:1632
	s_waitcnt vmcnt(3) lgkmcnt(2)
	v_mul_f64 v[212:213], v[196:197], v[110:111]
	v_mul_f64 v[210:211], v[254:255], v[210:211]
	v_fmac_f64_e32 v[212:213], v[198:199], v[108:109]
	v_fma_f64 v[248:249], v[252:253], v[208:209], -v[210:211]
	ds_read_b128 v[208:211], v2 offset:1648
	ds_read_b128 v[216:219], v2 offset:1664
	v_add_f64 v[14:15], v[14:15], v[212:213]
	s_waitcnt vmcnt(2) lgkmcnt(3)
	v_mul_f64 v[212:213], v[200:201], v[118:119]
	v_fmac_f64_e32 v[212:213], v[202:203], v[116:117]
	v_add_f64 v[14:15], v[14:15], v[212:213]
	s_waitcnt vmcnt(1) lgkmcnt(2)
	v_mul_f64 v[212:213], v[204:205], v[114:115]
	v_fmac_f64_e32 v[212:213], v[206:207], v[112:113]
	;; [unrolled: 4-line block ×3, first 2 shown]
	v_add_f64 v[14:15], v[14:15], v[212:213]
	scratch_load_dwordx4 v[212:215], off, off offset:832
	ds_read_b128 v[224:227], v2 offset:1680
	s_waitcnt vmcnt(0) lgkmcnt(1)
	v_mul_f64 v[220:221], v[216:217], v[214:215]
	v_fmac_f64_e32 v[220:221], v[218:219], v[212:213]
	v_add_f64 v[14:15], v[14:15], v[220:221]
	scratch_load_dwordx4 v[220:223], off, off offset:848
	s_waitcnt vmcnt(0) lgkmcnt(0)
	v_mul_f64 v[228:229], v[224:225], v[222:223]
	v_fmac_f64_e32 v[228:229], v[226:227], v[220:221]
	v_add_f64 v[252:253], v[14:15], v[228:229]
	scratch_load_dwordx4 v[228:231], off, off offset:192
	v_add_f64 v[14:15], v[240:241], 0
	v_add_f64 v[14:15], v[14:15], v[242:243]
	;; [unrolled: 1-line block ×10, first 2 shown]
	v_accvgpr_read_b32 v6, a108
	v_accvgpr_read_b32 v8, a110
	;; [unrolled: 1-line block ×3, first 2 shown]
	v_add_f64 v[0:1], v[4:5], v[0:1]
	v_accvgpr_read_b32 v7, a109
	v_mul_f64 v[4:5], v[86:87], v[8:9]
	v_add_f64 v[0:1], v[0:1], v[238:239]
	v_fma_f64 v[4:5], v[84:85], v[6:7], -v[4:5]
	v_accvgpr_read_b32 v6, a112
	v_add_f64 v[0:1], v[0:1], v[248:249]
	v_accvgpr_read_b32 v8, a114
	v_accvgpr_read_b32 v9, a115
	v_add_f64 v[0:1], v[0:1], v[4:5]
	v_accvgpr_read_b32 v7, a113
	v_mul_f64 v[4:5], v[82:83], v[8:9]
	v_fma_f64 v[4:5], v[80:81], v[6:7], -v[4:5]
	v_add_f64 v[0:1], v[0:1], v[4:5]
	v_mul_f64 v[4:5], v[78:79], v[236:237]
	v_fma_f64 v[4:5], v[76:77], v[234:235], -v[4:5]
	v_add_f64 v[0:1], v[0:1], v[4:5]
	;; [unrolled: 3-line block ×27, first 2 shown]
	s_waitcnt vmcnt(0)
	v_add_f64 v[4:5], v[228:229], -v[0:1]
	v_accvgpr_read_b32 v0, a106
	v_add_f64 v[6:7], v[230:231], -v[252:253]
	v_cmp_lt_u32_e32 vcc, 10, v0
	scratch_store_dwordx4 off, v[4:7], off offset:192
	s_and_saveexec_b64 s[0:1], vcc
	s_cbranch_execz .LBB116_311
; %bb.310:
	scratch_load_dwordx4 v[6:9], off, s59
	v_mov_b32_e32 v3, v2
	v_mov_b32_e32 v4, v2
	;; [unrolled: 1-line block ×3, first 2 shown]
	v_accvgpr_read_b32 v0, a107
	scratch_store_dwordx4 off, v[2:5], off offset:176
	s_waitcnt vmcnt(1)
	ds_write_b128 v0, v[6:9]
.LBB116_311:
	s_or_b64 exec, exec, s[0:1]
	s_waitcnt lgkmcnt(0)
	; wave barrier
	scratch_load_dwordx4 v[88:91], off, off offset:192
	scratch_load_dwordx4 v[92:95], off, off offset:208
	scratch_load_dwordx4 v[96:99], off, off offset:224
	scratch_load_dwordx4 v[100:103], off, off offset:240
	scratch_load_dwordx4 v[104:107], off, off offset:256
	scratch_load_dwordx4 v[108:111], off, off offset:272
	scratch_load_dwordx4 v[112:115], off, off offset:288
	scratch_load_dwordx4 v[116:119], off, off offset:304
	scratch_load_dwordx4 v[120:123], off, off offset:320
	scratch_load_dwordx4 v[124:127], off, off offset:336
	scratch_load_dwordx4 v[128:131], off, off offset:352
	scratch_load_dwordx4 v[132:135], off, off offset:368
	scratch_load_dwordx4 v[136:139], off, off offset:384
	scratch_load_dwordx4 v[4:7], off, off offset:400
	scratch_load_dwordx4 v[8:11], off, off offset:416
	scratch_load_dwordx4 v[12:15], off, off offset:432
	scratch_load_dwordx4 v[16:19], off, off offset:448
	ds_read_b128 v[212:215], v2 offset:1024
	ds_read_b128 v[204:207], v2 offset:1040
	;; [unrolled: 1-line block ×3, first 2 shown]
	scratch_load_dwordx4 v[20:23], off, off offset:464
	ds_read_b128 v[216:219], v2 offset:1072
	ds_read_b128 v[208:211], v2 offset:1088
	;; [unrolled: 1-line block ×5, first 2 shown]
	scratch_load_dwordx4 v[24:27], off, off offset:480
	ds_read_b128 v[180:183], v2 offset:1152
	ds_read_b128 v[160:163], v2 offset:1168
	;; [unrolled: 1-line block ×3, first 2 shown]
	scratch_load_dwordx4 v[28:31], off, off offset:496
	ds_read_b128 v[172:175], v2 offset:1200
	ds_read_b128 v[148:151], v2 offset:1216
	;; [unrolled: 1-line block ×5, first 2 shown]
	scratch_load_dwordx4 v[36:39], off, off offset:512
	ds_read_b128 v[48:51], v2 offset:1280
	scratch_load_dwordx4 v[52:55], off, off offset:528
	scratch_load_dwordx4 v[56:59], off, off offset:544
	;; [unrolled: 1-line block ×9, first 2 shown]
	ds_read_b128 v[140:143], v2 offset:1296
	ds_read_b128 v[232:235], v2 offset:1360
	;; [unrolled: 1-line block ×3, first 2 shown]
	s_waitcnt vmcnt(29) lgkmcnt(14)
	v_mul_f64 v[0:1], v[212:213], v[90:91]
	s_waitcnt vmcnt(28)
	v_mul_f64 v[152:153], v[204:205], v[94:95]
	v_fmac_f64_e32 v[0:1], v[214:215], v[88:89]
	s_waitcnt vmcnt(27)
	v_mul_f64 v[154:155], v[196:197], v[98:99]
	v_fmac_f64_e32 v[152:153], v[206:207], v[92:93]
	v_add_f64 v[0:1], v[0:1], 0
	s_waitcnt vmcnt(26)
	v_mul_f64 v[164:165], v[216:217], v[102:103]
	v_fmac_f64_e32 v[154:155], v[198:199], v[96:97]
	v_add_f64 v[0:1], v[0:1], v[152:153]
	;; [unrolled: 4-line block ×4, first 2 shown]
	s_waitcnt vmcnt(23) lgkmcnt(13)
	v_mul_f64 v[170:171], v[184:185], v[114:115]
	v_fmac_f64_e32 v[168:169], v[202:203], v[108:109]
	v_add_f64 v[0:1], v[0:1], v[166:167]
	s_waitcnt vmcnt(22) lgkmcnt(12)
	v_mul_f64 v[176:177], v[156:157], v[118:119]
	v_fmac_f64_e32 v[170:171], v[186:187], v[112:113]
	v_add_f64 v[0:1], v[0:1], v[168:169]
	;; [unrolled: 4-line block ×10, first 2 shown]
	v_fmac_f64_e32 v[224:225], v[34:35], v[12:13]
	v_add_f64 v[0:1], v[0:1], v[222:223]
	ds_read_b128 v[220:223], v2 offset:1312
	v_add_f64 v[0:1], v[0:1], v[224:225]
	ds_read_b128 v[224:227], v2 offset:1328
	s_waitcnt vmcnt(13) lgkmcnt(5)
	v_mul_f64 v[164:165], v[48:49], v[18:19]
	scratch_load_dwordx4 v[152:155], off, off offset:672
	v_fmac_f64_e32 v[164:165], v[50:51], v[16:17]
	s_waitcnt vmcnt(13) lgkmcnt(4)
	v_mul_f64 v[168:169], v[140:141], v[22:23]
	v_add_f64 v[0:1], v[0:1], v[164:165]
	v_fmac_f64_e32 v[168:169], v[142:143], v[20:21]
	scratch_load_dwordx4 v[164:167], off, off offset:688
	v_add_f64 v[0:1], v[0:1], v[168:169]
	s_waitcnt vmcnt(13) lgkmcnt(1)
	v_mul_f64 v[176:177], v[220:221], v[26:27]
	scratch_load_dwordx4 v[168:171], off, off offset:704
	v_fmac_f64_e32 v[176:177], v[222:223], v[24:25]
	s_waitcnt vmcnt(13) lgkmcnt(0)
	v_mul_f64 v[188:189], v[224:225], v[30:31]
	v_add_f64 v[0:1], v[0:1], v[176:177]
	scratch_load_dwordx4 v[176:179], off, off offset:720
	v_fmac_f64_e32 v[188:189], v[226:227], v[28:29]
	v_add_f64 v[0:1], v[0:1], v[188:189]
	s_waitcnt vmcnt(13)
	v_mul_f64 v[188:189], v[228:229], v[38:39]
	v_fmac_f64_e32 v[188:189], v[230:231], v[36:37]
	v_add_f64 v[0:1], v[0:1], v[188:189]
	scratch_load_dwordx4 v[188:191], off, off offset:736
	s_waitcnt vmcnt(13)
	v_mul_f64 v[192:193], v[232:233], v[54:55]
	v_fmac_f64_e32 v[192:193], v[234:235], v[52:53]
	v_mul_f64 v[90:91], v[214:215], v[90:91]
	v_add_f64 v[0:1], v[0:1], v[192:193]
	scratch_load_dwordx4 v[192:195], off, off offset:752
	v_fma_f64 v[240:241], v[212:213], v[88:89], -v[90:91]
	v_mul_f64 v[88:89], v[206:207], v[94:95]
	ds_read_b128 v[236:239], v2 offset:1376
	ds_read_b128 v[212:215], v2 offset:1392
	v_fma_f64 v[242:243], v[204:205], v[92:93], -v[88:89]
	scratch_load_dwordx4 v[92:95], off, off offset:768
	scratch_load_dwordx4 v[88:91], off, off offset:784
	v_mul_f64 v[98:99], v[198:199], v[98:99]
	v_fma_f64 v[244:245], v[196:197], v[96:97], -v[98:99]
	scratch_load_dwordx4 v[96:99], off, off offset:800
	s_waitcnt vmcnt(16) lgkmcnt(1)
	v_mul_f64 v[204:205], v[236:237], v[58:59]
	v_mul_f64 v[102:103], v[218:219], v[102:103]
	v_fmac_f64_e32 v[204:205], v[238:239], v[56:57]
	v_fma_f64 v[216:217], v[216:217], v[100:101], -v[102:103]
	ds_read_b128 v[100:103], v2 offset:1408
	s_waitcnt vmcnt(15) lgkmcnt(1)
	v_mul_f64 v[196:197], v[212:213], v[62:63]
	v_add_f64 v[0:1], v[0:1], v[204:205]
	v_fmac_f64_e32 v[196:197], v[214:215], v[60:61]
	v_add_f64 v[0:1], v[0:1], v[196:197]
	ds_read_b128 v[196:199], v2 offset:1424
	v_mul_f64 v[106:107], v[210:211], v[106:107]
	v_fma_f64 v[218:219], v[208:209], v[104:105], -v[106:107]
	ds_read_b128 v[104:107], v2 offset:1440
	s_waitcnt vmcnt(14) lgkmcnt(2)
	v_mul_f64 v[204:205], v[100:101], v[66:67]
	v_fmac_f64_e32 v[204:205], v[102:103], v[64:65]
	v_add_f64 v[0:1], v[0:1], v[204:205]
	s_waitcnt vmcnt(13) lgkmcnt(1)
	v_mul_f64 v[204:205], v[196:197], v[70:71]
	v_mul_f64 v[110:111], v[202:203], v[110:111]
	v_fmac_f64_e32 v[204:205], v[198:199], v[68:69]
	v_fma_f64 v[246:247], v[200:201], v[108:109], -v[110:111]
	ds_read_b128 v[108:111], v2 offset:1456
	s_waitcnt vmcnt(12) lgkmcnt(1)
	v_mul_f64 v[200:201], v[104:105], v[74:75]
	v_add_f64 v[0:1], v[0:1], v[204:205]
	v_fmac_f64_e32 v[200:201], v[106:107], v[72:73]
	v_add_f64 v[0:1], v[0:1], v[200:201]
	ds_read_b128 v[200:203], v2 offset:1472
	v_mul_f64 v[114:115], v[186:187], v[114:115]
	v_fma_f64 v[252:253], v[184:185], v[112:113], -v[114:115]
	ds_read_b128 v[112:115], v2 offset:1488
	s_waitcnt vmcnt(11) lgkmcnt(2)
	v_mul_f64 v[184:185], v[108:109], v[78:79]
	v_fmac_f64_e32 v[184:185], v[110:111], v[76:77]
	v_add_f64 v[0:1], v[0:1], v[184:185]
	s_waitcnt vmcnt(10) lgkmcnt(1)
	v_mul_f64 v[184:185], v[200:201], v[82:83]
	v_mul_f64 v[118:119], v[158:159], v[118:119]
	v_fmac_f64_e32 v[184:185], v[202:203], v[80:81]
	v_fma_f64 v[254:255], v[156:157], v[116:117], -v[118:119]
	s_waitcnt vmcnt(9) lgkmcnt(0)
	v_mul_f64 v[156:157], v[112:113], v[86:87]
	v_add_f64 v[0:1], v[0:1], v[184:185]
	ds_read_b128 v[116:119], v2 offset:1504
	v_fmac_f64_e32 v[156:157], v[114:115], v[84:85]
	v_add_f64 v[0:1], v[0:1], v[156:157]
	ds_read_b128 v[156:159], v2 offset:1520
	v_mul_f64 v[122:123], v[182:183], v[122:123]
	v_fma_f64 v[248:249], v[180:181], v[120:121], -v[122:123]
	ds_read_b128 v[120:123], v2 offset:1536
	v_accvgpr_write_b32 a111, v7
	v_mul_f64 v[126:127], v[162:163], v[126:127]
	v_accvgpr_write_b32 a110, v6
	v_accvgpr_write_b32 a109, v5
	;; [unrolled: 1-line block ×3, first 2 shown]
	v_fma_f64 v[4:5], v[160:161], v[124:125], -v[126:127]
	ds_read_b128 v[124:127], v2 offset:1552
	s_waitcnt vmcnt(8) lgkmcnt(3)
	v_mul_f64 v[184:185], v[116:117], v[154:155]
	v_fmac_f64_e32 v[184:185], v[118:119], v[152:153]
	s_waitcnt vmcnt(7) lgkmcnt(2)
	v_mul_f64 v[180:181], v[156:157], v[166:167]
	v_add_f64 v[0:1], v[0:1], v[184:185]
	v_fmac_f64_e32 v[180:181], v[158:159], v[164:165]
	s_waitcnt vmcnt(6) lgkmcnt(1)
	v_mul_f64 v[6:7], v[120:121], v[170:171]
	ds_read_b128 v[160:163], v2 offset:1568
	v_add_f64 v[0:1], v[0:1], v[180:181]
	v_fmac_f64_e32 v[6:7], v[122:123], v[168:169]
	v_add_f64 v[0:1], v[0:1], v[6:7]
	s_waitcnt vmcnt(5) lgkmcnt(1)
	v_mul_f64 v[6:7], v[124:125], v[178:179]
	v_fmac_f64_e32 v[6:7], v[126:127], v[176:177]
	v_add_f64 v[0:1], v[0:1], v[6:7]
	v_mul_f64 v[6:7], v[146:147], v[130:131]
	v_fma_f64 v[6:7], v[144:145], v[128:129], -v[6:7]
	ds_read_b128 v[128:131], v2 offset:1584
	s_waitcnt vmcnt(4) lgkmcnt(1)
	v_mul_f64 v[144:145], v[160:161], v[190:191]
	v_fmac_f64_e32 v[144:145], v[162:163], v[188:189]
	v_add_f64 v[180:181], v[0:1], v[144:145]
	v_mul_f64 v[0:1], v[174:175], v[134:135]
	v_fma_f64 v[0:1], v[172:173], v[132:133], -v[0:1]
	ds_read_b128 v[132:135], v2 offset:1600
	ds_read_b128 v[144:147], v2 offset:1616
	v_mul_f64 v[138:139], v[150:151], v[138:139]
	v_fma_f64 v[250:251], v[148:149], v[136:137], -v[138:139]
	ds_read_b128 v[136:139], v2 offset:1632
	s_waitcnt vmcnt(3) lgkmcnt(3)
	v_mul_f64 v[172:173], v[128:129], v[194:195]
	v_fmac_f64_e32 v[172:173], v[130:131], v[192:193]
	s_waitcnt vmcnt(2) lgkmcnt(2)
	v_mul_f64 v[148:149], v[132:133], v[94:95]
	v_add_f64 v[172:173], v[180:181], v[172:173]
	v_fmac_f64_e32 v[148:149], v[134:135], v[92:93]
	s_waitcnt vmcnt(1) lgkmcnt(1)
	v_mul_f64 v[150:151], v[144:145], v[90:91]
	v_add_f64 v[148:149], v[172:173], v[148:149]
	v_fmac_f64_e32 v[150:151], v[146:147], v[88:89]
	v_add_f64 v[148:149], v[148:149], v[150:151]
	ds_read_b128 v[172:175], v2 offset:1648
	scratch_load_dwordx4 v[208:211], off, off offset:848
	s_waitcnt vmcnt(1) lgkmcnt(1)
	v_mul_f64 v[150:151], v[136:137], v[98:99]
	v_fmac_f64_e32 v[150:151], v[138:139], v[96:97]
	v_add_f64 v[180:181], v[148:149], v[150:151]
	scratch_load_dwordx4 v[148:151], off, off offset:816
	ds_read_b128 v[184:187], v2 offset:1664
	v_accvgpr_write_b32 a113, v1
	v_accvgpr_write_b32 a112, v0
	s_waitcnt vmcnt(0) lgkmcnt(1)
	v_mul_f64 v[182:183], v[172:173], v[150:151]
	v_fmac_f64_e32 v[182:183], v[174:175], v[148:149]
	v_add_f64 v[204:205], v[180:181], v[182:183]
	scratch_load_dwordx4 v[180:183], off, off offset:832
	s_waitcnt vmcnt(0) lgkmcnt(0)
	v_mul_f64 v[206:207], v[184:185], v[182:183]
	v_fmac_f64_e32 v[206:207], v[186:187], v[180:181]
	v_add_f64 v[0:1], v[204:205], v[206:207]
	ds_read_b128 v[204:207], v2 offset:1680
	s_waitcnt lgkmcnt(0)
	v_mul_f64 v[2:3], v[204:205], v[210:211]
	v_fmac_f64_e32 v[2:3], v[206:207], v[208:209]
	v_add_f64 v[2:3], v[0:1], v[2:3]
	v_add_f64 v[0:1], v[240:241], 0
	;; [unrolled: 1-line block ×6, first 2 shown]
	scratch_load_dwordx4 v[216:219], off, off offset:176
	v_add_f64 v[0:1], v[0:1], v[246:247]
	v_add_f64 v[0:1], v[0:1], v[252:253]
	;; [unrolled: 1-line block ×6, first 2 shown]
	v_accvgpr_read_b32 v0, a112
	v_accvgpr_read_b32 v243, a111
	;; [unrolled: 1-line block ×4, first 2 shown]
	v_add_f64 v[0:1], v[252:253], v[0:1]
	v_accvgpr_read_b32 v241, a109
	v_accvgpr_read_b32 v240, a108
	v_mul_f64 v[4:5], v[46:47], v[242:243]
	v_add_f64 v[0:1], v[0:1], v[250:251]
	v_fma_f64 v[4:5], v[44:45], v[240:241], -v[4:5]
	v_add_f64 v[0:1], v[0:1], v[4:5]
	v_mul_f64 v[4:5], v[42:43], v[10:11]
	v_fma_f64 v[4:5], v[40:41], v[8:9], -v[4:5]
	v_add_f64 v[0:1], v[0:1], v[4:5]
	v_mul_f64 v[4:5], v[34:35], v[14:15]
	;; [unrolled: 3-line block ×28, first 2 shown]
	v_fma_f64 v[4:5], v[204:205], v[208:209], -v[4:5]
	v_add_f64 v[0:1], v[0:1], v[4:5]
	s_waitcnt vmcnt(0)
	v_add_f64 v[4:5], v[216:217], -v[0:1]
	v_accvgpr_read_b32 v0, a106
	v_add_f64 v[6:7], v[218:219], -v[2:3]
	v_cmp_lt_u32_e32 vcc, 9, v0
	scratch_store_dwordx4 off, v[4:7], off offset:176
	s_and_saveexec_b64 s[0:1], vcc
	s_cbranch_execz .LBB116_313
; %bb.312:
	scratch_load_dwordx4 v[2:5], off, s60
	v_mov_b32_e32 v6, 0
	v_mov_b32_e32 v7, v6
	;; [unrolled: 1-line block ×4, first 2 shown]
	v_accvgpr_read_b32 v0, a107
	scratch_store_dwordx4 off, v[6:9], off offset:160
	s_waitcnt vmcnt(1)
	ds_write_b128 v0, v[2:5]
.LBB116_313:
	s_or_b64 exec, exec, s[0:1]
	s_waitcnt lgkmcnt(0)
	; wave barrier
	scratch_load_dwordx4 v[96:99], off, off offset:176
	scratch_load_dwordx4 v[100:103], off, off offset:192
	;; [unrolled: 1-line block ×30, first 2 shown]
	v_mov_b32_e32 v2, 0
	ds_read_b128 v[136:139], v2 offset:1008
	ds_read_b128 v[144:147], v2 offset:1024
	;; [unrolled: 1-line block ×20, first 2 shown]
	s_waitcnt vmcnt(29) lgkmcnt(14)
	v_mul_f64 v[0:1], v[136:137], v[98:99]
	s_waitcnt vmcnt(28)
	v_mul_f64 v[72:73], v[144:145], v[102:103]
	v_fmac_f64_e32 v[0:1], v[138:139], v[96:97]
	s_waitcnt vmcnt(27)
	v_mul_f64 v[74:75], v[148:149], v[106:107]
	v_fmac_f64_e32 v[72:73], v[146:147], v[100:101]
	v_add_f64 v[0:1], v[0:1], 0
	s_waitcnt vmcnt(26)
	v_mul_f64 v[76:77], v[164:165], v[110:111]
	v_fmac_f64_e32 v[74:75], v[150:151], v[104:105]
	v_add_f64 v[0:1], v[0:1], v[72:73]
	;; [unrolled: 4-line block ×4, first 2 shown]
	s_waitcnt vmcnt(23) lgkmcnt(13)
	v_mul_f64 v[82:83], v[200:201], v[158:159]
	v_fmac_f64_e32 v[80:81], v[190:191], v[152:153]
	v_add_f64 v[0:1], v[0:1], v[78:79]
	s_waitcnt vmcnt(22) lgkmcnt(12)
	v_mul_f64 v[84:85], v[208:209], v[162:163]
	v_fmac_f64_e32 v[82:83], v[202:203], v[156:157]
	v_add_f64 v[0:1], v[0:1], v[80:81]
	;; [unrolled: 4-line block ×9, first 2 shown]
	s_waitcnt vmcnt(14) lgkmcnt(4)
	v_mul_f64 v[120:121], v[68:69], v[6:7]
	v_fmac_f64_e32 v[118:119], v[254:255], v[204:205]
	v_accvgpr_write_b32 a111, v7
	v_add_f64 v[0:1], v[0:1], v[116:117]
	v_fmac_f64_e32 v[120:121], v[70:71], v[4:5]
	v_accvgpr_write_b32 a110, v6
	v_accvgpr_write_b32 a109, v5
	;; [unrolled: 1-line block ×3, first 2 shown]
	v_add_f64 v[0:1], v[0:1], v[118:119]
	ds_read_b128 v[116:119], v2 offset:1280
	s_waitcnt vmcnt(13)
	v_mov_b64_e32 v[4:5], v[8:9]
	v_mov_b64_e32 v[6:7], v[10:11]
	s_waitcnt lgkmcnt(4)
	v_mul_f64 v[76:77], v[64:65], v[6:7]
	scratch_load_dwordx4 v[72:75], off, off offset:656
	v_add_f64 v[0:1], v[0:1], v[120:121]
	v_fmac_f64_e32 v[76:77], v[66:67], v[4:5]
	s_waitcnt vmcnt(13)
	v_mov_b64_e32 v[4:5], v[12:13]
	v_add_f64 v[0:1], v[0:1], v[76:77]
	v_mov_b64_e32 v[6:7], v[14:15]
	scratch_load_dwordx4 v[76:79], off, off offset:672
	ds_read_b128 v[120:123], v2 offset:1296
	s_waitcnt lgkmcnt(1)
	v_mul_f64 v[80:81], v[116:117], v[6:7]
	v_fmac_f64_e32 v[80:81], v[118:119], v[4:5]
	v_add_f64 v[0:1], v[0:1], v[80:81]
	scratch_load_dwordx4 v[80:83], off, off offset:688
	s_waitcnt vmcnt(14) lgkmcnt(0)
	v_mul_f64 v[84:85], v[120:121], v[236:237]
	v_fmac_f64_e32 v[84:85], v[122:123], v[234:235]
	s_waitcnt vmcnt(13)
	v_mul_f64 v[88:89], v[124:125], v[22:23]
	v_add_f64 v[0:1], v[0:1], v[84:85]
	v_fmac_f64_e32 v[88:89], v[126:127], v[20:21]
	scratch_load_dwordx4 v[84:87], off, off offset:704
	v_add_f64 v[0:1], v[0:1], v[88:89]
	s_waitcnt vmcnt(13)
	v_mul_f64 v[88:89], v[128:129], v[26:27]
	v_fmac_f64_e32 v[88:89], v[130:131], v[24:25]
	v_add_f64 v[0:1], v[0:1], v[88:89]
	scratch_load_dwordx4 v[88:91], off, off offset:720
	s_waitcnt vmcnt(13)
	v_mul_f64 v[92:93], v[132:133], v[30:31]
	v_fmac_f64_e32 v[92:93], v[134:135], v[28:29]
	v_add_f64 v[0:1], v[0:1], v[92:93]
	scratch_load_dwordx4 v[92:95], off, off offset:736
	v_mul_f64 v[98:99], v[138:139], v[98:99]
	v_fma_f64 v[240:241], v[136:137], v[96:97], -v[98:99]
	v_mul_f64 v[96:97], v[146:147], v[102:103]
	ds_read_b128 v[140:143], v2 offset:1360
	ds_read_b128 v[136:139], v2 offset:1376
	v_fma_f64 v[242:243], v[144:145], v[100:101], -v[96:97]
	scratch_load_dwordx4 v[100:103], off, off offset:752
	scratch_load_dwordx4 v[96:99], off, off offset:768
	s_waitcnt vmcnt(15) lgkmcnt(1)
	v_mul_f64 v[144:145], v[140:141], v[34:35]
	v_fmac_f64_e32 v[144:145], v[142:143], v[32:33]
	v_mul_f64 v[106:107], v[150:151], v[106:107]
	v_add_f64 v[0:1], v[0:1], v[144:145]
	s_waitcnt vmcnt(14) lgkmcnt(0)
	v_mul_f64 v[144:145], v[136:137], v[38:39]
	v_fma_f64 v[244:245], v[148:149], v[104:105], -v[106:107]
	v_mul_f64 v[104:105], v[166:167], v[110:111]
	v_fmac_f64_e32 v[144:145], v[138:139], v[36:37]
	v_fma_f64 v[246:247], v[164:165], v[108:109], -v[104:105]
	scratch_load_dwordx4 v[104:107], off, off offset:784
	v_add_f64 v[0:1], v[0:1], v[144:145]
	ds_read_b128 v[144:147], v2 offset:1392
	ds_read_b128 v[148:151], v2 offset:1408
	v_mul_f64 v[108:109], v[178:179], v[114:115]
	v_fma_f64 v[232:233], v[176:177], v[112:113], -v[108:109]
	scratch_load_dwordx4 v[108:111], off, off offset:800
	s_waitcnt vmcnt(15) lgkmcnt(1)
	v_mul_f64 v[112:113], v[144:145], v[42:43]
	v_fmac_f64_e32 v[112:113], v[146:147], v[40:41]
	v_add_f64 v[0:1], v[0:1], v[112:113]
	v_mul_f64 v[112:113], v[190:191], v[154:155]
	v_fma_f64 v[16:17], v[188:189], v[152:153], -v[112:113]
	scratch_load_dwordx4 v[112:115], off, off offset:816
	ds_read_b128 v[152:155], v2 offset:1424
	s_waitcnt vmcnt(15) lgkmcnt(1)
	v_mul_f64 v[6:7], v[148:149], v[46:47]
	v_fmac_f64_e32 v[6:7], v[150:151], v[44:45]
	v_accvgpr_write_b32 a119, v15
	v_add_f64 v[0:1], v[0:1], v[6:7]
	v_mul_f64 v[6:7], v[202:203], v[158:159]
	v_accvgpr_write_b32 a118, v14
	v_accvgpr_write_b32 a117, v13
	v_accvgpr_write_b32 a116, v12
	v_fma_f64 v[12:13], v[200:201], v[156:157], -v[6:7]
	ds_read_b128 v[156:159], v2 offset:1440
	s_waitcnt vmcnt(14) lgkmcnt(1)
	v_mul_f64 v[6:7], v[152:153], v[50:51]
	v_fmac_f64_e32 v[6:7], v[154:155], v[48:49]
	v_accvgpr_write_b32 a115, v11
	v_add_f64 v[0:1], v[0:1], v[6:7]
	v_mul_f64 v[6:7], v[210:211], v[162:163]
	v_accvgpr_write_b32 a114, v10
	v_accvgpr_write_b32 a113, v9
	;; [unrolled: 1-line block ×3, first 2 shown]
	v_fma_f64 v[10:11], v[208:209], v[160:161], -v[6:7]
	ds_read_b128 v[160:163], v2 offset:1456
	ds_read_b128 v[164:167], v2 offset:1472
	s_waitcnt vmcnt(13) lgkmcnt(2)
	v_mul_f64 v[6:7], v[156:157], v[54:55]
	v_fmac_f64_e32 v[6:7], v[158:159], v[52:53]
	v_add_f64 v[0:1], v[0:1], v[6:7]
	s_waitcnt vmcnt(12) lgkmcnt(1)
	v_mul_f64 v[6:7], v[160:161], v[62:63]
	v_fmac_f64_e32 v[6:7], v[162:163], v[60:61]
	v_add_f64 v[0:1], v[0:1], v[6:7]
	v_mul_f64 v[6:7], v[214:215], v[170:171]
	v_fma_f64 v[8:9], v[212:213], v[168:169], -v[6:7]
	s_waitcnt vmcnt(11) lgkmcnt(0)
	v_mul_f64 v[6:7], v[164:165], v[58:59]
	v_fmac_f64_e32 v[6:7], v[166:167], v[56:57]
	ds_read_b128 v[168:171], v2 offset:1488
	v_add_f64 v[0:1], v[0:1], v[6:7]
	v_mul_f64 v[6:7], v[218:219], v[174:175]
	v_fma_f64 v[14:15], v[216:217], v[172:173], -v[6:7]
	ds_read_b128 v[172:175], v2 offset:1504
	s_waitcnt vmcnt(10) lgkmcnt(1)
	v_mul_f64 v[6:7], v[168:169], v[74:75]
	ds_read_b128 v[176:179], v2 offset:1520
	v_fmac_f64_e32 v[6:7], v[170:171], v[72:73]
	v_add_f64 v[0:1], v[0:1], v[6:7]
	s_waitcnt vmcnt(9) lgkmcnt(1)
	v_mul_f64 v[6:7], v[172:173], v[78:79]
	v_fmac_f64_e32 v[6:7], v[174:175], v[76:77]
	v_add_f64 v[0:1], v[0:1], v[6:7]
	v_mul_f64 v[6:7], v[222:223], v[182:183]
	v_fma_f64 v[4:5], v[220:221], v[180:181], -v[6:7]
	ds_read_b128 v[180:183], v2 offset:1536
	s_waitcnt vmcnt(8) lgkmcnt(1)
	v_mul_f64 v[6:7], v[176:177], v[82:83]
	v_fmac_f64_e32 v[6:7], v[178:179], v[80:81]
	v_add_f64 v[0:1], v[0:1], v[6:7]
	v_mul_f64 v[6:7], v[226:227], v[186:187]
	v_fma_f64 v[6:7], v[224:225], v[184:185], -v[6:7]
	ds_read_b128 v[184:187], v2 offset:1552
	ds_read_b128 v[188:191], v2 offset:1568
	s_waitcnt vmcnt(7) lgkmcnt(2)
	v_mul_f64 v[18:19], v[180:181], v[86:87]
	v_fmac_f64_e32 v[18:19], v[182:183], v[84:85]
	v_add_f64 v[0:1], v[0:1], v[18:19]
	s_waitcnt vmcnt(6) lgkmcnt(1)
	v_mul_f64 v[18:19], v[184:185], v[90:91]
	v_fmac_f64_e32 v[18:19], v[186:187], v[88:89]
	v_add_f64 v[18:19], v[0:1], v[18:19]
	v_mul_f64 v[0:1], v[230:231], v[194:195]
	v_fma_f64 v[0:1], v[228:229], v[192:193], -v[0:1]
	ds_read_b128 v[192:195], v2 offset:1584
	s_waitcnt vmcnt(5) lgkmcnt(1)
	v_mul_f64 v[200:201], v[188:189], v[94:95]
	v_fmac_f64_e32 v[200:201], v[190:191], v[92:93]
	v_mul_f64 v[198:199], v[250:251], v[198:199]
	v_fma_f64 v[238:239], v[248:249], v[196:197], -v[198:199]
	ds_read_b128 v[196:199], v2 offset:1600
	v_add_f64 v[18:19], v[18:19], v[200:201]
	s_waitcnt vmcnt(4) lgkmcnt(1)
	v_mul_f64 v[200:201], v[192:193], v[102:103]
	v_fmac_f64_e32 v[200:201], v[194:195], v[100:101]
	v_add_f64 v[18:19], v[18:19], v[200:201]
	ds_read_b128 v[200:203], v2 offset:1616
	v_mul_f64 v[206:207], v[254:255], v[206:207]
	v_fma_f64 v[248:249], v[252:253], v[204:205], -v[206:207]
	ds_read_b128 v[204:207], v2 offset:1632
	s_waitcnt vmcnt(3) lgkmcnt(2)
	v_mul_f64 v[208:209], v[196:197], v[98:99]
	v_fmac_f64_e32 v[208:209], v[198:199], v[96:97]
	v_add_f64 v[18:19], v[18:19], v[208:209]
	s_waitcnt vmcnt(2) lgkmcnt(1)
	v_mul_f64 v[208:209], v[200:201], v[106:107]
	v_fmac_f64_e32 v[208:209], v[202:203], v[104:105]
	v_add_f64 v[18:19], v[18:19], v[208:209]
	;; [unrolled: 4-line block ×3, first 2 shown]
	ds_read_b128 v[208:211], v2 offset:1648
	ds_read_b128 v[216:219], v2 offset:1664
	;; [unrolled: 1-line block ×3, first 2 shown]
	s_waitcnt vmcnt(0) lgkmcnt(2)
	v_mul_f64 v[212:213], v[208:209], v[114:115]
	v_fmac_f64_e32 v[212:213], v[210:211], v[112:113]
	v_add_f64 v[18:19], v[18:19], v[212:213]
	scratch_load_dwordx4 v[212:215], off, off offset:832
	s_waitcnt vmcnt(0) lgkmcnt(1)
	v_mul_f64 v[220:221], v[216:217], v[214:215]
	v_fmac_f64_e32 v[220:221], v[218:219], v[212:213]
	v_add_f64 v[18:19], v[18:19], v[220:221]
	scratch_load_dwordx4 v[220:223], off, off offset:848
	;; [unrolled: 5-line block ×3, first 2 shown]
	v_add_f64 v[18:19], v[240:241], 0
	v_add_f64 v[18:19], v[18:19], v[242:243]
	v_add_f64 v[18:19], v[18:19], v[244:245]
	v_add_f64 v[18:19], v[18:19], v[246:247]
	v_add_f64 v[18:19], v[18:19], v[232:233]
	v_add_f64 v[16:17], v[18:19], v[16:17]
	v_add_f64 v[12:13], v[16:17], v[12:13]
	v_add_f64 v[10:11], v[12:13], v[10:11]
	v_add_f64 v[8:9], v[10:11], v[8:9]
	v_add_f64 v[8:9], v[8:9], v[14:15]
	v_add_f64 v[250:251], v[8:9], v[4:5]
	v_add_f64 v[4:5], v[250:251], v[6:7]
	v_accvgpr_read_b32 v6, a108
	v_accvgpr_read_b32 v8, a110
	;; [unrolled: 1-line block ×3, first 2 shown]
	v_add_f64 v[0:1], v[4:5], v[0:1]
	v_accvgpr_read_b32 v7, a109
	v_mul_f64 v[4:5], v[70:71], v[8:9]
	v_add_f64 v[0:1], v[0:1], v[238:239]
	v_fma_f64 v[4:5], v[68:69], v[6:7], -v[4:5]
	v_accvgpr_read_b32 v6, a112
	v_add_f64 v[0:1], v[0:1], v[248:249]
	v_accvgpr_read_b32 v8, a114
	v_accvgpr_read_b32 v9, a115
	v_add_f64 v[0:1], v[0:1], v[4:5]
	v_accvgpr_read_b32 v7, a113
	v_mul_f64 v[4:5], v[66:67], v[8:9]
	v_fma_f64 v[4:5], v[64:65], v[6:7], -v[4:5]
	v_accvgpr_read_b32 v6, a116
	v_accvgpr_read_b32 v8, a118
	;; [unrolled: 1-line block ×3, first 2 shown]
	v_add_f64 v[0:1], v[0:1], v[4:5]
	v_accvgpr_read_b32 v7, a117
	v_mul_f64 v[4:5], v[118:119], v[8:9]
	v_fma_f64 v[4:5], v[116:117], v[6:7], -v[4:5]
	v_add_f64 v[0:1], v[0:1], v[4:5]
	v_mul_f64 v[4:5], v[122:123], v[236:237]
	v_fma_f64 v[4:5], v[120:121], v[234:235], -v[4:5]
	v_add_f64 v[0:1], v[0:1], v[4:5]
	v_mul_f64 v[4:5], v[126:127], v[22:23]
	v_fma_f64 v[4:5], v[124:125], v[20:21], -v[4:5]
	v_add_f64 v[0:1], v[0:1], v[4:5]
	v_mul_f64 v[4:5], v[130:131], v[26:27]
	v_fma_f64 v[4:5], v[128:129], v[24:25], -v[4:5]
	v_add_f64 v[0:1], v[0:1], v[4:5]
	v_mul_f64 v[4:5], v[134:135], v[30:31]
	v_fma_f64 v[4:5], v[132:133], v[28:29], -v[4:5]
	v_add_f64 v[0:1], v[0:1], v[4:5]
	v_mul_f64 v[4:5], v[142:143], v[34:35]
	v_fma_f64 v[4:5], v[140:141], v[32:33], -v[4:5]
	v_add_f64 v[0:1], v[0:1], v[4:5]
	v_mul_f64 v[4:5], v[138:139], v[38:39]
	v_fma_f64 v[4:5], v[136:137], v[36:37], -v[4:5]
	v_add_f64 v[0:1], v[0:1], v[4:5]
	v_mul_f64 v[4:5], v[146:147], v[42:43]
	v_fma_f64 v[4:5], v[144:145], v[40:41], -v[4:5]
	v_add_f64 v[0:1], v[0:1], v[4:5]
	v_mul_f64 v[4:5], v[150:151], v[46:47]
	v_fma_f64 v[4:5], v[148:149], v[44:45], -v[4:5]
	v_add_f64 v[0:1], v[0:1], v[4:5]
	v_mul_f64 v[4:5], v[154:155], v[50:51]
	v_fma_f64 v[4:5], v[152:153], v[48:49], -v[4:5]
	v_add_f64 v[0:1], v[0:1], v[4:5]
	v_mul_f64 v[4:5], v[158:159], v[54:55]
	v_fma_f64 v[4:5], v[156:157], v[52:53], -v[4:5]
	v_add_f64 v[0:1], v[0:1], v[4:5]
	v_mul_f64 v[4:5], v[162:163], v[62:63]
	v_fma_f64 v[4:5], v[160:161], v[60:61], -v[4:5]
	v_add_f64 v[0:1], v[0:1], v[4:5]
	v_mul_f64 v[4:5], v[166:167], v[58:59]
	v_fma_f64 v[4:5], v[164:165], v[56:57], -v[4:5]
	v_add_f64 v[0:1], v[0:1], v[4:5]
	v_mul_f64 v[4:5], v[170:171], v[74:75]
	v_fma_f64 v[4:5], v[168:169], v[72:73], -v[4:5]
	v_add_f64 v[0:1], v[0:1], v[4:5]
	v_mul_f64 v[4:5], v[174:175], v[78:79]
	v_fma_f64 v[4:5], v[172:173], v[76:77], -v[4:5]
	v_add_f64 v[0:1], v[0:1], v[4:5]
	v_mul_f64 v[4:5], v[178:179], v[82:83]
	v_fma_f64 v[4:5], v[176:177], v[80:81], -v[4:5]
	v_add_f64 v[0:1], v[0:1], v[4:5]
	v_mul_f64 v[4:5], v[182:183], v[86:87]
	v_fma_f64 v[4:5], v[180:181], v[84:85], -v[4:5]
	v_add_f64 v[0:1], v[0:1], v[4:5]
	v_mul_f64 v[4:5], v[186:187], v[90:91]
	v_fma_f64 v[4:5], v[184:185], v[88:89], -v[4:5]
	v_add_f64 v[0:1], v[0:1], v[4:5]
	v_mul_f64 v[4:5], v[190:191], v[94:95]
	v_fma_f64 v[4:5], v[188:189], v[92:93], -v[4:5]
	v_add_f64 v[0:1], v[0:1], v[4:5]
	v_mul_f64 v[4:5], v[194:195], v[102:103]
	v_fma_f64 v[4:5], v[192:193], v[100:101], -v[4:5]
	v_add_f64 v[0:1], v[0:1], v[4:5]
	v_mul_f64 v[4:5], v[198:199], v[98:99]
	v_fma_f64 v[4:5], v[196:197], v[96:97], -v[4:5]
	v_add_f64 v[0:1], v[0:1], v[4:5]
	v_mul_f64 v[4:5], v[202:203], v[106:107]
	v_fma_f64 v[4:5], v[200:201], v[104:105], -v[4:5]
	v_add_f64 v[0:1], v[0:1], v[4:5]
	v_mul_f64 v[4:5], v[206:207], v[110:111]
	v_fma_f64 v[4:5], v[204:205], v[108:109], -v[4:5]
	v_add_f64 v[0:1], v[0:1], v[4:5]
	v_mul_f64 v[4:5], v[210:211], v[114:115]
	v_fma_f64 v[4:5], v[208:209], v[112:113], -v[4:5]
	v_add_f64 v[0:1], v[0:1], v[4:5]
	v_mul_f64 v[4:5], v[218:219], v[214:215]
	v_fma_f64 v[4:5], v[216:217], v[212:213], -v[4:5]
	v_add_f64 v[0:1], v[0:1], v[4:5]
	v_mul_f64 v[4:5], v[226:227], v[222:223]
	v_fma_f64 v[4:5], v[224:225], v[220:221], -v[4:5]
	v_add_f64 v[0:1], v[0:1], v[4:5]
	s_waitcnt vmcnt(0)
	v_add_f64 v[4:5], v[228:229], -v[0:1]
	v_accvgpr_read_b32 v0, a106
	v_add_f64 v[6:7], v[230:231], -v[252:253]
	v_cmp_lt_u32_e32 vcc, 8, v0
	scratch_store_dwordx4 off, v[4:7], off offset:160
	s_and_saveexec_b64 s[0:1], vcc
	s_cbranch_execz .LBB116_315
; %bb.314:
	scratch_load_dwordx4 v[6:9], off, s61
	v_mov_b32_e32 v3, v2
	v_mov_b32_e32 v4, v2
	;; [unrolled: 1-line block ×3, first 2 shown]
	v_accvgpr_read_b32 v0, a107
	scratch_store_dwordx4 off, v[2:5], off offset:144
	s_waitcnt vmcnt(1)
	ds_write_b128 v0, v[6:9]
.LBB116_315:
	s_or_b64 exec, exec, s[0:1]
	s_waitcnt lgkmcnt(0)
	; wave barrier
	scratch_load_dwordx4 v[72:75], off, off offset:160
	scratch_load_dwordx4 v[76:79], off, off offset:176
	;; [unrolled: 1-line block ×17, first 2 shown]
	ds_read_b128 v[176:179], v2 offset:992
	ds_read_b128 v[192:195], v2 offset:1008
	;; [unrolled: 1-line block ×3, first 2 shown]
	scratch_load_dwordx4 v[20:23], off, off offset:432
	ds_read_b128 v[236:239], v2 offset:1040
	ds_read_b128 v[232:235], v2 offset:1056
	;; [unrolled: 1-line block ×5, first 2 shown]
	scratch_load_dwordx4 v[168:171], off, off offset:448
	ds_read_b128 v[224:227], v2 offset:1120
	ds_read_b128 v[212:215], v2 offset:1136
	;; [unrolled: 1-line block ×3, first 2 shown]
	scratch_load_dwordx4 v[12:15], off, off offset:464
	ds_read_b128 v[216:219], v2 offset:1168
	ds_read_b128 v[204:207], v2 offset:1184
	;; [unrolled: 1-line block ×5, first 2 shown]
	scratch_load_dwordx4 v[28:31], off, off offset:480
	ds_read_b128 v[32:35], v2 offset:1248
	scratch_load_dwordx4 v[36:39], off, off offset:496
	scratch_load_dwordx4 v[40:43], off, off offset:512
	;; [unrolled: 1-line block ×9, first 2 shown]
	ds_read_b128 v[132:135], v2 offset:1264
	s_waitcnt lgkmcnt(2)
	v_accvgpr_write_b32 a115, v19
	v_accvgpr_write_b32 a114, v18
	;; [unrolled: 1-line block ×4, first 2 shown]
	ds_read_b128 v[172:175], v2 offset:1328
	s_waitcnt vmcnt(29)
	v_mul_f64 v[0:1], v[176:177], v[74:75]
	s_waitcnt vmcnt(28)
	v_mul_f64 v[136:137], v[192:193], v[78:79]
	v_fmac_f64_e32 v[0:1], v[178:179], v[72:73]
	s_waitcnt vmcnt(27)
	v_mul_f64 v[138:139], v[188:189], v[82:83]
	v_fmac_f64_e32 v[136:137], v[194:195], v[76:77]
	v_add_f64 v[0:1], v[0:1], 0
	s_waitcnt vmcnt(26)
	v_mul_f64 v[140:141], v[236:237], v[86:87]
	v_fmac_f64_e32 v[138:139], v[190:191], v[80:81]
	v_add_f64 v[0:1], v[0:1], v[136:137]
	;; [unrolled: 4-line block ×14, first 2 shown]
	v_fmac_f64_e32 v[164:165], v[18:19], v[4:5]
	v_add_f64 v[0:1], v[0:1], v[162:163]
	s_waitcnt vmcnt(13) lgkmcnt(2)
	v_mul_f64 v[140:141], v[32:33], v[26:27]
	scratch_load_dwordx4 v[136:139], off, off offset:640
	v_add_f64 v[0:1], v[0:1], v[164:165]
	v_fmac_f64_e32 v[140:141], v[34:35], v[24:25]
	v_add_f64 v[0:1], v[0:1], v[140:141]
	ds_read_b128 v[160:163], v2 offset:1280
	scratch_load_dwordx4 v[140:143], off, off offset:656
	ds_read_b128 v[164:167], v2 offset:1296
	s_waitcnt vmcnt(13)
	v_mov_b64_e32 v[16:17], v[168:169]
	v_mov_b64_e32 v[18:19], v[170:171]
	ds_read_b128 v[168:171], v2 offset:1312
	s_waitcnt lgkmcnt(4)
	v_mul_f64 v[144:145], v[132:133], v[22:23]
	v_fmac_f64_e32 v[144:145], v[134:135], v[20:21]
	s_waitcnt lgkmcnt(2)
	v_mul_f64 v[148:149], v[160:161], v[18:19]
	v_add_f64 v[0:1], v[0:1], v[144:145]
	v_fmac_f64_e32 v[148:149], v[162:163], v[16:17]
	s_waitcnt vmcnt(12) lgkmcnt(1)
	v_mul_f64 v[152:153], v[164:165], v[14:15]
	scratch_load_dwordx4 v[144:147], off, off offset:672
	v_add_f64 v[0:1], v[0:1], v[148:149]
	v_fmac_f64_e32 v[152:153], v[166:167], v[12:13]
	scratch_load_dwordx4 v[148:151], off, off offset:688
	v_add_f64 v[0:1], v[0:1], v[152:153]
	s_waitcnt vmcnt(13) lgkmcnt(0)
	v_mul_f64 v[152:153], v[168:169], v[30:31]
	v_fmac_f64_e32 v[152:153], v[170:171], v[28:29]
	v_add_f64 v[0:1], v[0:1], v[152:153]
	scratch_load_dwordx4 v[152:155], off, off offset:704
	s_waitcnt vmcnt(13)
	v_mul_f64 v[156:157], v[172:173], v[38:39]
	v_fmac_f64_e32 v[156:157], v[174:175], v[36:37]
	v_mul_f64 v[74:75], v[178:179], v[74:75]
	v_add_f64 v[0:1], v[0:1], v[156:157]
	scratch_load_dwordx4 v[156:159], off, off offset:720
	v_fma_f64 v[240:241], v[176:177], v[72:73], -v[74:75]
	v_mul_f64 v[72:73], v[194:195], v[78:79]
	ds_read_b128 v[180:183], v2 offset:1344
	ds_read_b128 v[176:179], v2 offset:1360
	v_fma_f64 v[242:243], v[192:193], v[76:77], -v[72:73]
	scratch_load_dwordx4 v[76:79], off, off offset:736
	scratch_load_dwordx4 v[72:75], off, off offset:752
	v_mul_f64 v[82:83], v[190:191], v[82:83]
	v_fma_f64 v[244:245], v[188:189], v[80:81], -v[82:83]
	v_mul_f64 v[80:81], v[238:239], v[86:87]
	v_fma_f64 v[236:237], v[236:237], v[84:85], -v[80:81]
	scratch_load_dwordx4 v[80:83], off, off offset:768
	ds_read_b128 v[188:191], v2 offset:1376
	v_mul_f64 v[84:85], v[234:235], v[90:91]
	s_waitcnt vmcnt(16) lgkmcnt(2)
	v_mul_f64 v[192:193], v[180:181], v[42:43]
	v_fma_f64 v[238:239], v[232:233], v[88:89], -v[84:85]
	scratch_load_dwordx4 v[84:87], off, off offset:784
	v_fmac_f64_e32 v[192:193], v[182:183], v[40:41]
	v_add_f64 v[0:1], v[0:1], v[192:193]
	s_waitcnt vmcnt(16) lgkmcnt(1)
	v_mul_f64 v[192:193], v[176:177], v[46:47]
	v_fmac_f64_e32 v[192:193], v[178:179], v[44:45]
	v_add_f64 v[0:1], v[0:1], v[192:193]
	ds_read_b128 v[192:195], v2 offset:1392
	s_waitcnt vmcnt(15) lgkmcnt(1)
	v_mul_f64 v[88:89], v[188:189], v[50:51]
	v_fmac_f64_e32 v[88:89], v[190:191], v[48:49]
	v_add_f64 v[0:1], v[0:1], v[88:89]
	v_mul_f64 v[88:89], v[230:231], v[94:95]
	v_fma_f64 v[246:247], v[228:229], v[92:93], -v[88:89]
	scratch_load_dwordx4 v[88:91], off, off offset:800
	scratch_load_dwordx4 v[232:235], off, off offset:848
	ds_read_b128 v[92:95], v2 offset:1408
	v_mul_f64 v[98:99], v[222:223], v[98:99]
	v_fma_f64 v[252:253], v[220:221], v[96:97], -v[98:99]
	ds_read_b128 v[96:99], v2 offset:1424
	v_mul_f64 v[102:103], v[210:211], v[102:103]
	s_waitcnt vmcnt(16) lgkmcnt(2)
	v_mul_f64 v[228:229], v[192:193], v[54:55]
	v_fma_f64 v[254:255], v[208:209], v[100:101], -v[102:103]
	ds_read_b128 v[100:103], v2 offset:1440
	ds_read_b128 v[208:211], v2 offset:1456
	v_fmac_f64_e32 v[228:229], v[194:195], v[52:53]
	s_waitcnt vmcnt(15) lgkmcnt(3)
	v_mul_f64 v[220:221], v[92:93], v[58:59]
	v_add_f64 v[0:1], v[0:1], v[228:229]
	v_fmac_f64_e32 v[220:221], v[94:95], v[56:57]
	v_mul_f64 v[106:107], v[226:227], v[106:107]
	v_add_f64 v[0:1], v[0:1], v[220:221]
	s_waitcnt vmcnt(14) lgkmcnt(2)
	v_mul_f64 v[220:221], v[96:97], v[62:63]
	v_fma_f64 v[248:249], v[224:225], v[104:105], -v[106:107]
	ds_read_b128 v[104:107], v2 offset:1472
	v_fmac_f64_e32 v[220:221], v[98:99], v[60:61]
	v_mul_f64 v[110:111], v[214:215], v[110:111]
	v_add_f64 v[0:1], v[0:1], v[220:221]
	s_waitcnt vmcnt(13) lgkmcnt(2)
	v_mul_f64 v[220:221], v[100:101], v[70:71]
	v_fma_f64 v[8:9], v[212:213], v[108:109], -v[110:111]
	ds_read_b128 v[108:111], v2 offset:1488
	v_fmac_f64_e32 v[220:221], v[102:103], v[68:69]
	v_accvgpr_write_b32 a111, v7
	v_add_f64 v[0:1], v[0:1], v[220:221]
	s_waitcnt vmcnt(12) lgkmcnt(2)
	v_mul_f64 v[220:221], v[208:209], v[66:67]
	v_accvgpr_write_b32 a110, v6
	v_accvgpr_write_b32 a109, v5
	;; [unrolled: 1-line block ×3, first 2 shown]
	v_fmac_f64_e32 v[220:221], v[210:211], v[64:65]
	s_waitcnt vmcnt(11) lgkmcnt(1)
	v_mul_f64 v[6:7], v[104:105], v[138:139]
	v_add_f64 v[0:1], v[0:1], v[220:221]
	v_fmac_f64_e32 v[6:7], v[106:107], v[136:137]
	v_add_f64 v[0:1], v[0:1], v[6:7]
	s_waitcnt vmcnt(10) lgkmcnt(0)
	v_mul_f64 v[6:7], v[108:109], v[142:143]
	v_fmac_f64_e32 v[6:7], v[110:111], v[140:141]
	ds_read_b128 v[212:215], v2 offset:1504
	v_add_f64 v[0:1], v[0:1], v[6:7]
	v_mul_f64 v[6:7], v[202:203], v[114:115]
	v_fma_f64 v[6:7], v[200:201], v[112:113], -v[6:7]
	ds_read_b128 v[112:115], v2 offset:1520
	v_mul_f64 v[118:119], v[218:219], v[118:119]
	v_fma_f64 v[4:5], v[216:217], v[116:117], -v[118:119]
	ds_read_b128 v[116:119], v2 offset:1536
	s_waitcnt vmcnt(9) lgkmcnt(2)
	v_mul_f64 v[200:201], v[212:213], v[146:147]
	v_fmac_f64_e32 v[200:201], v[214:215], v[144:145]
	s_waitcnt vmcnt(8) lgkmcnt(1)
	v_mul_f64 v[10:11], v[112:113], v[150:151]
	v_add_f64 v[0:1], v[0:1], v[200:201]
	v_fmac_f64_e32 v[10:11], v[114:115], v[148:149]
	v_add_f64 v[0:1], v[0:1], v[10:11]
	ds_read_b128 v[200:203], v2 offset:1552
	s_waitcnt vmcnt(7) lgkmcnt(1)
	v_mul_f64 v[10:11], v[116:117], v[154:155]
	v_fmac_f64_e32 v[10:11], v[118:119], v[152:153]
	v_add_f64 v[10:11], v[0:1], v[10:11]
	v_mul_f64 v[0:1], v[206:207], v[122:123]
	v_fma_f64 v[0:1], v[204:205], v[120:121], -v[0:1]
	ds_read_b128 v[120:123], v2 offset:1568
	v_mul_f64 v[126:127], v[198:199], v[126:127]
	v_fma_f64 v[124:125], v[196:197], v[124:125], -v[126:127]
	s_waitcnt vmcnt(6) lgkmcnt(1)
	v_mul_f64 v[204:205], v[200:201], v[158:159]
	v_accvgpr_write_b32 a116, v124
	v_fmac_f64_e32 v[204:205], v[202:203], v[156:157]
	v_accvgpr_write_b32 a117, v125
	ds_read_b128 v[124:127], v2 offset:1584
	s_waitcnt vmcnt(5) lgkmcnt(1)
	v_mul_f64 v[196:197], v[120:121], v[78:79]
	v_add_f64 v[10:11], v[10:11], v[204:205]
	v_fmac_f64_e32 v[196:197], v[122:123], v[76:77]
	v_add_f64 v[10:11], v[10:11], v[196:197]
	ds_read_b128 v[196:199], v2 offset:1600
	v_mul_f64 v[130:131], v[186:187], v[130:131]
	v_fma_f64 v[250:251], v[184:185], v[128:129], -v[130:131]
	ds_read_b128 v[128:131], v2 offset:1616
	s_waitcnt vmcnt(4) lgkmcnt(2)
	v_mul_f64 v[184:185], v[124:125], v[74:75]
	v_fmac_f64_e32 v[184:185], v[126:127], v[72:73]
	v_add_f64 v[10:11], v[10:11], v[184:185]
	s_waitcnt vmcnt(3) lgkmcnt(1)
	v_mul_f64 v[184:185], v[196:197], v[82:83]
	v_fmac_f64_e32 v[184:185], v[198:199], v[80:81]
	v_add_f64 v[10:11], v[10:11], v[184:185]
	;; [unrolled: 4-line block ×3, first 2 shown]
	ds_read_b128 v[184:187], v2 offset:1632
	ds_read_b128 v[216:219], v2 offset:1648
	;; [unrolled: 1-line block ×3, first 2 shown]
	s_waitcnt vmcnt(1) lgkmcnt(2)
	v_mul_f64 v[204:205], v[184:185], v[90:91]
	v_fmac_f64_e32 v[204:205], v[186:187], v[88:89]
	v_add_f64 v[10:11], v[10:11], v[204:205]
	scratch_load_dwordx4 v[204:207], off, off offset:816
	s_waitcnt vmcnt(0) lgkmcnt(1)
	v_mul_f64 v[220:221], v[216:217], v[206:207]
	v_fmac_f64_e32 v[220:221], v[218:219], v[204:205]
	v_add_f64 v[10:11], v[10:11], v[220:221]
	scratch_load_dwordx4 v[220:223], off, off offset:832
	s_waitcnt vmcnt(0) lgkmcnt(0)
	v_mul_f64 v[228:229], v[224:225], v[222:223]
	v_fmac_f64_e32 v[228:229], v[226:227], v[220:221]
	v_add_f64 v[10:11], v[10:11], v[228:229]
	ds_read_b128 v[228:231], v2 offset:1680
	s_waitcnt lgkmcnt(0)
	v_mul_f64 v[2:3], v[228:229], v[234:235]
	v_fmac_f64_e32 v[2:3], v[230:231], v[232:233]
	v_add_f64 v[2:3], v[10:11], v[2:3]
	v_add_f64 v[10:11], v[240:241], 0
	;; [unrolled: 1-line block ×6, first 2 shown]
	scratch_load_dwordx4 v[236:239], off, off offset:144
	v_add_f64 v[10:11], v[10:11], v[246:247]
	v_add_f64 v[10:11], v[10:11], v[252:253]
	;; [unrolled: 1-line block ×8, first 2 shown]
	v_accvgpr_read_b32 v0, a116
	v_accvgpr_read_b32 v6, a108
	;; [unrolled: 1-line block ×7, first 2 shown]
	v_add_f64 v[0:1], v[252:253], v[0:1]
	v_accvgpr_read_b32 v7, a109
	v_accvgpr_read_b32 v241, a113
	v_accvgpr_read_b32 v240, a112
	v_mul_f64 v[4:5], v[242:243], v[8:9]
	v_add_f64 v[0:1], v[0:1], v[250:251]
	v_fma_f64 v[4:5], v[240:241], v[6:7], -v[4:5]
	v_add_f64 v[0:1], v[0:1], v[4:5]
	v_mul_f64 v[4:5], v[34:35], v[26:27]
	v_fma_f64 v[4:5], v[32:33], v[24:25], -v[4:5]
	v_add_f64 v[0:1], v[0:1], v[4:5]
	v_mul_f64 v[4:5], v[134:135], v[22:23]
	;; [unrolled: 3-line block ×28, first 2 shown]
	v_fma_f64 v[4:5], v[228:229], v[232:233], -v[4:5]
	v_add_f64 v[0:1], v[0:1], v[4:5]
	s_waitcnt vmcnt(0)
	v_add_f64 v[4:5], v[236:237], -v[0:1]
	v_accvgpr_read_b32 v0, a106
	v_add_f64 v[6:7], v[238:239], -v[2:3]
	v_cmp_lt_u32_e32 vcc, 7, v0
	scratch_store_dwordx4 off, v[4:7], off offset:144
	s_and_saveexec_b64 s[0:1], vcc
	s_cbranch_execz .LBB116_317
; %bb.316:
	scratch_load_dwordx4 v[2:5], off, s62
	v_mov_b32_e32 v6, 0
	v_mov_b32_e32 v7, v6
	;; [unrolled: 1-line block ×4, first 2 shown]
	v_accvgpr_read_b32 v0, a107
	scratch_store_dwordx4 off, v[6:9], off offset:128
	s_waitcnt vmcnt(1)
	ds_write_b128 v0, v[2:5]
.LBB116_317:
	s_or_b64 exec, exec, s[0:1]
	s_waitcnt lgkmcnt(0)
	; wave barrier
	scratch_load_dwordx4 v[80:83], off, off offset:144
	scratch_load_dwordx4 v[84:87], off, off offset:160
	;; [unrolled: 1-line block ×29, first 2 shown]
	v_mov_b32_e32 v2, 0
	ds_read_b128 v[132:135], v2 offset:976
	ds_read_b128 v[136:139], v2 offset:992
	ds_read_b128 v[140:143], v2 offset:1008
	ds_read_b128 v[148:151], v2 offset:1024
	ds_read_b128 v[160:163], v2 offset:1040
	ds_read_b128 v[172:175], v2 offset:1056
	ds_read_b128 v[184:187], v2 offset:1072
	ds_read_b128 v[196:199], v2 offset:1088
	ds_read_b128 v[204:207], v2 offset:1104
	ds_read_b128 v[208:211], v2 offset:1120
	ds_read_b128 v[212:215], v2 offset:1136
	ds_read_b128 v[216:219], v2 offset:1152
	ds_read_b128 v[220:223], v2 offset:1168
	ds_read_b128 v[224:227], v2 offset:1184
	ds_read_b128 v[228:231], v2 offset:1200
	ds_read_b128 v[248:251], v2 offset:1216
	ds_read_b128 v[252:255], v2 offset:1232
	ds_read_b128 v[52:55], v2 offset:1248
	ds_read_b128 v[116:119], v2 offset:1296
	ds_read_b128 v[120:123], v2 offset:1312
	ds_read_b128 v[124:127], v2 offset:1328
	ds_read_b128 v[128:131], v2 offset:1344
	s_waitcnt vmcnt(28) lgkmcnt(14)
	v_mul_f64 v[0:1], v[132:133], v[82:83]
	s_waitcnt vmcnt(27)
	v_mul_f64 v[56:57], v[136:137], v[86:87]
	v_fmac_f64_e32 v[0:1], v[134:135], v[80:81]
	s_waitcnt vmcnt(26)
	v_mul_f64 v[58:59], v[140:141], v[90:91]
	v_fmac_f64_e32 v[56:57], v[138:139], v[84:85]
	v_add_f64 v[0:1], v[0:1], 0
	s_waitcnt vmcnt(25)
	v_mul_f64 v[60:61], v[148:149], v[94:95]
	v_fmac_f64_e32 v[58:59], v[142:143], v[88:89]
	v_add_f64 v[0:1], v[0:1], v[56:57]
	;; [unrolled: 4-line block ×6, first 2 shown]
	s_waitcnt vmcnt(20) lgkmcnt(13)
	v_mul_f64 v[70:71], v[204:205], v[154:155]
	v_fmac_f64_e32 v[68:69], v[198:199], v[144:145]
	v_add_f64 v[0:1], v[0:1], v[66:67]
	s_waitcnt vmcnt(19) lgkmcnt(12)
	v_mul_f64 v[72:73], v[208:209], v[158:159]
	v_fmac_f64_e32 v[70:71], v[206:207], v[152:153]
	v_add_f64 v[0:1], v[0:1], v[68:69]
	;; [unrolled: 4-line block ×8, first 2 shown]
	v_fmac_f64_e32 v[112:113], v[250:251], v[192:193]
	v_add_f64 v[0:1], v[0:1], v[110:111]
	s_waitcnt vmcnt(12) lgkmcnt(5)
	v_mul_f64 v[60:61], v[252:253], v[202:203]
	scratch_load_dwordx4 v[56:59], off, off offset:608
	ds_read_b128 v[108:111], v2 offset:1264
	v_add_f64 v[0:1], v[0:1], v[112:113]
	v_fmac_f64_e32 v[60:61], v[254:255], v[200:201]
	v_add_f64 v[0:1], v[0:1], v[60:61]
	s_waitcnt vmcnt(12) lgkmcnt(5)
	v_mul_f64 v[64:65], v[52:53], v[6:7]
	scratch_load_dwordx4 v[60:63], off, off offset:624
	v_accvgpr_write_b32 a111, v7
	v_fmac_f64_e32 v[64:65], v[54:55], v[4:5]
	v_accvgpr_write_b32 a110, v6
	v_accvgpr_write_b32 a109, v5
	;; [unrolled: 1-line block ×3, first 2 shown]
	ds_read_b128 v[112:115], v2 offset:1280
	s_waitcnt vmcnt(12)
	v_mov_b64_e32 v[4:5], v[8:9]
	v_mov_b64_e32 v[6:7], v[10:11]
	s_waitcnt lgkmcnt(1)
	v_mul_f64 v[68:69], v[108:109], v[6:7]
	v_fmac_f64_e32 v[68:69], v[110:111], v[4:5]
	s_waitcnt vmcnt(11)
	v_mov_b64_e32 v[4:5], v[12:13]
	v_add_f64 v[0:1], v[0:1], v[64:65]
	v_mov_b64_e32 v[6:7], v[14:15]
	scratch_load_dwordx4 v[64:67], off, off offset:640
	v_add_f64 v[0:1], v[0:1], v[68:69]
	s_waitcnt lgkmcnt(0)
	v_mul_f64 v[68:69], v[112:113], v[6:7]
	v_fmac_f64_e32 v[68:69], v[114:115], v[4:5]
	s_waitcnt vmcnt(11)
	v_mov_b64_e32 v[4:5], v[16:17]
	v_add_f64 v[0:1], v[0:1], v[68:69]
	scratch_load_dwordx4 v[68:71], off, off offset:656
	v_mov_b64_e32 v[6:7], v[18:19]
	v_mul_f64 v[76:77], v[116:117], v[6:7]
	scratch_load_dwordx4 v[72:75], off, off offset:672
	v_fmac_f64_e32 v[76:77], v[118:119], v[4:5]
	v_add_f64 v[0:1], v[0:1], v[76:77]
	s_waitcnt vmcnt(12)
	v_mul_f64 v[76:77], v[120:121], v[236:237]
	v_fmac_f64_e32 v[76:77], v[122:123], v[234:235]
	v_add_f64 v[0:1], v[0:1], v[76:77]
	scratch_load_dwordx4 v[76:79], off, off offset:688
	v_mul_f64 v[82:83], v[134:135], v[82:83]
	v_fma_f64 v[240:241], v[132:133], v[80:81], -v[82:83]
	scratch_load_dwordx4 v[80:83], off, off offset:704
	v_mul_f64 v[86:87], v[138:139], v[86:87]
	v_fma_f64 v[242:243], v[136:137], v[84:85], -v[86:87]
	scratch_load_dwordx4 v[84:87], off, off offset:720
	v_mul_f64 v[90:91], v[142:143], v[90:91]
	s_waitcnt vmcnt(14)
	v_mul_f64 v[132:133], v[124:125], v[26:27]
	v_fma_f64 v[244:245], v[140:141], v[88:89], -v[90:91]
	scratch_load_dwordx4 v[88:91], off, off offset:736
	v_fmac_f64_e32 v[132:133], v[126:127], v[24:25]
	s_waitcnt vmcnt(14)
	v_mul_f64 v[136:137], v[128:129], v[30:31]
	v_mul_f64 v[94:95], v[150:151], v[94:95]
	v_add_f64 v[0:1], v[0:1], v[132:133]
	v_fmac_f64_e32 v[136:137], v[130:131], v[28:29]
	v_fma_f64 v[246:247], v[148:149], v[92:93], -v[94:95]
	v_mul_f64 v[92:93], v[162:163], v[98:99]
	ds_read_b128 v[132:135], v2 offset:1360
	v_add_f64 v[0:1], v[0:1], v[136:137]
	ds_read_b128 v[136:139], v2 offset:1376
	v_fma_f64 v[232:233], v[160:161], v[96:97], -v[92:93]
	scratch_load_dwordx4 v[96:99], off, off offset:752
	scratch_load_dwordx4 v[92:95], off, off offset:768
	v_mul_f64 v[102:103], v[174:175], v[102:103]
	v_fma_f64 v[20:21], v[172:173], v[100:101], -v[102:103]
	scratch_load_dwordx4 v[100:103], off, off offset:784
	v_accvgpr_write_b32 a123, v19
	v_mul_f64 v[6:7], v[186:187], v[106:107]
	v_accvgpr_write_b32 a122, v18
	v_accvgpr_write_b32 a121, v17
	;; [unrolled: 1-line block ×3, first 2 shown]
	v_fma_f64 v[16:17], v[184:185], v[104:105], -v[6:7]
	scratch_load_dwordx4 v[104:107], off, off offset:800
	s_waitcnt vmcnt(17) lgkmcnt(1)
	v_mul_f64 v[140:141], v[132:133], v[34:35]
	v_fmac_f64_e32 v[140:141], v[134:135], v[32:33]
	v_add_f64 v[0:1], v[0:1], v[140:141]
	ds_read_b128 v[140:143], v2 offset:1392
	v_accvgpr_write_b32 a119, v15
	v_mul_f64 v[6:7], v[198:199], v[146:147]
	v_accvgpr_write_b32 a118, v14
	v_accvgpr_write_b32 a117, v13
	;; [unrolled: 1-line block ×3, first 2 shown]
	v_fma_f64 v[12:13], v[196:197], v[144:145], -v[6:7]
	ds_read_b128 v[144:147], v2 offset:1408
	s_waitcnt vmcnt(16) lgkmcnt(2)
	v_mul_f64 v[148:149], v[136:137], v[38:39]
	v_fmac_f64_e32 v[148:149], v[138:139], v[36:37]
	v_add_f64 v[0:1], v[0:1], v[148:149]
	s_waitcnt vmcnt(15) lgkmcnt(1)
	v_mul_f64 v[6:7], v[140:141], v[42:43]
	ds_read_b128 v[148:151], v2 offset:1424
	v_fmac_f64_e32 v[6:7], v[142:143], v[40:41]
	v_add_f64 v[0:1], v[0:1], v[6:7]
	s_waitcnt vmcnt(14) lgkmcnt(1)
	v_mul_f64 v[6:7], v[144:145], v[46:47]
	v_fmac_f64_e32 v[6:7], v[146:147], v[44:45]
	v_accvgpr_write_b32 a115, v11
	v_add_f64 v[0:1], v[0:1], v[6:7]
	v_mul_f64 v[6:7], v[206:207], v[154:155]
	v_accvgpr_write_b32 a114, v10
	v_accvgpr_write_b32 a113, v9
	;; [unrolled: 1-line block ×3, first 2 shown]
	v_fma_f64 v[10:11], v[204:205], v[152:153], -v[6:7]
	ds_read_b128 v[152:155], v2 offset:1440
	s_waitcnt vmcnt(13) lgkmcnt(1)
	v_mul_f64 v[6:7], v[148:149], v[50:51]
	v_fmac_f64_e32 v[6:7], v[150:151], v[48:49]
	v_add_f64 v[0:1], v[0:1], v[6:7]
	v_mul_f64 v[6:7], v[210:211], v[158:159]
	v_fma_f64 v[14:15], v[208:209], v[156:157], -v[6:7]
	ds_read_b128 v[156:159], v2 offset:1456
	ds_read_b128 v[160:163], v2 offset:1472
	s_waitcnt vmcnt(12) lgkmcnt(2)
	v_mul_f64 v[6:7], v[152:153], v[58:59]
	v_fmac_f64_e32 v[6:7], v[154:155], v[56:57]
	v_add_f64 v[0:1], v[0:1], v[6:7]
	s_waitcnt vmcnt(11) lgkmcnt(1)
	v_mul_f64 v[6:7], v[156:157], v[62:63]
	v_fmac_f64_e32 v[6:7], v[158:159], v[60:61]
	v_add_f64 v[0:1], v[0:1], v[6:7]
	v_mul_f64 v[6:7], v[214:215], v[166:167]
	v_fma_f64 v[8:9], v[212:213], v[164:165], -v[6:7]
	ds_read_b128 v[164:167], v2 offset:1488
	v_mul_f64 v[18:19], v[218:219], v[170:171]
	v_fma_f64 v[18:19], v[216:217], v[168:169], -v[18:19]
	ds_read_b128 v[168:171], v2 offset:1504
	s_waitcnt vmcnt(10) lgkmcnt(2)
	v_mul_f64 v[6:7], v[160:161], v[66:67]
	v_fmac_f64_e32 v[6:7], v[162:163], v[64:65]
	v_add_f64 v[0:1], v[0:1], v[6:7]
	s_waitcnt vmcnt(9) lgkmcnt(1)
	v_mul_f64 v[6:7], v[164:165], v[70:71]
	ds_read_b128 v[172:175], v2 offset:1520
	v_fmac_f64_e32 v[6:7], v[166:167], v[68:69]
	v_add_f64 v[0:1], v[0:1], v[6:7]
	s_waitcnt vmcnt(8) lgkmcnt(1)
	v_mul_f64 v[6:7], v[168:169], v[74:75]
	v_fmac_f64_e32 v[6:7], v[170:171], v[72:73]
	v_add_f64 v[0:1], v[0:1], v[6:7]
	v_mul_f64 v[6:7], v[222:223], v[178:179]
	v_fma_f64 v[4:5], v[220:221], v[176:177], -v[6:7]
	ds_read_b128 v[176:179], v2 offset:1536
	s_waitcnt vmcnt(7) lgkmcnt(1)
	v_mul_f64 v[6:7], v[172:173], v[78:79]
	v_fmac_f64_e32 v[6:7], v[174:175], v[76:77]
	v_add_f64 v[0:1], v[0:1], v[6:7]
	v_mul_f64 v[6:7], v[226:227], v[182:183]
	v_fma_f64 v[6:7], v[224:225], v[180:181], -v[6:7]
	ds_read_b128 v[180:183], v2 offset:1552
	ds_read_b128 v[184:187], v2 offset:1568
	s_waitcnt vmcnt(6) lgkmcnt(2)
	v_mul_f64 v[22:23], v[176:177], v[82:83]
	v_fmac_f64_e32 v[22:23], v[178:179], v[80:81]
	v_add_f64 v[0:1], v[0:1], v[22:23]
	s_waitcnt vmcnt(5) lgkmcnt(1)
	v_mul_f64 v[22:23], v[180:181], v[86:87]
	v_fmac_f64_e32 v[22:23], v[182:183], v[84:85]
	v_add_f64 v[22:23], v[0:1], v[22:23]
	v_mul_f64 v[0:1], v[230:231], v[190:191]
	v_fma_f64 v[0:1], v[228:229], v[188:189], -v[0:1]
	ds_read_b128 v[188:191], v2 offset:1584
	s_waitcnt vmcnt(4) lgkmcnt(1)
	v_mul_f64 v[196:197], v[184:185], v[90:91]
	v_fmac_f64_e32 v[196:197], v[186:187], v[88:89]
	v_mul_f64 v[194:195], v[250:251], v[194:195]
	v_fma_f64 v[238:239], v[248:249], v[192:193], -v[194:195]
	ds_read_b128 v[192:195], v2 offset:1600
	v_add_f64 v[22:23], v[22:23], v[196:197]
	s_waitcnt vmcnt(3) lgkmcnt(1)
	v_mul_f64 v[196:197], v[188:189], v[98:99]
	v_fmac_f64_e32 v[196:197], v[190:191], v[96:97]
	v_add_f64 v[22:23], v[22:23], v[196:197]
	ds_read_b128 v[196:199], v2 offset:1616
	v_mul_f64 v[202:203], v[254:255], v[202:203]
	v_fma_f64 v[248:249], v[252:253], v[200:201], -v[202:203]
	ds_read_b128 v[200:203], v2 offset:1632
	s_waitcnt vmcnt(2) lgkmcnt(2)
	v_mul_f64 v[204:205], v[192:193], v[94:95]
	v_fmac_f64_e32 v[204:205], v[194:195], v[92:93]
	v_add_f64 v[22:23], v[22:23], v[204:205]
	s_waitcnt vmcnt(1) lgkmcnt(1)
	v_mul_f64 v[204:205], v[196:197], v[102:103]
	v_fmac_f64_e32 v[204:205], v[198:199], v[100:101]
	v_add_f64 v[22:23], v[22:23], v[204:205]
	;; [unrolled: 4-line block ×3, first 2 shown]
	scratch_load_dwordx4 v[204:207], off, off offset:816
	ds_read_b128 v[208:211], v2 offset:1648
	ds_read_b128 v[216:219], v2 offset:1664
	;; [unrolled: 1-line block ×3, first 2 shown]
	s_waitcnt vmcnt(0) lgkmcnt(2)
	v_mul_f64 v[212:213], v[208:209], v[206:207]
	v_fmac_f64_e32 v[212:213], v[210:211], v[204:205]
	v_add_f64 v[22:23], v[22:23], v[212:213]
	scratch_load_dwordx4 v[212:215], off, off offset:832
	s_waitcnt vmcnt(0) lgkmcnt(1)
	v_mul_f64 v[220:221], v[216:217], v[214:215]
	v_fmac_f64_e32 v[220:221], v[218:219], v[212:213]
	v_add_f64 v[22:23], v[22:23], v[220:221]
	scratch_load_dwordx4 v[220:223], off, off offset:848
	;; [unrolled: 5-line block ×3, first 2 shown]
	v_add_f64 v[22:23], v[240:241], 0
	v_add_f64 v[22:23], v[22:23], v[242:243]
	;; [unrolled: 1-line block ×14, first 2 shown]
	v_accvgpr_read_b32 v6, a108
	v_accvgpr_read_b32 v8, a110
	;; [unrolled: 1-line block ×3, first 2 shown]
	v_add_f64 v[0:1], v[4:5], v[0:1]
	v_accvgpr_read_b32 v7, a109
	v_mul_f64 v[4:5], v[54:55], v[8:9]
	v_add_f64 v[0:1], v[0:1], v[238:239]
	v_fma_f64 v[4:5], v[52:53], v[6:7], -v[4:5]
	v_accvgpr_read_b32 v6, a112
	v_add_f64 v[0:1], v[0:1], v[248:249]
	v_accvgpr_read_b32 v8, a114
	v_accvgpr_read_b32 v9, a115
	v_add_f64 v[0:1], v[0:1], v[4:5]
	v_accvgpr_read_b32 v7, a113
	v_mul_f64 v[4:5], v[110:111], v[8:9]
	v_fma_f64 v[4:5], v[108:109], v[6:7], -v[4:5]
	v_accvgpr_read_b32 v6, a116
	v_accvgpr_read_b32 v8, a118
	;; [unrolled: 1-line block ×3, first 2 shown]
	v_add_f64 v[0:1], v[0:1], v[4:5]
	v_accvgpr_read_b32 v7, a117
	v_mul_f64 v[4:5], v[114:115], v[8:9]
	v_fma_f64 v[4:5], v[112:113], v[6:7], -v[4:5]
	v_accvgpr_read_b32 v6, a120
	v_accvgpr_read_b32 v8, a122
	;; [unrolled: 1-line block ×3, first 2 shown]
	v_add_f64 v[0:1], v[0:1], v[4:5]
	v_accvgpr_read_b32 v7, a121
	v_mul_f64 v[4:5], v[118:119], v[8:9]
	v_fma_f64 v[4:5], v[116:117], v[6:7], -v[4:5]
	v_add_f64 v[0:1], v[0:1], v[4:5]
	v_mul_f64 v[4:5], v[122:123], v[236:237]
	v_fma_f64 v[4:5], v[120:121], v[234:235], -v[4:5]
	v_add_f64 v[0:1], v[0:1], v[4:5]
	;; [unrolled: 3-line block ×25, first 2 shown]
	s_waitcnt vmcnt(0)
	v_add_f64 v[4:5], v[228:229], -v[0:1]
	v_accvgpr_read_b32 v0, a106
	v_add_f64 v[6:7], v[230:231], -v[252:253]
	v_cmp_lt_u32_e32 vcc, 6, v0
	scratch_store_dwordx4 off, v[4:7], off offset:128
	s_and_saveexec_b64 s[0:1], vcc
	s_cbranch_execz .LBB116_319
; %bb.318:
	scratch_load_dwordx4 v[6:9], off, s63
	v_mov_b32_e32 v3, v2
	v_mov_b32_e32 v4, v2
	;; [unrolled: 1-line block ×3, first 2 shown]
	v_accvgpr_read_b32 v0, a107
	scratch_store_dwordx4 off, v[2:5], off offset:112
	s_waitcnt vmcnt(1)
	ds_write_b128 v0, v[6:9]
.LBB116_319:
	s_or_b64 exec, exec, s[0:1]
	s_waitcnt lgkmcnt(0)
	; wave barrier
	scratch_load_dwordx4 v[80:83], off, off offset:128
	scratch_load_dwordx4 v[84:87], off, off offset:144
	;; [unrolled: 1-line block ×17, first 2 shown]
	ds_read_b128 v[136:139], v2 offset:960
	ds_read_b128 v[132:135], v2 offset:976
	scratch_load_dwordx4 v[4:7], off, off offset:400
	ds_read_b128 v[236:239], v2 offset:992
	ds_read_b128 v[228:231], v2 offset:1008
	;; [unrolled: 1-line block ×5, first 2 shown]
	scratch_load_dwordx4 v[8:11], off, off offset:416
	ds_read_b128 v[232:235], v2 offset:1072
	ds_read_b128 v[216:219], v2 offset:1088
	;; [unrolled: 1-line block ×3, first 2 shown]
	scratch_load_dwordx4 v[12:15], off, off offset:432
	ds_read_b128 v[220:223], v2 offset:1120
	ds_read_b128 v[172:175], v2 offset:1136
	;; [unrolled: 1-line block ×5, first 2 shown]
	scratch_load_dwordx4 v[16:19], off, off offset:448
	ds_read_b128 v[208:211], v2 offset:1200
	ds_read_b128 v[204:207], v2 offset:1216
	;; [unrolled: 1-line block ×3, first 2 shown]
	scratch_load_dwordx4 v[24:27], off, off offset:464
	scratch_load_dwordx4 v[28:31], off, off offset:480
	scratch_load_dwordx4 v[32:35], off, off offset:496
	scratch_load_dwordx4 v[36:39], off, off offset:512
	scratch_load_dwordx4 v[40:43], off, off offset:528
	scratch_load_dwordx4 v[44:47], off, off offset:544
	scratch_load_dwordx4 v[48:51], off, off offset:560
	scratch_load_dwordx4 v[52:55], off, off offset:576
	ds_read_b128 v[116:119], v2 offset:1280
	ds_read_b128 v[120:123], v2 offset:1296
	;; [unrolled: 1-line block ×4, first 2 shown]
	s_waitcnt vmcnt(28) lgkmcnt(14)
	v_mul_f64 v[0:1], v[136:137], v[82:83]
	s_waitcnt vmcnt(27)
	v_mul_f64 v[56:57], v[132:133], v[86:87]
	v_fmac_f64_e32 v[0:1], v[138:139], v[80:81]
	s_waitcnt vmcnt(26)
	v_mul_f64 v[58:59], v[236:237], v[90:91]
	v_fmac_f64_e32 v[56:57], v[134:135], v[84:85]
	v_add_f64 v[0:1], v[0:1], 0
	s_waitcnt vmcnt(25)
	v_mul_f64 v[60:61], v[228:229], v[94:95]
	v_fmac_f64_e32 v[58:59], v[238:239], v[88:89]
	v_add_f64 v[0:1], v[0:1], v[56:57]
	;; [unrolled: 4-line block ×6, first 2 shown]
	s_waitcnt vmcnt(20) lgkmcnt(13)
	v_mul_f64 v[70:71], v[216:217], v[154:155]
	v_fmac_f64_e32 v[68:69], v[234:235], v[144:145]
	v_add_f64 v[0:1], v[0:1], v[66:67]
	s_waitcnt vmcnt(19) lgkmcnt(12)
	v_mul_f64 v[72:73], v[160:161], v[158:159]
	v_fmac_f64_e32 v[70:71], v[218:219], v[152:153]
	v_add_f64 v[0:1], v[0:1], v[68:69]
	;; [unrolled: 4-line block ×7, first 2 shown]
	v_fmac_f64_e32 v[110:111], v[198:199], v[188:189]
	v_add_f64 v[0:1], v[0:1], v[108:109]
	s_waitcnt vmcnt(13) lgkmcnt(6)
	v_mul_f64 v[112:113], v[208:209], v[194:195]
	v_add_f64 v[0:1], v[0:1], v[110:111]
	scratch_load_dwordx4 v[56:59], off, off offset:592
	scratch_load_dwordx4 v[60:63], off, off offset:608
	ds_read_b128 v[108:111], v2 offset:1248
	s_waitcnt vmcnt(14) lgkmcnt(6)
	v_mul_f64 v[114:115], v[204:205], v[202:203]
	v_fmac_f64_e32 v[112:113], v[210:211], v[192:193]
	v_add_f64 v[0:1], v[0:1], v[112:113]
	v_fmac_f64_e32 v[114:115], v[206:207], v[200:201]
	s_waitcnt vmcnt(13) lgkmcnt(5)
	v_mul_f64 v[64:65], v[20:21], v[6:7]
	v_accvgpr_write_b32 a111, v7
	v_add_f64 v[0:1], v[0:1], v[114:115]
	v_fmac_f64_e32 v[64:65], v[22:23], v[4:5]
	v_accvgpr_write_b32 a110, v6
	v_accvgpr_write_b32 a109, v5
	;; [unrolled: 1-line block ×3, first 2 shown]
	ds_read_b128 v[112:115], v2 offset:1264
	s_waitcnt vmcnt(12)
	v_mov_b64_e32 v[4:5], v[8:9]
	v_mov_b64_e32 v[6:7], v[10:11]
	s_waitcnt lgkmcnt(1)
	v_mul_f64 v[68:69], v[108:109], v[6:7]
	v_fmac_f64_e32 v[68:69], v[110:111], v[4:5]
	s_waitcnt vmcnt(11)
	v_mov_b64_e32 v[4:5], v[12:13]
	v_add_f64 v[0:1], v[0:1], v[64:65]
	v_mov_b64_e32 v[6:7], v[14:15]
	v_add_f64 v[0:1], v[0:1], v[68:69]
	s_waitcnt lgkmcnt(0)
	v_mul_f64 v[68:69], v[112:113], v[6:7]
	scratch_load_dwordx4 v[64:67], off, off offset:624
	v_fmac_f64_e32 v[68:69], v[114:115], v[4:5]
	v_add_f64 v[0:1], v[0:1], v[68:69]
	scratch_load_dwordx4 v[68:71], off, off offset:640
	scratch_load_dwordx4 v[72:75], off, off offset:656
	s_waitcnt vmcnt(13)
	v_mul_f64 v[76:77], v[116:117], v[18:19]
	v_fmac_f64_e32 v[76:77], v[118:119], v[16:17]
	v_add_f64 v[0:1], v[0:1], v[76:77]
	s_waitcnt vmcnt(12)
	v_mul_f64 v[76:77], v[120:121], v[26:27]
	v_fmac_f64_e32 v[76:77], v[122:123], v[24:25]
	v_add_f64 v[0:1], v[0:1], v[76:77]
	scratch_load_dwordx4 v[76:79], off, off offset:672
	v_mul_f64 v[82:83], v[138:139], v[82:83]
	v_fma_f64 v[240:241], v[136:137], v[80:81], -v[82:83]
	scratch_load_dwordx4 v[80:83], off, off offset:688
	v_mul_f64 v[86:87], v[134:135], v[86:87]
	v_fma_f64 v[242:243], v[132:133], v[84:85], -v[86:87]
	scratch_load_dwordx4 v[84:87], off, off offset:704
	s_waitcnt vmcnt(14)
	v_mul_f64 v[136:137], v[124:125], v[30:31]
	v_mul_f64 v[90:91], v[238:239], v[90:91]
	v_fmac_f64_e32 v[136:137], v[126:127], v[28:29]
	v_fma_f64 v[236:237], v[236:237], v[88:89], -v[90:91]
	scratch_load_dwordx4 v[88:91], off, off offset:720
	v_add_f64 v[0:1], v[0:1], v[136:137]
	s_waitcnt vmcnt(14)
	v_mul_f64 v[136:137], v[128:129], v[34:35]
	v_mul_f64 v[94:95], v[230:231], v[94:95]
	v_fmac_f64_e32 v[136:137], v[130:131], v[32:33]
	v_fma_f64 v[238:239], v[228:229], v[92:93], -v[94:95]
	v_mul_f64 v[92:93], v[226:227], v[98:99]
	ds_read_b128 v[132:135], v2 offset:1344
	v_add_f64 v[0:1], v[0:1], v[136:137]
	ds_read_b128 v[136:139], v2 offset:1360
	v_fma_f64 v[244:245], v[224:225], v[96:97], -v[92:93]
	scratch_load_dwordx4 v[96:99], off, off offset:736
	scratch_load_dwordx4 v[92:95], off, off offset:752
	v_mul_f64 v[102:103], v[150:151], v[102:103]
	v_fma_f64 v[246:247], v[148:149], v[100:101], -v[102:103]
	scratch_load_dwordx4 v[100:103], off, off offset:768
	v_mul_f64 v[106:107], v[142:143], v[106:107]
	v_fma_f64 v[252:253], v[140:141], v[104:105], -v[106:107]
	v_mul_f64 v[104:105], v[234:235], v[146:147]
	v_fma_f64 v[254:255], v[232:233], v[144:145], -v[104:105]
	scratch_load_dwordx4 v[104:107], off, off offset:784
	ds_read_b128 v[140:143], v2 offset:1376
	ds_read_b128 v[144:147], v2 offset:1392
	s_waitcnt vmcnt(17) lgkmcnt(3)
	v_mul_f64 v[228:229], v[132:133], v[38:39]
	v_fmac_f64_e32 v[228:229], v[134:135], v[36:37]
	s_waitcnt vmcnt(16) lgkmcnt(2)
	v_mul_f64 v[224:225], v[136:137], v[42:43]
	v_add_f64 v[0:1], v[0:1], v[228:229]
	v_fmac_f64_e32 v[224:225], v[138:139], v[40:41]
	s_waitcnt vmcnt(15) lgkmcnt(1)
	v_mul_f64 v[148:149], v[140:141], v[46:47]
	v_add_f64 v[0:1], v[0:1], v[224:225]
	v_fmac_f64_e32 v[148:149], v[142:143], v[44:45]
	v_add_f64 v[0:1], v[0:1], v[148:149]
	ds_read_b128 v[148:151], v2 offset:1408
	v_mul_f64 v[154:155], v[218:219], v[154:155]
	v_fma_f64 v[248:249], v[216:217], v[152:153], -v[154:155]
	ds_read_b128 v[152:155], v2 offset:1424
	v_accvgpr_write_b32 a119, v15
	v_mul_f64 v[158:159], v[162:163], v[158:159]
	v_accvgpr_write_b32 a118, v14
	v_accvgpr_write_b32 a117, v13
	v_accvgpr_write_b32 a116, v12
	v_fma_f64 v[12:13], v[160:161], v[156:157], -v[158:159]
	ds_read_b128 v[156:159], v2 offset:1440
	ds_read_b128 v[160:163], v2 offset:1456
	s_waitcnt vmcnt(14) lgkmcnt(4)
	v_mul_f64 v[224:225], v[144:145], v[50:51]
	v_fmac_f64_e32 v[224:225], v[146:147], v[48:49]
	s_waitcnt vmcnt(13) lgkmcnt(3)
	v_mul_f64 v[216:217], v[148:149], v[54:55]
	v_add_f64 v[0:1], v[0:1], v[224:225]
	v_fmac_f64_e32 v[216:217], v[150:151], v[52:53]
	s_waitcnt vmcnt(12) lgkmcnt(2)
	v_mul_f64 v[6:7], v[152:153], v[58:59]
	v_add_f64 v[0:1], v[0:1], v[216:217]
	v_fmac_f64_e32 v[6:7], v[154:155], v[56:57]
	v_add_f64 v[0:1], v[0:1], v[6:7]
	s_waitcnt vmcnt(11) lgkmcnt(1)
	v_mul_f64 v[6:7], v[156:157], v[62:63]
	v_fmac_f64_e32 v[6:7], v[158:159], v[60:61]
	v_accvgpr_write_b32 a115, v11
	v_add_f64 v[0:1], v[0:1], v[6:7]
	v_mul_f64 v[6:7], v[222:223], v[166:167]
	v_accvgpr_write_b32 a114, v10
	v_accvgpr_write_b32 a113, v9
	v_accvgpr_write_b32 a112, v8
	v_fma_f64 v[8:9], v[220:221], v[164:165], -v[6:7]
	ds_read_b128 v[164:167], v2 offset:1472
	v_mul_f64 v[170:171], v[174:175], v[170:171]
	v_fma_f64 v[6:7], v[172:173], v[168:169], -v[170:171]
	ds_read_b128 v[168:171], v2 offset:1488
	s_waitcnt vmcnt(10) lgkmcnt(2)
	v_mul_f64 v[216:217], v[160:161], v[66:67]
	v_fmac_f64_e32 v[216:217], v[162:163], v[64:65]
	s_waitcnt vmcnt(9) lgkmcnt(1)
	v_mul_f64 v[10:11], v[164:165], v[70:71]
	v_add_f64 v[0:1], v[0:1], v[216:217]
	v_fmac_f64_e32 v[10:11], v[166:167], v[68:69]
	v_add_f64 v[0:1], v[0:1], v[10:11]
	s_waitcnt vmcnt(8) lgkmcnt(0)
	v_mul_f64 v[10:11], v[168:169], v[74:75]
	v_fmac_f64_e32 v[10:11], v[170:171], v[72:73]
	ds_read_b128 v[172:175], v2 offset:1504
	v_add_f64 v[0:1], v[0:1], v[10:11]
	v_mul_f64 v[10:11], v[214:215], v[178:179]
	v_fma_f64 v[10:11], v[212:213], v[176:177], -v[10:11]
	ds_read_b128 v[176:179], v2 offset:1520
	v_mul_f64 v[182:183], v[186:187], v[182:183]
	v_fma_f64 v[4:5], v[184:185], v[180:181], -v[182:183]
	ds_read_b128 v[180:183], v2 offset:1536
	ds_read_b128 v[184:187], v2 offset:1552
	s_waitcnt vmcnt(7) lgkmcnt(3)
	v_mul_f64 v[212:213], v[172:173], v[78:79]
	v_fmac_f64_e32 v[212:213], v[174:175], v[76:77]
	s_waitcnt vmcnt(6) lgkmcnt(2)
	v_mul_f64 v[14:15], v[176:177], v[82:83]
	v_add_f64 v[0:1], v[0:1], v[212:213]
	v_fmac_f64_e32 v[14:15], v[178:179], v[80:81]
	v_add_f64 v[0:1], v[0:1], v[14:15]
	s_waitcnt vmcnt(5) lgkmcnt(1)
	v_mul_f64 v[14:15], v[180:181], v[86:87]
	v_fmac_f64_e32 v[14:15], v[182:183], v[84:85]
	v_add_f64 v[14:15], v[0:1], v[14:15]
	v_mul_f64 v[0:1], v[198:199], v[190:191]
	v_fma_f64 v[0:1], v[196:197], v[188:189], -v[0:1]
	ds_read_b128 v[188:191], v2 offset:1568
	v_mul_f64 v[194:195], v[210:211], v[194:195]
	s_waitcnt vmcnt(4) lgkmcnt(1)
	v_mul_f64 v[196:197], v[184:185], v[90:91]
	v_fma_f64 v[192:193], v[208:209], v[192:193], -v[194:195]
	v_fmac_f64_e32 v[196:197], v[186:187], v[88:89]
	v_accvgpr_write_b32 a120, v192
	v_accvgpr_write_b32 a121, v193
	ds_read_b128 v[192:195], v2 offset:1584
	v_add_f64 v[14:15], v[14:15], v[196:197]
	s_waitcnt vmcnt(3) lgkmcnt(1)
	v_mul_f64 v[196:197], v[188:189], v[98:99]
	v_fmac_f64_e32 v[196:197], v[190:191], v[96:97]
	v_add_f64 v[14:15], v[14:15], v[196:197]
	ds_read_b128 v[196:199], v2 offset:1600
	v_mul_f64 v[202:203], v[206:207], v[202:203]
	v_fma_f64 v[250:251], v[204:205], v[200:201], -v[202:203]
	ds_read_b128 v[200:203], v2 offset:1616
	s_waitcnt vmcnt(2) lgkmcnt(2)
	v_mul_f64 v[204:205], v[192:193], v[94:95]
	v_fmac_f64_e32 v[204:205], v[194:195], v[92:93]
	v_add_f64 v[14:15], v[14:15], v[204:205]
	s_waitcnt vmcnt(1) lgkmcnt(1)
	v_mul_f64 v[204:205], v[196:197], v[102:103]
	v_fmac_f64_e32 v[204:205], v[198:199], v[100:101]
	v_add_f64 v[14:15], v[14:15], v[204:205]
	;; [unrolled: 4-line block ×3, first 2 shown]
	scratch_load_dwordx4 v[204:207], off, off offset:800
	scratch_load_dwordx4 v[232:235], off, off offset:848
	ds_read_b128 v[208:211], v2 offset:1632
	ds_read_b128 v[216:219], v2 offset:1648
	;; [unrolled: 1-line block ×3, first 2 shown]
	s_waitcnt vmcnt(1) lgkmcnt(2)
	v_mul_f64 v[212:213], v[208:209], v[206:207]
	v_fmac_f64_e32 v[212:213], v[210:211], v[204:205]
	v_add_f64 v[14:15], v[14:15], v[212:213]
	scratch_load_dwordx4 v[212:215], off, off offset:816
	s_waitcnt vmcnt(0) lgkmcnt(1)
	v_mul_f64 v[220:221], v[216:217], v[214:215]
	v_fmac_f64_e32 v[220:221], v[218:219], v[212:213]
	v_add_f64 v[14:15], v[14:15], v[220:221]
	scratch_load_dwordx4 v[220:223], off, off offset:832
	s_waitcnt vmcnt(0) lgkmcnt(0)
	v_mul_f64 v[228:229], v[224:225], v[222:223]
	v_fmac_f64_e32 v[228:229], v[226:227], v[220:221]
	v_add_f64 v[14:15], v[14:15], v[228:229]
	ds_read_b128 v[228:231], v2 offset:1680
	s_waitcnt lgkmcnt(0)
	v_mul_f64 v[2:3], v[228:229], v[234:235]
	v_fmac_f64_e32 v[2:3], v[230:231], v[232:233]
	v_add_f64 v[2:3], v[14:15], v[2:3]
	v_add_f64 v[14:15], v[240:241], 0
	;; [unrolled: 1-line block ×5, first 2 shown]
	scratch_load_dwordx4 v[236:239], off, off offset:112
	v_add_f64 v[14:15], v[14:15], v[244:245]
	v_add_f64 v[14:15], v[14:15], v[246:247]
	;; [unrolled: 1-line block ×10, first 2 shown]
	v_accvgpr_read_b32 v6, a108
	v_add_f64 v[252:253], v[4:5], v[0:1]
	v_accvgpr_read_b32 v0, a120
	v_accvgpr_read_b32 v8, a110
	;; [unrolled: 1-line block ×5, first 2 shown]
	v_mul_f64 v[4:5], v[22:23], v[8:9]
	v_add_f64 v[0:1], v[252:253], v[0:1]
	v_fma_f64 v[4:5], v[20:21], v[6:7], -v[4:5]
	v_accvgpr_read_b32 v6, a112
	v_add_f64 v[0:1], v[0:1], v[250:251]
	v_accvgpr_read_b32 v8, a114
	v_accvgpr_read_b32 v9, a115
	v_add_f64 v[0:1], v[0:1], v[4:5]
	v_accvgpr_read_b32 v7, a113
	v_mul_f64 v[4:5], v[110:111], v[8:9]
	v_fma_f64 v[4:5], v[108:109], v[6:7], -v[4:5]
	v_accvgpr_read_b32 v6, a116
	v_accvgpr_read_b32 v8, a118
	;; [unrolled: 1-line block ×3, first 2 shown]
	v_add_f64 v[0:1], v[0:1], v[4:5]
	v_accvgpr_read_b32 v7, a117
	v_mul_f64 v[4:5], v[114:115], v[8:9]
	v_fma_f64 v[4:5], v[112:113], v[6:7], -v[4:5]
	v_add_f64 v[0:1], v[0:1], v[4:5]
	v_mul_f64 v[4:5], v[118:119], v[18:19]
	v_fma_f64 v[4:5], v[116:117], v[16:17], -v[4:5]
	v_add_f64 v[0:1], v[0:1], v[4:5]
	;; [unrolled: 3-line block ×27, first 2 shown]
	s_waitcnt vmcnt(0)
	v_add_f64 v[4:5], v[236:237], -v[0:1]
	v_accvgpr_read_b32 v0, a106
	v_add_f64 v[6:7], v[238:239], -v[2:3]
	v_cmp_lt_u32_e32 vcc, 5, v0
	scratch_store_dwordx4 off, v[4:7], off offset:112
	s_and_saveexec_b64 s[0:1], vcc
	s_cbranch_execz .LBB116_321
; %bb.320:
	scratch_load_dwordx4 v[2:5], off, s64
	v_mov_b32_e32 v6, 0
	v_mov_b32_e32 v7, v6
	v_mov_b32_e32 v8, v6
	v_mov_b32_e32 v9, v6
	v_accvgpr_read_b32 v0, a107
	scratch_store_dwordx4 off, v[6:9], off offset:96
	s_waitcnt vmcnt(1)
	ds_write_b128 v0, v[2:5]
.LBB116_321:
	s_or_b64 exec, exec, s[0:1]
	s_waitcnt lgkmcnt(0)
	; wave barrier
	scratch_load_dwordx4 v[68:71], off, off offset:112
	scratch_load_dwordx4 v[72:75], off, off offset:128
	;; [unrolled: 1-line block ×28, first 2 shown]
	v_mov_b32_e32 v2, 0
	ds_read_b128 v[124:127], v2 offset:944
	ds_read_b128 v[128:131], v2 offset:960
	;; [unrolled: 1-line block ×23, first 2 shown]
	s_waitcnt vmcnt(27) lgkmcnt(14)
	v_mul_f64 v[0:1], v[124:125], v[70:71]
	s_waitcnt vmcnt(26)
	v_mul_f64 v[40:41], v[128:129], v[74:75]
	v_fmac_f64_e32 v[0:1], v[126:127], v[68:69]
	s_waitcnt vmcnt(25)
	v_mul_f64 v[42:43], v[132:133], v[78:79]
	v_fmac_f64_e32 v[40:41], v[130:131], v[72:73]
	v_add_f64 v[0:1], v[0:1], 0
	s_waitcnt vmcnt(24)
	v_mul_f64 v[44:45], v[136:137], v[82:83]
	v_fmac_f64_e32 v[42:43], v[134:135], v[76:77]
	v_add_f64 v[0:1], v[0:1], v[40:41]
	;; [unrolled: 4-line block ×7, first 2 shown]
	s_waitcnt vmcnt(18) lgkmcnt(13)
	v_mul_f64 v[56:57], v[200:201], v[146:147]
	v_fmac_f64_e32 v[54:55], v[194:195], v[112:113]
	v_add_f64 v[0:1], v[0:1], v[52:53]
	s_waitcnt vmcnt(17) lgkmcnt(12)
	v_mul_f64 v[58:59], v[204:205], v[150:151]
	v_fmac_f64_e32 v[56:57], v[202:203], v[144:145]
	v_add_f64 v[0:1], v[0:1], v[54:55]
	;; [unrolled: 4-line block ×7, first 2 shown]
	scratch_load_dwordx4 v[40:43], off, off offset:560
	scratch_load_dwordx4 v[44:47], off, off offset:576
	s_waitcnt vmcnt(13) lgkmcnt(6)
	v_mul_f64 v[102:103], v[228:229], v[186:187]
	v_fmac_f64_e32 v[100:101], v[226:227], v[176:177]
	v_add_f64 v[0:1], v[0:1], v[66:67]
	v_add_f64 v[0:1], v[0:1], v[100:101]
	v_fmac_f64_e32 v[102:103], v[230:231], v[184:185]
	v_add_f64 v[0:1], v[0:1], v[102:103]
	ds_read_b128 v[100:103], v2 offset:1248
	s_waitcnt vmcnt(12) lgkmcnt(6)
	v_mul_f64 v[48:49], v[248:249], v[190:191]
	v_fmac_f64_e32 v[48:49], v[250:251], v[188:189]
	v_add_f64 v[0:1], v[0:1], v[48:49]
	s_waitcnt vmcnt(11) lgkmcnt(5)
	v_mul_f64 v[48:49], v[252:253], v[198:199]
	v_fmac_f64_e32 v[48:49], v[254:255], v[196:197]
	v_add_f64 v[0:1], v[0:1], v[48:49]
	scratch_load_dwordx4 v[48:51], off, off offset:592
	scratch_load_dwordx4 v[52:55], off, off offset:608
	s_waitcnt vmcnt(12) lgkmcnt(0)
	v_mul_f64 v[56:57], v[100:101], v[6:7]
	v_accvgpr_write_b32 a111, v7
	v_fmac_f64_e32 v[56:57], v[102:103], v[4:5]
	v_accvgpr_write_b32 a110, v6
	v_accvgpr_write_b32 a109, v5
	;; [unrolled: 1-line block ×3, first 2 shown]
	s_waitcnt vmcnt(11)
	v_mov_b64_e32 v[4:5], v[8:9]
	v_mov_b64_e32 v[6:7], v[10:11]
	v_add_f64 v[0:1], v[0:1], v[56:57]
	v_mul_f64 v[56:57], v[104:105], v[6:7]
	v_fmac_f64_e32 v[56:57], v[106:107], v[4:5]
	v_add_f64 v[0:1], v[0:1], v[56:57]
	scratch_load_dwordx4 v[56:59], off, off offset:624
	s_waitcnt vmcnt(11)
	v_mov_b64_e32 v[4:5], v[12:13]
	v_mov_b64_e32 v[6:7], v[14:15]
	v_mul_f64 v[60:61], v[108:109], v[6:7]
	v_fmac_f64_e32 v[60:61], v[110:111], v[4:5]
	s_waitcnt vmcnt(10)
	v_mov_b64_e32 v[4:5], v[16:17]
	v_mov_b64_e32 v[6:7], v[18:19]
	v_add_f64 v[0:1], v[0:1], v[60:61]
	scratch_load_dwordx4 v[60:63], off, off offset:640
	v_mul_f64 v[64:65], v[116:117], v[6:7]
	v_fmac_f64_e32 v[64:65], v[118:119], v[4:5]
	v_add_f64 v[0:1], v[0:1], v[64:65]
	scratch_load_dwordx4 v[64:67], off, off offset:656
	v_mul_f64 v[70:71], v[126:127], v[70:71]
	s_waitcnt vmcnt(11)
	v_mov_b64_e32 v[4:5], v[20:21]
	v_fma_f64 v[240:241], v[124:125], v[68:69], -v[70:71]
	v_mov_b64_e32 v[6:7], v[22:23]
	scratch_load_dwordx4 v[68:71], off, off offset:672
	v_mul_f64 v[124:125], v[120:121], v[6:7]
	v_mul_f64 v[74:75], v[130:131], v[74:75]
	v_fmac_f64_e32 v[124:125], v[122:123], v[4:5]
	v_fma_f64 v[242:243], v[128:129], v[72:73], -v[74:75]
	scratch_load_dwordx4 v[72:75], off, off offset:688
	v_mul_f64 v[78:79], v[134:135], v[78:79]
	v_add_f64 v[0:1], v[0:1], v[124:125]
	ds_read_b128 v[124:127], v2 offset:1328
	ds_read_b128 v[128:131], v2 offset:1344
	v_fma_f64 v[244:245], v[132:133], v[76:77], -v[78:79]
	v_mul_f64 v[76:77], v[138:139], v[82:83]
	v_fma_f64 v[246:247], v[136:137], v[80:81], -v[76:77]
	scratch_load_dwordx4 v[76:79], off, off offset:704
	s_waitcnt vmcnt(13) lgkmcnt(1)
	v_mul_f64 v[132:133], v[124:125], v[236:237]
	v_fmac_f64_e32 v[132:133], v[126:127], v[234:235]
	v_add_f64 v[0:1], v[0:1], v[132:133]
	s_waitcnt vmcnt(12) lgkmcnt(0)
	v_mul_f64 v[132:133], v[128:129], v[30:31]
	scratch_load_dwordx4 v[80:83], off, off offset:720
	v_fmac_f64_e32 v[132:133], v[130:131], v[28:29]
	v_mul_f64 v[86:87], v[142:143], v[86:87]
	v_add_f64 v[0:1], v[0:1], v[132:133]
	v_fma_f64 v[232:233], v[140:141], v[84:85], -v[86:87]
	ds_read_b128 v[132:135], v2 offset:1360
	v_mul_f64 v[84:85], v[158:159], v[90:91]
	v_fma_f64 v[24:25], v[156:157], v[88:89], -v[84:85]
	scratch_load_dwordx4 v[88:91], off, off offset:736
	scratch_load_dwordx4 v[84:87], off, off offset:752
	v_accvgpr_write_b32 a127, v23
	v_mul_f64 v[6:7], v[170:171], v[94:95]
	v_accvgpr_write_b32 a126, v22
	v_accvgpr_write_b32 a125, v21
	;; [unrolled: 1-line block ×3, first 2 shown]
	v_fma_f64 v[20:21], v[168:169], v[92:93], -v[6:7]
	s_waitcnt vmcnt(14) lgkmcnt(0)
	v_mul_f64 v[6:7], v[132:133], v[34:35]
	v_fmac_f64_e32 v[6:7], v[134:135], v[32:33]
	v_accvgpr_write_b32 a123, v19
	v_add_f64 v[0:1], v[0:1], v[6:7]
	v_mul_f64 v[6:7], v[182:183], v[98:99]
	v_accvgpr_write_b32 a122, v18
	v_accvgpr_write_b32 a121, v17
	;; [unrolled: 1-line block ×3, first 2 shown]
	ds_read_b128 v[136:139], v2 offset:1376
	v_fma_f64 v[16:17], v[180:181], v[96:97], -v[6:7]
	scratch_load_dwordx4 v[96:99], off, off offset:768
	scratch_load_dwordx4 v[92:95], off, off offset:784
	v_accvgpr_write_b32 a119, v15
	v_mul_f64 v[6:7], v[194:195], v[114:115]
	v_accvgpr_write_b32 a118, v14
	v_accvgpr_write_b32 a117, v13
	v_accvgpr_write_b32 a116, v12
	v_fma_f64 v[12:13], v[192:193], v[112:113], -v[6:7]
	scratch_load_dwordx4 v[112:115], off, off offset:800
	ds_read_b128 v[140:143], v2 offset:1392
	s_waitcnt vmcnt(16) lgkmcnt(1)
	v_mul_f64 v[6:7], v[136:137], v[38:39]
	v_fmac_f64_e32 v[6:7], v[138:139], v[36:37]
	v_add_f64 v[0:1], v[0:1], v[6:7]
	v_mul_f64 v[6:7], v[202:203], v[146:147]
	v_fma_f64 v[14:15], v[200:201], v[144:145], -v[6:7]
	ds_read_b128 v[144:147], v2 offset:1408
	s_waitcnt vmcnt(15) lgkmcnt(1)
	v_mul_f64 v[6:7], v[140:141], v[42:43]
	v_fmac_f64_e32 v[6:7], v[142:143], v[40:41]
	v_accvgpr_write_b32 a115, v11
	v_add_f64 v[0:1], v[0:1], v[6:7]
	v_mul_f64 v[6:7], v[206:207], v[150:151]
	v_accvgpr_write_b32 a114, v10
	v_accvgpr_write_b32 a113, v9
	;; [unrolled: 1-line block ×3, first 2 shown]
	v_fma_f64 v[10:11], v[204:205], v[148:149], -v[6:7]
	ds_read_b128 v[148:151], v2 offset:1424
	v_mul_f64 v[18:19], v[210:211], v[154:155]
	v_fma_f64 v[18:19], v[208:209], v[152:153], -v[18:19]
	ds_read_b128 v[152:155], v2 offset:1440
	s_waitcnt vmcnt(14) lgkmcnt(2)
	v_mul_f64 v[6:7], v[144:145], v[46:47]
	v_fmac_f64_e32 v[6:7], v[146:147], v[44:45]
	v_add_f64 v[0:1], v[0:1], v[6:7]
	s_waitcnt vmcnt(13) lgkmcnt(1)
	v_mul_f64 v[6:7], v[148:149], v[50:51]
	ds_read_b128 v[156:159], v2 offset:1456
	v_fmac_f64_e32 v[6:7], v[150:151], v[48:49]
	v_add_f64 v[0:1], v[0:1], v[6:7]
	s_waitcnt vmcnt(12) lgkmcnt(1)
	v_mul_f64 v[6:7], v[152:153], v[54:55]
	v_fmac_f64_e32 v[6:7], v[154:155], v[52:53]
	v_add_f64 v[0:1], v[0:1], v[6:7]
	v_mul_f64 v[6:7], v[214:215], v[162:163]
	v_fma_f64 v[8:9], v[212:213], v[160:161], -v[6:7]
	ds_read_b128 v[160:163], v2 offset:1472
	s_waitcnt vmcnt(11) lgkmcnt(1)
	v_mul_f64 v[6:7], v[156:157], v[58:59]
	v_fmac_f64_e32 v[6:7], v[158:159], v[56:57]
	v_add_f64 v[0:1], v[0:1], v[6:7]
	v_mul_f64 v[6:7], v[218:219], v[166:167]
	v_fma_f64 v[22:23], v[216:217], v[164:165], -v[6:7]
	ds_read_b128 v[164:167], v2 offset:1488
	ds_read_b128 v[168:171], v2 offset:1504
	s_waitcnt vmcnt(10) lgkmcnt(2)
	v_mul_f64 v[6:7], v[160:161], v[62:63]
	v_fmac_f64_e32 v[6:7], v[162:163], v[60:61]
	v_add_f64 v[0:1], v[0:1], v[6:7]
	s_waitcnt vmcnt(9) lgkmcnt(1)
	v_mul_f64 v[6:7], v[164:165], v[66:67]
	v_fmac_f64_e32 v[6:7], v[166:167], v[64:65]
	v_add_f64 v[0:1], v[0:1], v[6:7]
	v_mul_f64 v[6:7], v[222:223], v[174:175]
	v_fma_f64 v[4:5], v[220:221], v[172:173], -v[6:7]
	ds_read_b128 v[172:175], v2 offset:1520
	v_mul_f64 v[6:7], v[226:227], v[178:179]
	v_fma_f64 v[6:7], v[224:225], v[176:177], -v[6:7]
	ds_read_b128 v[176:179], v2 offset:1536
	s_waitcnt vmcnt(8) lgkmcnt(2)
	v_mul_f64 v[26:27], v[168:169], v[70:71]
	v_fmac_f64_e32 v[26:27], v[170:171], v[68:69]
	v_add_f64 v[0:1], v[0:1], v[26:27]
	s_waitcnt vmcnt(7) lgkmcnt(1)
	v_mul_f64 v[26:27], v[172:173], v[74:75]
	v_fmac_f64_e32 v[26:27], v[174:175], v[72:73]
	v_add_f64 v[0:1], v[0:1], v[26:27]
	s_waitcnt vmcnt(6) lgkmcnt(0)
	v_mul_f64 v[26:27], v[176:177], v[78:79]
	v_fmac_f64_e32 v[26:27], v[178:179], v[76:77]
	ds_read_b128 v[180:183], v2 offset:1552
	v_add_f64 v[26:27], v[0:1], v[26:27]
	v_mul_f64 v[0:1], v[230:231], v[186:187]
	v_fma_f64 v[0:1], v[228:229], v[184:185], -v[0:1]
	ds_read_b128 v[184:187], v2 offset:1568
	s_waitcnt vmcnt(5) lgkmcnt(1)
	v_mul_f64 v[192:193], v[180:181], v[82:83]
	v_fmac_f64_e32 v[192:193], v[182:183], v[80:81]
	v_mul_f64 v[190:191], v[250:251], v[190:191]
	v_add_f64 v[26:27], v[26:27], v[192:193]
	v_fma_f64 v[238:239], v[248:249], v[188:189], -v[190:191]
	ds_read_b128 v[188:191], v2 offset:1584
	s_waitcnt vmcnt(4) lgkmcnt(1)
	v_mul_f64 v[192:193], v[184:185], v[90:91]
	v_fmac_f64_e32 v[192:193], v[186:187], v[88:89]
	v_add_f64 v[26:27], v[26:27], v[192:193]
	ds_read_b128 v[192:195], v2 offset:1600
	v_mul_f64 v[198:199], v[254:255], v[198:199]
	v_fma_f64 v[248:249], v[252:253], v[196:197], -v[198:199]
	ds_read_b128 v[196:199], v2 offset:1616
	ds_read_b128 v[208:211], v2 offset:1648
	s_waitcnt vmcnt(3) lgkmcnt(3)
	v_mul_f64 v[200:201], v[188:189], v[86:87]
	v_fmac_f64_e32 v[200:201], v[190:191], v[84:85]
	v_add_f64 v[26:27], v[26:27], v[200:201]
	s_waitcnt vmcnt(2) lgkmcnt(2)
	v_mul_f64 v[200:201], v[192:193], v[98:99]
	v_fmac_f64_e32 v[200:201], v[194:195], v[96:97]
	v_add_f64 v[26:27], v[26:27], v[200:201]
	s_waitcnt vmcnt(1) lgkmcnt(1)
	v_mul_f64 v[200:201], v[196:197], v[94:95]
	v_fmac_f64_e32 v[200:201], v[198:199], v[92:93]
	v_add_f64 v[26:27], v[26:27], v[200:201]
	ds_read_b128 v[200:203], v2 offset:1632
	ds_read_b128 v[216:219], v2 offset:1664
	;; [unrolled: 1-line block ×3, first 2 shown]
	s_waitcnt vmcnt(0) lgkmcnt(2)
	v_mul_f64 v[204:205], v[200:201], v[114:115]
	v_fmac_f64_e32 v[204:205], v[202:203], v[112:113]
	v_add_f64 v[26:27], v[26:27], v[204:205]
	scratch_load_dwordx4 v[204:207], off, off offset:816
	s_waitcnt vmcnt(0)
	v_mul_f64 v[212:213], v[208:209], v[206:207]
	v_fmac_f64_e32 v[212:213], v[210:211], v[204:205]
	v_add_f64 v[26:27], v[26:27], v[212:213]
	scratch_load_dwordx4 v[212:215], off, off offset:832
	s_waitcnt vmcnt(0) lgkmcnt(1)
	v_mul_f64 v[220:221], v[216:217], v[214:215]
	v_fmac_f64_e32 v[220:221], v[218:219], v[212:213]
	v_add_f64 v[26:27], v[26:27], v[220:221]
	scratch_load_dwordx4 v[220:223], off, off offset:848
	s_waitcnt vmcnt(0) lgkmcnt(0)
	v_mul_f64 v[228:229], v[224:225], v[222:223]
	v_fmac_f64_e32 v[228:229], v[226:227], v[220:221]
	v_add_f64 v[252:253], v[26:27], v[228:229]
	scratch_load_dwordx4 v[228:231], off, off offset:96
	v_add_f64 v[26:27], v[240:241], 0
	v_add_f64 v[26:27], v[26:27], v[242:243]
	;; [unrolled: 1-line block ×16, first 2 shown]
	v_accvgpr_read_b32 v6, a108
	v_accvgpr_read_b32 v8, a110
	;; [unrolled: 1-line block ×3, first 2 shown]
	v_add_f64 v[0:1], v[4:5], v[0:1]
	v_accvgpr_read_b32 v7, a109
	v_mul_f64 v[4:5], v[102:103], v[8:9]
	v_add_f64 v[0:1], v[0:1], v[238:239]
	v_fma_f64 v[4:5], v[100:101], v[6:7], -v[4:5]
	v_accvgpr_read_b32 v6, a112
	v_add_f64 v[0:1], v[0:1], v[248:249]
	v_accvgpr_read_b32 v8, a114
	v_accvgpr_read_b32 v9, a115
	v_add_f64 v[0:1], v[0:1], v[4:5]
	v_accvgpr_read_b32 v7, a113
	v_mul_f64 v[4:5], v[106:107], v[8:9]
	v_fma_f64 v[4:5], v[104:105], v[6:7], -v[4:5]
	v_accvgpr_read_b32 v6, a116
	v_accvgpr_read_b32 v8, a118
	v_accvgpr_read_b32 v9, a119
	v_add_f64 v[0:1], v[0:1], v[4:5]
	v_accvgpr_read_b32 v7, a117
	v_mul_f64 v[4:5], v[110:111], v[8:9]
	v_fma_f64 v[4:5], v[108:109], v[6:7], -v[4:5]
	v_accvgpr_read_b32 v6, a120
	;; [unrolled: 7-line block ×3, first 2 shown]
	v_accvgpr_read_b32 v8, a126
	v_accvgpr_read_b32 v9, a127
	v_add_f64 v[0:1], v[0:1], v[4:5]
	v_accvgpr_read_b32 v7, a125
	v_mul_f64 v[4:5], v[122:123], v[8:9]
	v_fma_f64 v[4:5], v[120:121], v[6:7], -v[4:5]
	v_add_f64 v[0:1], v[0:1], v[4:5]
	v_mul_f64 v[4:5], v[126:127], v[236:237]
	v_fma_f64 v[4:5], v[124:125], v[234:235], -v[4:5]
	v_add_f64 v[0:1], v[0:1], v[4:5]
	;; [unrolled: 3-line block ×24, first 2 shown]
	s_waitcnt vmcnt(0)
	v_add_f64 v[4:5], v[228:229], -v[0:1]
	v_accvgpr_read_b32 v0, a106
	v_add_f64 v[6:7], v[230:231], -v[252:253]
	v_cmp_lt_u32_e32 vcc, 4, v0
	scratch_store_dwordx4 off, v[4:7], off offset:96
	s_and_saveexec_b64 s[0:1], vcc
	s_cbranch_execz .LBB116_323
; %bb.322:
	scratch_load_dwordx4 v[6:9], off, s65
	v_mov_b32_e32 v3, v2
	v_mov_b32_e32 v4, v2
	;; [unrolled: 1-line block ×3, first 2 shown]
	v_accvgpr_read_b32 v0, a107
	scratch_store_dwordx4 off, v[2:5], off offset:80
	s_waitcnt vmcnt(1)
	ds_write_b128 v0, v[6:9]
.LBB116_323:
	s_or_b64 exec, exec, s[0:1]
	s_waitcnt lgkmcnt(0)
	; wave barrier
	scratch_load_dwordx4 v[40:43], off, off offset:96
	scratch_load_dwordx4 v[44:47], off, off offset:112
	scratch_load_dwordx4 v[48:51], off, off offset:128
	scratch_load_dwordx4 v[52:55], off, off offset:144
	scratch_load_dwordx4 v[56:59], off, off offset:160
	scratch_load_dwordx4 v[60:63], off, off offset:176
	scratch_load_dwordx4 v[64:67], off, off offset:192
	scratch_load_dwordx4 v[68:71], off, off offset:208
	scratch_load_dwordx4 v[76:79], off, off offset:224
	scratch_load_dwordx4 v[80:83], off, off offset:240
	scratch_load_dwordx4 v[84:87], off, off offset:256
	scratch_load_dwordx4 v[88:91], off, off offset:272
	scratch_load_dwordx4 v[92:95], off, off offset:288
	scratch_load_dwordx4 v[96:99], off, off offset:304
	scratch_load_dwordx4 v[100:103], off, off offset:320
	scratch_load_dwordx4 v[104:107], off, off offset:336
	scratch_load_dwordx4 v[112:115], off, off offset:352
	scratch_load_dwordx4 v[136:139], off, off offset:368
	ds_read_b128 v[164:167], v2 offset:928
	ds_read_b128 v[232:235], v2 offset:944
	;; [unrolled: 1-line block ×6, first 2 shown]
	scratch_load_dwordx4 v[140:143], off, off offset:384
	ds_read_b128 v[224:227], v2 offset:1024
	ds_read_b128 v[212:215], v2 offset:1040
	;; [unrolled: 1-line block ×3, first 2 shown]
	scratch_load_dwordx4 v[4:7], off, off offset:400
	ds_read_b128 v[228:231], v2 offset:1072
	ds_read_b128 v[216:219], v2 offset:1088
	;; [unrolled: 1-line block ×5, first 2 shown]
	scratch_load_dwordx4 v[8:11], off, off offset:416
	ds_read_b128 v[208:211], v2 offset:1152
	ds_read_b128 v[196:199], v2 offset:1168
	;; [unrolled: 1-line block ×3, first 2 shown]
	scratch_load_dwordx4 v[12:15], off, off offset:432
	ds_read_b128 v[200:203], v2 offset:1200
	scratch_load_dwordx4 v[16:19], off, off offset:448
	scratch_load_dwordx4 v[20:23], off, off offset:464
	;; [unrolled: 1-line block ×7, first 2 shown]
	ds_read_b128 v[236:239], v2 offset:1216
	ds_read_b128 v[156:159], v2 offset:1280
	ds_read_b128 v[160:163], v2 offset:1296
	ds_read_b128 v[152:155], v2 offset:1264
	s_waitcnt vmcnt(28) lgkmcnt(14)
	v_mul_f64 v[0:1], v[164:165], v[42:43]
	s_waitcnt vmcnt(27)
	v_mul_f64 v[108:109], v[232:233], v[46:47]
	v_fmac_f64_e32 v[0:1], v[166:167], v[40:41]
	s_waitcnt vmcnt(26)
	v_mul_f64 v[110:111], v[168:169], v[50:51]
	v_fmac_f64_e32 v[108:109], v[234:235], v[44:45]
	v_add_f64 v[0:1], v[0:1], 0
	s_waitcnt vmcnt(25)
	v_mul_f64 v[116:117], v[220:221], v[54:55]
	v_fmac_f64_e32 v[110:111], v[170:171], v[48:49]
	v_add_f64 v[0:1], v[0:1], v[108:109]
	;; [unrolled: 4-line block ×6, first 2 shown]
	s_waitcnt vmcnt(20) lgkmcnt(13)
	v_mul_f64 v[126:127], v[180:181], v[78:79]
	v_fmac_f64_e32 v[124:125], v[214:215], v[68:69]
	v_add_f64 v[0:1], v[0:1], v[122:123]
	s_waitcnt vmcnt(19) lgkmcnt(12)
	v_mul_f64 v[128:129], v[228:229], v[82:83]
	v_fmac_f64_e32 v[126:127], v[182:183], v[76:77]
	v_add_f64 v[0:1], v[0:1], v[124:125]
	;; [unrolled: 4-line block ×9, first 2 shown]
	v_add_f64 v[0:1], v[0:1], v[148:149]
	v_fmac_f64_e32 v[150:151], v[186:187], v[112:113]
	s_waitcnt vmcnt(11) lgkmcnt(4)
	v_mul_f64 v[116:117], v[200:201], v[138:139]
	v_add_f64 v[0:1], v[0:1], v[150:151]
	v_fmac_f64_e32 v[116:117], v[202:203], v[136:137]
	v_add_f64 v[0:1], v[0:1], v[116:117]
	ds_read_b128 v[144:147], v2 offset:1232
	s_waitcnt vmcnt(10) lgkmcnt(4)
	v_mul_f64 v[116:117], v[236:237], v[142:143]
	scratch_load_dwordx4 v[108:111], off, off offset:560
	v_fmac_f64_e32 v[116:117], v[238:239], v[140:141]
	v_add_f64 v[0:1], v[0:1], v[116:117]
	scratch_load_dwordx4 v[116:119], off, off offset:576
	ds_read_b128 v[148:151], v2 offset:1248
	scratch_load_dwordx4 v[120:123], off, off offset:592
	s_waitcnt vmcnt(12) lgkmcnt(1)
	v_mul_f64 v[124:125], v[144:145], v[6:7]
	v_fmac_f64_e32 v[124:125], v[146:147], v[4:5]
	v_add_f64 v[0:1], v[0:1], v[124:125]
	s_waitcnt vmcnt(11) lgkmcnt(0)
	v_mul_f64 v[124:125], v[148:149], v[10:11]
	v_fmac_f64_e32 v[124:125], v[150:151], v[8:9]
	s_waitcnt vmcnt(10)
	v_mul_f64 v[128:129], v[152:153], v[14:15]
	v_add_f64 v[0:1], v[0:1], v[124:125]
	scratch_load_dwordx4 v[124:127], off, off offset:608
	v_fmac_f64_e32 v[128:129], v[154:155], v[12:13]
	v_add_f64 v[0:1], v[0:1], v[128:129]
	scratch_load_dwordx4 v[128:131], off, off offset:624
	s_waitcnt vmcnt(11)
	v_mul_f64 v[132:133], v[156:157], v[18:19]
	v_fmac_f64_e32 v[132:133], v[158:159], v[16:17]
	v_add_f64 v[0:1], v[0:1], v[132:133]
	scratch_load_dwordx4 v[132:135], off, off offset:640
	v_mul_f64 v[42:43], v[166:167], v[42:43]
	v_fma_f64 v[240:241], v[164:165], v[40:41], -v[42:43]
	scratch_load_dwordx4 v[40:43], off, off offset:656
	v_mul_f64 v[46:47], v[234:235], v[46:47]
	v_fma_f64 v[242:243], v[232:233], v[44:45], -v[46:47]
	scratch_load_dwordx4 v[44:47], off, off offset:672
	v_mul_f64 v[50:51], v[170:171], v[50:51]
	v_fma_f64 v[244:245], v[168:169], v[48:49], -v[50:51]
	v_mul_f64 v[48:49], v[222:223], v[54:55]
	v_fma_f64 v[246:247], v[220:221], v[52:53], -v[48:49]
	scratch_load_dwordx4 v[48:51], off, off offset:688
	scratch_load_dwordx4 v[52:55], off, off offset:704
	s_waitcnt vmcnt(15)
	v_mul_f64 v[164:165], v[160:161], v[22:23]
	v_fmac_f64_e32 v[164:165], v[162:163], v[20:21]
	v_add_f64 v[0:1], v[0:1], v[164:165]
	ds_read_b128 v[164:167], v2 offset:1312
	ds_read_b128 v[168:171], v2 offset:1328
	v_mul_f64 v[58:59], v[174:175], v[58:59]
	v_fma_f64 v[252:253], v[172:173], v[56:57], -v[58:59]
	ds_read_b128 v[172:175], v2 offset:1344
	v_mul_f64 v[56:57], v[178:179], v[62:63]
	v_fma_f64 v[254:255], v[176:177], v[60:61], -v[56:57]
	scratch_load_dwordx4 v[60:63], off, off offset:720
	scratch_load_dwordx4 v[56:59], off, off offset:736
	s_waitcnt vmcnt(16) lgkmcnt(2)
	v_mul_f64 v[232:233], v[164:165], v[34:35]
	v_fmac_f64_e32 v[232:233], v[166:167], v[32:33]
	s_waitcnt vmcnt(15) lgkmcnt(1)
	v_mul_f64 v[220:221], v[168:169], v[38:39]
	v_mul_f64 v[66:67], v[226:227], v[66:67]
	v_add_f64 v[0:1], v[0:1], v[232:233]
	v_fmac_f64_e32 v[220:221], v[170:171], v[36:37]
	v_fma_f64 v[248:249], v[224:225], v[64:65], -v[66:67]
	s_waitcnt vmcnt(14) lgkmcnt(0)
	v_mul_f64 v[64:65], v[172:173], v[30:31]
	v_add_f64 v[0:1], v[0:1], v[220:221]
	v_fmac_f64_e32 v[64:65], v[174:175], v[28:29]
	v_accvgpr_write_b32 a135, v23
	v_add_f64 v[0:1], v[0:1], v[64:65]
	v_mul_f64 v[64:65], v[214:215], v[70:71]
	v_accvgpr_write_b32 a134, v22
	v_accvgpr_write_b32 a133, v21
	;; [unrolled: 1-line block ×3, first 2 shown]
	ds_read_b128 v[176:179], v2 offset:1360
	v_fma_f64 v[20:21], v[212:213], v[68:69], -v[64:65]
	scratch_load_dwordx4 v[68:71], off, off offset:752
	scratch_load_dwordx4 v[64:67], off, off offset:768
	v_accvgpr_write_b32 a119, v7
	v_accvgpr_write_b32 a118, v6
	;; [unrolled: 1-line block ×5, first 2 shown]
	v_mul_f64 v[6:7], v[182:183], v[78:79]
	v_accvgpr_write_b32 a130, v18
	v_accvgpr_write_b32 a129, v17
	;; [unrolled: 1-line block ×3, first 2 shown]
	v_fma_f64 v[16:17], v[180:181], v[76:77], -v[6:7]
	s_waitcnt vmcnt(15) lgkmcnt(0)
	v_mul_f64 v[76:77], v[176:177], v[26:27]
	v_fmac_f64_e32 v[76:77], v[178:179], v[24:25]
	v_accvgpr_write_b32 a127, v15
	v_add_f64 v[0:1], v[0:1], v[76:77]
	v_mul_f64 v[76:77], v[230:231], v[82:83]
	v_accvgpr_write_b32 a126, v14
	v_accvgpr_write_b32 a125, v13
	;; [unrolled: 1-line block ×3, first 2 shown]
	v_fma_f64 v[12:13], v[228:229], v[80:81], -v[76:77]
	scratch_load_dwordx4 v[76:79], off, off offset:784
	scratch_load_dwordx4 v[232:235], off, off offset:848
	ds_read_b128 v[180:183], v2 offset:1376
	ds_read_b128 v[80:83], v2 offset:1392
	v_accvgpr_write_b32 a123, v11
	v_accvgpr_write_b32 a122, v10
	;; [unrolled: 1-line block ×4, first 2 shown]
	s_waitcnt vmcnt(16) lgkmcnt(1)
	v_mul_f64 v[10:11], v[180:181], v[74:75]
	v_fmac_f64_e32 v[10:11], v[182:183], v[72:73]
	v_add_f64 v[0:1], v[0:1], v[10:11]
	v_mul_f64 v[10:11], v[218:219], v[86:87]
	v_fma_f64 v[10:11], v[216:217], v[84:85], -v[10:11]
	ds_read_b128 v[84:87], v2 offset:1408
	v_mul_f64 v[90:91], v[190:191], v[90:91]
	v_fma_f64 v[8:9], v[188:189], v[88:89], -v[90:91]
	ds_read_b128 v[88:91], v2 offset:1424
	s_waitcnt vmcnt(15) lgkmcnt(2)
	v_mul_f64 v[212:213], v[80:81], v[110:111]
	v_fmac_f64_e32 v[212:213], v[82:83], v[108:109]
	s_waitcnt vmcnt(14) lgkmcnt(1)
	v_mul_f64 v[14:15], v[84:85], v[118:119]
	v_add_f64 v[0:1], v[0:1], v[212:213]
	v_fmac_f64_e32 v[14:15], v[86:87], v[116:117]
	v_add_f64 v[0:1], v[0:1], v[14:15]
	s_waitcnt vmcnt(13) lgkmcnt(0)
	v_mul_f64 v[14:15], v[88:89], v[122:123]
	v_fmac_f64_e32 v[14:15], v[90:91], v[120:121]
	ds_read_b128 v[188:191], v2 offset:1440
	v_add_f64 v[0:1], v[0:1], v[14:15]
	v_mul_f64 v[14:15], v[206:207], v[94:95]
	v_fma_f64 v[14:15], v[204:205], v[92:93], -v[14:15]
	ds_read_b128 v[92:95], v2 offset:1456
	v_mul_f64 v[98:99], v[194:195], v[98:99]
	v_fma_f64 v[6:7], v[192:193], v[96:97], -v[98:99]
	ds_read_b128 v[96:99], v2 offset:1472
	ds_read_b128 v[192:195], v2 offset:1488
	s_waitcnt vmcnt(12) lgkmcnt(3)
	v_mul_f64 v[204:205], v[188:189], v[126:127]
	v_fmac_f64_e32 v[204:205], v[190:191], v[124:125]
	s_waitcnt vmcnt(11) lgkmcnt(2)
	v_mul_f64 v[18:19], v[92:93], v[130:131]
	v_add_f64 v[0:1], v[0:1], v[204:205]
	v_fmac_f64_e32 v[18:19], v[94:95], v[128:129]
	v_add_f64 v[0:1], v[0:1], v[18:19]
	s_waitcnt vmcnt(10) lgkmcnt(1)
	v_mul_f64 v[18:19], v[96:97], v[134:135]
	v_fmac_f64_e32 v[18:19], v[98:99], v[132:133]
	v_add_f64 v[0:1], v[0:1], v[18:19]
	v_mul_f64 v[18:19], v[210:211], v[102:103]
	v_fma_f64 v[18:19], v[208:209], v[100:101], -v[18:19]
	ds_read_b128 v[100:103], v2 offset:1504
	v_mul_f64 v[106:107], v[198:199], v[106:107]
	v_fma_f64 v[4:5], v[196:197], v[104:105], -v[106:107]
	ds_read_b128 v[104:107], v2 offset:1520
	s_waitcnt vmcnt(9) lgkmcnt(2)
	v_mul_f64 v[204:205], v[192:193], v[42:43]
	v_fmac_f64_e32 v[204:205], v[194:195], v[40:41]
	s_waitcnt vmcnt(8) lgkmcnt(1)
	v_mul_f64 v[22:23], v[100:101], v[46:47]
	v_add_f64 v[0:1], v[0:1], v[204:205]
	v_fmac_f64_e32 v[22:23], v[102:103], v[44:45]
	v_add_f64 v[0:1], v[0:1], v[22:23]
	s_waitcnt vmcnt(7) lgkmcnt(0)
	v_mul_f64 v[22:23], v[104:105], v[50:51]
	ds_read_b128 v[196:199], v2 offset:1536
	v_fmac_f64_e32 v[22:23], v[106:107], v[48:49]
	v_add_f64 v[0:1], v[0:1], v[22:23]
	v_mul_f64 v[22:23], v[186:187], v[114:115]
	v_fma_f64 v[22:23], v[184:185], v[112:113], -v[22:23]
	ds_read_b128 v[112:115], v2 offset:1552
	s_waitcnt vmcnt(6) lgkmcnt(1)
	v_mul_f64 v[184:185], v[196:197], v[54:55]
	v_fmac_f64_e32 v[184:185], v[198:199], v[52:53]
	v_add_f64 v[184:185], v[0:1], v[184:185]
	v_mul_f64 v[0:1], v[202:203], v[138:139]
	v_fma_f64 v[0:1], v[200:201], v[136:137], -v[0:1]
	ds_read_b128 v[136:139], v2 offset:1568
	s_waitcnt vmcnt(5) lgkmcnt(1)
	v_mul_f64 v[186:187], v[112:113], v[62:63]
	v_fmac_f64_e32 v[186:187], v[114:115], v[60:61]
	v_add_f64 v[200:201], v[184:185], v[186:187]
	ds_read_b128 v[184:187], v2 offset:1584
	v_mul_f64 v[142:143], v[238:239], v[142:143]
	v_fma_f64 v[250:251], v[236:237], v[140:141], -v[142:143]
	ds_read_b128 v[140:143], v2 offset:1600
	ds_read_b128 v[208:211], v2 offset:1632
	s_waitcnt vmcnt(4) lgkmcnt(3)
	v_mul_f64 v[202:203], v[136:137], v[58:59]
	v_fmac_f64_e32 v[202:203], v[138:139], v[56:57]
	v_add_f64 v[200:201], v[200:201], v[202:203]
	s_waitcnt vmcnt(3) lgkmcnt(2)
	v_mul_f64 v[202:203], v[184:185], v[70:71]
	v_fmac_f64_e32 v[202:203], v[186:187], v[68:69]
	v_add_f64 v[200:201], v[200:201], v[202:203]
	;; [unrolled: 4-line block ×3, first 2 shown]
	ds_read_b128 v[200:203], v2 offset:1616
	ds_read_b128 v[216:219], v2 offset:1648
	;; [unrolled: 1-line block ×3, first 2 shown]
	s_waitcnt vmcnt(1) lgkmcnt(2)
	v_mul_f64 v[206:207], v[200:201], v[78:79]
	v_fmac_f64_e32 v[206:207], v[202:203], v[76:77]
	v_add_f64 v[212:213], v[204:205], v[206:207]
	scratch_load_dwordx4 v[204:207], off, off offset:800
	s_waitcnt vmcnt(0)
	v_mul_f64 v[214:215], v[208:209], v[206:207]
	v_fmac_f64_e32 v[214:215], v[210:211], v[204:205]
	v_add_f64 v[220:221], v[212:213], v[214:215]
	scratch_load_dwordx4 v[212:215], off, off offset:816
	s_waitcnt vmcnt(0) lgkmcnt(1)
	v_mul_f64 v[222:223], v[216:217], v[214:215]
	v_fmac_f64_e32 v[222:223], v[218:219], v[212:213]
	v_add_f64 v[228:229], v[220:221], v[222:223]
	scratch_load_dwordx4 v[220:223], off, off offset:832
	s_waitcnt vmcnt(0) lgkmcnt(0)
	v_mul_f64 v[230:231], v[224:225], v[222:223]
	v_fmac_f64_e32 v[230:231], v[226:227], v[220:221]
	v_add_f64 v[236:237], v[228:229], v[230:231]
	ds_read_b128 v[228:231], v2 offset:1680
	s_waitcnt lgkmcnt(0)
	v_mul_f64 v[2:3], v[228:229], v[234:235]
	v_fmac_f64_e32 v[2:3], v[230:231], v[232:233]
	v_add_f64 v[2:3], v[236:237], v[2:3]
	v_add_f64 v[236:237], v[240:241], 0
	;; [unrolled: 1-line block ×9, first 2 shown]
	scratch_load_dwordx4 v[236:239], off, off offset:80
	v_add_f64 v[16:17], v[20:21], v[16:17]
	v_add_f64 v[12:13], v[16:17], v[12:13]
	;; [unrolled: 1-line block ×8, first 2 shown]
	v_accvgpr_read_b32 v6, a116
	v_accvgpr_read_b32 v8, a118
	;; [unrolled: 1-line block ×3, first 2 shown]
	v_add_f64 v[252:253], v[4:5], v[22:23]
	v_accvgpr_read_b32 v7, a117
	v_mul_f64 v[4:5], v[146:147], v[8:9]
	v_add_f64 v[0:1], v[252:253], v[0:1]
	v_fma_f64 v[4:5], v[144:145], v[6:7], -v[4:5]
	v_accvgpr_read_b32 v6, a120
	v_add_f64 v[0:1], v[0:1], v[250:251]
	v_accvgpr_read_b32 v8, a122
	v_accvgpr_read_b32 v9, a123
	v_add_f64 v[0:1], v[0:1], v[4:5]
	v_accvgpr_read_b32 v7, a121
	v_mul_f64 v[4:5], v[150:151], v[8:9]
	v_fma_f64 v[4:5], v[148:149], v[6:7], -v[4:5]
	v_accvgpr_read_b32 v6, a124
	v_accvgpr_read_b32 v8, a126
	v_accvgpr_read_b32 v9, a127
	v_add_f64 v[0:1], v[0:1], v[4:5]
	v_accvgpr_read_b32 v7, a125
	v_mul_f64 v[4:5], v[154:155], v[8:9]
	v_fma_f64 v[4:5], v[152:153], v[6:7], -v[4:5]
	v_accvgpr_read_b32 v6, a128
	;; [unrolled: 7-line block ×3, first 2 shown]
	v_accvgpr_read_b32 v8, a134
	v_accvgpr_read_b32 v9, a135
	v_add_f64 v[0:1], v[0:1], v[4:5]
	v_accvgpr_read_b32 v7, a133
	v_mul_f64 v[4:5], v[162:163], v[8:9]
	v_fma_f64 v[4:5], v[160:161], v[6:7], -v[4:5]
	v_add_f64 v[0:1], v[0:1], v[4:5]
	v_mul_f64 v[4:5], v[166:167], v[34:35]
	v_fma_f64 v[4:5], v[164:165], v[32:33], -v[4:5]
	v_add_f64 v[0:1], v[0:1], v[4:5]
	;; [unrolled: 3-line block ×25, first 2 shown]
	s_waitcnt vmcnt(0)
	v_add_f64 v[4:5], v[236:237], -v[0:1]
	v_accvgpr_read_b32 v0, a106
	v_add_f64 v[6:7], v[238:239], -v[2:3]
	v_cmp_lt_u32_e32 vcc, 3, v0
	scratch_store_dwordx4 off, v[4:7], off offset:80
	s_and_saveexec_b64 s[0:1], vcc
	s_cbranch_execz .LBB116_325
; %bb.324:
	scratch_load_dwordx4 v[2:5], off, s66
	v_mov_b32_e32 v6, 0
	v_mov_b32_e32 v7, v6
	;; [unrolled: 1-line block ×4, first 2 shown]
	v_accvgpr_read_b32 v0, a107
	scratch_store_dwordx4 off, v[6:9], off offset:64
	s_waitcnt vmcnt(1)
	ds_write_b128 v0, v[2:5]
.LBB116_325:
	s_or_b64 exec, exec, s[0:1]
	s_waitcnt lgkmcnt(0)
	; wave barrier
	scratch_load_dwordx4 v[56:59], off, off offset:80
	scratch_load_dwordx4 v[60:63], off, off offset:96
	;; [unrolled: 1-line block ×28, first 2 shown]
	v_mov_b32_e32 v2, 0
	ds_read_b128 v[116:119], v2 offset:912
	ds_read_b128 v[120:123], v2 offset:928
	;; [unrolled: 1-line block ×22, first 2 shown]
	s_waitcnt vmcnt(27) lgkmcnt(14)
	v_mul_f64 v[0:1], v[116:117], v[58:59]
	s_waitcnt vmcnt(26)
	v_mul_f64 v[32:33], v[120:121], v[62:63]
	v_fmac_f64_e32 v[0:1], v[118:119], v[56:57]
	s_waitcnt vmcnt(25)
	v_mul_f64 v[34:35], v[124:125], v[66:67]
	v_fmac_f64_e32 v[32:33], v[122:123], v[60:61]
	v_add_f64 v[0:1], v[0:1], 0
	v_fmac_f64_e32 v[34:35], v[126:127], v[64:65]
	v_add_f64 v[0:1], v[0:1], v[32:33]
	v_add_f64 v[0:1], v[0:1], v[34:35]
	scratch_load_dwordx4 v[32:35], off, off offset:528
	s_waitcnt vmcnt(25)
	v_mul_f64 v[36:37], v[128:129], v[70:71]
	s_waitcnt vmcnt(24)
	v_mul_f64 v[38:39], v[132:133], v[74:75]
	v_fmac_f64_e32 v[36:37], v[130:131], v[68:69]
	s_waitcnt vmcnt(23)
	v_mul_f64 v[40:41], v[140:141], v[78:79]
	v_fmac_f64_e32 v[38:39], v[134:135], v[72:73]
	v_add_f64 v[0:1], v[0:1], v[36:37]
	s_waitcnt vmcnt(22)
	v_mul_f64 v[42:43], v[152:153], v[82:83]
	v_fmac_f64_e32 v[40:41], v[142:143], v[76:77]
	v_add_f64 v[0:1], v[0:1], v[38:39]
	;; [unrolled: 4-line block ×3, first 2 shown]
	s_waitcnt vmcnt(20) lgkmcnt(13)
	v_mul_f64 v[46:47], v[176:177], v[94:95]
	v_fmac_f64_e32 v[44:45], v[166:167], v[84:85]
	v_add_f64 v[0:1], v[0:1], v[42:43]
	s_waitcnt vmcnt(19) lgkmcnt(12)
	v_mul_f64 v[48:49], v[188:189], v[98:99]
	v_fmac_f64_e32 v[46:47], v[178:179], v[92:93]
	v_add_f64 v[0:1], v[0:1], v[44:45]
	;; [unrolled: 4-line block ×9, first 2 shown]
	v_add_f64 v[0:1], v[0:1], v[104:105]
	v_fmac_f64_e32 v[106:107], v[222:223], v[168:169]
	s_waitcnt vmcnt(11) lgkmcnt(4)
	v_mul_f64 v[40:41], v[224:225], v[174:175]
	v_add_f64 v[0:1], v[0:1], v[106:107]
	v_fmac_f64_e32 v[40:41], v[226:227], v[172:173]
	scratch_load_dwordx4 v[36:39], off, off offset:544
	v_add_f64 v[0:1], v[0:1], v[40:41]
	s_waitcnt vmcnt(11) lgkmcnt(3)
	v_mul_f64 v[40:41], v[228:229], v[182:183]
	v_fmac_f64_e32 v[40:41], v[230:231], v[180:181]
	s_waitcnt vmcnt(10) lgkmcnt(2)
	v_mul_f64 v[44:45], v[248:249], v[186:187]
	v_add_f64 v[0:1], v[0:1], v[40:41]
	v_fmac_f64_e32 v[44:45], v[250:251], v[184:185]
	scratch_load_dwordx4 v[40:43], off, off offset:560
	ds_read_b128 v[88:91], v2 offset:1248
	v_add_f64 v[0:1], v[0:1], v[44:45]
	s_waitcnt vmcnt(10) lgkmcnt(2)
	v_mul_f64 v[44:45], v[252:253], v[194:195]
	v_fmac_f64_e32 v[44:45], v[254:255], v[192:193]
	v_add_f64 v[0:1], v[0:1], v[44:45]
	scratch_load_dwordx4 v[44:47], off, off offset:576
	ds_read_b128 v[104:107], v2 offset:1264
	s_waitcnt vmcnt(10) lgkmcnt(1)
	v_mul_f64 v[48:49], v[88:89], v[6:7]
	v_accvgpr_write_b32 a111, v7
	v_fmac_f64_e32 v[48:49], v[90:91], v[4:5]
	v_accvgpr_write_b32 a110, v6
	v_accvgpr_write_b32 a109, v5
	;; [unrolled: 1-line block ×3, first 2 shown]
	s_waitcnt vmcnt(9)
	v_mov_b64_e32 v[4:5], v[8:9]
	v_add_f64 v[0:1], v[0:1], v[48:49]
	scratch_load_dwordx4 v[48:51], off, off offset:592
	v_mov_b64_e32 v[6:7], v[10:11]
	s_waitcnt lgkmcnt(0)
	v_mul_f64 v[52:53], v[104:105], v[6:7]
	v_fmac_f64_e32 v[52:53], v[106:107], v[4:5]
	v_add_f64 v[0:1], v[0:1], v[52:53]
	scratch_load_dwordx4 v[52:55], off, off offset:608
	v_mul_f64 v[58:59], v[118:119], v[58:59]
	s_waitcnt vmcnt(10)
	v_mov_b64_e32 v[4:5], v[12:13]
	v_fma_f64 v[240:241], v[116:117], v[56:57], -v[58:59]
	scratch_load_dwordx4 v[56:59], off, off offset:624
	v_mov_b64_e32 v[6:7], v[14:15]
	v_mul_f64 v[112:113], v[108:109], v[6:7]
	v_fmac_f64_e32 v[112:113], v[110:111], v[4:5]
	v_add_f64 v[0:1], v[0:1], v[112:113]
	ds_read_b128 v[112:115], v2 offset:1296
	ds_read_b128 v[116:119], v2 offset:1312
	v_mul_f64 v[62:63], v[122:123], v[62:63]
	v_fma_f64 v[242:243], v[120:121], v[60:61], -v[62:63]
	scratch_load_dwordx4 v[60:63], off, off offset:640
	s_waitcnt vmcnt(11)
	v_mov_b64_e32 v[4:5], v[16:17]
	v_mul_f64 v[66:67], v[126:127], v[66:67]
	v_mov_b64_e32 v[6:7], v[18:19]
	v_fma_f64 v[244:245], v[124:125], v[64:65], -v[66:67]
	scratch_load_dwordx4 v[64:67], off, off offset:656
	s_waitcnt lgkmcnt(1)
	v_mul_f64 v[120:121], v[112:113], v[6:7]
	v_fmac_f64_e32 v[120:121], v[114:115], v[4:5]
	s_waitcnt vmcnt(11)
	v_mov_b64_e32 v[4:5], v[20:21]
	v_mov_b64_e32 v[6:7], v[22:23]
	v_add_f64 v[0:1], v[0:1], v[120:121]
	s_waitcnt lgkmcnt(0)
	v_mul_f64 v[120:121], v[116:117], v[6:7]
	v_fmac_f64_e32 v[120:121], v[118:119], v[4:5]
	v_mul_f64 v[70:71], v[130:131], v[70:71]
	v_add_f64 v[0:1], v[0:1], v[120:121]
	v_fma_f64 v[246:247], v[128:129], v[68:69], -v[70:71]
	scratch_load_dwordx4 v[68:71], off, off offset:672
	ds_read_b128 v[120:123], v2 offset:1328
	ds_read_b128 v[124:127], v2 offset:1344
	v_mul_f64 v[74:75], v[134:135], v[74:75]
	v_accvgpr_write_b32 a115, v11
	v_fma_f64 v[232:233], v[132:133], v[72:73], -v[74:75]
	scratch_load_dwordx4 v[72:75], off, off offset:688
	v_accvgpr_write_b32 a114, v10
	v_accvgpr_write_b32 a113, v9
	;; [unrolled: 1-line block ×3, first 2 shown]
	v_mul_f64 v[78:79], v[142:143], v[78:79]
	s_waitcnt vmcnt(12)
	v_mov_b64_e32 v[8:9], v[24:25]
	v_fma_f64 v[28:29], v[140:141], v[76:77], -v[78:79]
	v_mov_b64_e32 v[10:11], v[26:27]
	scratch_load_dwordx4 v[76:79], off, off offset:704
	s_waitcnt lgkmcnt(1)
	v_mul_f64 v[6:7], v[120:121], v[10:11]
	v_fmac_f64_e32 v[6:7], v[122:123], v[8:9]
	v_accvgpr_write_b32 a131, v27
	v_add_f64 v[0:1], v[0:1], v[6:7]
	v_mul_f64 v[6:7], v[154:155], v[82:83]
	v_accvgpr_write_b32 a130, v26
	v_accvgpr_write_b32 a129, v25
	;; [unrolled: 1-line block ×3, first 2 shown]
	v_fma_f64 v[24:25], v[152:153], v[80:81], -v[6:7]
	s_waitcnt vmcnt(12) lgkmcnt(0)
	v_mul_f64 v[6:7], v[124:125], v[236:237]
	v_fmac_f64_e32 v[6:7], v[126:127], v[234:235]
	scratch_load_dwordx4 v[80:83], off, off offset:720
	v_accvgpr_write_b32 a127, v23
	v_add_f64 v[0:1], v[0:1], v[6:7]
	v_mul_f64 v[6:7], v[166:167], v[86:87]
	v_accvgpr_write_b32 a126, v22
	v_accvgpr_write_b32 a125, v21
	;; [unrolled: 1-line block ×3, first 2 shown]
	v_fma_f64 v[20:21], v[164:165], v[84:85], -v[6:7]
	scratch_load_dwordx4 v[84:87], off, off offset:736
	ds_read_b128 v[132:135], v2 offset:1360
	ds_read_b128 v[128:131], v2 offset:1376
	v_accvgpr_write_b32 a123, v19
	v_mul_f64 v[6:7], v[178:179], v[94:95]
	v_accvgpr_write_b32 a119, v15
	v_accvgpr_write_b32 a122, v18
	;; [unrolled: 1-line block ×4, first 2 shown]
	v_fma_f64 v[16:17], v[176:177], v[92:93], -v[6:7]
	v_mul_f64 v[6:7], v[190:191], v[98:99]
	v_accvgpr_write_b32 a118, v14
	v_accvgpr_write_b32 a117, v13
	v_accvgpr_write_b32 a116, v12
	v_fma_f64 v[14:15], v[188:189], v[96:97], -v[6:7]
	scratch_load_dwordx4 v[96:99], off, off offset:752
	scratch_load_dwordx4 v[92:95], off, off offset:768
	s_waitcnt vmcnt(15) lgkmcnt(1)
	v_mul_f64 v[6:7], v[132:133], v[34:35]
	v_fmac_f64_e32 v[6:7], v[134:135], v[32:33]
	v_add_f64 v[0:1], v[0:1], v[6:7]
	v_mul_f64 v[6:7], v[198:199], v[102:103]
	v_fma_f64 v[12:13], v[196:197], v[100:101], -v[6:7]
	scratch_load_dwordx4 v[100:103], off, off offset:784
	v_mul_f64 v[6:7], v[202:203], v[138:139]
	v_fma_f64 v[18:19], v[200:201], v[136:137], -v[6:7]
	ds_read_b128 v[136:139], v2 offset:1392
	ds_read_b128 v[140:143], v2 offset:1408
	s_waitcnt vmcnt(15) lgkmcnt(2)
	v_mul_f64 v[6:7], v[128:129], v[38:39]
	v_fmac_f64_e32 v[6:7], v[130:131], v[36:37]
	v_add_f64 v[0:1], v[0:1], v[6:7]
	s_waitcnt vmcnt(14) lgkmcnt(1)
	v_mul_f64 v[6:7], v[136:137], v[42:43]
	v_fmac_f64_e32 v[6:7], v[138:139], v[40:41]
	v_add_f64 v[0:1], v[0:1], v[6:7]
	v_mul_f64 v[6:7], v[206:207], v[146:147]
	v_fma_f64 v[10:11], v[204:205], v[144:145], -v[6:7]
	ds_read_b128 v[144:147], v2 offset:1424
	s_waitcnt vmcnt(13) lgkmcnt(1)
	v_mul_f64 v[6:7], v[140:141], v[46:47]
	v_fmac_f64_e32 v[6:7], v[142:143], v[44:45]
	v_add_f64 v[0:1], v[0:1], v[6:7]
	v_mul_f64 v[6:7], v[210:211], v[150:151]
	v_fma_f64 v[22:23], v[208:209], v[148:149], -v[6:7]
	ds_read_b128 v[148:151], v2 offset:1440
	s_waitcnt vmcnt(12) lgkmcnt(1)
	v_mul_f64 v[6:7], v[144:145], v[50:51]
	ds_read_b128 v[152:155], v2 offset:1456
	v_fmac_f64_e32 v[6:7], v[146:147], v[48:49]
	v_add_f64 v[0:1], v[0:1], v[6:7]
	v_mul_f64 v[6:7], v[214:215], v[158:159]
	v_fma_f64 v[8:9], v[212:213], v[156:157], -v[6:7]
	s_waitcnt vmcnt(11) lgkmcnt(1)
	v_mul_f64 v[6:7], v[148:149], v[54:55]
	v_fmac_f64_e32 v[6:7], v[150:151], v[52:53]
	ds_read_b128 v[156:159], v2 offset:1472
	v_add_f64 v[0:1], v[0:1], v[6:7]
	s_waitcnt vmcnt(10) lgkmcnt(1)
	v_mul_f64 v[6:7], v[152:153], v[58:59]
	v_fmac_f64_e32 v[6:7], v[154:155], v[56:57]
	v_add_f64 v[0:1], v[0:1], v[6:7]
	v_mul_f64 v[6:7], v[218:219], v[162:163]
	v_fma_f64 v[26:27], v[216:217], v[160:161], -v[6:7]
	ds_read_b128 v[160:163], v2 offset:1488
	ds_read_b128 v[164:167], v2 offset:1504
	s_waitcnt vmcnt(9) lgkmcnt(2)
	v_mul_f64 v[6:7], v[156:157], v[62:63]
	v_fmac_f64_e32 v[6:7], v[158:159], v[60:61]
	v_add_f64 v[0:1], v[0:1], v[6:7]
	s_waitcnt vmcnt(8) lgkmcnt(1)
	v_mul_f64 v[6:7], v[160:161], v[66:67]
	v_fmac_f64_e32 v[6:7], v[162:163], v[64:65]
	v_add_f64 v[0:1], v[0:1], v[6:7]
	v_mul_f64 v[6:7], v[222:223], v[170:171]
	v_fma_f64 v[4:5], v[220:221], v[168:169], -v[6:7]
	ds_read_b128 v[168:171], v2 offset:1520
	v_mul_f64 v[6:7], v[226:227], v[174:175]
	v_fma_f64 v[6:7], v[224:225], v[172:173], -v[6:7]
	ds_read_b128 v[172:175], v2 offset:1536
	s_waitcnt vmcnt(7) lgkmcnt(2)
	v_mul_f64 v[30:31], v[164:165], v[70:71]
	v_fmac_f64_e32 v[30:31], v[166:167], v[68:69]
	v_add_f64 v[0:1], v[0:1], v[30:31]
	s_waitcnt vmcnt(6) lgkmcnt(1)
	v_mul_f64 v[30:31], v[168:169], v[74:75]
	v_fmac_f64_e32 v[30:31], v[170:171], v[72:73]
	v_add_f64 v[0:1], v[0:1], v[30:31]
	s_waitcnt vmcnt(5) lgkmcnt(0)
	v_mul_f64 v[30:31], v[172:173], v[78:79]
	ds_read_b128 v[176:179], v2 offset:1552
	v_fmac_f64_e32 v[30:31], v[174:175], v[76:77]
	v_add_f64 v[30:31], v[0:1], v[30:31]
	v_mul_f64 v[0:1], v[230:231], v[182:183]
	v_fma_f64 v[0:1], v[228:229], v[180:181], -v[0:1]
	ds_read_b128 v[180:183], v2 offset:1568
	v_mul_f64 v[186:187], v[250:251], v[186:187]
	s_waitcnt vmcnt(4) lgkmcnt(1)
	v_mul_f64 v[188:189], v[176:177], v[82:83]
	v_fma_f64 v[238:239], v[248:249], v[184:185], -v[186:187]
	ds_read_b128 v[184:187], v2 offset:1584
	v_fmac_f64_e32 v[188:189], v[178:179], v[80:81]
	v_add_f64 v[30:31], v[30:31], v[188:189]
	ds_read_b128 v[188:191], v2 offset:1600
	s_waitcnt vmcnt(3) lgkmcnt(2)
	v_mul_f64 v[196:197], v[180:181], v[86:87]
	v_mul_f64 v[194:195], v[254:255], v[194:195]
	v_fmac_f64_e32 v[196:197], v[182:183], v[84:85]
	v_fma_f64 v[248:249], v[252:253], v[192:193], -v[194:195]
	ds_read_b128 v[192:195], v2 offset:1616
	ds_read_b128 v[200:203], v2 offset:1632
	v_add_f64 v[30:31], v[30:31], v[196:197]
	s_waitcnt vmcnt(2) lgkmcnt(3)
	v_mul_f64 v[196:197], v[184:185], v[98:99]
	v_fmac_f64_e32 v[196:197], v[186:187], v[96:97]
	v_add_f64 v[30:31], v[30:31], v[196:197]
	s_waitcnt vmcnt(1) lgkmcnt(2)
	v_mul_f64 v[196:197], v[188:189], v[94:95]
	v_fmac_f64_e32 v[196:197], v[190:191], v[92:93]
	;; [unrolled: 4-line block ×3, first 2 shown]
	v_add_f64 v[30:31], v[30:31], v[196:197]
	scratch_load_dwordx4 v[196:199], off, off offset:800
	ds_read_b128 v[208:211], v2 offset:1648
	ds_read_b128 v[216:219], v2 offset:1664
	;; [unrolled: 1-line block ×3, first 2 shown]
	s_waitcnt vmcnt(0) lgkmcnt(3)
	v_mul_f64 v[204:205], v[200:201], v[198:199]
	v_fmac_f64_e32 v[204:205], v[202:203], v[196:197]
	v_add_f64 v[30:31], v[30:31], v[204:205]
	scratch_load_dwordx4 v[204:207], off, off offset:816
	s_waitcnt vmcnt(0) lgkmcnt(2)
	v_mul_f64 v[212:213], v[208:209], v[206:207]
	v_fmac_f64_e32 v[212:213], v[210:211], v[204:205]
	v_add_f64 v[30:31], v[30:31], v[212:213]
	scratch_load_dwordx4 v[212:215], off, off offset:832
	;; [unrolled: 5-line block ×3, first 2 shown]
	s_waitcnt vmcnt(0) lgkmcnt(0)
	v_mul_f64 v[228:229], v[224:225], v[222:223]
	v_fmac_f64_e32 v[228:229], v[226:227], v[220:221]
	v_add_f64 v[252:253], v[30:31], v[228:229]
	v_add_f64 v[30:31], v[240:241], 0
	;; [unrolled: 1-line block ×3, first 2 shown]
	scratch_load_dwordx4 v[228:231], off, off offset:64
	v_add_f64 v[30:31], v[30:31], v[244:245]
	v_add_f64 v[30:31], v[30:31], v[246:247]
	v_add_f64 v[30:31], v[30:31], v[232:233]
	v_add_f64 v[28:29], v[30:31], v[28:29]
	v_add_f64 v[24:25], v[28:29], v[24:25]
	v_add_f64 v[20:21], v[24:25], v[20:21]
	v_add_f64 v[16:17], v[20:21], v[16:17]
	v_add_f64 v[14:15], v[16:17], v[14:15]
	v_add_f64 v[12:13], v[14:15], v[12:13]
	v_add_f64 v[12:13], v[12:13], v[18:19]
	v_add_f64 v[10:11], v[12:13], v[10:11]
	v_add_f64 v[10:11], v[10:11], v[22:23]
	v_add_f64 v[8:9], v[10:11], v[8:9]
	v_add_f64 v[8:9], v[8:9], v[26:27]
	v_add_f64 v[250:251], v[8:9], v[4:5]
	v_add_f64 v[4:5], v[250:251], v[6:7]
	v_accvgpr_read_b32 v6, a108
	v_accvgpr_read_b32 v8, a110
	;; [unrolled: 1-line block ×3, first 2 shown]
	v_add_f64 v[0:1], v[4:5], v[0:1]
	v_accvgpr_read_b32 v7, a109
	v_mul_f64 v[4:5], v[90:91], v[8:9]
	v_add_f64 v[0:1], v[0:1], v[238:239]
	v_fma_f64 v[4:5], v[88:89], v[6:7], -v[4:5]
	v_accvgpr_read_b32 v6, a112
	v_add_f64 v[0:1], v[0:1], v[248:249]
	v_accvgpr_read_b32 v8, a114
	v_accvgpr_read_b32 v9, a115
	v_add_f64 v[0:1], v[0:1], v[4:5]
	v_accvgpr_read_b32 v7, a113
	v_mul_f64 v[4:5], v[106:107], v[8:9]
	v_fma_f64 v[4:5], v[104:105], v[6:7], -v[4:5]
	v_accvgpr_read_b32 v6, a116
	v_accvgpr_read_b32 v8, a118
	v_accvgpr_read_b32 v9, a119
	v_add_f64 v[0:1], v[0:1], v[4:5]
	v_accvgpr_read_b32 v7, a117
	v_mul_f64 v[4:5], v[110:111], v[8:9]
	v_fma_f64 v[4:5], v[108:109], v[6:7], -v[4:5]
	v_accvgpr_read_b32 v6, a120
	;; [unrolled: 7-line block ×4, first 2 shown]
	v_accvgpr_read_b32 v8, a130
	v_accvgpr_read_b32 v9, a131
	v_add_f64 v[0:1], v[0:1], v[4:5]
	v_accvgpr_read_b32 v7, a129
	v_mul_f64 v[4:5], v[122:123], v[8:9]
	v_fma_f64 v[4:5], v[120:121], v[6:7], -v[4:5]
	v_add_f64 v[0:1], v[0:1], v[4:5]
	v_mul_f64 v[4:5], v[126:127], v[236:237]
	v_fma_f64 v[4:5], v[124:125], v[234:235], -v[4:5]
	v_add_f64 v[0:1], v[0:1], v[4:5]
	;; [unrolled: 3-line block ×23, first 2 shown]
	s_waitcnt vmcnt(0)
	v_add_f64 v[4:5], v[228:229], -v[0:1]
	v_accvgpr_read_b32 v0, a106
	v_add_f64 v[6:7], v[230:231], -v[252:253]
	v_cmp_lt_u32_e32 vcc, 2, v0
	scratch_store_dwordx4 off, v[4:7], off offset:64
	s_and_saveexec_b64 s[0:1], vcc
	s_cbranch_execz .LBB116_327
; %bb.326:
	scratch_load_dwordx4 v[6:9], off, s67
	v_mov_b32_e32 v3, v2
	v_mov_b32_e32 v4, v2
	;; [unrolled: 1-line block ×3, first 2 shown]
	v_accvgpr_read_b32 v0, a107
	scratch_store_dwordx4 off, v[2:5], off offset:48
	s_waitcnt vmcnt(1)
	ds_write_b128 v0, v[6:9]
.LBB116_327:
	s_or_b64 exec, exec, s[0:1]
	s_waitcnt lgkmcnt(0)
	; wave barrier
	scratch_load_dwordx4 v[56:59], off, off offset:64
	scratch_load_dwordx4 v[60:63], off, off offset:80
	;; [unrolled: 1-line block ×18, first 2 shown]
	ds_read_b128 v[116:119], v2 offset:896
	ds_read_b128 v[220:223], v2 offset:912
	;; [unrolled: 1-line block ×6, first 2 shown]
	scratch_load_dwordx4 v[180:183], off, off offset:352
	ds_read_b128 v[204:207], v2 offset:992
	ds_read_b128 v[132:135], v2 offset:1008
	scratch_load_dwordx4 v[184:187], off, off offset:368
	ds_read_b128 v[224:227], v2 offset:1024
	ds_read_b128 v[216:219], v2 offset:1040
	;; [unrolled: 1-line block ×5, first 2 shown]
	scratch_load_dwordx4 v[192:195], off, off offset:384
	ds_read_b128 v[200:203], v2 offset:1104
	ds_read_b128 v[164:167], v2 offset:1120
	scratch_load_dwordx4 v[4:7], off, off offset:400
	ds_read_b128 v[212:215], v2 offset:1136
	ds_read_b128 v[188:191], v2 offset:1152
	;; [unrolled: 1-line block ×3, first 2 shown]
	scratch_load_dwordx4 v[8:11], off, off offset:416
	scratch_load_dwordx4 v[12:15], off, off offset:432
	;; [unrolled: 1-line block ×6, first 2 shown]
	ds_read_b128 v[228:231], v2 offset:1184
	ds_read_b128 v[232:235], v2 offset:1200
	;; [unrolled: 1-line block ×4, first 2 shown]
	s_waitcnt vmcnt(27) lgkmcnt(14)
	v_mul_f64 v[0:1], v[116:117], v[58:59]
	s_waitcnt vmcnt(26)
	v_mul_f64 v[32:33], v[220:221], v[62:63]
	v_fmac_f64_e32 v[0:1], v[118:119], v[56:57]
	s_waitcnt vmcnt(25)
	v_mul_f64 v[34:35], v[208:209], v[66:67]
	v_fmac_f64_e32 v[32:33], v[222:223], v[60:61]
	v_add_f64 v[0:1], v[0:1], 0
	v_fmac_f64_e32 v[34:35], v[210:211], v[64:65]
	v_add_f64 v[0:1], v[0:1], v[32:33]
	v_add_f64 v[0:1], v[0:1], v[34:35]
	scratch_load_dwordx4 v[32:35], off, off offset:512
	s_waitcnt vmcnt(25)
	v_mul_f64 v[36:37], v[120:121], v[70:71]
	s_waitcnt vmcnt(24)
	v_mul_f64 v[38:39], v[128:129], v[74:75]
	v_fmac_f64_e32 v[36:37], v[122:123], v[68:69]
	s_waitcnt vmcnt(23)
	v_mul_f64 v[40:41], v[124:125], v[78:79]
	v_fmac_f64_e32 v[38:39], v[130:131], v[72:73]
	v_add_f64 v[0:1], v[0:1], v[36:37]
	s_waitcnt vmcnt(22)
	v_mul_f64 v[42:43], v[204:205], v[82:83]
	v_fmac_f64_e32 v[40:41], v[126:127], v[76:77]
	v_add_f64 v[0:1], v[0:1], v[38:39]
	;; [unrolled: 4-line block ×3, first 2 shown]
	s_waitcnt vmcnt(20) lgkmcnt(13)
	v_mul_f64 v[46:47], v[224:225], v[94:95]
	v_fmac_f64_e32 v[44:45], v[134:135], v[84:85]
	v_add_f64 v[0:1], v[0:1], v[42:43]
	s_waitcnt vmcnt(19) lgkmcnt(12)
	v_mul_f64 v[48:49], v[216:217], v[98:99]
	v_fmac_f64_e32 v[46:47], v[226:227], v[92:93]
	v_add_f64 v[0:1], v[0:1], v[44:45]
	s_waitcnt vmcnt(18) lgkmcnt(11)
	v_mul_f64 v[50:51], v[196:197], v[102:103]
	v_fmac_f64_e32 v[48:49], v[218:219], v[96:97]
	v_add_f64 v[0:1], v[0:1], v[46:47]
	s_waitcnt vmcnt(17) lgkmcnt(10)
	v_mul_f64 v[52:53], v[140:141], v[138:139]
	v_fmac_f64_e32 v[50:51], v[198:199], v[100:101]
	v_add_f64 v[0:1], v[0:1], v[48:49]
	s_waitcnt vmcnt(16) lgkmcnt(9)
	v_mul_f64 v[54:55], v[152:153], v[146:147]
	v_fmac_f64_e32 v[52:53], v[142:143], v[136:137]
	v_add_f64 v[0:1], v[0:1], v[50:51]
	s_waitcnt vmcnt(15) lgkmcnt(8)
	v_mul_f64 v[88:89], v[200:201], v[150:151]
	v_fmac_f64_e32 v[54:55], v[154:155], v[144:145]
	v_add_f64 v[0:1], v[0:1], v[52:53]
	s_waitcnt vmcnt(14) lgkmcnt(7)
	v_mul_f64 v[90:91], v[164:165], v[158:159]
	v_fmac_f64_e32 v[88:89], v[202:203], v[148:149]
	v_add_f64 v[0:1], v[0:1], v[54:55]
	s_waitcnt vmcnt(13) lgkmcnt(6)
	v_mul_f64 v[104:105], v[212:213], v[162:163]
	v_fmac_f64_e32 v[90:91], v[166:167], v[156:157]
	v_add_f64 v[0:1], v[0:1], v[88:89]
	s_waitcnt vmcnt(12) lgkmcnt(5)
	v_mul_f64 v[106:107], v[188:189], v[170:171]
	v_fmac_f64_e32 v[104:105], v[214:215], v[160:161]
	v_add_f64 v[0:1], v[0:1], v[90:91]
	v_fmac_f64_e32 v[106:107], v[190:191], v[168:169]
	v_add_f64 v[0:1], v[0:1], v[104:105]
	s_waitcnt vmcnt(11) lgkmcnt(4)
	v_mul_f64 v[40:41], v[176:177], v[174:175]
	v_add_f64 v[0:1], v[0:1], v[106:107]
	v_fmac_f64_e32 v[40:41], v[178:179], v[172:173]
	scratch_load_dwordx4 v[36:39], off, off offset:528
	v_add_f64 v[0:1], v[0:1], v[40:41]
	s_waitcnt vmcnt(11) lgkmcnt(3)
	v_mul_f64 v[40:41], v[228:229], v[182:183]
	v_fmac_f64_e32 v[40:41], v[230:231], v[180:181]
	v_add_f64 v[0:1], v[0:1], v[40:41]
	scratch_load_dwordx4 v[40:43], off, off offset:544
	ds_read_b128 v[88:91], v2 offset:1232
	s_waitcnt vmcnt(11) lgkmcnt(3)
	v_mul_f64 v[44:45], v[232:233], v[186:187]
	v_fmac_f64_e32 v[44:45], v[234:235], v[184:185]
	v_add_f64 v[0:1], v[0:1], v[44:45]
	s_waitcnt vmcnt(10) lgkmcnt(2)
	v_mul_f64 v[44:45], v[236:237], v[194:195]
	v_fmac_f64_e32 v[44:45], v[238:239], v[192:193]
	s_waitcnt vmcnt(9) lgkmcnt(0)
	v_mul_f64 v[48:49], v[88:89], v[6:7]
	ds_read_b128 v[104:107], v2 offset:1248
	v_add_f64 v[0:1], v[0:1], v[44:45]
	scratch_load_dwordx4 v[44:47], off, off offset:560
	v_fmac_f64_e32 v[48:49], v[90:91], v[4:5]
	v_accvgpr_write_b32 a111, v7
	v_add_f64 v[0:1], v[0:1], v[48:49]
	scratch_load_dwordx4 v[48:51], off, off offset:576
	v_accvgpr_write_b32 a110, v6
	v_accvgpr_write_b32 a109, v5
	v_accvgpr_write_b32 a108, v4
	s_waitcnt vmcnt(10)
	v_mov_b64_e32 v[4:5], v[8:9]
	v_mov_b64_e32 v[6:7], v[10:11]
	s_waitcnt lgkmcnt(0)
	v_mul_f64 v[52:53], v[104:105], v[6:7]
	v_fmac_f64_e32 v[52:53], v[106:107], v[4:5]
	v_add_f64 v[0:1], v[0:1], v[52:53]
	scratch_load_dwordx4 v[52:55], off, off offset:592
	v_mul_f64 v[58:59], v[118:119], v[58:59]
	v_fma_f64 v[240:241], v[116:117], v[56:57], -v[58:59]
	scratch_load_dwordx4 v[56:59], off, off offset:608
	v_mul_f64 v[62:63], v[222:223], v[62:63]
	v_fma_f64 v[242:243], v[220:221], v[60:61], -v[62:63]
	scratch_load_dwordx4 v[60:63], off, off offset:624
	s_waitcnt vmcnt(12)
	v_mov_b64_e32 v[4:5], v[12:13]
	v_mul_f64 v[66:67], v[210:211], v[66:67]
	v_mov_b64_e32 v[6:7], v[14:15]
	v_fma_f64 v[244:245], v[208:209], v[64:65], -v[66:67]
	scratch_load_dwordx4 v[64:67], off, off offset:640
	v_mul_f64 v[112:113], v[108:109], v[6:7]
	v_fmac_f64_e32 v[112:113], v[110:111], v[4:5]
	v_add_f64 v[0:1], v[0:1], v[112:113]
	ds_read_b128 v[112:115], v2 offset:1280
	ds_read_b128 v[116:119], v2 offset:1296
	s_waitcnt vmcnt(12)
	v_mov_b64_e32 v[4:5], v[16:17]
	v_mul_f64 v[70:71], v[122:123], v[70:71]
	v_mov_b64_e32 v[6:7], v[18:19]
	v_fma_f64 v[246:247], v[120:121], v[68:69], -v[70:71]
	scratch_load_dwordx4 v[68:71], off, off offset:656
	v_mul_f64 v[74:75], v[130:131], v[74:75]
	s_waitcnt lgkmcnt(1)
	v_mul_f64 v[220:221], v[112:113], v[6:7]
	v_fma_f64 v[252:253], v[128:129], v[72:73], -v[74:75]
	scratch_load_dwordx4 v[72:75], off, off offset:672
	v_fmac_f64_e32 v[220:221], v[114:115], v[4:5]
	s_waitcnt vmcnt(13)
	v_mov_b64_e32 v[4:5], v[20:21]
	ds_read_b128 v[120:123], v2 offset:1312
	v_mul_f64 v[78:79], v[126:127], v[78:79]
	v_mov_b64_e32 v[6:7], v[22:23]
	v_fma_f64 v[254:255], v[124:125], v[76:77], -v[78:79]
	scratch_load_dwordx4 v[76:79], off, off offset:688
	s_waitcnt lgkmcnt(1)
	v_mul_f64 v[208:209], v[116:117], v[6:7]
	ds_read_b128 v[124:127], v2 offset:1328
	v_fmac_f64_e32 v[208:209], v[118:119], v[4:5]
	s_waitcnt vmcnt(13)
	v_mov_b64_e32 v[4:5], v[24:25]
	v_mul_f64 v[82:83], v[206:207], v[82:83]
	v_mov_b64_e32 v[6:7], v[26:27]
	v_fma_f64 v[248:249], v[204:205], v[80:81], -v[82:83]
	scratch_load_dwordx4 v[80:83], off, off offset:704
	v_add_f64 v[0:1], v[0:1], v[220:221]
	s_waitcnt lgkmcnt(1)
	v_mul_f64 v[128:129], v[120:121], v[6:7]
	v_add_f64 v[0:1], v[0:1], v[208:209]
	v_fmac_f64_e32 v[128:129], v[122:123], v[4:5]
	v_add_f64 v[0:1], v[0:1], v[128:129]
	s_waitcnt vmcnt(13) lgkmcnt(0)
	v_mul_f64 v[128:129], v[124:125], v[30:31]
	v_accvgpr_write_b32 a131, v27
	v_fmac_f64_e32 v[128:129], v[126:127], v[28:29]
	v_mul_f64 v[86:87], v[134:135], v[86:87]
	v_accvgpr_write_b32 a130, v26
	v_accvgpr_write_b32 a129, v25
	;; [unrolled: 1-line block ×3, first 2 shown]
	v_add_f64 v[0:1], v[0:1], v[128:129]
	v_fma_f64 v[24:25], v[132:133], v[84:85], -v[86:87]
	scratch_load_dwordx4 v[84:87], off, off offset:720
	ds_read_b128 v[132:135], v2 offset:1344
	ds_read_b128 v[128:131], v2 offset:1360
	v_accvgpr_write_b32 a127, v23
	v_mul_f64 v[6:7], v[226:227], v[94:95]
	v_accvgpr_write_b32 a123, v19
	v_accvgpr_write_b32 a126, v22
	;; [unrolled: 1-line block ×4, first 2 shown]
	v_fma_f64 v[20:21], v[224:225], v[92:93], -v[6:7]
	v_mul_f64 v[92:93], v[218:219], v[98:99]
	v_accvgpr_write_b32 a115, v11
	v_accvgpr_write_b32 a122, v18
	;; [unrolled: 1-line block ×4, first 2 shown]
	v_fma_f64 v[16:17], v[216:217], v[96:97], -v[92:93]
	scratch_load_dwordx4 v[96:99], off, off offset:736
	scratch_load_dwordx4 v[92:95], off, off offset:752
	v_accvgpr_write_b32 a114, v10
	v_accvgpr_write_b32 a113, v9
	;; [unrolled: 1-line block ×3, first 2 shown]
	s_waitcnt vmcnt(15) lgkmcnt(1)
	v_mul_f64 v[10:11], v[132:133], v[34:35]
	v_fmac_f64_e32 v[10:11], v[134:135], v[32:33]
	v_accvgpr_write_b32 a119, v15
	v_add_f64 v[0:1], v[0:1], v[10:11]
	v_mul_f64 v[10:11], v[198:199], v[102:103]
	v_accvgpr_write_b32 a118, v14
	v_accvgpr_write_b32 a117, v13
	;; [unrolled: 1-line block ×3, first 2 shown]
	v_fma_f64 v[12:13], v[196:197], v[100:101], -v[10:11]
	scratch_load_dwordx4 v[100:103], off, off offset:768
	v_mul_f64 v[138:139], v[142:143], v[138:139]
	v_fma_f64 v[10:11], v[140:141], v[136:137], -v[138:139]
	ds_read_b128 v[136:139], v2 offset:1376
	ds_read_b128 v[140:143], v2 offset:1392
	s_waitcnt vmcnt(15) lgkmcnt(2)
	v_mul_f64 v[14:15], v[128:129], v[38:39]
	v_fmac_f64_e32 v[14:15], v[130:131], v[36:37]
	v_add_f64 v[0:1], v[0:1], v[14:15]
	s_waitcnt vmcnt(14) lgkmcnt(1)
	v_mul_f64 v[14:15], v[136:137], v[42:43]
	v_fmac_f64_e32 v[14:15], v[138:139], v[40:41]
	v_add_f64 v[0:1], v[0:1], v[14:15]
	v_mul_f64 v[14:15], v[154:155], v[146:147]
	v_fma_f64 v[14:15], v[152:153], v[144:145], -v[14:15]
	ds_read_b128 v[144:147], v2 offset:1408
	s_waitcnt vmcnt(13) lgkmcnt(1)
	v_mul_f64 v[152:153], v[140:141], v[46:47]
	v_mul_f64 v[150:151], v[202:203], v[150:151]
	v_fmac_f64_e32 v[152:153], v[142:143], v[44:45]
	v_fma_f64 v[8:9], v[200:201], v[148:149], -v[150:151]
	ds_read_b128 v[148:151], v2 offset:1424
	s_waitcnt vmcnt(12) lgkmcnt(1)
	v_mul_f64 v[18:19], v[144:145], v[50:51]
	v_add_f64 v[0:1], v[0:1], v[152:153]
	v_fmac_f64_e32 v[18:19], v[146:147], v[48:49]
	v_add_f64 v[0:1], v[0:1], v[18:19]
	ds_read_b128 v[152:155], v2 offset:1440
	v_mul_f64 v[18:19], v[166:167], v[158:159]
	v_fma_f64 v[18:19], v[164:165], v[156:157], -v[18:19]
	ds_read_b128 v[156:159], v2 offset:1456
	v_mul_f64 v[162:163], v[214:215], v[162:163]
	s_waitcnt vmcnt(11) lgkmcnt(2)
	v_mul_f64 v[164:165], v[148:149], v[54:55]
	v_fma_f64 v[6:7], v[212:213], v[160:161], -v[162:163]
	ds_read_b128 v[160:163], v2 offset:1472
	v_fmac_f64_e32 v[164:165], v[150:151], v[52:53]
	v_add_f64 v[0:1], v[0:1], v[164:165]
	s_waitcnt vmcnt(10) lgkmcnt(2)
	v_mul_f64 v[164:165], v[152:153], v[58:59]
	v_fmac_f64_e32 v[164:165], v[154:155], v[56:57]
	s_waitcnt vmcnt(9) lgkmcnt(1)
	v_mul_f64 v[22:23], v[156:157], v[62:63]
	v_add_f64 v[0:1], v[0:1], v[164:165]
	v_fmac_f64_e32 v[22:23], v[158:159], v[60:61]
	v_add_f64 v[0:1], v[0:1], v[22:23]
	ds_read_b128 v[164:167], v2 offset:1488
	s_waitcnt vmcnt(8) lgkmcnt(1)
	v_mul_f64 v[22:23], v[160:161], v[66:67]
	v_fmac_f64_e32 v[22:23], v[162:163], v[64:65]
	v_add_f64 v[0:1], v[0:1], v[22:23]
	v_mul_f64 v[22:23], v[190:191], v[170:171]
	v_fma_f64 v[22:23], v[188:189], v[168:169], -v[22:23]
	ds_read_b128 v[168:171], v2 offset:1504
	v_mul_f64 v[174:175], v[178:179], v[174:175]
	v_fma_f64 v[4:5], v[176:177], v[172:173], -v[174:175]
	ds_read_b128 v[172:175], v2 offset:1520
	s_waitcnt vmcnt(7) lgkmcnt(2)
	v_mul_f64 v[188:189], v[164:165], v[70:71]
	v_fmac_f64_e32 v[188:189], v[166:167], v[68:69]
	s_waitcnt vmcnt(6) lgkmcnt(1)
	v_mul_f64 v[26:27], v[168:169], v[74:75]
	ds_read_b128 v[176:179], v2 offset:1536
	v_add_f64 v[0:1], v[0:1], v[188:189]
	v_fmac_f64_e32 v[26:27], v[170:171], v[72:73]
	v_add_f64 v[0:1], v[0:1], v[26:27]
	s_waitcnt vmcnt(5) lgkmcnt(1)
	v_mul_f64 v[26:27], v[172:173], v[78:79]
	v_fmac_f64_e32 v[26:27], v[174:175], v[76:77]
	v_add_f64 v[0:1], v[0:1], v[26:27]
	v_mul_f64 v[26:27], v[230:231], v[182:183]
	v_fma_f64 v[26:27], v[228:229], v[180:181], -v[26:27]
	ds_read_b128 v[180:183], v2 offset:1552
	s_waitcnt vmcnt(4) lgkmcnt(1)
	v_mul_f64 v[188:189], v[176:177], v[82:83]
	v_fmac_f64_e32 v[188:189], v[178:179], v[80:81]
	v_add_f64 v[196:197], v[0:1], v[188:189]
	v_mul_f64 v[0:1], v[234:235], v[186:187]
	v_fma_f64 v[0:1], v[232:233], v[184:185], -v[0:1]
	ds_read_b128 v[184:187], v2 offset:1568
	ds_read_b128 v[188:191], v2 offset:1584
	s_waitcnt vmcnt(3) lgkmcnt(2)
	v_mul_f64 v[198:199], v[180:181], v[86:87]
	v_mul_f64 v[194:195], v[238:239], v[194:195]
	v_fmac_f64_e32 v[198:199], v[182:183], v[84:85]
	v_fma_f64 v[250:251], v[236:237], v[192:193], -v[194:195]
	ds_read_b128 v[192:195], v2 offset:1600
	ds_read_b128 v[200:203], v2 offset:1616
	v_add_f64 v[196:197], v[196:197], v[198:199]
	s_waitcnt vmcnt(2) lgkmcnt(3)
	v_mul_f64 v[198:199], v[184:185], v[98:99]
	v_fmac_f64_e32 v[198:199], v[186:187], v[96:97]
	v_add_f64 v[196:197], v[196:197], v[198:199]
	s_waitcnt vmcnt(1) lgkmcnt(2)
	v_mul_f64 v[198:199], v[188:189], v[94:95]
	v_fmac_f64_e32 v[198:199], v[190:191], v[92:93]
	v_add_f64 v[196:197], v[196:197], v[198:199]
	scratch_load_dwordx4 v[232:235], off, off offset:848
	s_waitcnt vmcnt(1) lgkmcnt(1)
	v_mul_f64 v[198:199], v[192:193], v[102:103]
	v_fmac_f64_e32 v[198:199], v[194:195], v[100:101]
	v_add_f64 v[204:205], v[196:197], v[198:199]
	scratch_load_dwordx4 v[196:199], off, off offset:784
	ds_read_b128 v[208:211], v2 offset:1632
	ds_read_b128 v[216:219], v2 offset:1648
	;; [unrolled: 1-line block ×3, first 2 shown]
	s_waitcnt vmcnt(0) lgkmcnt(3)
	v_mul_f64 v[206:207], v[200:201], v[198:199]
	v_fmac_f64_e32 v[206:207], v[202:203], v[196:197]
	v_add_f64 v[212:213], v[204:205], v[206:207]
	scratch_load_dwordx4 v[204:207], off, off offset:800
	s_waitcnt vmcnt(0) lgkmcnt(2)
	v_mul_f64 v[214:215], v[208:209], v[206:207]
	v_fmac_f64_e32 v[214:215], v[210:211], v[204:205]
	v_add_f64 v[220:221], v[212:213], v[214:215]
	scratch_load_dwordx4 v[212:215], off, off offset:816
	;; [unrolled: 5-line block ×3, first 2 shown]
	s_waitcnt vmcnt(0) lgkmcnt(0)
	v_mul_f64 v[230:231], v[224:225], v[222:223]
	v_fmac_f64_e32 v[230:231], v[226:227], v[220:221]
	v_add_f64 v[236:237], v[228:229], v[230:231]
	ds_read_b128 v[228:231], v2 offset:1680
	s_waitcnt lgkmcnt(0)
	v_mul_f64 v[2:3], v[228:229], v[234:235]
	v_fmac_f64_e32 v[2:3], v[230:231], v[232:233]
	v_add_f64 v[2:3], v[236:237], v[2:3]
	v_add_f64 v[236:237], v[240:241], 0
	;; [unrolled: 1-line block ×9, first 2 shown]
	scratch_load_dwordx4 v[236:239], off, off offset:48
	v_add_f64 v[20:21], v[24:25], v[20:21]
	v_add_f64 v[16:17], v[20:21], v[16:17]
	;; [unrolled: 1-line block ×10, first 2 shown]
	v_accvgpr_read_b32 v6, a108
	v_accvgpr_read_b32 v8, a110
	;; [unrolled: 1-line block ×3, first 2 shown]
	v_add_f64 v[252:253], v[4:5], v[26:27]
	v_accvgpr_read_b32 v7, a109
	v_mul_f64 v[4:5], v[90:91], v[8:9]
	v_add_f64 v[0:1], v[252:253], v[0:1]
	v_fma_f64 v[4:5], v[88:89], v[6:7], -v[4:5]
	v_accvgpr_read_b32 v6, a112
	v_add_f64 v[0:1], v[0:1], v[250:251]
	v_accvgpr_read_b32 v8, a114
	v_accvgpr_read_b32 v9, a115
	v_add_f64 v[0:1], v[0:1], v[4:5]
	v_accvgpr_read_b32 v7, a113
	v_mul_f64 v[4:5], v[106:107], v[8:9]
	v_fma_f64 v[4:5], v[104:105], v[6:7], -v[4:5]
	v_accvgpr_read_b32 v6, a116
	v_accvgpr_read_b32 v8, a118
	v_accvgpr_read_b32 v9, a119
	v_add_f64 v[0:1], v[0:1], v[4:5]
	v_accvgpr_read_b32 v7, a117
	v_mul_f64 v[4:5], v[110:111], v[8:9]
	v_fma_f64 v[4:5], v[108:109], v[6:7], -v[4:5]
	v_accvgpr_read_b32 v6, a120
	;; [unrolled: 7-line block ×4, first 2 shown]
	v_accvgpr_read_b32 v8, a130
	v_accvgpr_read_b32 v9, a131
	v_add_f64 v[0:1], v[0:1], v[4:5]
	v_accvgpr_read_b32 v7, a129
	v_mul_f64 v[4:5], v[122:123], v[8:9]
	v_fma_f64 v[4:5], v[120:121], v[6:7], -v[4:5]
	v_add_f64 v[0:1], v[0:1], v[4:5]
	v_mul_f64 v[4:5], v[126:127], v[30:31]
	v_fma_f64 v[4:5], v[124:125], v[28:29], -v[4:5]
	v_add_f64 v[0:1], v[0:1], v[4:5]
	v_mul_f64 v[4:5], v[134:135], v[34:35]
	v_fma_f64 v[4:5], v[132:133], v[32:33], -v[4:5]
	v_add_f64 v[0:1], v[0:1], v[4:5]
	v_mul_f64 v[4:5], v[130:131], v[38:39]
	v_fma_f64 v[4:5], v[128:129], v[36:37], -v[4:5]
	v_add_f64 v[0:1], v[0:1], v[4:5]
	v_mul_f64 v[4:5], v[138:139], v[42:43]
	v_fma_f64 v[4:5], v[136:137], v[40:41], -v[4:5]
	v_add_f64 v[0:1], v[0:1], v[4:5]
	v_mul_f64 v[4:5], v[142:143], v[46:47]
	v_fma_f64 v[4:5], v[140:141], v[44:45], -v[4:5]
	v_add_f64 v[0:1], v[0:1], v[4:5]
	v_mul_f64 v[4:5], v[146:147], v[50:51]
	v_fma_f64 v[4:5], v[144:145], v[48:49], -v[4:5]
	v_add_f64 v[0:1], v[0:1], v[4:5]
	v_mul_f64 v[4:5], v[150:151], v[54:55]
	v_fma_f64 v[4:5], v[148:149], v[52:53], -v[4:5]
	v_add_f64 v[0:1], v[0:1], v[4:5]
	v_mul_f64 v[4:5], v[154:155], v[58:59]
	v_fma_f64 v[4:5], v[152:153], v[56:57], -v[4:5]
	v_add_f64 v[0:1], v[0:1], v[4:5]
	v_mul_f64 v[4:5], v[158:159], v[62:63]
	v_fma_f64 v[4:5], v[156:157], v[60:61], -v[4:5]
	v_add_f64 v[0:1], v[0:1], v[4:5]
	v_mul_f64 v[4:5], v[162:163], v[66:67]
	v_fma_f64 v[4:5], v[160:161], v[64:65], -v[4:5]
	v_add_f64 v[0:1], v[0:1], v[4:5]
	v_mul_f64 v[4:5], v[166:167], v[70:71]
	v_fma_f64 v[4:5], v[164:165], v[68:69], -v[4:5]
	v_add_f64 v[0:1], v[0:1], v[4:5]
	v_mul_f64 v[4:5], v[170:171], v[74:75]
	v_fma_f64 v[4:5], v[168:169], v[72:73], -v[4:5]
	v_add_f64 v[0:1], v[0:1], v[4:5]
	v_mul_f64 v[4:5], v[174:175], v[78:79]
	v_fma_f64 v[4:5], v[172:173], v[76:77], -v[4:5]
	v_add_f64 v[0:1], v[0:1], v[4:5]
	v_mul_f64 v[4:5], v[178:179], v[82:83]
	v_fma_f64 v[4:5], v[176:177], v[80:81], -v[4:5]
	v_add_f64 v[0:1], v[0:1], v[4:5]
	v_mul_f64 v[4:5], v[182:183], v[86:87]
	v_fma_f64 v[4:5], v[180:181], v[84:85], -v[4:5]
	v_add_f64 v[0:1], v[0:1], v[4:5]
	v_mul_f64 v[4:5], v[186:187], v[98:99]
	v_fma_f64 v[4:5], v[184:185], v[96:97], -v[4:5]
	v_add_f64 v[0:1], v[0:1], v[4:5]
	v_mul_f64 v[4:5], v[190:191], v[94:95]
	v_fma_f64 v[4:5], v[188:189], v[92:93], -v[4:5]
	v_add_f64 v[0:1], v[0:1], v[4:5]
	v_mul_f64 v[4:5], v[194:195], v[102:103]
	v_fma_f64 v[4:5], v[192:193], v[100:101], -v[4:5]
	v_add_f64 v[0:1], v[0:1], v[4:5]
	v_mul_f64 v[4:5], v[202:203], v[198:199]
	v_fma_f64 v[4:5], v[200:201], v[196:197], -v[4:5]
	v_add_f64 v[0:1], v[0:1], v[4:5]
	v_mul_f64 v[4:5], v[210:211], v[206:207]
	v_fma_f64 v[4:5], v[208:209], v[204:205], -v[4:5]
	v_add_f64 v[0:1], v[0:1], v[4:5]
	v_mul_f64 v[4:5], v[218:219], v[214:215]
	v_fma_f64 v[4:5], v[216:217], v[212:213], -v[4:5]
	v_add_f64 v[0:1], v[0:1], v[4:5]
	v_mul_f64 v[4:5], v[226:227], v[222:223]
	v_fma_f64 v[4:5], v[224:225], v[220:221], -v[4:5]
	v_add_f64 v[0:1], v[0:1], v[4:5]
	v_mul_f64 v[4:5], v[230:231], v[234:235]
	v_fma_f64 v[4:5], v[228:229], v[232:233], -v[4:5]
	v_add_f64 v[0:1], v[0:1], v[4:5]
	s_waitcnt vmcnt(0)
	v_add_f64 v[4:5], v[236:237], -v[0:1]
	v_accvgpr_read_b32 v0, a106
	v_add_f64 v[6:7], v[238:239], -v[2:3]
	v_cmp_lt_u32_e32 vcc, 1, v0
	scratch_store_dwordx4 off, v[4:7], off offset:48
	s_and_saveexec_b64 s[0:1], vcc
	s_cbranch_execz .LBB116_329
; %bb.328:
	scratch_load_dwordx4 v[2:5], off, s68
	v_mov_b32_e32 v6, 0
	v_mov_b32_e32 v7, v6
	;; [unrolled: 1-line block ×4, first 2 shown]
	v_accvgpr_read_b32 v0, a107
	scratch_store_dwordx4 off, v[6:9], off offset:32
	s_waitcnt vmcnt(1)
	ds_write_b128 v0, v[2:5]
.LBB116_329:
	s_or_b64 exec, exec, s[0:1]
	s_waitcnt lgkmcnt(0)
	; wave barrier
	scratch_load_dwordx4 v[48:51], off, off offset:48
	scratch_load_dwordx4 v[52:55], off, off offset:64
	;; [unrolled: 1-line block ×28, first 2 shown]
	v_mov_b32_e32 v2, 0
	ds_read_b128 v[104:107], v2 offset:880
	ds_read_b128 v[112:115], v2 offset:896
	;; [unrolled: 1-line block ×18, first 2 shown]
	scratch_load_dwordx4 a[108:111], off, off offset:496
	scratch_load_dwordx4 a[112:115], off, off offset:512
	ds_read_b128 v[220:223], v2 offset:1168
	ds_read_b128 v[224:227], v2 offset:1184
	;; [unrolled: 1-line block ×4, first 2 shown]
	scratch_load_dwordx4 v[234:237], off, off offset:528
	ds_read_b128 v[252:255], v2 offset:1232
	s_waitcnt vmcnt(30) lgkmcnt(14)
	v_mul_f64 v[0:1], v[104:105], v[50:51]
	s_waitcnt vmcnt(29)
	v_mul_f64 v[24:25], v[112:113], v[54:55]
	v_fmac_f64_e32 v[0:1], v[106:107], v[48:49]
	s_waitcnt vmcnt(28)
	v_mul_f64 v[26:27], v[116:117], v[58:59]
	v_fmac_f64_e32 v[24:25], v[114:115], v[52:53]
	v_add_f64 v[0:1], v[0:1], 0
	s_waitcnt vmcnt(27)
	v_mul_f64 v[28:29], v[120:121], v[62:63]
	v_fmac_f64_e32 v[26:27], v[118:119], v[56:57]
	v_add_f64 v[0:1], v[0:1], v[24:25]
	;; [unrolled: 4-line block ×7, first 2 shown]
	s_waitcnt vmcnt(21) lgkmcnt(13)
	v_mul_f64 v[40:41], v[172:173], v[86:87]
	v_fmac_f64_e32 v[38:39], v[162:163], v[80:81]
	v_add_f64 v[0:1], v[0:1], v[36:37]
	s_waitcnt vmcnt(20) lgkmcnt(12)
	v_mul_f64 v[42:43], v[184:185], v[94:95]
	v_fmac_f64_e32 v[40:41], v[174:175], v[84:85]
	v_add_f64 v[0:1], v[0:1], v[38:39]
	s_waitcnt vmcnt(19) lgkmcnt(11)
	v_mul_f64 v[44:45], v[192:193], v[102:103]
	v_fmac_f64_e32 v[42:43], v[186:187], v[92:93]
	v_add_f64 v[0:1], v[0:1], v[40:41]
	s_waitcnt vmcnt(18) lgkmcnt(10)
	v_mul_f64 v[46:47], v[196:197], v[110:111]
	v_fmac_f64_e32 v[44:45], v[194:195], v[100:101]
	v_add_f64 v[0:1], v[0:1], v[42:43]
	s_waitcnt vmcnt(17) lgkmcnt(9)
	v_mul_f64 v[88:89], v[200:201], v[138:139]
	v_fmac_f64_e32 v[46:47], v[198:199], v[108:109]
	v_add_f64 v[0:1], v[0:1], v[44:45]
	s_waitcnt vmcnt(16) lgkmcnt(8)
	v_mul_f64 v[90:91], v[204:205], v[142:143]
	v_fmac_f64_e32 v[88:89], v[202:203], v[136:137]
	v_add_f64 v[0:1], v[0:1], v[46:47]
	s_waitcnt vmcnt(15) lgkmcnt(7)
	v_mul_f64 v[96:97], v[208:209], v[146:147]
	v_fmac_f64_e32 v[90:91], v[206:207], v[140:141]
	v_add_f64 v[0:1], v[0:1], v[88:89]
	s_waitcnt vmcnt(14) lgkmcnt(6)
	v_mul_f64 v[98:99], v[212:213], v[154:155]
	v_fmac_f64_e32 v[96:97], v[210:211], v[144:145]
	v_add_f64 v[0:1], v[0:1], v[90:91]
	v_add_f64 v[0:1], v[0:1], v[96:97]
	v_fmac_f64_e32 v[98:99], v[214:215], v[152:153]
	s_waitcnt vmcnt(13) lgkmcnt(5)
	v_mul_f64 v[32:33], v[216:217], v[158:159]
	v_add_f64 v[0:1], v[0:1], v[98:99]
	v_fmac_f64_e32 v[32:33], v[218:219], v[156:157]
	v_add_f64 v[0:1], v[0:1], v[32:33]
	s_waitcnt vmcnt(12) lgkmcnt(4)
	v_mul_f64 v[32:33], v[220:221], v[166:167]
	v_fmac_f64_e32 v[32:33], v[222:223], v[164:165]
	s_waitcnt vmcnt(11) lgkmcnt(3)
	v_mul_f64 v[36:37], v[224:225], v[170:171]
	v_add_f64 v[0:1], v[0:1], v[32:33]
	v_fmac_f64_e32 v[36:37], v[226:227], v[168:169]
	v_add_f64 v[0:1], v[0:1], v[36:37]
	s_waitcnt vmcnt(10) lgkmcnt(2)
	v_mul_f64 v[36:37], v[228:229], v[178:179]
	v_fmac_f64_e32 v[36:37], v[230:231], v[176:177]
	v_add_f64 v[0:1], v[0:1], v[36:37]
	scratch_load_dwordx4 v[36:39], off, off offset:544
	s_waitcnt vmcnt(10) lgkmcnt(1)
	v_mul_f64 v[40:41], v[248:249], v[182:183]
	v_fmac_f64_e32 v[40:41], v[250:251], v[180:181]
	v_add_f64 v[0:1], v[0:1], v[40:41]
	scratch_load_dwordx4 v[40:43], off, off offset:560
	ds_read_b128 v[88:91], v2 offset:1248
	s_waitcnt vmcnt(10) lgkmcnt(1)
	v_mul_f64 v[44:45], v[252:253], v[190:191]
	v_fmac_f64_e32 v[44:45], v[254:255], v[188:189]
	v_add_f64 v[0:1], v[0:1], v[44:45]
	scratch_load_dwordx4 v[44:47], off, off offset:576
	v_mul_f64 v[50:51], v[106:107], v[50:51]
	v_fma_f64 v[240:241], v[104:105], v[48:49], -v[50:51]
	scratch_load_dwordx4 v[48:51], off, off offset:592
	s_waitcnt vmcnt(11) lgkmcnt(0)
	v_mul_f64 v[96:97], v[88:89], v[6:7]
	v_mul_f64 v[54:55], v[114:115], v[54:55]
	v_fmac_f64_e32 v[96:97], v[90:91], v[4:5]
	v_fma_f64 v[242:243], v[112:113], v[52:53], -v[54:55]
	scratch_load_dwordx4 v[52:55], off, off offset:608
	v_add_f64 v[0:1], v[0:1], v[96:97]
	ds_read_b128 v[96:99], v2 offset:1264
	ds_read_b128 v[104:107], v2 offset:1280
	v_accvgpr_write_b32 a119, v7
	v_accvgpr_write_b32 a118, v6
	;; [unrolled: 1-line block ×4, first 2 shown]
	s_waitcnt vmcnt(11)
	v_mov_b64_e32 v[4:5], v[8:9]
	v_mov_b64_e32 v[6:7], v[10:11]
	v_mul_f64 v[58:59], v[118:119], v[58:59]
	s_waitcnt lgkmcnt(1)
	v_mul_f64 v[112:113], v[96:97], v[6:7]
	v_fma_f64 v[244:245], v[116:117], v[56:57], -v[58:59]
	scratch_load_dwordx4 v[56:59], off, off offset:624
	v_fmac_f64_e32 v[112:113], v[98:99], v[4:5]
	s_waitcnt vmcnt(11)
	v_mov_b64_e32 v[4:5], v[12:13]
	v_mul_f64 v[62:63], v[122:123], v[62:63]
	v_mov_b64_e32 v[6:7], v[14:15]
	v_fma_f64 v[246:247], v[120:121], v[60:61], -v[62:63]
	scratch_load_dwordx4 v[60:63], off, off offset:640
	v_add_f64 v[0:1], v[0:1], v[112:113]
	s_waitcnt lgkmcnt(0)
	v_mul_f64 v[112:113], v[104:105], v[6:7]
	v_fmac_f64_e32 v[112:113], v[106:107], v[4:5]
	v_mul_f64 v[66:67], v[126:127], v[66:67]
	v_add_f64 v[0:1], v[0:1], v[112:113]
	ds_read_b128 v[112:115], v2 offset:1296
	ds_read_b128 v[116:119], v2 offset:1312
	v_fma_f64 v[232:233], v[124:125], v[64:65], -v[66:67]
	scratch_load_dwordx4 v[64:67], off, off offset:656
	v_accvgpr_write_b32 a123, v11
	v_accvgpr_write_b32 a122, v10
	;; [unrolled: 1-line block ×4, first 2 shown]
	s_waitcnt vmcnt(12)
	v_mov_b64_e32 v[8:9], v[16:17]
	v_mov_b64_e32 v[10:11], v[18:19]
	v_mul_f64 v[70:71], v[130:131], v[70:71]
	s_waitcnt lgkmcnt(1)
	v_mul_f64 v[6:7], v[112:113], v[10:11]
	v_fma_f64 v[32:33], v[128:129], v[68:69], -v[70:71]
	scratch_load_dwordx4 v[68:71], off, off offset:672
	v_fmac_f64_e32 v[6:7], v[114:115], v[8:9]
	v_add_f64 v[0:1], v[0:1], v[6:7]
	v_mul_f64 v[6:7], v[134:135], v[74:75]
	v_fma_f64 v[28:29], v[132:133], v[72:73], -v[6:7]
	s_waitcnt vmcnt(12)
	v_mov_b64_e32 v[8:9], v[20:21]
	scratch_load_dwordx4 v[72:75], off, off offset:688
	v_mov_b64_e32 v[10:11], v[22:23]
	s_waitcnt lgkmcnt(0)
	v_mul_f64 v[6:7], v[116:117], v[10:11]
	v_fmac_f64_e32 v[6:7], v[118:119], v[8:9]
	v_add_f64 v[0:1], v[0:1], v[6:7]
	v_mul_f64 v[6:7], v[150:151], v[78:79]
	v_fma_f64 v[24:25], v[148:149], v[76:77], -v[6:7]
	scratch_load_dwordx4 v[76:79], off, off offset:704
	ds_read_b128 v[124:127], v2 offset:1328
	ds_read_b128 v[120:123], v2 offset:1344
	v_accvgpr_write_b32 a135, v23
	v_mul_f64 v[6:7], v[162:163], v[82:83]
	v_accvgpr_write_b32 a131, v19
	v_accvgpr_write_b32 a134, v22
	;; [unrolled: 1-line block ×4, first 2 shown]
	v_fma_f64 v[20:21], v[160:161], v[80:81], -v[6:7]
	v_mul_f64 v[6:7], v[174:175], v[86:87]
	s_waitcnt vmcnt(13)
	v_accvgpr_read_b32 v8, a108
	v_accvgpr_write_b32 a130, v18
	v_accvgpr_write_b32 a129, v17
	;; [unrolled: 1-line block ×3, first 2 shown]
	v_fma_f64 v[16:17], v[172:173], v[84:85], -v[6:7]
	scratch_load_dwordx4 v[84:87], off, off offset:720
	scratch_load_dwordx4 v[80:83], off, off offset:736
	v_accvgpr_read_b32 v10, a110
	v_accvgpr_read_b32 v11, a111
	;; [unrolled: 1-line block ×3, first 2 shown]
	s_waitcnt lgkmcnt(1)
	v_mul_f64 v[6:7], v[124:125], v[10:11]
	v_fmac_f64_e32 v[6:7], v[126:127], v[8:9]
	s_waitcnt vmcnt(14)
	v_accvgpr_read_b32 v8, a112
	v_accvgpr_read_b32 v10, a114
	;; [unrolled: 1-line block ×3, first 2 shown]
	v_add_f64 v[0:1], v[0:1], v[6:7]
	v_accvgpr_read_b32 v9, a113
	s_waitcnt lgkmcnt(0)
	v_mul_f64 v[6:7], v[120:121], v[10:11]
	v_fmac_f64_e32 v[6:7], v[122:123], v[8:9]
	v_accvgpr_write_b32 a127, v15
	v_add_f64 v[0:1], v[0:1], v[6:7]
	v_mul_f64 v[6:7], v[186:187], v[94:95]
	v_accvgpr_write_b32 a126, v14
	v_accvgpr_write_b32 a125, v13
	;; [unrolled: 1-line block ×3, first 2 shown]
	v_fma_f64 v[14:15], v[184:185], v[92:93], -v[6:7]
	scratch_load_dwordx4 v[92:95], off, off offset:752
	v_mul_f64 v[6:7], v[194:195], v[102:103]
	v_fma_f64 v[18:19], v[192:193], v[100:101], -v[6:7]
	scratch_load_dwordx4 v[100:103], off, off offset:768
	v_mul_f64 v[6:7], v[198:199], v[110:111]
	v_fma_f64 v[12:13], v[196:197], v[108:109], -v[6:7]
	scratch_load_dwordx4 v[108:111], off, off offset:784
	ds_read_b128 v[128:131], v2 offset:1360
	ds_read_b128 v[132:135], v2 offset:1376
	;; [unrolled: 1-line block ×5, first 2 shown]
	s_waitcnt vmcnt(16) lgkmcnt(4)
	v_mul_f64 v[6:7], v[128:129], v[236:237]
	v_fmac_f64_e32 v[6:7], v[130:131], v[234:235]
	v_add_f64 v[0:1], v[0:1], v[6:7]
	v_mul_f64 v[6:7], v[202:203], v[138:139]
	v_fma_f64 v[22:23], v[200:201], v[136:137], -v[6:7]
	ds_read_b128 v[136:139], v2 offset:1392
	s_waitcnt vmcnt(15) lgkmcnt(4)
	v_mul_f64 v[6:7], v[132:133], v[38:39]
	v_fmac_f64_e32 v[6:7], v[134:135], v[36:37]
	v_add_f64 v[0:1], v[0:1], v[6:7]
	v_mul_f64 v[6:7], v[206:207], v[142:143]
	v_fma_f64 v[10:11], v[204:205], v[140:141], -v[6:7]
	ds_read_b128 v[140:143], v2 offset:1408
	;; [unrolled: 7-line block ×3, first 2 shown]
	s_waitcnt vmcnt(13) lgkmcnt(1)
	v_mul_f64 v[6:7], v[140:141], v[46:47]
	v_fmac_f64_e32 v[6:7], v[142:143], v[44:45]
	v_add_f64 v[0:1], v[0:1], v[6:7]
	v_mul_f64 v[182:183], v[250:251], v[182:183]
	s_waitcnt vmcnt(12) lgkmcnt(0)
	v_mul_f64 v[6:7], v[144:145], v[50:51]
	v_fmac_f64_e32 v[6:7], v[146:147], v[48:49]
	v_add_f64 v[0:1], v[0:1], v[6:7]
	v_mul_f64 v[6:7], v[214:215], v[154:155]
	v_fma_f64 v[8:9], v[212:213], v[152:153], -v[6:7]
	s_waitcnt vmcnt(11)
	v_mul_f64 v[6:7], v[148:149], v[54:55]
	v_fmac_f64_e32 v[6:7], v[150:151], v[52:53]
	ds_read_b128 v[152:155], v2 offset:1456
	v_add_f64 v[0:1], v[0:1], v[6:7]
	v_mul_f64 v[6:7], v[218:219], v[158:159]
	v_fma_f64 v[30:31], v[216:217], v[156:157], -v[6:7]
	ds_read_b128 v[156:159], v2 offset:1472
	s_waitcnt vmcnt(10) lgkmcnt(1)
	v_mul_f64 v[6:7], v[152:153], v[58:59]
	v_fmac_f64_e32 v[6:7], v[154:155], v[56:57]
	v_add_f64 v[0:1], v[0:1], v[6:7]
	s_waitcnt vmcnt(5)
	v_mul_f64 v[184:185], v[172:173], v[78:79]
	s_waitcnt lgkmcnt(0)
	v_mul_f64 v[6:7], v[156:157], v[62:63]
	v_fmac_f64_e32 v[6:7], v[158:159], v[60:61]
	v_add_f64 v[0:1], v[0:1], v[6:7]
	v_mul_f64 v[6:7], v[222:223], v[166:167]
	v_fma_f64 v[4:5], v[220:221], v[164:165], -v[6:7]
	ds_read_b128 v[164:167], v2 offset:1504
	v_mul_f64 v[6:7], v[160:161], v[66:67]
	v_fmac_f64_e32 v[6:7], v[162:163], v[64:65]
	v_add_f64 v[0:1], v[0:1], v[6:7]
	v_mul_f64 v[6:7], v[226:227], v[170:171]
	v_fma_f64 v[6:7], v[224:225], v[168:169], -v[6:7]
	ds_read_b128 v[168:171], v2 offset:1520
	s_waitcnt lgkmcnt(1)
	v_mul_f64 v[34:35], v[164:165], v[70:71]
	v_fmac_f64_e32 v[34:35], v[166:167], v[68:69]
	v_add_f64 v[0:1], v[0:1], v[34:35]
	v_fmac_f64_e32 v[184:185], v[174:175], v[76:77]
	s_waitcnt lgkmcnt(0)
	v_mul_f64 v[34:35], v[168:169], v[74:75]
	v_fmac_f64_e32 v[34:35], v[170:171], v[72:73]
	v_add_f64 v[34:35], v[0:1], v[34:35]
	v_mul_f64 v[0:1], v[230:231], v[178:179]
	v_fma_f64 v[0:1], v[228:229], v[176:177], -v[0:1]
	ds_read_b128 v[176:179], v2 offset:1552
	v_fma_f64 v[238:239], v[248:249], v[180:181], -v[182:183]
	ds_read_b128 v[180:183], v2 offset:1568
	v_add_f64 v[34:35], v[34:35], v[184:185]
	v_mul_f64 v[190:191], v[254:255], v[190:191]
	s_waitcnt vmcnt(4) lgkmcnt(1)
	v_mul_f64 v[184:185], v[176:177], v[86:87]
	v_fmac_f64_e32 v[184:185], v[178:179], v[84:85]
	v_add_f64 v[34:35], v[34:35], v[184:185]
	ds_read_b128 v[184:187], v2 offset:1584
	v_fma_f64 v[248:249], v[252:253], v[188:189], -v[190:191]
	ds_read_b128 v[188:191], v2 offset:1600
	s_waitcnt vmcnt(3) lgkmcnt(2)
	v_mul_f64 v[192:193], v[180:181], v[82:83]
	v_fmac_f64_e32 v[192:193], v[182:183], v[80:81]
	v_add_f64 v[34:35], v[34:35], v[192:193]
	s_waitcnt vmcnt(2) lgkmcnt(1)
	v_mul_f64 v[192:193], v[184:185], v[94:95]
	v_fmac_f64_e32 v[192:193], v[186:187], v[92:93]
	v_add_f64 v[34:35], v[34:35], v[192:193]
	;; [unrolled: 4-line block ×3, first 2 shown]
	ds_read_b128 v[192:195], v2 offset:1616
	ds_read_b128 v[200:203], v2 offset:1632
	;; [unrolled: 1-line block ×5, first 2 shown]
	s_waitcnt vmcnt(0) lgkmcnt(4)
	v_mul_f64 v[196:197], v[192:193], v[110:111]
	v_fmac_f64_e32 v[196:197], v[194:195], v[108:109]
	v_add_f64 v[34:35], v[34:35], v[196:197]
	scratch_load_dwordx4 v[196:199], off, off offset:800
	s_waitcnt vmcnt(0) lgkmcnt(3)
	v_mul_f64 v[204:205], v[200:201], v[198:199]
	v_fmac_f64_e32 v[204:205], v[202:203], v[196:197]
	v_add_f64 v[34:35], v[34:35], v[204:205]
	scratch_load_dwordx4 v[204:207], off, off offset:816
	;; [unrolled: 5-line block ×4, first 2 shown]
	s_waitcnt vmcnt(0) lgkmcnt(0)
	v_mul_f64 v[228:229], v[224:225], v[222:223]
	v_fmac_f64_e32 v[228:229], v[226:227], v[220:221]
	v_add_f64 v[252:253], v[34:35], v[228:229]
	v_add_f64 v[34:35], v[240:241], 0
	;; [unrolled: 1-line block ×6, first 2 shown]
	scratch_load_dwordx4 v[228:231], off, off offset:32
	v_add_f64 v[32:33], v[34:35], v[32:33]
	v_add_f64 v[28:29], v[32:33], v[28:29]
	;; [unrolled: 1-line block ×15, first 2 shown]
	v_accvgpr_read_b32 v6, a116
	v_accvgpr_read_b32 v8, a118
	;; [unrolled: 1-line block ×3, first 2 shown]
	v_add_f64 v[0:1], v[4:5], v[0:1]
	v_accvgpr_read_b32 v7, a117
	v_mul_f64 v[4:5], v[90:91], v[8:9]
	v_add_f64 v[0:1], v[0:1], v[238:239]
	v_fma_f64 v[4:5], v[88:89], v[6:7], -v[4:5]
	v_accvgpr_read_b32 v6, a120
	v_add_f64 v[0:1], v[0:1], v[248:249]
	v_accvgpr_read_b32 v8, a122
	v_accvgpr_read_b32 v9, a123
	v_add_f64 v[0:1], v[0:1], v[4:5]
	v_accvgpr_read_b32 v7, a121
	v_mul_f64 v[4:5], v[98:99], v[8:9]
	v_fma_f64 v[4:5], v[96:97], v[6:7], -v[4:5]
	v_accvgpr_read_b32 v6, a124
	v_accvgpr_read_b32 v8, a126
	v_accvgpr_read_b32 v9, a127
	v_add_f64 v[0:1], v[0:1], v[4:5]
	v_accvgpr_read_b32 v7, a125
	v_mul_f64 v[4:5], v[106:107], v[8:9]
	v_fma_f64 v[4:5], v[104:105], v[6:7], -v[4:5]
	v_accvgpr_read_b32 v6, a128
	;; [unrolled: 7-line block ×5, first 2 shown]
	v_accvgpr_read_b32 v8, a114
	v_accvgpr_read_b32 v9, a115
	v_add_f64 v[0:1], v[0:1], v[4:5]
	v_accvgpr_read_b32 v7, a113
	v_mul_f64 v[4:5], v[122:123], v[8:9]
	v_fma_f64 v[4:5], v[120:121], v[6:7], -v[4:5]
	v_add_f64 v[0:1], v[0:1], v[4:5]
	v_mul_f64 v[4:5], v[130:131], v[236:237]
	v_fma_f64 v[4:5], v[128:129], v[234:235], -v[4:5]
	v_add_f64 v[0:1], v[0:1], v[4:5]
	;; [unrolled: 3-line block ×22, first 2 shown]
	s_waitcnt vmcnt(0)
	v_add_f64 v[4:5], v[228:229], -v[0:1]
	v_accvgpr_read_b32 v0, a106
	v_add_f64 v[6:7], v[230:231], -v[252:253]
	v_cmp_ne_u32_e32 vcc, 0, v0
	scratch_store_dwordx4 off, v[4:7], off offset:32
	s_and_saveexec_b64 s[0:1], vcc
	s_cbranch_execz .LBB116_331
; %bb.330:
	scratch_load_dwordx4 v[6:9], off, off offset:16
	v_mov_b32_e32 v3, v2
	v_mov_b32_e32 v4, v2
	;; [unrolled: 1-line block ×3, first 2 shown]
	v_accvgpr_read_b32 v0, a107
	scratch_store_dwordx4 off, v[2:5], off offset:16
	s_waitcnt vmcnt(1)
	ds_write_b128 v0, v[6:9]
.LBB116_331:
	s_or_b64 exec, exec, s[0:1]
	s_waitcnt lgkmcnt(0)
	; wave barrier
	scratch_load_dwordx4 v[48:51], off, off offset:32
	scratch_load_dwordx4 v[52:55], off, off offset:48
	;; [unrolled: 1-line block ×17, first 2 shown]
	ds_read_b128 v[100:103], v2 offset:864
	ds_read_b128 v[116:119], v2 offset:880
	ds_read_b128 v[112:115], v2 offset:896
	scratch_load_dwordx4 v[156:159], off, off offset:304
	ds_read_b128 v[192:195], v2 offset:912
	ds_read_b128 v[124:127], v2 offset:928
	;; [unrolled: 1-line block ×3, first 2 shown]
	scratch_load_dwordx4 v[164:167], off, off offset:320
	ds_read_b128 v[196:199], v2 offset:960
	ds_read_b128 v[128:131], v2 offset:976
	scratch_load_dwordx4 v[168:171], off, off offset:336
	ds_read_b128 v[212:215], v2 offset:992
	ds_read_b128 v[200:203], v2 offset:1008
	;; [unrolled: 1-line block ×5, first 2 shown]
	scratch_load_dwordx4 v[176:179], off, off offset:352
	ds_read_b128 v[208:211], v2 offset:1072
	ds_read_b128 v[184:187], v2 offset:1088
	scratch_load_dwordx4 v[180:183], off, off offset:368
	ds_read_b128 v[216:219], v2 offset:1104
	ds_read_b128 v[204:207], v2 offset:1120
	;; [unrolled: 1-line block ×3, first 2 shown]
	scratch_load_dwordx4 v[188:191], off, off offset:384
	scratch_load_dwordx4 v[4:7], off, off offset:400
	;; [unrolled: 1-line block ×9, first 2 shown]
	ds_read_b128 v[228:231], v2 offset:1184
	ds_read_b128 v[232:235], v2 offset:1200
	;; [unrolled: 1-line block ×3, first 2 shown]
	s_and_b64 vcc, exec, s[10:11]
	ds_read_b128 v[224:227], v2 offset:1168
	s_waitcnt vmcnt(30) lgkmcnt(14)
	v_mul_f64 v[0:1], v[100:101], v[50:51]
	s_waitcnt vmcnt(29)
	v_mul_f64 v[28:29], v[116:117], v[54:55]
	v_fmac_f64_e32 v[0:1], v[102:103], v[48:49]
	s_waitcnt vmcnt(28)
	v_mul_f64 v[30:31], v[112:113], v[58:59]
	v_fmac_f64_e32 v[28:29], v[118:119], v[52:53]
	v_add_f64 v[0:1], v[0:1], 0
	s_waitcnt vmcnt(27)
	v_mul_f64 v[32:33], v[192:193], v[62:63]
	v_fmac_f64_e32 v[30:31], v[114:115], v[56:57]
	v_add_f64 v[0:1], v[0:1], v[28:29]
	;; [unrolled: 4-line block ×6, first 2 shown]
	s_waitcnt vmcnt(22) lgkmcnt(13)
	v_mul_f64 v[42:43], v[212:213], v[90:91]
	v_fmac_f64_e32 v[40:41], v[130:131], v[80:81]
	v_add_f64 v[0:1], v[0:1], v[38:39]
	s_waitcnt vmcnt(21) lgkmcnt(12)
	v_mul_f64 v[44:45], v[200:201], v[94:95]
	v_fmac_f64_e32 v[42:43], v[214:215], v[88:89]
	v_add_f64 v[0:1], v[0:1], v[40:41]
	;; [unrolled: 4-line block ×9, first 2 shown]
	v_add_f64 v[0:1], v[0:1], v[220:221]
	v_fmac_f64_e32 v[222:223], v[206:207], v[152:153]
	v_add_f64 v[0:1], v[0:1], v[222:223]
	ds_read_b128 v[220:223], v2 offset:1152
	s_waitcnt vmcnt(13) lgkmcnt(5)
	v_mul_f64 v[32:33], v[160:161], v[158:159]
	v_fmac_f64_e32 v[32:33], v[162:163], v[156:157]
	v_add_f64 v[0:1], v[0:1], v[32:33]
	s_waitcnt vmcnt(11) lgkmcnt(1)
	v_mul_f64 v[36:37], v[224:225], v[170:171]
	s_waitcnt lgkmcnt(0)
	v_mul_f64 v[32:33], v[220:221], v[166:167]
	v_fmac_f64_e32 v[32:33], v[222:223], v[164:165]
	v_add_f64 v[0:1], v[0:1], v[32:33]
	v_fmac_f64_e32 v[36:37], v[226:227], v[168:169]
	v_add_f64 v[0:1], v[0:1], v[36:37]
	s_waitcnt vmcnt(10)
	v_mul_f64 v[36:37], v[228:229], v[178:179]
	v_fmac_f64_e32 v[36:37], v[230:231], v[176:177]
	v_add_f64 v[0:1], v[0:1], v[36:37]
	s_waitcnt vmcnt(9)
	v_mul_f64 v[36:37], v[232:233], v[182:183]
	v_fmac_f64_e32 v[36:37], v[234:235], v[180:181]
	v_add_f64 v[0:1], v[0:1], v[36:37]
	scratch_load_dwordx4 v[36:39], off, off offset:528
	ds_read_b128 v[76:79], v2 offset:1232
	s_waitcnt vmcnt(9)
	v_mul_f64 v[40:41], v[248:249], v[190:191]
	v_fmac_f64_e32 v[40:41], v[250:251], v[188:189]
	v_add_f64 v[0:1], v[0:1], v[40:41]
	scratch_load_dwordx4 v[40:43], off, off offset:544
	s_waitcnt vmcnt(9) lgkmcnt(0)
	v_mul_f64 v[44:45], v[76:77], v[6:7]
	v_fmac_f64_e32 v[44:45], v[78:79], v[4:5]
	v_add_f64 v[0:1], v[0:1], v[44:45]
	scratch_load_dwordx4 v[44:47], off, off offset:560
	v_mul_f64 v[50:51], v[102:103], v[50:51]
	v_fma_f64 v[240:241], v[100:101], v[48:49], -v[50:51]
	v_mul_f64 v[48:49], v[118:119], v[54:55]
	ds_read_b128 v[84:87], v2 offset:1248
	ds_read_b128 v[100:103], v2 offset:1264
	v_fma_f64 v[242:243], v[116:117], v[52:53], -v[48:49]
	scratch_load_dwordx4 v[48:51], off, off offset:576
	v_accvgpr_write_b32 a121, v7
	v_accvgpr_write_b32 a120, v6
	;; [unrolled: 1-line block ×4, first 2 shown]
	s_waitcnt vmcnt(10)
	v_mov_b64_e32 v[4:5], v[8:9]
	scratch_load_dwordx4 v[52:55], off, off offset:592
	v_mov_b64_e32 v[6:7], v[10:11]
	s_waitcnt lgkmcnt(1)
	v_mul_f64 v[236:237], v[84:85], v[6:7]
	v_mul_f64 v[58:59], v[114:115], v[58:59]
	v_fmac_f64_e32 v[236:237], v[86:87], v[4:5]
	s_waitcnt vmcnt(10)
	v_mov_b64_e32 v[4:5], v[12:13]
	v_fma_f64 v[244:245], v[112:113], v[56:57], -v[58:59]
	ds_read_b128 v[112:115], v2 offset:1280
	v_mov_b64_e32 v[6:7], v[14:15]
	s_waitcnt lgkmcnt(1)
	v_mul_f64 v[116:117], v[100:101], v[6:7]
	v_mul_f64 v[56:57], v[194:195], v[62:63]
	v_fmac_f64_e32 v[116:117], v[102:103], v[4:5]
	v_fma_f64 v[246:247], v[192:193], v[60:61], -v[56:57]
	scratch_load_dwordx4 v[56:59], off, off offset:608
	s_waitcnt vmcnt(10)
	v_mov_b64_e32 v[4:5], v[16:17]
	v_add_f64 v[0:1], v[0:1], v[236:237]
	v_mul_f64 v[60:61], v[126:127], v[66:67]
	v_mov_b64_e32 v[6:7], v[18:19]
	v_add_f64 v[0:1], v[0:1], v[116:117]
	ds_read_b128 v[116:119], v2 offset:1296
	v_fma_f64 v[252:253], v[124:125], v[64:65], -v[60:61]
	scratch_load_dwordx4 v[60:63], off, off offset:624
	s_waitcnt lgkmcnt(1)
	v_mul_f64 v[64:65], v[112:113], v[6:7]
	v_fmac_f64_e32 v[64:65], v[114:115], v[4:5]
	v_add_f64 v[0:1], v[0:1], v[64:65]
	v_mul_f64 v[64:65], v[122:123], v[70:71]
	v_fma_f64 v[254:255], v[120:121], v[68:69], -v[64:65]
	scratch_load_dwordx4 v[64:67], off, off offset:640
	scratch_load_dwordx4 v[68:71], off, off offset:656
	v_mul_f64 v[74:75], v[198:199], v[74:75]
	v_fma_f64 v[32:33], v[196:197], v[72:73], -v[74:75]
	scratch_load_dwordx4 v[72:75], off, off offset:672
	s_waitcnt vmcnt(13)
	v_mov_b64_e32 v[4:5], v[20:21]
	v_mov_b64_e32 v[6:7], v[22:23]
	s_waitcnt lgkmcnt(0)
	v_mul_f64 v[120:121], v[116:117], v[6:7]
	v_fmac_f64_e32 v[120:121], v[118:119], v[4:5]
	v_add_f64 v[0:1], v[0:1], v[120:121]
	ds_read_b128 v[120:123], v2 offset:1312
	ds_read_b128 v[124:127], v2 offset:1328
	v_mul_f64 v[6:7], v[130:131], v[82:83]
	v_fma_f64 v[28:29], v[128:129], v[80:81], -v[6:7]
	s_waitcnt vmcnt(12)
	v_accvgpr_read_b32 v4, a106
	v_accvgpr_write_b32 a125, v11
	v_accvgpr_read_b32 v6, a108
	v_accvgpr_read_b32 v7, a109
	v_accvgpr_write_b32 a124, v10
	v_accvgpr_write_b32 a123, v9
	;; [unrolled: 1-line block ×3, first 2 shown]
	v_accvgpr_read_b32 v5, a107
	s_waitcnt lgkmcnt(1)
	v_mul_f64 v[10:11], v[120:121], v[6:7]
	v_fmac_f64_e32 v[10:11], v[122:123], v[4:5]
	s_waitcnt vmcnt(11)
	v_accvgpr_read_b32 v4, a110
	v_accvgpr_read_b32 v6, a112
	;; [unrolled: 1-line block ×3, first 2 shown]
	v_add_f64 v[0:1], v[0:1], v[10:11]
	v_accvgpr_read_b32 v5, a111
	s_waitcnt lgkmcnt(0)
	v_mul_f64 v[10:11], v[124:125], v[6:7]
	ds_read_b128 v[128:131], v2 offset:1344
	v_fmac_f64_e32 v[10:11], v[126:127], v[4:5]
	v_accvgpr_write_b32 a137, v23
	v_add_f64 v[0:1], v[0:1], v[10:11]
	v_mul_f64 v[10:11], v[174:175], v[98:99]
	v_accvgpr_write_b32 a133, v19
	v_accvgpr_write_b32 a136, v22
	;; [unrolled: 1-line block ×4, first 2 shown]
	v_fma_f64 v[20:21], v[172:173], v[96:97], -v[10:11]
	v_mul_f64 v[10:11], v[134:135], v[106:107]
	s_waitcnt vmcnt(10)
	v_accvgpr_read_b32 v4, a114
	v_accvgpr_write_b32 a129, v15
	v_accvgpr_write_b32 a132, v18
	v_accvgpr_write_b32 a131, v17
	v_accvgpr_write_b32 a130, v16
	v_fma_f64 v[16:17], v[132:133], v[104:105], -v[10:11]
	v_mul_f64 v[10:11], v[150:151], v[110:111]
	v_accvgpr_read_b32 v6, a116
	v_accvgpr_read_b32 v7, a117
	v_accvgpr_write_b32 a128, v14
	v_accvgpr_write_b32 a127, v13
	;; [unrolled: 1-line block ×3, first 2 shown]
	ds_read_b128 v[132:135], v2 offset:1360
	v_fma_f64 v[14:15], v[148:149], v[108:109], -v[10:11]
	v_accvgpr_read_b32 v5, a115
	s_waitcnt lgkmcnt(1)
	v_mul_f64 v[10:11], v[128:129], v[6:7]
	v_fmac_f64_e32 v[10:11], v[130:131], v[4:5]
	v_add_f64 v[0:1], v[0:1], v[10:11]
	v_mul_f64 v[10:11], v[210:211], v[138:139]
	v_fma_f64 v[18:19], v[208:209], v[136:137], -v[10:11]
	ds_read_b128 v[136:139], v2 offset:1376
	s_waitcnt vmcnt(9) lgkmcnt(1)
	v_mul_f64 v[10:11], v[132:133], v[38:39]
	v_fmac_f64_e32 v[10:11], v[134:135], v[36:37]
	v_add_f64 v[0:1], v[0:1], v[10:11]
	v_mul_f64 v[10:11], v[186:187], v[142:143]
	v_fma_f64 v[12:13], v[184:185], v[140:141], -v[10:11]
	ds_read_b128 v[140:143], v2 offset:1392
	s_waitcnt vmcnt(8) lgkmcnt(1)
	v_mul_f64 v[10:11], v[136:137], v[42:43]
	v_fmac_f64_e32 v[10:11], v[138:139], v[40:41]
	v_add_f64 v[0:1], v[0:1], v[10:11]
	v_mul_f64 v[10:11], v[218:219], v[146:147]
	v_mul_f64 v[80:81], v[214:215], v[90:91]
	v_fma_f64 v[22:23], v[216:217], v[144:145], -v[10:11]
	ds_read_b128 v[144:147], v2 offset:1408
	ds_read_b128 v[148:151], v2 offset:1424
	v_fma_f64 v[24:25], v[212:213], v[88:89], -v[80:81]
	scratch_load_dwordx4 v[80:83], off, off offset:688
	s_waitcnt vmcnt(8) lgkmcnt(2)
	v_mul_f64 v[10:11], v[140:141], v[46:47]
	v_mul_f64 v[88:89], v[202:203], v[94:95]
	v_fmac_f64_e32 v[10:11], v[142:143], v[44:45]
	v_fma_f64 v[236:237], v[200:201], v[92:93], -v[88:89]
	scratch_load_dwordx4 v[88:91], off, off offset:704
	v_add_f64 v[0:1], v[0:1], v[10:11]
	s_waitcnt vmcnt(8) lgkmcnt(1)
	v_mul_f64 v[10:11], v[144:145], v[50:51]
	v_fmac_f64_e32 v[10:11], v[146:147], v[48:49]
	v_add_f64 v[0:1], v[0:1], v[10:11]
	v_mul_f64 v[10:11], v[206:207], v[154:155]
	v_fma_f64 v[8:9], v[204:205], v[152:153], -v[10:11]
	s_waitcnt vmcnt(7) lgkmcnt(0)
	v_mul_f64 v[10:11], v[148:149], v[54:55]
	scratch_load_dwordx4 v[92:95], off, off offset:720
	v_fmac_f64_e32 v[10:11], v[150:151], v[52:53]
	ds_read_b128 v[152:155], v2 offset:1440
	v_add_f64 v[0:1], v[0:1], v[10:11]
	v_mul_f64 v[10:11], v[162:163], v[158:159]
	scratch_load_dwordx4 v[96:99], off, off offset:736
	scratch_load_dwordx4 v[104:107], off, off offset:752
	v_fma_f64 v[26:27], v[160:161], v[156:157], -v[10:11]
	ds_read_b128 v[156:159], v2 offset:1456
	s_waitcnt vmcnt(9) lgkmcnt(1)
	v_mul_f64 v[10:11], v[152:153], v[58:59]
	ds_read_b128 v[160:163], v2 offset:1472
	scratch_load_dwordx4 v[108:111], off, off offset:768
	scratch_load_dwordx4 v[196:199], off, off offset:784
	v_fmac_f64_e32 v[10:11], v[154:155], v[56:57]
	v_add_f64 v[0:1], v[0:1], v[10:11]
	s_waitcnt vmcnt(10) lgkmcnt(1)
	v_mul_f64 v[10:11], v[156:157], v[62:63]
	v_fmac_f64_e32 v[10:11], v[158:159], v[60:61]
	v_add_f64 v[0:1], v[0:1], v[10:11]
	v_mul_f64 v[10:11], v[222:223], v[166:167]
	v_fma_f64 v[6:7], v[220:221], v[164:165], -v[10:11]
	ds_read_b128 v[164:167], v2 offset:1488
	s_waitcnt vmcnt(9) lgkmcnt(1)
	v_mul_f64 v[10:11], v[160:161], v[66:67]
	scratch_load_dwordx4 v[204:207], off, off offset:800
	scratch_load_dwordx4 v[212:215], off, off offset:816
	v_fmac_f64_e32 v[10:11], v[162:163], v[64:65]
	v_add_f64 v[0:1], v[0:1], v[10:11]
	v_mul_f64 v[10:11], v[226:227], v[170:171]
	v_fma_f64 v[30:31], v[224:225], v[168:169], -v[10:11]
	ds_read_b128 v[168:171], v2 offset:1504
	ds_read_b128 v[172:175], v2 offset:1520
	scratch_load_dwordx4 v[220:223], off, off offset:832
	s_waitcnt vmcnt(11) lgkmcnt(2)
	v_mul_f64 v[10:11], v[164:165], v[70:71]
	v_fmac_f64_e32 v[10:11], v[166:167], v[68:69]
	v_add_f64 v[0:1], v[0:1], v[10:11]
	s_waitcnt vmcnt(10) lgkmcnt(1)
	v_mul_f64 v[10:11], v[168:169], v[74:75]
	v_fmac_f64_e32 v[10:11], v[170:171], v[72:73]
	v_add_f64 v[0:1], v[0:1], v[10:11]
	v_mul_f64 v[10:11], v[230:231], v[178:179]
	v_fma_f64 v[4:5], v[228:229], v[176:177], -v[10:11]
	scratch_load_dwordx4 v[228:231], off, off offset:848
	ds_read_b128 v[176:179], v2 offset:1536
	ds_read_b128 v[184:187], v2 offset:1568
	;; [unrolled: 1-line block ×7, first 2 shown]
	s_waitcnt vmcnt(10) lgkmcnt(7)
	v_mul_f64 v[10:11], v[172:173], v[82:83]
	v_fmac_f64_e32 v[10:11], v[174:175], v[80:81]
	v_add_f64 v[0:1], v[0:1], v[10:11]
	v_mul_f64 v[10:11], v[234:235], v[182:183]
	v_fma_f64 v[238:239], v[232:233], v[180:181], -v[10:11]
	ds_read_b128 v[180:183], v2 offset:1552
	scratch_load_dwordx4 v[232:235], off, off offset:16
	s_waitcnt vmcnt(10) lgkmcnt(7)
	v_mul_f64 v[10:11], v[176:177], v[90:91]
	v_fmac_f64_e32 v[10:11], v[178:179], v[88:89]
	v_add_f64 v[0:1], v[0:1], v[10:11]
	v_mul_f64 v[10:11], v[250:251], v[190:191]
	v_fma_f64 v[248:249], v[248:249], v[188:189], -v[10:11]
	ds_read_b128 v[188:191], v2 offset:1584
	s_waitcnt vmcnt(9) lgkmcnt(1)
	v_mul_f64 v[10:11], v[180:181], v[94:95]
	v_fmac_f64_e32 v[10:11], v[182:183], v[92:93]
	v_add_f64 v[0:1], v[0:1], v[10:11]
	s_waitcnt vmcnt(8)
	v_mul_f64 v[10:11], v[184:185], v[98:99]
	v_fmac_f64_e32 v[10:11], v[186:187], v[96:97]
	v_add_f64 v[0:1], v[0:1], v[10:11]
	s_waitcnt vmcnt(7) lgkmcnt(0)
	v_mul_f64 v[10:11], v[188:189], v[106:107]
	v_fmac_f64_e32 v[10:11], v[190:191], v[104:105]
	v_add_f64 v[0:1], v[0:1], v[10:11]
	s_waitcnt vmcnt(6)
	v_mul_f64 v[10:11], v[192:193], v[110:111]
	v_fmac_f64_e32 v[10:11], v[194:195], v[108:109]
	v_add_f64 v[0:1], v[0:1], v[10:11]
	s_waitcnt vmcnt(5)
	v_mul_f64 v[10:11], v[200:201], v[198:199]
	v_fmac_f64_e32 v[10:11], v[202:203], v[196:197]
	v_add_f64 v[0:1], v[0:1], v[10:11]
	s_waitcnt vmcnt(4)
	v_mul_f64 v[10:11], v[208:209], v[206:207]
	v_fmac_f64_e32 v[10:11], v[210:211], v[204:205]
	v_add_f64 v[0:1], v[0:1], v[10:11]
	s_waitcnt vmcnt(3)
	v_mul_f64 v[10:11], v[216:217], v[214:215]
	v_fmac_f64_e32 v[10:11], v[218:219], v[212:213]
	v_add_f64 v[0:1], v[0:1], v[10:11]
	s_waitcnt vmcnt(2)
	v_mul_f64 v[10:11], v[224:225], v[222:223]
	v_fmac_f64_e32 v[10:11], v[226:227], v[220:221]
	v_add_f64 v[10:11], v[0:1], v[10:11]
	ds_read_b128 v[0:3], v2 offset:1680
	s_waitcnt vmcnt(1) lgkmcnt(0)
	v_mul_f64 v[34:35], v[0:1], v[230:231]
	v_fmac_f64_e32 v[34:35], v[2:3], v[228:229]
	v_add_f64 v[10:11], v[10:11], v[34:35]
	v_add_f64 v[34:35], v[240:241], 0
	;; [unrolled: 1-line block ×20, first 2 shown]
	v_accvgpr_read_b32 v12, a118
	v_add_f64 v[6:7], v[6:7], v[30:31]
	v_accvgpr_read_b32 v14, a120
	v_accvgpr_read_b32 v15, a121
	v_add_f64 v[250:251], v[6:7], v[4:5]
	v_accvgpr_read_b32 v13, a119
	v_mul_f64 v[6:7], v[78:79], v[14:15]
	v_add_f64 v[4:5], v[250:251], v[238:239]
	v_fma_f64 v[6:7], v[76:77], v[12:13], -v[6:7]
	v_accvgpr_read_b32 v12, a122
	v_add_f64 v[4:5], v[4:5], v[248:249]
	v_accvgpr_read_b32 v14, a124
	v_accvgpr_read_b32 v15, a125
	v_add_f64 v[4:5], v[4:5], v[6:7]
	v_accvgpr_read_b32 v13, a123
	v_mul_f64 v[6:7], v[86:87], v[14:15]
	v_fma_f64 v[6:7], v[84:85], v[12:13], -v[6:7]
	v_accvgpr_read_b32 v12, a126
	v_accvgpr_read_b32 v14, a128
	v_accvgpr_read_b32 v15, a129
	v_add_f64 v[4:5], v[4:5], v[6:7]
	v_accvgpr_read_b32 v13, a127
	v_mul_f64 v[6:7], v[102:103], v[14:15]
	v_fma_f64 v[6:7], v[100:101], v[12:13], -v[6:7]
	v_accvgpr_read_b32 v12, a130
	;; [unrolled: 7-line block ×6, first 2 shown]
	v_accvgpr_read_b32 v14, a116
	v_accvgpr_read_b32 v15, a117
	v_add_f64 v[4:5], v[4:5], v[6:7]
	v_accvgpr_read_b32 v13, a115
	v_mul_f64 v[6:7], v[130:131], v[14:15]
	v_fma_f64 v[6:7], v[128:129], v[12:13], -v[6:7]
	v_add_f64 v[4:5], v[4:5], v[6:7]
	v_mul_f64 v[6:7], v[134:135], v[38:39]
	v_fma_f64 v[6:7], v[132:133], v[36:37], -v[6:7]
	v_add_f64 v[4:5], v[4:5], v[6:7]
	;; [unrolled: 3-line block ×20, first 2 shown]
	v_mul_f64 v[6:7], v[226:227], v[222:223]
	v_fma_f64 v[6:7], v[224:225], v[220:221], -v[6:7]
	v_mul_f64 v[2:3], v[2:3], v[230:231]
	v_add_f64 v[4:5], v[4:5], v[6:7]
	v_fma_f64 v[0:1], v[0:1], v[228:229], -v[2:3]
	v_add_f64 v[0:1], v[4:5], v[0:1]
	s_waitcnt vmcnt(0)
	v_add_f64 v[0:1], v[232:233], -v[0:1]
	v_add_f64 v[2:3], v[234:235], -v[10:11]
	scratch_store_dwordx4 off, v[0:3], off offset:16
	s_cbranch_vccz .LBB116_436
; %bb.332:
	s_nop 0
	v_mov_b32_e32 v0, 0
	global_load_dword v1, v0, s[8:9] offset:204
	s_waitcnt vmcnt(0)
	v_readfirstlane_b32 s0, v1
	s_add_i32 s0, s0, -1
	s_cmp_lg_u32 s0, 51
	s_cbranch_scc0 .LBB116_334
; %bb.333:
	s_lshl_b32 s0, s0, 4
	s_add_i32 s0, s0, 16
	scratch_load_dwordx4 v[2:5], off, s0
	scratch_load_dwordx4 v[6:9], off, s17
	s_waitcnt vmcnt(1)
	scratch_store_dwordx4 off, v[2:5], s17
	s_waitcnt vmcnt(1)
	scratch_store_dwordx4 off, v[6:9], s0
.LBB116_334:
	global_load_dword v0, v0, s[8:9] offset:200
	s_waitcnt vmcnt(0)
	v_readfirstlane_b32 s0, v0
	s_add_i32 s0, s0, -1
	s_cmp_eq_u32 s0, 50
	s_cbranch_scc1 .LBB116_336
; %bb.335:
	s_lshl_b32 s0, s0, 4
	s_add_i32 s0, s0, 16
	scratch_load_dwordx4 v[0:3], off, s0
	scratch_load_dwordx4 v[4:7], off, s18
	s_waitcnt vmcnt(1)
	scratch_store_dwordx4 off, v[0:3], s18
	s_waitcnt vmcnt(1)
	scratch_store_dwordx4 off, v[4:7], s0
.LBB116_336:
	v_mov_b32_e32 v0, 0
	global_load_dword v1, v0, s[8:9] offset:196
	s_waitcnt vmcnt(0)
	v_readfirstlane_b32 s0, v1
	s_add_i32 s0, s0, -1
	s_cmp_eq_u32 s0, 49
	s_cbranch_scc1 .LBB116_338
; %bb.337:
	s_lshl_b32 s0, s0, 4
	s_add_i32 s0, s0, 16
	scratch_load_dwordx4 v[2:5], off, s0
	scratch_load_dwordx4 v[6:9], off, s19
	s_waitcnt vmcnt(1)
	scratch_store_dwordx4 off, v[2:5], s19
	s_waitcnt vmcnt(1)
	scratch_store_dwordx4 off, v[6:9], s0
.LBB116_338:
	global_load_dword v0, v0, s[8:9] offset:192
	s_waitcnt vmcnt(0)
	v_readfirstlane_b32 s0, v0
	s_add_i32 s0, s0, -1
	s_cmp_eq_u32 s0, 48
	s_cbranch_scc1 .LBB116_340
; %bb.339:
	s_lshl_b32 s0, s0, 4
	s_add_i32 s0, s0, 16
	scratch_load_dwordx4 v[0:3], off, s0
	scratch_load_dwordx4 v[4:7], off, s20
	s_waitcnt vmcnt(1)
	scratch_store_dwordx4 off, v[0:3], s20
	s_waitcnt vmcnt(1)
	scratch_store_dwordx4 off, v[4:7], s0
.LBB116_340:
	v_mov_b32_e32 v0, 0
	global_load_dword v1, v0, s[8:9] offset:188
	s_waitcnt vmcnt(0)
	v_readfirstlane_b32 s0, v1
	s_add_i32 s0, s0, -1
	s_cmp_eq_u32 s0, 47
	s_cbranch_scc1 .LBB116_342
; %bb.341:
	s_lshl_b32 s0, s0, 4
	s_add_i32 s0, s0, 16
	scratch_load_dwordx4 v[2:5], off, s0
	scratch_load_dwordx4 v[6:9], off, s21
	s_waitcnt vmcnt(1)
	scratch_store_dwordx4 off, v[2:5], s21
	s_waitcnt vmcnt(1)
	scratch_store_dwordx4 off, v[6:9], s0
.LBB116_342:
	;; [unrolled: 33-line block ×25, first 2 shown]
	global_load_dword v0, v0, s[8:9]
	s_waitcnt vmcnt(0)
	v_readfirstlane_b32 s0, v0
	s_add_i32 s0, s0, -1
	s_cmp_eq_u32 s0, 0
	s_cbranch_scc1 .LBB116_436
; %bb.435:
	s_lshl_b32 s0, s0, 4
	s_add_i32 s0, s0, 16
	scratch_load_dwordx4 v[0:3], off, s0
	scratch_load_dwordx4 v[4:7], off, off offset:16
	s_waitcnt vmcnt(1)
	scratch_store_dwordx4 off, v[0:3], off offset:16
	s_waitcnt vmcnt(1)
	scratch_store_dwordx4 off, v[4:7], s0
.LBB116_436:
	scratch_load_dwordx4 v[0:3], off, off offset:16
	s_nop 0
	v_accvgpr_read_b32 v5, a1
	v_accvgpr_read_b32 v4, a0
	s_waitcnt vmcnt(0)
	flat_store_dwordx4 v[4:5], v[0:3]
	scratch_load_dwordx4 v[0:3], off, s68
	v_accvgpr_read_b32 v5, a3
	v_accvgpr_read_b32 v4, a2
	s_waitcnt vmcnt(0)
	flat_store_dwordx4 v[4:5], v[0:3]
	scratch_load_dwordx4 v[0:3], off, s67
	;; [unrolled: 5-line block ×52, first 2 shown]
	v_accvgpr_read_b32 v4, a104
	v_accvgpr_read_b32 v5, a105
	s_waitcnt vmcnt(0)
	flat_store_dwordx4 v[4:5], v[0:3]
	s_endpgm
	.section	.rodata,"a",@progbits
	.p2align	6, 0x0
	.amdhsa_kernel _ZN9rocsolver6v33100L18getri_kernel_smallILi53E19rocblas_complex_numIdEPKPS3_EEvT1_iilPiilS8_bb
		.amdhsa_group_segment_fixed_size 1704
		.amdhsa_private_segment_fixed_size 880
		.amdhsa_kernarg_size 60
		.amdhsa_user_sgpr_count 2
		.amdhsa_user_sgpr_dispatch_ptr 0
		.amdhsa_user_sgpr_queue_ptr 0
		.amdhsa_user_sgpr_kernarg_segment_ptr 1
		.amdhsa_user_sgpr_dispatch_id 0
		.amdhsa_user_sgpr_kernarg_preload_length 0
		.amdhsa_user_sgpr_kernarg_preload_offset 0
		.amdhsa_user_sgpr_private_segment_size 0
		.amdhsa_uses_dynamic_stack 0
		.amdhsa_enable_private_segment 1
		.amdhsa_system_sgpr_workgroup_id_x 1
		.amdhsa_system_sgpr_workgroup_id_y 0
		.amdhsa_system_sgpr_workgroup_id_z 0
		.amdhsa_system_sgpr_workgroup_info 0
		.amdhsa_system_vgpr_workitem_id 0
		.amdhsa_next_free_vgpr 394
		.amdhsa_next_free_sgpr 89
		.amdhsa_accum_offset 256
		.amdhsa_reserve_vcc 1
		.amdhsa_float_round_mode_32 0
		.amdhsa_float_round_mode_16_64 0
		.amdhsa_float_denorm_mode_32 3
		.amdhsa_float_denorm_mode_16_64 3
		.amdhsa_dx10_clamp 1
		.amdhsa_ieee_mode 1
		.amdhsa_fp16_overflow 0
		.amdhsa_tg_split 0
		.amdhsa_exception_fp_ieee_invalid_op 0
		.amdhsa_exception_fp_denorm_src 0
		.amdhsa_exception_fp_ieee_div_zero 0
		.amdhsa_exception_fp_ieee_overflow 0
		.amdhsa_exception_fp_ieee_underflow 0
		.amdhsa_exception_fp_ieee_inexact 0
		.amdhsa_exception_int_div_zero 0
	.end_amdhsa_kernel
	.section	.text._ZN9rocsolver6v33100L18getri_kernel_smallILi53E19rocblas_complex_numIdEPKPS3_EEvT1_iilPiilS8_bb,"axG",@progbits,_ZN9rocsolver6v33100L18getri_kernel_smallILi53E19rocblas_complex_numIdEPKPS3_EEvT1_iilPiilS8_bb,comdat
.Lfunc_end116:
	.size	_ZN9rocsolver6v33100L18getri_kernel_smallILi53E19rocblas_complex_numIdEPKPS3_EEvT1_iilPiilS8_bb, .Lfunc_end116-_ZN9rocsolver6v33100L18getri_kernel_smallILi53E19rocblas_complex_numIdEPKPS3_EEvT1_iilPiilS8_bb
                                        ; -- End function
	.set _ZN9rocsolver6v33100L18getri_kernel_smallILi53E19rocblas_complex_numIdEPKPS3_EEvT1_iilPiilS8_bb.num_vgpr, 256
	.set _ZN9rocsolver6v33100L18getri_kernel_smallILi53E19rocblas_complex_numIdEPKPS3_EEvT1_iilPiilS8_bb.num_agpr, 138
	.set _ZN9rocsolver6v33100L18getri_kernel_smallILi53E19rocblas_complex_numIdEPKPS3_EEvT1_iilPiilS8_bb.numbered_sgpr, 89
	.set _ZN9rocsolver6v33100L18getri_kernel_smallILi53E19rocblas_complex_numIdEPKPS3_EEvT1_iilPiilS8_bb.num_named_barrier, 0
	.set _ZN9rocsolver6v33100L18getri_kernel_smallILi53E19rocblas_complex_numIdEPKPS3_EEvT1_iilPiilS8_bb.private_seg_size, 880
	.set _ZN9rocsolver6v33100L18getri_kernel_smallILi53E19rocblas_complex_numIdEPKPS3_EEvT1_iilPiilS8_bb.uses_vcc, 1
	.set _ZN9rocsolver6v33100L18getri_kernel_smallILi53E19rocblas_complex_numIdEPKPS3_EEvT1_iilPiilS8_bb.uses_flat_scratch, 0
	.set _ZN9rocsolver6v33100L18getri_kernel_smallILi53E19rocblas_complex_numIdEPKPS3_EEvT1_iilPiilS8_bb.has_dyn_sized_stack, 0
	.set _ZN9rocsolver6v33100L18getri_kernel_smallILi53E19rocblas_complex_numIdEPKPS3_EEvT1_iilPiilS8_bb.has_recursion, 0
	.set _ZN9rocsolver6v33100L18getri_kernel_smallILi53E19rocblas_complex_numIdEPKPS3_EEvT1_iilPiilS8_bb.has_indirect_call, 0
	.section	.AMDGPU.csdata,"",@progbits
; Kernel info:
; codeLenInByte = 119072
; TotalNumSgprs: 95
; NumVgprs: 256
; NumAgprs: 138
; TotalNumVgprs: 394
; ScratchSize: 880
; MemoryBound: 0
; FloatMode: 240
; IeeeMode: 1
; LDSByteSize: 1704 bytes/workgroup (compile time only)
; SGPRBlocks: 11
; VGPRBlocks: 49
; NumSGPRsForWavesPerEU: 95
; NumVGPRsForWavesPerEU: 394
; AccumOffset: 256
; Occupancy: 1
; WaveLimiterHint : 1
; COMPUTE_PGM_RSRC2:SCRATCH_EN: 1
; COMPUTE_PGM_RSRC2:USER_SGPR: 2
; COMPUTE_PGM_RSRC2:TRAP_HANDLER: 0
; COMPUTE_PGM_RSRC2:TGID_X_EN: 1
; COMPUTE_PGM_RSRC2:TGID_Y_EN: 0
; COMPUTE_PGM_RSRC2:TGID_Z_EN: 0
; COMPUTE_PGM_RSRC2:TIDIG_COMP_CNT: 0
; COMPUTE_PGM_RSRC3_GFX90A:ACCUM_OFFSET: 63
; COMPUTE_PGM_RSRC3_GFX90A:TG_SPLIT: 0
	.section	.text._ZN9rocsolver6v33100L18getri_kernel_smallILi54E19rocblas_complex_numIdEPKPS3_EEvT1_iilPiilS8_bb,"axG",@progbits,_ZN9rocsolver6v33100L18getri_kernel_smallILi54E19rocblas_complex_numIdEPKPS3_EEvT1_iilPiilS8_bb,comdat
	.globl	_ZN9rocsolver6v33100L18getri_kernel_smallILi54E19rocblas_complex_numIdEPKPS3_EEvT1_iilPiilS8_bb ; -- Begin function _ZN9rocsolver6v33100L18getri_kernel_smallILi54E19rocblas_complex_numIdEPKPS3_EEvT1_iilPiilS8_bb
	.p2align	8
	.type	_ZN9rocsolver6v33100L18getri_kernel_smallILi54E19rocblas_complex_numIdEPKPS3_EEvT1_iilPiilS8_bb,@function
_ZN9rocsolver6v33100L18getri_kernel_smallILi54E19rocblas_complex_numIdEPKPS3_EEvT1_iilPiilS8_bb: ; @_ZN9rocsolver6v33100L18getri_kernel_smallILi54E19rocblas_complex_numIdEPKPS3_EEvT1_iilPiilS8_bb
; %bb.0:
	v_mov_b32_e32 v240, v0
	v_cmp_gt_u32_e32 vcc, 54, v240
	s_and_saveexec_b64 s[4:5], vcc
	s_cbranch_execz .LBB117_230
; %bb.1:
	s_load_dword s14, s[0:1], 0x38
	s_load_dwordx2 s[8:9], s[0:1], 0x0
	s_load_dwordx4 s[4:7], s[0:1], 0x28
	s_waitcnt lgkmcnt(0)
	s_bitcmp1_b32 s14, 8
	s_cselect_b64 s[10:11], -1, 0
	s_ashr_i32 s3, s2, 31
	s_lshl_b64 s[12:13], s[2:3], 3
	s_add_u32 s8, s8, s12
	s_addc_u32 s9, s9, s13
	s_load_dwordx2 s[12:13], s[8:9], 0x0
	s_bfe_u32 s8, s14, 0x10008
	s_cmp_eq_u32 s8, 0
                                        ; implicit-def: $sgpr8_sgpr9
	s_cbranch_scc1 .LBB117_3
; %bb.2:
	s_load_dword s8, s[0:1], 0x20
	s_load_dwordx2 s[14:15], s[0:1], 0x18
	s_mul_i32 s9, s4, s3
	s_mul_hi_u32 s16, s4, s2
	s_add_i32 s16, s16, s9
	s_mul_i32 s5, s5, s2
	s_add_i32 s5, s16, s5
	s_mul_i32 s4, s4, s2
	s_waitcnt lgkmcnt(0)
	s_ashr_i32 s9, s8, 31
	s_lshl_b64 s[4:5], s[4:5], 2
	s_add_u32 s14, s14, s4
	s_addc_u32 s15, s15, s5
	s_lshl_b64 s[4:5], s[8:9], 2
	s_add_u32 s8, s14, s4
	s_addc_u32 s9, s15, s5
.LBB117_3:
	s_load_dwordx2 s[4:5], s[0:1], 0x8
	s_load_dword s14, s[0:1], 0x38
	v_lshlrev_b32_e32 v14, 4, v240
	v_mov_b32_e32 v15, 0
	s_movk_i32 s15, 0x80
	s_waitcnt lgkmcnt(0)
	s_ashr_i32 s1, s4, 31
	s_mov_b32 s0, s4
	s_lshl_b64 s[0:1], s[0:1], 4
	s_add_u32 s0, s12, s0
	s_addc_u32 s1, s13, s1
	v_lshl_add_u64 v[0:1], s[0:1], 0, v[14:15]
	flat_load_dwordx4 v[2:5], v[0:1]
	s_mov_b32 s12, s5
	s_ashr_i32 s13, s5, 31
	v_accvgpr_write_b32 a0, v0
	v_accvgpr_write_b32 a1, v1
	v_lshl_add_u64 v[0:1], s[12:13], 4, v[0:1]
	s_add_i32 s4, s5, s5
	v_add_u32_e32 v6, s4, v240
	v_accvgpr_write_b32 a3, v1
	v_ashrrev_i32_e32 v7, 31, v6
	v_accvgpr_write_b32 a2, v0
	s_movk_i32 s4, 0x50
	s_movk_i32 s12, 0x60
	;; [unrolled: 1-line block ×45, first 2 shown]
	s_add_i32 s65, s4, 16
	s_add_i32 s64, s12, 16
	;; [unrolled: 1-line block ×24, first 2 shown]
	s_waitcnt vmcnt(0) lgkmcnt(0)
	scratch_store_dwordx4 off, v[2:5], off offset:16
	flat_load_dwordx4 v[2:5], v[0:1]
	v_lshl_add_u64 v[0:1], v[6:7], 4, s[0:1]
	v_add_u32_e32 v6, s5, v6
	v_accvgpr_write_b32 a5, v1
	v_ashrrev_i32_e32 v7, 31, v6
	v_accvgpr_write_b32 a4, v0
	s_add_i32 s38, s37, 16
	s_add_i32 s37, s70, 16
	;; [unrolled: 1-line block ×22, first 2 shown]
	s_mov_b32 s69, 32
	s_mov_b32 s68, 48
	;; [unrolled: 1-line block ×3, first 2 shown]
	s_movk_i32 s66, 0x50
	s_waitcnt vmcnt(0) lgkmcnt(0)
	scratch_store_dwordx4 off, v[2:5], off offset:32
	flat_load_dwordx4 v[2:5], v[0:1]
	v_lshl_add_u64 v[0:1], v[6:7], 4, s[0:1]
	v_add_u32_e32 v6, s5, v6
	v_accvgpr_write_b32 a7, v1
	v_ashrrev_i32_e32 v7, 31, v6
	v_accvgpr_write_b32 a6, v0
	s_waitcnt vmcnt(0) lgkmcnt(0)
	scratch_store_dwordx4 off, v[2:5], off offset:48
	flat_load_dwordx4 v[2:5], v[0:1]
	v_lshl_add_u64 v[0:1], v[6:7], 4, s[0:1]
	v_add_u32_e32 v6, s5, v6
	v_accvgpr_write_b32 a9, v1
	v_ashrrev_i32_e32 v7, 31, v6
	v_accvgpr_write_b32 a8, v0
	s_waitcnt vmcnt(0) lgkmcnt(0)
	scratch_store_dwordx4 off, v[2:5], off offset:64
	flat_load_dwordx4 v[2:5], v[0:1]
	v_lshl_add_u64 v[0:1], v[6:7], 4, s[0:1]
	v_add_u32_e32 v6, s5, v6
	v_accvgpr_write_b32 a11, v1
	v_ashrrev_i32_e32 v7, 31, v6
	v_accvgpr_write_b32 a10, v0
	s_waitcnt vmcnt(0) lgkmcnt(0)
	scratch_store_dwordx4 off, v[2:5], off offset:80
	flat_load_dwordx4 v[2:5], v[0:1]
	v_lshl_add_u64 v[0:1], v[6:7], 4, s[0:1]
	v_add_u32_e32 v6, s5, v6
	v_accvgpr_write_b32 a13, v1
	v_ashrrev_i32_e32 v7, 31, v6
	v_accvgpr_write_b32 a12, v0
	s_waitcnt vmcnt(0) lgkmcnt(0)
	scratch_store_dwordx4 off, v[2:5], off offset:96
	flat_load_dwordx4 v[2:5], v[0:1]
	v_lshl_add_u64 v[0:1], v[6:7], 4, s[0:1]
	v_add_u32_e32 v6, s5, v6
	v_accvgpr_write_b32 a15, v1
	v_ashrrev_i32_e32 v7, 31, v6
	v_accvgpr_write_b32 a14, v0
	s_waitcnt vmcnt(0) lgkmcnt(0)
	scratch_store_dwordx4 off, v[2:5], off offset:112
	flat_load_dwordx4 v[2:5], v[0:1]
	v_lshl_add_u64 v[0:1], v[6:7], 4, s[0:1]
	v_add_u32_e32 v6, s5, v6
	v_accvgpr_write_b32 a17, v1
	v_ashrrev_i32_e32 v7, 31, v6
	v_accvgpr_write_b32 a16, v0
	s_waitcnt vmcnt(0) lgkmcnt(0)
	scratch_store_dwordx4 off, v[2:5], off offset:128
	flat_load_dwordx4 v[2:5], v[0:1]
	v_lshl_add_u64 v[0:1], v[6:7], 4, s[0:1]
	v_add_u32_e32 v6, s5, v6
	v_accvgpr_write_b32 a19, v1
	v_ashrrev_i32_e32 v7, 31, v6
	v_accvgpr_write_b32 a18, v0
	s_waitcnt vmcnt(0) lgkmcnt(0)
	scratch_store_dwordx4 off, v[2:5], off offset:144
	flat_load_dwordx4 v[2:5], v[0:1]
	v_lshl_add_u64 v[0:1], v[6:7], 4, s[0:1]
	v_add_u32_e32 v6, s5, v6
	v_accvgpr_write_b32 a21, v1
	v_ashrrev_i32_e32 v7, 31, v6
	v_accvgpr_write_b32 a20, v0
	s_waitcnt vmcnt(0) lgkmcnt(0)
	scratch_store_dwordx4 off, v[2:5], off offset:160
	flat_load_dwordx4 v[2:5], v[0:1]
	v_lshl_add_u64 v[0:1], v[6:7], 4, s[0:1]
	v_add_u32_e32 v6, s5, v6
	v_accvgpr_write_b32 a23, v1
	v_ashrrev_i32_e32 v7, 31, v6
	v_accvgpr_write_b32 a22, v0
	s_waitcnt vmcnt(0) lgkmcnt(0)
	scratch_store_dwordx4 off, v[2:5], off offset:176
	flat_load_dwordx4 v[2:5], v[0:1]
	v_lshl_add_u64 v[0:1], v[6:7], 4, s[0:1]
	v_add_u32_e32 v6, s5, v6
	v_accvgpr_write_b32 a25, v1
	v_ashrrev_i32_e32 v7, 31, v6
	v_accvgpr_write_b32 a24, v0
	s_waitcnt vmcnt(0) lgkmcnt(0)
	scratch_store_dwordx4 off, v[2:5], off offset:192
	flat_load_dwordx4 v[2:5], v[0:1]
	v_lshl_add_u64 v[0:1], v[6:7], 4, s[0:1]
	v_add_u32_e32 v6, s5, v6
	v_accvgpr_write_b32 a27, v1
	v_ashrrev_i32_e32 v7, 31, v6
	v_accvgpr_write_b32 a26, v0
	s_waitcnt vmcnt(0) lgkmcnt(0)
	scratch_store_dwordx4 off, v[2:5], off offset:208
	flat_load_dwordx4 v[2:5], v[0:1]
	v_lshl_add_u64 v[0:1], v[6:7], 4, s[0:1]
	v_add_u32_e32 v6, s5, v6
	v_accvgpr_write_b32 a29, v1
	v_ashrrev_i32_e32 v7, 31, v6
	v_accvgpr_write_b32 a28, v0
	s_waitcnt vmcnt(0) lgkmcnt(0)
	scratch_store_dwordx4 off, v[2:5], off offset:224
	flat_load_dwordx4 v[2:5], v[0:1]
	v_lshl_add_u64 v[0:1], v[6:7], 4, s[0:1]
	v_add_u32_e32 v6, s5, v6
	v_accvgpr_write_b32 a31, v1
	v_ashrrev_i32_e32 v7, 31, v6
	v_accvgpr_write_b32 a30, v0
	s_waitcnt vmcnt(0) lgkmcnt(0)
	scratch_store_dwordx4 off, v[2:5], off offset:240
	flat_load_dwordx4 v[2:5], v[0:1]
	v_lshl_add_u64 v[0:1], v[6:7], 4, s[0:1]
	v_add_u32_e32 v6, s5, v6
	v_accvgpr_write_b32 a33, v1
	v_ashrrev_i32_e32 v7, 31, v6
	v_accvgpr_write_b32 a32, v0
	s_waitcnt vmcnt(0) lgkmcnt(0)
	scratch_store_dwordx4 off, v[2:5], off offset:256
	flat_load_dwordx4 v[2:5], v[0:1]
	v_lshl_add_u64 v[0:1], v[6:7], 4, s[0:1]
	v_add_u32_e32 v6, s5, v6
	v_accvgpr_write_b32 a35, v1
	v_ashrrev_i32_e32 v7, 31, v6
	v_accvgpr_write_b32 a34, v0
	s_waitcnt vmcnt(0) lgkmcnt(0)
	scratch_store_dwordx4 off, v[2:5], off offset:272
	flat_load_dwordx4 v[2:5], v[0:1]
	v_lshl_add_u64 v[0:1], v[6:7], 4, s[0:1]
	v_add_u32_e32 v6, s5, v6
	v_accvgpr_write_b32 a37, v1
	v_ashrrev_i32_e32 v7, 31, v6
	v_accvgpr_write_b32 a36, v0
	s_waitcnt vmcnt(0) lgkmcnt(0)
	scratch_store_dwordx4 off, v[2:5], off offset:288
	flat_load_dwordx4 v[2:5], v[0:1]
	v_lshl_add_u64 v[0:1], v[6:7], 4, s[0:1]
	v_add_u32_e32 v6, s5, v6
	v_accvgpr_write_b32 a39, v1
	v_ashrrev_i32_e32 v7, 31, v6
	v_accvgpr_write_b32 a38, v0
	s_waitcnt vmcnt(0) lgkmcnt(0)
	scratch_store_dwordx4 off, v[2:5], off offset:304
	flat_load_dwordx4 v[2:5], v[0:1]
	v_lshl_add_u64 v[0:1], v[6:7], 4, s[0:1]
	v_add_u32_e32 v6, s5, v6
	v_accvgpr_write_b32 a41, v1
	v_ashrrev_i32_e32 v7, 31, v6
	v_accvgpr_write_b32 a40, v0
	s_waitcnt vmcnt(0) lgkmcnt(0)
	scratch_store_dwordx4 off, v[2:5], off offset:320
	flat_load_dwordx4 v[2:5], v[0:1]
	v_lshl_add_u64 v[0:1], v[6:7], 4, s[0:1]
	v_add_u32_e32 v6, s5, v6
	v_accvgpr_write_b32 a43, v1
	v_ashrrev_i32_e32 v7, 31, v6
	v_accvgpr_write_b32 a42, v0
	s_waitcnt vmcnt(0) lgkmcnt(0)
	scratch_store_dwordx4 off, v[2:5], off offset:336
	flat_load_dwordx4 v[2:5], v[0:1]
	v_lshl_add_u64 v[0:1], v[6:7], 4, s[0:1]
	v_add_u32_e32 v6, s5, v6
	v_accvgpr_write_b32 a45, v1
	v_ashrrev_i32_e32 v7, 31, v6
	v_accvgpr_write_b32 a44, v0
	s_waitcnt vmcnt(0) lgkmcnt(0)
	scratch_store_dwordx4 off, v[2:5], off offset:352
	flat_load_dwordx4 v[2:5], v[0:1]
	v_lshl_add_u64 v[0:1], v[6:7], 4, s[0:1]
	v_add_u32_e32 v6, s5, v6
	v_accvgpr_write_b32 a47, v1
	v_ashrrev_i32_e32 v7, 31, v6
	v_accvgpr_write_b32 a46, v0
	s_waitcnt vmcnt(0) lgkmcnt(0)
	scratch_store_dwordx4 off, v[2:5], off offset:368
	flat_load_dwordx4 v[2:5], v[0:1]
	v_lshl_add_u64 v[0:1], v[6:7], 4, s[0:1]
	v_add_u32_e32 v6, s5, v6
	v_accvgpr_write_b32 a49, v1
	v_ashrrev_i32_e32 v7, 31, v6
	v_accvgpr_write_b32 a48, v0
	s_waitcnt vmcnt(0) lgkmcnt(0)
	scratch_store_dwordx4 off, v[2:5], off offset:384
	flat_load_dwordx4 v[2:5], v[0:1]
	v_lshl_add_u64 v[0:1], v[6:7], 4, s[0:1]
	v_add_u32_e32 v6, s5, v6
	v_accvgpr_write_b32 a51, v1
	v_ashrrev_i32_e32 v7, 31, v6
	v_accvgpr_write_b32 a50, v0
	s_waitcnt vmcnt(0) lgkmcnt(0)
	scratch_store_dwordx4 off, v[2:5], off offset:400
	flat_load_dwordx4 v[2:5], v[0:1]
	v_lshl_add_u64 v[0:1], v[6:7], 4, s[0:1]
	v_add_u32_e32 v6, s5, v6
	v_accvgpr_write_b32 a53, v1
	v_ashrrev_i32_e32 v7, 31, v6
	v_accvgpr_write_b32 a52, v0
	s_waitcnt vmcnt(0) lgkmcnt(0)
	scratch_store_dwordx4 off, v[2:5], off offset:416
	flat_load_dwordx4 v[2:5], v[0:1]
	v_lshl_add_u64 v[0:1], v[6:7], 4, s[0:1]
	v_add_u32_e32 v6, s5, v6
	v_accvgpr_write_b32 a55, v1
	v_ashrrev_i32_e32 v7, 31, v6
	v_accvgpr_write_b32 a54, v0
	s_waitcnt vmcnt(0) lgkmcnt(0)
	scratch_store_dwordx4 off, v[2:5], off offset:432
	flat_load_dwordx4 v[2:5], v[0:1]
	v_lshl_add_u64 v[0:1], v[6:7], 4, s[0:1]
	v_add_u32_e32 v6, s5, v6
	v_accvgpr_write_b32 a57, v1
	v_ashrrev_i32_e32 v7, 31, v6
	v_accvgpr_write_b32 a56, v0
	s_waitcnt vmcnt(0) lgkmcnt(0)
	scratch_store_dwordx4 off, v[2:5], off offset:448
	flat_load_dwordx4 v[2:5], v[0:1]
	v_lshl_add_u64 v[0:1], v[6:7], 4, s[0:1]
	v_add_u32_e32 v6, s5, v6
	v_accvgpr_write_b32 a59, v1
	v_ashrrev_i32_e32 v7, 31, v6
	v_accvgpr_write_b32 a58, v0
	s_waitcnt vmcnt(0) lgkmcnt(0)
	scratch_store_dwordx4 off, v[2:5], off offset:464
	flat_load_dwordx4 v[2:5], v[0:1]
	v_lshl_add_u64 v[0:1], v[6:7], 4, s[0:1]
	v_add_u32_e32 v6, s5, v6
	v_accvgpr_write_b32 a61, v1
	v_ashrrev_i32_e32 v7, 31, v6
	v_accvgpr_write_b32 a60, v0
	s_waitcnt vmcnt(0) lgkmcnt(0)
	scratch_store_dwordx4 off, v[2:5], off offset:480
	flat_load_dwordx4 v[2:5], v[0:1]
	v_lshl_add_u64 v[0:1], v[6:7], 4, s[0:1]
	v_add_u32_e32 v6, s5, v6
	v_accvgpr_write_b32 a63, v1
	v_ashrrev_i32_e32 v7, 31, v6
	v_accvgpr_write_b32 a62, v0
	s_waitcnt vmcnt(0) lgkmcnt(0)
	scratch_store_dwordx4 off, v[2:5], off offset:496
	flat_load_dwordx4 v[2:5], v[0:1]
	v_lshl_add_u64 v[0:1], v[6:7], 4, s[0:1]
	v_add_u32_e32 v6, s5, v6
	v_accvgpr_write_b32 a65, v1
	v_ashrrev_i32_e32 v7, 31, v6
	v_accvgpr_write_b32 a64, v0
	s_waitcnt vmcnt(0) lgkmcnt(0)
	scratch_store_dwordx4 off, v[2:5], off offset:512
	flat_load_dwordx4 v[2:5], v[0:1]
	v_lshl_add_u64 v[0:1], v[6:7], 4, s[0:1]
	v_add_u32_e32 v6, s5, v6
	v_accvgpr_write_b32 a67, v1
	v_ashrrev_i32_e32 v7, 31, v6
	v_accvgpr_write_b32 a66, v0
	s_waitcnt vmcnt(0) lgkmcnt(0)
	scratch_store_dwordx4 off, v[2:5], off offset:528
	flat_load_dwordx4 v[2:5], v[0:1]
	v_lshl_add_u64 v[0:1], v[6:7], 4, s[0:1]
	v_add_u32_e32 v6, s5, v6
	v_accvgpr_write_b32 a69, v1
	v_ashrrev_i32_e32 v7, 31, v6
	v_accvgpr_write_b32 a68, v0
	s_waitcnt vmcnt(0) lgkmcnt(0)
	scratch_store_dwordx4 off, v[2:5], off offset:544
	flat_load_dwordx4 v[2:5], v[0:1]
	v_lshl_add_u64 v[0:1], v[6:7], 4, s[0:1]
	v_add_u32_e32 v6, s5, v6
	v_accvgpr_write_b32 a71, v1
	v_ashrrev_i32_e32 v7, 31, v6
	v_accvgpr_write_b32 a70, v0
	s_waitcnt vmcnt(0) lgkmcnt(0)
	scratch_store_dwordx4 off, v[2:5], off offset:560
	flat_load_dwordx4 v[2:5], v[0:1]
	v_lshl_add_u64 v[0:1], v[6:7], 4, s[0:1]
	v_add_u32_e32 v6, s5, v6
	v_accvgpr_write_b32 a73, v1
	v_ashrrev_i32_e32 v7, 31, v6
	v_accvgpr_write_b32 a72, v0
	s_waitcnt vmcnt(0) lgkmcnt(0)
	scratch_store_dwordx4 off, v[2:5], off offset:576
	flat_load_dwordx4 v[2:5], v[0:1]
	v_lshl_add_u64 v[0:1], v[6:7], 4, s[0:1]
	v_add_u32_e32 v6, s5, v6
	v_accvgpr_write_b32 a75, v1
	v_ashrrev_i32_e32 v7, 31, v6
	v_accvgpr_write_b32 a74, v0
	s_waitcnt vmcnt(0) lgkmcnt(0)
	scratch_store_dwordx4 off, v[2:5], off offset:592
	flat_load_dwordx4 v[2:5], v[0:1]
	v_lshl_add_u64 v[0:1], v[6:7], 4, s[0:1]
	v_add_u32_e32 v6, s5, v6
	v_accvgpr_write_b32 a77, v1
	v_ashrrev_i32_e32 v7, 31, v6
	v_accvgpr_write_b32 a76, v0
	s_waitcnt vmcnt(0) lgkmcnt(0)
	scratch_store_dwordx4 off, v[2:5], off offset:608
	flat_load_dwordx4 v[2:5], v[0:1]
	v_lshl_add_u64 v[0:1], v[6:7], 4, s[0:1]
	v_add_u32_e32 v6, s5, v6
	v_accvgpr_write_b32 a79, v1
	v_ashrrev_i32_e32 v7, 31, v6
	v_accvgpr_write_b32 a78, v0
	s_waitcnt vmcnt(0) lgkmcnt(0)
	scratch_store_dwordx4 off, v[2:5], off offset:624
	flat_load_dwordx4 v[2:5], v[0:1]
	v_lshl_add_u64 v[0:1], v[6:7], 4, s[0:1]
	v_add_u32_e32 v6, s5, v6
	v_accvgpr_write_b32 a81, v1
	v_ashrrev_i32_e32 v7, 31, v6
	v_accvgpr_write_b32 a80, v0
	s_waitcnt vmcnt(0) lgkmcnt(0)
	scratch_store_dwordx4 off, v[2:5], off offset:640
	flat_load_dwordx4 v[2:5], v[0:1]
	v_lshl_add_u64 v[0:1], v[6:7], 4, s[0:1]
	v_add_u32_e32 v6, s5, v6
	v_accvgpr_write_b32 a83, v1
	v_ashrrev_i32_e32 v7, 31, v6
	v_accvgpr_write_b32 a82, v0
	s_waitcnt vmcnt(0) lgkmcnt(0)
	scratch_store_dwordx4 off, v[2:5], off offset:656
	flat_load_dwordx4 v[2:5], v[0:1]
	v_lshl_add_u64 v[0:1], v[6:7], 4, s[0:1]
	v_add_u32_e32 v6, s5, v6
	v_accvgpr_write_b32 a85, v1
	v_ashrrev_i32_e32 v7, 31, v6
	v_accvgpr_write_b32 a84, v0
	s_waitcnt vmcnt(0) lgkmcnt(0)
	scratch_store_dwordx4 off, v[2:5], off offset:672
	flat_load_dwordx4 v[2:5], v[0:1]
	v_lshl_add_u64 v[0:1], v[6:7], 4, s[0:1]
	v_add_u32_e32 v6, s5, v6
	v_accvgpr_write_b32 a87, v1
	v_ashrrev_i32_e32 v7, 31, v6
	v_accvgpr_write_b32 a86, v0
	s_waitcnt vmcnt(0) lgkmcnt(0)
	scratch_store_dwordx4 off, v[2:5], off offset:688
	flat_load_dwordx4 v[2:5], v[0:1]
	v_lshl_add_u64 v[0:1], v[6:7], 4, s[0:1]
	v_add_u32_e32 v6, s5, v6
	v_accvgpr_write_b32 a89, v1
	v_ashrrev_i32_e32 v7, 31, v6
	v_accvgpr_write_b32 a88, v0
	s_waitcnt vmcnt(0) lgkmcnt(0)
	scratch_store_dwordx4 off, v[2:5], off offset:704
	flat_load_dwordx4 v[2:5], v[0:1]
	v_lshl_add_u64 v[0:1], v[6:7], 4, s[0:1]
	v_add_u32_e32 v6, s5, v6
	v_accvgpr_write_b32 a91, v1
	v_ashrrev_i32_e32 v7, 31, v6
	v_accvgpr_write_b32 a90, v0
	s_waitcnt vmcnt(0) lgkmcnt(0)
	scratch_store_dwordx4 off, v[2:5], off offset:720
	flat_load_dwordx4 v[2:5], v[0:1]
	v_lshl_add_u64 v[0:1], v[6:7], 4, s[0:1]
	v_add_u32_e32 v6, s5, v6
	v_accvgpr_write_b32 a93, v1
	v_ashrrev_i32_e32 v7, 31, v6
	v_accvgpr_write_b32 a92, v0
	s_waitcnt vmcnt(0) lgkmcnt(0)
	scratch_store_dwordx4 off, v[2:5], off offset:736
	flat_load_dwordx4 v[2:5], v[0:1]
	v_lshl_add_u64 v[0:1], v[6:7], 4, s[0:1]
	v_add_u32_e32 v6, s5, v6
	v_accvgpr_write_b32 a95, v1
	v_ashrrev_i32_e32 v7, 31, v6
	v_accvgpr_write_b32 a94, v0
	s_waitcnt vmcnt(0) lgkmcnt(0)
	scratch_store_dwordx4 off, v[2:5], off offset:752
	flat_load_dwordx4 v[2:5], v[0:1]
	v_lshl_add_u64 v[0:1], v[6:7], 4, s[0:1]
	v_add_u32_e32 v6, s5, v6
	v_accvgpr_write_b32 a97, v1
	v_ashrrev_i32_e32 v7, 31, v6
	v_accvgpr_write_b32 a96, v0
	s_waitcnt vmcnt(0) lgkmcnt(0)
	scratch_store_dwordx4 off, v[2:5], off offset:768
	flat_load_dwordx4 v[2:5], v[0:1]
	v_lshl_add_u64 v[0:1], v[6:7], 4, s[0:1]
	v_add_u32_e32 v6, s5, v6
	v_accvgpr_write_b32 a99, v1
	v_ashrrev_i32_e32 v7, 31, v6
	v_accvgpr_write_b32 a98, v0
	s_waitcnt vmcnt(0) lgkmcnt(0)
	scratch_store_dwordx4 off, v[2:5], off offset:784
	flat_load_dwordx4 v[2:5], v[0:1]
	v_lshl_add_u64 v[0:1], v[6:7], 4, s[0:1]
	v_add_u32_e32 v6, s5, v6
	v_accvgpr_write_b32 a101, v1
	v_ashrrev_i32_e32 v7, 31, v6
	v_accvgpr_write_b32 a100, v0
	s_waitcnt vmcnt(0) lgkmcnt(0)
	scratch_store_dwordx4 off, v[2:5], off offset:800
	flat_load_dwordx4 v[2:5], v[0:1]
	v_lshl_add_u64 v[0:1], v[6:7], 4, s[0:1]
	v_add_u32_e32 v6, s5, v6
	v_accvgpr_write_b32 a103, v1
	v_ashrrev_i32_e32 v7, 31, v6
	v_accvgpr_write_b32 a102, v0
	s_waitcnt vmcnt(0) lgkmcnt(0)
	scratch_store_dwordx4 off, v[2:5], off offset:816
	flat_load_dwordx4 v[2:5], v[0:1]
	v_lshl_add_u64 v[0:1], v[6:7], 4, s[0:1]
	v_add_u32_e32 v6, s5, v6
	v_accvgpr_write_b32 a105, v1
	v_ashrrev_i32_e32 v7, 31, v6
	v_accvgpr_write_b32 a104, v0
	s_movk_i32 s5, 0x1f0
	s_add_i32 s39, s5, 16
	s_mov_b64 s[4:5], -1
	s_waitcnt vmcnt(0) lgkmcnt(0)
	scratch_store_dwordx4 off, v[2:5], off offset:832
	flat_load_dwordx4 v[2:5], v[0:1]
	v_lshl_add_u64 v[0:1], v[6:7], 4, s[0:1]
	s_movk_i32 s0, 0x1d0
	s_movk_i32 s1, 0x1e0
	v_accvgpr_write_b32 a107, v1
	s_add_i32 s41, s0, 16
	s_add_i32 s40, s1, 16
	v_accvgpr_write_b32 a106, v0
	s_bitcmp0_b32 s14, 0
	s_waitcnt vmcnt(0) lgkmcnt(0)
	scratch_store_dwordx4 off, v[2:5], off offset:848
	flat_load_dwordx4 v[2:5], v[0:1]
	s_waitcnt vmcnt(0) lgkmcnt(0)
	scratch_store_dwordx4 off, v[2:5], off offset:864
	s_cbranch_scc1 .LBB117_228
; %bb.4:
	v_cmp_eq_u32_e64 s[0:1], 0, v240
	s_and_saveexec_b64 s[4:5], s[0:1]
; %bb.5:
	v_mov_b32_e32 v0, 0
	ds_write_b32 v0, v0 offset:1728
; %bb.6:
	s_or_b64 exec, exec, s[4:5]
	s_waitcnt lgkmcnt(0)
	; wave barrier
	scratch_load_dwordx4 v[2:5], v14, off offset:16
	s_waitcnt vmcnt(0)
	v_cmp_eq_f64_e32 vcc, 0, v[2:3]
	v_cmp_eq_f64_e64 s[4:5], 0, v[4:5]
	s_and_b64 s[4:5], vcc, s[4:5]
	s_and_saveexec_b64 s[12:13], s[4:5]
	s_cbranch_execz .LBB117_10
; %bb.7:
	v_mov_b32_e32 v1, 0
	ds_read_b32 v0, v1 offset:1728
	v_add_u32_e32 v2, 1, v240
	s_waitcnt lgkmcnt(0)
	v_readfirstlane_b32 s4, v0
	s_cmp_eq_u32 s4, 0
	s_cselect_b64 s[14:15], -1, 0
	v_cmp_gt_i32_e32 vcc, s4, v2
	s_or_b64 s[14:15], s[14:15], vcc
	s_and_b64 exec, exec, s[14:15]
	s_cbranch_execz .LBB117_10
; %bb.8:
	s_mov_b64 s[14:15], 0
	v_mov_b32_e32 v3, s4
.LBB117_9:                              ; =>This Inner Loop Header: Depth=1
	ds_cmpst_rtn_b32 v3, v1, v3, v2 offset:1728
	s_waitcnt lgkmcnt(0)
	v_cmp_ne_u32_e32 vcc, 0, v3
	v_cmp_le_i32_e64 s[4:5], v3, v2
	s_and_b64 s[4:5], vcc, s[4:5]
	s_and_b64 s[4:5], exec, s[4:5]
	s_or_b64 s[14:15], s[4:5], s[14:15]
	s_andn2_b64 exec, exec, s[14:15]
	s_cbranch_execnz .LBB117_9
.LBB117_10:
	s_or_b64 exec, exec, s[12:13]
	v_mov_b32_e32 v2, 0
	; wave barrier
	ds_read_b32 v1, v2 offset:1728
	s_and_saveexec_b64 s[4:5], s[0:1]
	s_cbranch_execz .LBB117_12
; %bb.11:
	s_lshl_b64 s[12:13], s[2:3], 2
	s_add_u32 s12, s6, s12
	s_addc_u32 s13, s7, s13
	s_waitcnt lgkmcnt(0)
	global_store_dword v2, v1, s[12:13]
.LBB117_12:
	s_or_b64 exec, exec, s[4:5]
	s_waitcnt lgkmcnt(0)
	v_cmp_ne_u32_e32 vcc, 0, v1
	s_mov_b64 s[4:5], 0
	s_cbranch_vccnz .LBB117_228
; %bb.13:
	v_add_u32_e32 v15, 16, v14
	scratch_load_dwordx4 v[2:5], v15, off
                                        ; implicit-def: $vgpr6_vgpr7
                                        ; implicit-def: $vgpr10_vgpr11
	s_waitcnt vmcnt(0)
	v_cmp_ngt_f64_e64 s[4:5], |v[2:3]|, |v[4:5]|
	s_and_saveexec_b64 s[12:13], s[4:5]
	s_xor_b64 s[4:5], exec, s[12:13]
	s_cbranch_execz .LBB117_15
; %bb.14:
	v_div_scale_f64 v[6:7], s[12:13], v[4:5], v[4:5], v[2:3]
	v_rcp_f64_e32 v[8:9], v[6:7]
	v_div_scale_f64 v[10:11], vcc, v[2:3], v[4:5], v[2:3]
	v_fma_f64 v[12:13], -v[6:7], v[8:9], 1.0
	v_fmac_f64_e32 v[8:9], v[8:9], v[12:13]
	v_fma_f64 v[12:13], -v[6:7], v[8:9], 1.0
	v_fmac_f64_e32 v[8:9], v[8:9], v[12:13]
	v_mul_f64 v[12:13], v[10:11], v[8:9]
	v_fma_f64 v[6:7], -v[6:7], v[12:13], v[10:11]
	v_div_fmas_f64 v[6:7], v[6:7], v[8:9], v[12:13]
	v_div_fixup_f64 v[6:7], v[6:7], v[4:5], v[2:3]
	v_fmac_f64_e32 v[4:5], v[2:3], v[6:7]
	v_div_scale_f64 v[2:3], s[12:13], v[4:5], v[4:5], 1.0
	v_rcp_f64_e32 v[8:9], v[2:3]
	s_nop 0
	v_fma_f64 v[10:11], -v[2:3], v[8:9], 1.0
	v_fmac_f64_e32 v[8:9], v[8:9], v[10:11]
	v_fma_f64 v[10:11], -v[2:3], v[8:9], 1.0
	v_fmac_f64_e32 v[8:9], v[8:9], v[10:11]
	v_div_scale_f64 v[10:11], vcc, 1.0, v[4:5], 1.0
	v_mul_f64 v[12:13], v[10:11], v[8:9]
	v_fma_f64 v[2:3], -v[2:3], v[12:13], v[10:11]
	s_nop 1
	v_div_fmas_f64 v[2:3], v[2:3], v[8:9], v[12:13]
	v_div_fixup_f64 v[8:9], v[2:3], v[4:5], 1.0
	v_mul_f64 v[6:7], v[6:7], v[8:9]
	v_xor_b32_e32 v9, 0x80000000, v9
	v_xor_b32_e32 v11, 0x80000000, v7
	v_mov_b32_e32 v10, v6
                                        ; implicit-def: $vgpr2_vgpr3
.LBB117_15:
	s_andn2_saveexec_b64 s[4:5], s[4:5]
	s_cbranch_execz .LBB117_17
; %bb.16:
	v_div_scale_f64 v[6:7], s[12:13], v[2:3], v[2:3], v[4:5]
	v_rcp_f64_e32 v[8:9], v[6:7]
	v_div_scale_f64 v[10:11], vcc, v[4:5], v[2:3], v[4:5]
	v_fma_f64 v[12:13], -v[6:7], v[8:9], 1.0
	v_fmac_f64_e32 v[8:9], v[8:9], v[12:13]
	v_fma_f64 v[12:13], -v[6:7], v[8:9], 1.0
	v_fmac_f64_e32 v[8:9], v[8:9], v[12:13]
	v_mul_f64 v[12:13], v[10:11], v[8:9]
	v_fma_f64 v[6:7], -v[6:7], v[12:13], v[10:11]
	v_div_fmas_f64 v[6:7], v[6:7], v[8:9], v[12:13]
	v_div_fixup_f64 v[8:9], v[6:7], v[2:3], v[4:5]
	v_fmac_f64_e32 v[2:3], v[4:5], v[8:9]
	v_div_scale_f64 v[4:5], s[12:13], v[2:3], v[2:3], 1.0
	v_rcp_f64_e32 v[6:7], v[4:5]
	s_nop 0
	v_fma_f64 v[10:11], -v[4:5], v[6:7], 1.0
	v_fmac_f64_e32 v[6:7], v[6:7], v[10:11]
	v_fma_f64 v[10:11], -v[4:5], v[6:7], 1.0
	v_fmac_f64_e32 v[6:7], v[6:7], v[10:11]
	v_div_scale_f64 v[10:11], vcc, 1.0, v[2:3], 1.0
	v_mul_f64 v[12:13], v[10:11], v[6:7]
	v_fma_f64 v[4:5], -v[4:5], v[12:13], v[10:11]
	s_nop 1
	v_div_fmas_f64 v[4:5], v[4:5], v[6:7], v[12:13]
	v_div_fixup_f64 v[6:7], v[4:5], v[2:3], 1.0
	v_xor_b32_e32 v11, 0x80000000, v7
	v_mov_b32_e32 v10, v6
	v_mul_f64 v[8:9], v[8:9], -v[6:7]
.LBB117_17:
	s_or_b64 exec, exec, s[4:5]
	scratch_store_dwordx4 v15, v[6:9], off
	scratch_load_dwordx4 v[2:5], off, s69
	v_xor_b32_e32 v13, 0x80000000, v9
	v_mov_b32_e32 v12, v8
	v_add_u32_e32 v1, 0x360, v14
	ds_write_b128 v14, v[10:13]
	s_waitcnt vmcnt(0)
	ds_write_b128 v14, v[2:5] offset:864
	s_waitcnt lgkmcnt(0)
	; wave barrier
	s_and_saveexec_b64 s[4:5], s[0:1]
	s_cbranch_execz .LBB117_19
; %bb.18:
	scratch_load_dwordx4 v[2:5], v15, off
	ds_read_b128 v[6:9], v1
	v_mov_b32_e32 v0, 0
	ds_read_b128 v[10:13], v0 offset:16
	s_waitcnt vmcnt(0) lgkmcnt(1)
	v_mul_f64 v[16:17], v[8:9], v[4:5]
	v_mul_f64 v[4:5], v[6:7], v[4:5]
	v_fma_f64 v[6:7], v[6:7], v[2:3], -v[16:17]
	v_fmac_f64_e32 v[4:5], v[8:9], v[2:3]
	v_add_f64 v[2:3], v[6:7], 0
	v_add_f64 v[6:7], v[4:5], 0
	s_waitcnt lgkmcnt(0)
	v_mul_f64 v[8:9], v[6:7], v[12:13]
	v_mul_f64 v[4:5], v[2:3], v[12:13]
	v_fma_f64 v[2:3], v[2:3], v[10:11], -v[8:9]
	v_fmac_f64_e32 v[4:5], v[6:7], v[10:11]
	scratch_store_dwordx4 off, v[2:5], off offset:32
.LBB117_19:
	s_or_b64 exec, exec, s[4:5]
	; wave barrier
	scratch_load_dwordx4 v[2:5], off, s68
	v_cmp_gt_u32_e32 vcc, 2, v240
	s_waitcnt vmcnt(0)
	ds_write_b128 v1, v[2:5]
	s_waitcnt lgkmcnt(0)
	; wave barrier
	s_and_saveexec_b64 s[4:5], vcc
	s_cbranch_execz .LBB117_23
; %bb.20:
	scratch_load_dwordx4 v[2:5], v15, off
	ds_read_b128 v[6:9], v1
	s_waitcnt vmcnt(0) lgkmcnt(0)
	v_mul_f64 v[10:11], v[8:9], v[4:5]
	v_mul_f64 v[12:13], v[6:7], v[4:5]
	v_fma_f64 v[4:5], v[6:7], v[2:3], -v[10:11]
	v_fmac_f64_e32 v[12:13], v[8:9], v[2:3]
	v_add_f64 v[4:5], v[4:5], 0
	v_add_f64 v[2:3], v[12:13], 0
	s_and_saveexec_b64 s[12:13], s[0:1]
	s_cbranch_execz .LBB117_22
; %bb.21:
	scratch_load_dwordx4 v[6:9], off, off offset:32
	v_mov_b32_e32 v0, 0
	ds_read_b128 v[10:13], v0 offset:880
	s_waitcnt vmcnt(0) lgkmcnt(0)
	v_mul_f64 v[16:17], v[10:11], v[8:9]
	v_mul_f64 v[8:9], v[12:13], v[8:9]
	v_fmac_f64_e32 v[16:17], v[12:13], v[6:7]
	v_fma_f64 v[6:7], v[10:11], v[6:7], -v[8:9]
	v_add_f64 v[2:3], v[2:3], v[16:17]
	v_add_f64 v[4:5], v[4:5], v[6:7]
.LBB117_22:
	s_or_b64 exec, exec, s[12:13]
	v_mov_b32_e32 v0, 0
	ds_read_b128 v[6:9], v0 offset:32
	s_waitcnt lgkmcnt(0)
	v_mul_f64 v[12:13], v[2:3], v[8:9]
	v_mul_f64 v[10:11], v[4:5], v[8:9]
	v_fma_f64 v[8:9], v[4:5], v[6:7], -v[12:13]
	v_fmac_f64_e32 v[10:11], v[2:3], v[6:7]
	scratch_store_dwordx4 off, v[8:11], off offset:48
.LBB117_23:
	s_or_b64 exec, exec, s[4:5]
	; wave barrier
	scratch_load_dwordx4 v[2:5], off, s67
	v_cmp_gt_u32_e32 vcc, 3, v240
	v_add_u32_e32 v6, -1, v240
	s_waitcnt vmcnt(0)
	ds_write_b128 v1, v[2:5]
	s_waitcnt lgkmcnt(0)
	; wave barrier
	s_and_saveexec_b64 s[0:1], vcc
	s_cbranch_execz .LBB117_27
; %bb.24:
	v_add_u32_e32 v7, -1, v240
	v_add_u32_e32 v8, 0x360, v14
	v_add_u32_e32 v9, 16, v14
	v_mov_b64_e32 v[2:3], 0
	s_mov_b64 s[4:5], 0
	v_mov_b64_e32 v[4:5], 0
.LBB117_25:                             ; =>This Inner Loop Header: Depth=1
	scratch_load_dwordx4 v[10:13], v9, off
	ds_read_b128 v[16:19], v8
	v_add_u32_e32 v7, 1, v7
	v_cmp_lt_u32_e32 vcc, 1, v7
	v_add_u32_e32 v8, 16, v8
	v_add_u32_e32 v9, 16, v9
	s_or_b64 s[4:5], vcc, s[4:5]
	s_waitcnt vmcnt(0) lgkmcnt(0)
	v_mul_f64 v[20:21], v[18:19], v[12:13]
	v_mul_f64 v[12:13], v[16:17], v[12:13]
	v_fma_f64 v[16:17], v[16:17], v[10:11], -v[20:21]
	v_fmac_f64_e32 v[12:13], v[18:19], v[10:11]
	v_add_f64 v[4:5], v[4:5], v[16:17]
	v_add_f64 v[2:3], v[2:3], v[12:13]
	s_andn2_b64 exec, exec, s[4:5]
	s_cbranch_execnz .LBB117_25
; %bb.26:
	s_or_b64 exec, exec, s[4:5]
	v_mov_b32_e32 v0, 0
	ds_read_b128 v[8:11], v0 offset:48
	s_waitcnt lgkmcnt(0)
	v_mul_f64 v[16:17], v[2:3], v[10:11]
	v_mul_f64 v[12:13], v[4:5], v[10:11]
	v_fma_f64 v[10:11], v[4:5], v[8:9], -v[16:17]
	v_fmac_f64_e32 v[12:13], v[2:3], v[8:9]
	scratch_store_dwordx4 off, v[10:13], off offset:64
.LBB117_27:
	s_or_b64 exec, exec, s[0:1]
	; wave barrier
	scratch_load_dwordx4 v[2:5], off, s66
	v_cmp_gt_u32_e32 vcc, 4, v240
	s_waitcnt vmcnt(0)
	ds_write_b128 v1, v[2:5]
	s_waitcnt lgkmcnt(0)
	; wave barrier
	s_and_saveexec_b64 s[0:1], vcc
	s_cbranch_execz .LBB117_31
; %bb.28:
	v_add_u32_e32 v7, -1, v240
	v_add_u32_e32 v8, 0x360, v14
	v_add_u32_e32 v9, 16, v14
	v_mov_b64_e32 v[2:3], 0
	s_mov_b64 s[4:5], 0
	v_mov_b64_e32 v[4:5], 0
.LBB117_29:                             ; =>This Inner Loop Header: Depth=1
	scratch_load_dwordx4 v[10:13], v9, off
	ds_read_b128 v[16:19], v8
	v_add_u32_e32 v7, 1, v7
	v_cmp_lt_u32_e32 vcc, 2, v7
	v_add_u32_e32 v8, 16, v8
	v_add_u32_e32 v9, 16, v9
	s_or_b64 s[4:5], vcc, s[4:5]
	s_waitcnt vmcnt(0) lgkmcnt(0)
	v_mul_f64 v[20:21], v[18:19], v[12:13]
	v_mul_f64 v[12:13], v[16:17], v[12:13]
	v_fma_f64 v[16:17], v[16:17], v[10:11], -v[20:21]
	v_fmac_f64_e32 v[12:13], v[18:19], v[10:11]
	v_add_f64 v[4:5], v[4:5], v[16:17]
	v_add_f64 v[2:3], v[2:3], v[12:13]
	s_andn2_b64 exec, exec, s[4:5]
	s_cbranch_execnz .LBB117_29
; %bb.30:
	s_or_b64 exec, exec, s[4:5]
	v_mov_b32_e32 v0, 0
	ds_read_b128 v[8:11], v0 offset:64
	s_waitcnt lgkmcnt(0)
	v_mul_f64 v[16:17], v[2:3], v[10:11]
	v_mul_f64 v[12:13], v[4:5], v[10:11]
	v_fma_f64 v[10:11], v[4:5], v[8:9], -v[16:17]
	v_fmac_f64_e32 v[12:13], v[2:3], v[8:9]
	scratch_store_dwordx4 off, v[10:13], off offset:80
.LBB117_31:
	s_or_b64 exec, exec, s[0:1]
	; wave barrier
	scratch_load_dwordx4 v[2:5], off, s65
	v_cmp_gt_u32_e32 vcc, 5, v240
	;; [unrolled: 45-line block ×19, first 2 shown]
	s_waitcnt vmcnt(0)
	ds_write_b128 v1, v[2:5]
	s_waitcnt lgkmcnt(0)
	; wave barrier
	s_and_saveexec_b64 s[0:1], vcc
	s_cbranch_execz .LBB117_103
; %bb.100:
	v_add_u32_e32 v7, -1, v240
	v_add_u32_e32 v8, 0x360, v14
	v_add_u32_e32 v9, 16, v14
	v_mov_b64_e32 v[2:3], 0
	s_mov_b64 s[4:5], 0
	v_mov_b64_e32 v[4:5], 0
.LBB117_101:                            ; =>This Inner Loop Header: Depth=1
	scratch_load_dwordx4 v[10:13], v9, off
	ds_read_b128 v[16:19], v8
	v_add_u32_e32 v7, 1, v7
	v_cmp_lt_u32_e32 vcc, 20, v7
	v_add_u32_e32 v8, 16, v8
	v_add_u32_e32 v9, 16, v9
	s_or_b64 s[4:5], vcc, s[4:5]
	s_waitcnt vmcnt(0) lgkmcnt(0)
	v_mul_f64 v[20:21], v[18:19], v[12:13]
	v_mul_f64 v[12:13], v[16:17], v[12:13]
	v_fma_f64 v[16:17], v[16:17], v[10:11], -v[20:21]
	v_fmac_f64_e32 v[12:13], v[18:19], v[10:11]
	v_add_f64 v[4:5], v[4:5], v[16:17]
	v_add_f64 v[2:3], v[2:3], v[12:13]
	s_andn2_b64 exec, exec, s[4:5]
	s_cbranch_execnz .LBB117_101
; %bb.102:
	s_or_b64 exec, exec, s[4:5]
	v_mov_b32_e32 v0, 0
	ds_read_b128 v[8:11], v0 offset:352
	s_waitcnt lgkmcnt(0)
	v_mul_f64 v[16:17], v[2:3], v[10:11]
	v_mul_f64 v[12:13], v[4:5], v[10:11]
	v_fma_f64 v[10:11], v[4:5], v[8:9], -v[16:17]
	v_fmac_f64_e32 v[12:13], v[2:3], v[8:9]
	scratch_store_dwordx4 off, v[10:13], off offset:368
.LBB117_103:
	s_or_b64 exec, exec, s[0:1]
	; wave barrier
	scratch_load_dwordx4 v[2:5], off, s47
	v_cmp_gt_u32_e32 vcc, 23, v240
	s_waitcnt vmcnt(0)
	ds_write_b128 v1, v[2:5]
	s_waitcnt lgkmcnt(0)
	; wave barrier
	s_and_saveexec_b64 s[0:1], vcc
	s_cbranch_execz .LBB117_107
; %bb.104:
	v_add_u32_e32 v7, -1, v240
	v_add_u32_e32 v8, 0x360, v14
	v_add_u32_e32 v9, 16, v14
	v_mov_b64_e32 v[2:3], 0
	s_mov_b64 s[4:5], 0
	v_mov_b64_e32 v[4:5], 0
.LBB117_105:                            ; =>This Inner Loop Header: Depth=1
	scratch_load_dwordx4 v[10:13], v9, off
	ds_read_b128 v[16:19], v8
	v_add_u32_e32 v7, 1, v7
	v_cmp_lt_u32_e32 vcc, 21, v7
	v_add_u32_e32 v8, 16, v8
	v_add_u32_e32 v9, 16, v9
	s_or_b64 s[4:5], vcc, s[4:5]
	s_waitcnt vmcnt(0) lgkmcnt(0)
	v_mul_f64 v[20:21], v[18:19], v[12:13]
	v_mul_f64 v[12:13], v[16:17], v[12:13]
	v_fma_f64 v[16:17], v[16:17], v[10:11], -v[20:21]
	v_fmac_f64_e32 v[12:13], v[18:19], v[10:11]
	v_add_f64 v[4:5], v[4:5], v[16:17]
	v_add_f64 v[2:3], v[2:3], v[12:13]
	s_andn2_b64 exec, exec, s[4:5]
	s_cbranch_execnz .LBB117_105
; %bb.106:
	s_or_b64 exec, exec, s[4:5]
	v_mov_b32_e32 v0, 0
	ds_read_b128 v[8:11], v0 offset:368
	s_waitcnt lgkmcnt(0)
	v_mul_f64 v[16:17], v[2:3], v[10:11]
	v_mul_f64 v[12:13], v[4:5], v[10:11]
	v_fma_f64 v[10:11], v[4:5], v[8:9], -v[16:17]
	v_fmac_f64_e32 v[12:13], v[2:3], v[8:9]
	scratch_store_dwordx4 off, v[10:13], off offset:384
.LBB117_107:
	s_or_b64 exec, exec, s[0:1]
	; wave barrier
	scratch_load_dwordx4 v[2:5], off, s46
	v_cmp_gt_u32_e32 vcc, 24, v240
	s_waitcnt vmcnt(0)
	ds_write_b128 v1, v[2:5]
	s_waitcnt lgkmcnt(0)
	; wave barrier
	s_and_saveexec_b64 s[0:1], vcc
	s_cbranch_execz .LBB117_111
; %bb.108:
	v_add_u32_e32 v7, -1, v240
	v_add_u32_e32 v8, 0x360, v14
	v_add_u32_e32 v9, 16, v14
	v_mov_b64_e32 v[2:3], 0
	s_mov_b64 s[4:5], 0
	v_mov_b64_e32 v[4:5], 0
.LBB117_109:                            ; =>This Inner Loop Header: Depth=1
	scratch_load_dwordx4 v[10:13], v9, off
	ds_read_b128 v[16:19], v8
	v_add_u32_e32 v7, 1, v7
	v_cmp_lt_u32_e32 vcc, 22, v7
	v_add_u32_e32 v8, 16, v8
	v_add_u32_e32 v9, 16, v9
	s_or_b64 s[4:5], vcc, s[4:5]
	s_waitcnt vmcnt(0) lgkmcnt(0)
	v_mul_f64 v[20:21], v[18:19], v[12:13]
	v_mul_f64 v[12:13], v[16:17], v[12:13]
	v_fma_f64 v[16:17], v[16:17], v[10:11], -v[20:21]
	v_fmac_f64_e32 v[12:13], v[18:19], v[10:11]
	v_add_f64 v[4:5], v[4:5], v[16:17]
	v_add_f64 v[2:3], v[2:3], v[12:13]
	s_andn2_b64 exec, exec, s[4:5]
	s_cbranch_execnz .LBB117_109
; %bb.110:
	s_or_b64 exec, exec, s[4:5]
	v_mov_b32_e32 v0, 0
	ds_read_b128 v[8:11], v0 offset:384
	s_waitcnt lgkmcnt(0)
	v_mul_f64 v[16:17], v[2:3], v[10:11]
	v_mul_f64 v[12:13], v[4:5], v[10:11]
	v_fma_f64 v[10:11], v[4:5], v[8:9], -v[16:17]
	v_fmac_f64_e32 v[12:13], v[2:3], v[8:9]
	scratch_store_dwordx4 off, v[10:13], off offset:400
.LBB117_111:
	s_or_b64 exec, exec, s[0:1]
	; wave barrier
	scratch_load_dwordx4 v[2:5], off, s45
	v_cmp_gt_u32_e32 vcc, 25, v240
	s_waitcnt vmcnt(0)
	ds_write_b128 v1, v[2:5]
	s_waitcnt lgkmcnt(0)
	; wave barrier
	s_and_saveexec_b64 s[0:1], vcc
	s_cbranch_execz .LBB117_115
; %bb.112:
	v_add_u32_e32 v7, -1, v240
	v_add_u32_e32 v8, 0x360, v14
	v_add_u32_e32 v9, 16, v14
	v_mov_b64_e32 v[2:3], 0
	s_mov_b64 s[4:5], 0
	v_mov_b64_e32 v[4:5], 0
.LBB117_113:                            ; =>This Inner Loop Header: Depth=1
	scratch_load_dwordx4 v[10:13], v9, off
	ds_read_b128 v[16:19], v8
	v_add_u32_e32 v7, 1, v7
	v_cmp_lt_u32_e32 vcc, 23, v7
	v_add_u32_e32 v8, 16, v8
	v_add_u32_e32 v9, 16, v9
	s_or_b64 s[4:5], vcc, s[4:5]
	s_waitcnt vmcnt(0) lgkmcnt(0)
	v_mul_f64 v[20:21], v[18:19], v[12:13]
	v_mul_f64 v[12:13], v[16:17], v[12:13]
	v_fma_f64 v[16:17], v[16:17], v[10:11], -v[20:21]
	v_fmac_f64_e32 v[12:13], v[18:19], v[10:11]
	v_add_f64 v[4:5], v[4:5], v[16:17]
	v_add_f64 v[2:3], v[2:3], v[12:13]
	s_andn2_b64 exec, exec, s[4:5]
	s_cbranch_execnz .LBB117_113
; %bb.114:
	s_or_b64 exec, exec, s[4:5]
	v_mov_b32_e32 v0, 0
	ds_read_b128 v[8:11], v0 offset:400
	s_waitcnt lgkmcnt(0)
	v_mul_f64 v[16:17], v[2:3], v[10:11]
	v_mul_f64 v[12:13], v[4:5], v[10:11]
	v_fma_f64 v[10:11], v[4:5], v[8:9], -v[16:17]
	v_fmac_f64_e32 v[12:13], v[2:3], v[8:9]
	scratch_store_dwordx4 off, v[10:13], off offset:416
.LBB117_115:
	s_or_b64 exec, exec, s[0:1]
	; wave barrier
	scratch_load_dwordx4 v[2:5], off, s44
	v_cmp_gt_u32_e32 vcc, 26, v240
	s_waitcnt vmcnt(0)
	ds_write_b128 v1, v[2:5]
	s_waitcnt lgkmcnt(0)
	; wave barrier
	s_and_saveexec_b64 s[0:1], vcc
	s_cbranch_execz .LBB117_119
; %bb.116:
	v_add_u32_e32 v7, -1, v240
	v_add_u32_e32 v8, 0x360, v14
	v_add_u32_e32 v9, 16, v14
	v_mov_b64_e32 v[2:3], 0
	s_mov_b64 s[4:5], 0
	v_mov_b64_e32 v[4:5], 0
.LBB117_117:                            ; =>This Inner Loop Header: Depth=1
	scratch_load_dwordx4 v[10:13], v9, off
	ds_read_b128 v[16:19], v8
	v_add_u32_e32 v7, 1, v7
	v_cmp_lt_u32_e32 vcc, 24, v7
	v_add_u32_e32 v8, 16, v8
	v_add_u32_e32 v9, 16, v9
	s_or_b64 s[4:5], vcc, s[4:5]
	s_waitcnt vmcnt(0) lgkmcnt(0)
	v_mul_f64 v[20:21], v[18:19], v[12:13]
	v_mul_f64 v[12:13], v[16:17], v[12:13]
	v_fma_f64 v[16:17], v[16:17], v[10:11], -v[20:21]
	v_fmac_f64_e32 v[12:13], v[18:19], v[10:11]
	v_add_f64 v[4:5], v[4:5], v[16:17]
	v_add_f64 v[2:3], v[2:3], v[12:13]
	s_andn2_b64 exec, exec, s[4:5]
	s_cbranch_execnz .LBB117_117
; %bb.118:
	s_or_b64 exec, exec, s[4:5]
	v_mov_b32_e32 v0, 0
	ds_read_b128 v[8:11], v0 offset:416
	s_waitcnt lgkmcnt(0)
	v_mul_f64 v[16:17], v[2:3], v[10:11]
	v_mul_f64 v[12:13], v[4:5], v[10:11]
	v_fma_f64 v[10:11], v[4:5], v[8:9], -v[16:17]
	v_fmac_f64_e32 v[12:13], v[2:3], v[8:9]
	scratch_store_dwordx4 off, v[10:13], off offset:432
.LBB117_119:
	s_or_b64 exec, exec, s[0:1]
	; wave barrier
	scratch_load_dwordx4 v[2:5], off, s43
	v_cmp_gt_u32_e32 vcc, 27, v240
	s_waitcnt vmcnt(0)
	ds_write_b128 v1, v[2:5]
	s_waitcnt lgkmcnt(0)
	; wave barrier
	s_and_saveexec_b64 s[0:1], vcc
	s_cbranch_execz .LBB117_123
; %bb.120:
	v_add_u32_e32 v7, -1, v240
	v_add_u32_e32 v8, 0x360, v14
	v_add_u32_e32 v9, 16, v14
	v_mov_b64_e32 v[2:3], 0
	s_mov_b64 s[4:5], 0
	v_mov_b64_e32 v[4:5], 0
.LBB117_121:                            ; =>This Inner Loop Header: Depth=1
	scratch_load_dwordx4 v[10:13], v9, off
	ds_read_b128 v[16:19], v8
	v_add_u32_e32 v7, 1, v7
	v_cmp_lt_u32_e32 vcc, 25, v7
	v_add_u32_e32 v8, 16, v8
	v_add_u32_e32 v9, 16, v9
	s_or_b64 s[4:5], vcc, s[4:5]
	s_waitcnt vmcnt(0) lgkmcnt(0)
	v_mul_f64 v[20:21], v[18:19], v[12:13]
	v_mul_f64 v[12:13], v[16:17], v[12:13]
	v_fma_f64 v[16:17], v[16:17], v[10:11], -v[20:21]
	v_fmac_f64_e32 v[12:13], v[18:19], v[10:11]
	v_add_f64 v[4:5], v[4:5], v[16:17]
	v_add_f64 v[2:3], v[2:3], v[12:13]
	s_andn2_b64 exec, exec, s[4:5]
	s_cbranch_execnz .LBB117_121
; %bb.122:
	s_or_b64 exec, exec, s[4:5]
	v_mov_b32_e32 v0, 0
	ds_read_b128 v[8:11], v0 offset:432
	s_waitcnt lgkmcnt(0)
	v_mul_f64 v[16:17], v[2:3], v[10:11]
	v_mul_f64 v[12:13], v[4:5], v[10:11]
	v_fma_f64 v[10:11], v[4:5], v[8:9], -v[16:17]
	v_fmac_f64_e32 v[12:13], v[2:3], v[8:9]
	scratch_store_dwordx4 off, v[10:13], off offset:448
.LBB117_123:
	s_or_b64 exec, exec, s[0:1]
	; wave barrier
	scratch_load_dwordx4 v[2:5], off, s42
	v_cmp_gt_u32_e32 vcc, 28, v240
	s_waitcnt vmcnt(0)
	ds_write_b128 v1, v[2:5]
	s_waitcnt lgkmcnt(0)
	; wave barrier
	s_and_saveexec_b64 s[0:1], vcc
	s_cbranch_execz .LBB117_127
; %bb.124:
	v_add_u32_e32 v7, -1, v240
	v_add_u32_e32 v8, 0x360, v14
	v_add_u32_e32 v9, 16, v14
	v_mov_b64_e32 v[2:3], 0
	s_mov_b64 s[4:5], 0
	v_mov_b64_e32 v[4:5], 0
.LBB117_125:                            ; =>This Inner Loop Header: Depth=1
	scratch_load_dwordx4 v[10:13], v9, off
	ds_read_b128 v[16:19], v8
	v_add_u32_e32 v7, 1, v7
	v_cmp_lt_u32_e32 vcc, 26, v7
	v_add_u32_e32 v8, 16, v8
	v_add_u32_e32 v9, 16, v9
	s_or_b64 s[4:5], vcc, s[4:5]
	s_waitcnt vmcnt(0) lgkmcnt(0)
	v_mul_f64 v[20:21], v[18:19], v[12:13]
	v_mul_f64 v[12:13], v[16:17], v[12:13]
	v_fma_f64 v[16:17], v[16:17], v[10:11], -v[20:21]
	v_fmac_f64_e32 v[12:13], v[18:19], v[10:11]
	v_add_f64 v[4:5], v[4:5], v[16:17]
	v_add_f64 v[2:3], v[2:3], v[12:13]
	s_andn2_b64 exec, exec, s[4:5]
	s_cbranch_execnz .LBB117_125
; %bb.126:
	s_or_b64 exec, exec, s[4:5]
	v_mov_b32_e32 v0, 0
	ds_read_b128 v[8:11], v0 offset:448
	s_waitcnt lgkmcnt(0)
	v_mul_f64 v[16:17], v[2:3], v[10:11]
	v_mul_f64 v[12:13], v[4:5], v[10:11]
	v_fma_f64 v[10:11], v[4:5], v[8:9], -v[16:17]
	v_fmac_f64_e32 v[12:13], v[2:3], v[8:9]
	scratch_store_dwordx4 off, v[10:13], off offset:464
.LBB117_127:
	s_or_b64 exec, exec, s[0:1]
	; wave barrier
	scratch_load_dwordx4 v[2:5], off, s41
	v_cmp_gt_u32_e32 vcc, 29, v240
	s_waitcnt vmcnt(0)
	ds_write_b128 v1, v[2:5]
	s_waitcnt lgkmcnt(0)
	; wave barrier
	s_and_saveexec_b64 s[0:1], vcc
	s_cbranch_execz .LBB117_131
; %bb.128:
	v_add_u32_e32 v7, -1, v240
	v_add_u32_e32 v8, 0x360, v14
	v_add_u32_e32 v9, 16, v14
	v_mov_b64_e32 v[2:3], 0
	s_mov_b64 s[4:5], 0
	v_mov_b64_e32 v[4:5], 0
.LBB117_129:                            ; =>This Inner Loop Header: Depth=1
	scratch_load_dwordx4 v[10:13], v9, off
	ds_read_b128 v[16:19], v8
	v_add_u32_e32 v7, 1, v7
	v_cmp_lt_u32_e32 vcc, 27, v7
	v_add_u32_e32 v8, 16, v8
	v_add_u32_e32 v9, 16, v9
	s_or_b64 s[4:5], vcc, s[4:5]
	s_waitcnt vmcnt(0) lgkmcnt(0)
	v_mul_f64 v[20:21], v[18:19], v[12:13]
	v_mul_f64 v[12:13], v[16:17], v[12:13]
	v_fma_f64 v[16:17], v[16:17], v[10:11], -v[20:21]
	v_fmac_f64_e32 v[12:13], v[18:19], v[10:11]
	v_add_f64 v[4:5], v[4:5], v[16:17]
	v_add_f64 v[2:3], v[2:3], v[12:13]
	s_andn2_b64 exec, exec, s[4:5]
	s_cbranch_execnz .LBB117_129
; %bb.130:
	s_or_b64 exec, exec, s[4:5]
	v_mov_b32_e32 v0, 0
	ds_read_b128 v[8:11], v0 offset:464
	s_waitcnt lgkmcnt(0)
	v_mul_f64 v[16:17], v[2:3], v[10:11]
	v_mul_f64 v[12:13], v[4:5], v[10:11]
	v_fma_f64 v[10:11], v[4:5], v[8:9], -v[16:17]
	v_fmac_f64_e32 v[12:13], v[2:3], v[8:9]
	scratch_store_dwordx4 off, v[10:13], off offset:480
.LBB117_131:
	s_or_b64 exec, exec, s[0:1]
	; wave barrier
	scratch_load_dwordx4 v[2:5], off, s40
	v_cmp_gt_u32_e32 vcc, 30, v240
	s_waitcnt vmcnt(0)
	ds_write_b128 v1, v[2:5]
	s_waitcnt lgkmcnt(0)
	; wave barrier
	s_and_saveexec_b64 s[0:1], vcc
	s_cbranch_execz .LBB117_135
; %bb.132:
	v_add_u32_e32 v7, -1, v240
	v_add_u32_e32 v8, 0x360, v14
	v_add_u32_e32 v9, 16, v14
	v_mov_b64_e32 v[2:3], 0
	s_mov_b64 s[4:5], 0
	v_mov_b64_e32 v[4:5], 0
.LBB117_133:                            ; =>This Inner Loop Header: Depth=1
	scratch_load_dwordx4 v[10:13], v9, off
	ds_read_b128 v[16:19], v8
	v_add_u32_e32 v7, 1, v7
	v_cmp_lt_u32_e32 vcc, 28, v7
	v_add_u32_e32 v8, 16, v8
	v_add_u32_e32 v9, 16, v9
	s_or_b64 s[4:5], vcc, s[4:5]
	s_waitcnt vmcnt(0) lgkmcnt(0)
	v_mul_f64 v[20:21], v[18:19], v[12:13]
	v_mul_f64 v[12:13], v[16:17], v[12:13]
	v_fma_f64 v[16:17], v[16:17], v[10:11], -v[20:21]
	v_fmac_f64_e32 v[12:13], v[18:19], v[10:11]
	v_add_f64 v[4:5], v[4:5], v[16:17]
	v_add_f64 v[2:3], v[2:3], v[12:13]
	s_andn2_b64 exec, exec, s[4:5]
	s_cbranch_execnz .LBB117_133
; %bb.134:
	s_or_b64 exec, exec, s[4:5]
	v_mov_b32_e32 v0, 0
	ds_read_b128 v[8:11], v0 offset:480
	s_waitcnt lgkmcnt(0)
	v_mul_f64 v[16:17], v[2:3], v[10:11]
	v_mul_f64 v[12:13], v[4:5], v[10:11]
	v_fma_f64 v[10:11], v[4:5], v[8:9], -v[16:17]
	v_fmac_f64_e32 v[12:13], v[2:3], v[8:9]
	scratch_store_dwordx4 off, v[10:13], off offset:496
.LBB117_135:
	s_or_b64 exec, exec, s[0:1]
	; wave barrier
	scratch_load_dwordx4 v[2:5], off, s39
	v_cmp_gt_u32_e32 vcc, 31, v240
	s_waitcnt vmcnt(0)
	ds_write_b128 v1, v[2:5]
	s_waitcnt lgkmcnt(0)
	; wave barrier
	s_and_saveexec_b64 s[0:1], vcc
	s_cbranch_execz .LBB117_139
; %bb.136:
	v_add_u32_e32 v7, -1, v240
	v_add_u32_e32 v8, 0x360, v14
	v_add_u32_e32 v9, 16, v14
	v_mov_b64_e32 v[2:3], 0
	s_mov_b64 s[4:5], 0
	v_mov_b64_e32 v[4:5], 0
.LBB117_137:                            ; =>This Inner Loop Header: Depth=1
	scratch_load_dwordx4 v[10:13], v9, off
	ds_read_b128 v[16:19], v8
	v_add_u32_e32 v7, 1, v7
	v_cmp_lt_u32_e32 vcc, 29, v7
	v_add_u32_e32 v8, 16, v8
	v_add_u32_e32 v9, 16, v9
	s_or_b64 s[4:5], vcc, s[4:5]
	s_waitcnt vmcnt(0) lgkmcnt(0)
	v_mul_f64 v[20:21], v[18:19], v[12:13]
	v_mul_f64 v[12:13], v[16:17], v[12:13]
	v_fma_f64 v[16:17], v[16:17], v[10:11], -v[20:21]
	v_fmac_f64_e32 v[12:13], v[18:19], v[10:11]
	v_add_f64 v[4:5], v[4:5], v[16:17]
	v_add_f64 v[2:3], v[2:3], v[12:13]
	s_andn2_b64 exec, exec, s[4:5]
	s_cbranch_execnz .LBB117_137
; %bb.138:
	s_or_b64 exec, exec, s[4:5]
	v_mov_b32_e32 v0, 0
	ds_read_b128 v[8:11], v0 offset:496
	s_waitcnt lgkmcnt(0)
	v_mul_f64 v[16:17], v[2:3], v[10:11]
	v_mul_f64 v[12:13], v[4:5], v[10:11]
	v_fma_f64 v[10:11], v[4:5], v[8:9], -v[16:17]
	v_fmac_f64_e32 v[12:13], v[2:3], v[8:9]
	scratch_store_dwordx4 off, v[10:13], off offset:512
.LBB117_139:
	s_or_b64 exec, exec, s[0:1]
	; wave barrier
	scratch_load_dwordx4 v[2:5], off, s38
	v_cmp_gt_u32_e32 vcc, 32, v240
	s_waitcnt vmcnt(0)
	ds_write_b128 v1, v[2:5]
	s_waitcnt lgkmcnt(0)
	; wave barrier
	s_and_saveexec_b64 s[0:1], vcc
	s_cbranch_execz .LBB117_143
; %bb.140:
	v_add_u32_e32 v7, -1, v240
	v_add_u32_e32 v8, 0x360, v14
	v_add_u32_e32 v9, 16, v14
	v_mov_b64_e32 v[2:3], 0
	s_mov_b64 s[4:5], 0
	v_mov_b64_e32 v[4:5], 0
.LBB117_141:                            ; =>This Inner Loop Header: Depth=1
	scratch_load_dwordx4 v[10:13], v9, off
	ds_read_b128 v[16:19], v8
	v_add_u32_e32 v7, 1, v7
	v_cmp_lt_u32_e32 vcc, 30, v7
	v_add_u32_e32 v8, 16, v8
	v_add_u32_e32 v9, 16, v9
	s_or_b64 s[4:5], vcc, s[4:5]
	s_waitcnt vmcnt(0) lgkmcnt(0)
	v_mul_f64 v[20:21], v[18:19], v[12:13]
	v_mul_f64 v[12:13], v[16:17], v[12:13]
	v_fma_f64 v[16:17], v[16:17], v[10:11], -v[20:21]
	v_fmac_f64_e32 v[12:13], v[18:19], v[10:11]
	v_add_f64 v[4:5], v[4:5], v[16:17]
	v_add_f64 v[2:3], v[2:3], v[12:13]
	s_andn2_b64 exec, exec, s[4:5]
	s_cbranch_execnz .LBB117_141
; %bb.142:
	s_or_b64 exec, exec, s[4:5]
	v_mov_b32_e32 v0, 0
	ds_read_b128 v[8:11], v0 offset:512
	s_waitcnt lgkmcnt(0)
	v_mul_f64 v[16:17], v[2:3], v[10:11]
	v_mul_f64 v[12:13], v[4:5], v[10:11]
	v_fma_f64 v[10:11], v[4:5], v[8:9], -v[16:17]
	v_fmac_f64_e32 v[12:13], v[2:3], v[8:9]
	scratch_store_dwordx4 off, v[10:13], off offset:528
.LBB117_143:
	s_or_b64 exec, exec, s[0:1]
	; wave barrier
	scratch_load_dwordx4 v[2:5], off, s37
	v_cmp_gt_u32_e32 vcc, 33, v240
	s_waitcnt vmcnt(0)
	ds_write_b128 v1, v[2:5]
	s_waitcnt lgkmcnt(0)
	; wave barrier
	s_and_saveexec_b64 s[0:1], vcc
	s_cbranch_execz .LBB117_147
; %bb.144:
	v_add_u32_e32 v7, -1, v240
	v_add_u32_e32 v8, 0x360, v14
	v_add_u32_e32 v9, 16, v14
	v_mov_b64_e32 v[2:3], 0
	s_mov_b64 s[4:5], 0
	v_mov_b64_e32 v[4:5], 0
.LBB117_145:                            ; =>This Inner Loop Header: Depth=1
	scratch_load_dwordx4 v[10:13], v9, off
	ds_read_b128 v[16:19], v8
	v_add_u32_e32 v7, 1, v7
	v_cmp_lt_u32_e32 vcc, 31, v7
	v_add_u32_e32 v8, 16, v8
	v_add_u32_e32 v9, 16, v9
	s_or_b64 s[4:5], vcc, s[4:5]
	s_waitcnt vmcnt(0) lgkmcnt(0)
	v_mul_f64 v[20:21], v[18:19], v[12:13]
	v_mul_f64 v[12:13], v[16:17], v[12:13]
	v_fma_f64 v[16:17], v[16:17], v[10:11], -v[20:21]
	v_fmac_f64_e32 v[12:13], v[18:19], v[10:11]
	v_add_f64 v[4:5], v[4:5], v[16:17]
	v_add_f64 v[2:3], v[2:3], v[12:13]
	s_andn2_b64 exec, exec, s[4:5]
	s_cbranch_execnz .LBB117_145
; %bb.146:
	s_or_b64 exec, exec, s[4:5]
	v_mov_b32_e32 v0, 0
	ds_read_b128 v[8:11], v0 offset:528
	s_waitcnt lgkmcnt(0)
	v_mul_f64 v[16:17], v[2:3], v[10:11]
	v_mul_f64 v[12:13], v[4:5], v[10:11]
	v_fma_f64 v[10:11], v[4:5], v[8:9], -v[16:17]
	v_fmac_f64_e32 v[12:13], v[2:3], v[8:9]
	scratch_store_dwordx4 off, v[10:13], off offset:544
.LBB117_147:
	s_or_b64 exec, exec, s[0:1]
	; wave barrier
	scratch_load_dwordx4 v[2:5], off, s36
	v_cmp_gt_u32_e32 vcc, 34, v240
	s_waitcnt vmcnt(0)
	ds_write_b128 v1, v[2:5]
	s_waitcnt lgkmcnt(0)
	; wave barrier
	s_and_saveexec_b64 s[0:1], vcc
	s_cbranch_execz .LBB117_151
; %bb.148:
	v_add_u32_e32 v7, -1, v240
	v_add_u32_e32 v8, 0x360, v14
	v_add_u32_e32 v9, 16, v14
	v_mov_b64_e32 v[2:3], 0
	s_mov_b64 s[4:5], 0
	v_mov_b64_e32 v[4:5], 0
.LBB117_149:                            ; =>This Inner Loop Header: Depth=1
	scratch_load_dwordx4 v[10:13], v9, off
	ds_read_b128 v[16:19], v8
	v_add_u32_e32 v7, 1, v7
	v_cmp_lt_u32_e32 vcc, 32, v7
	v_add_u32_e32 v8, 16, v8
	v_add_u32_e32 v9, 16, v9
	s_or_b64 s[4:5], vcc, s[4:5]
	s_waitcnt vmcnt(0) lgkmcnt(0)
	v_mul_f64 v[20:21], v[18:19], v[12:13]
	v_mul_f64 v[12:13], v[16:17], v[12:13]
	v_fma_f64 v[16:17], v[16:17], v[10:11], -v[20:21]
	v_fmac_f64_e32 v[12:13], v[18:19], v[10:11]
	v_add_f64 v[4:5], v[4:5], v[16:17]
	v_add_f64 v[2:3], v[2:3], v[12:13]
	s_andn2_b64 exec, exec, s[4:5]
	s_cbranch_execnz .LBB117_149
; %bb.150:
	s_or_b64 exec, exec, s[4:5]
	v_mov_b32_e32 v0, 0
	ds_read_b128 v[8:11], v0 offset:544
	s_waitcnt lgkmcnt(0)
	v_mul_f64 v[16:17], v[2:3], v[10:11]
	v_mul_f64 v[12:13], v[4:5], v[10:11]
	v_fma_f64 v[10:11], v[4:5], v[8:9], -v[16:17]
	v_fmac_f64_e32 v[12:13], v[2:3], v[8:9]
	scratch_store_dwordx4 off, v[10:13], off offset:560
.LBB117_151:
	s_or_b64 exec, exec, s[0:1]
	; wave barrier
	scratch_load_dwordx4 v[2:5], off, s35
	v_cmp_gt_u32_e32 vcc, 35, v240
	s_waitcnt vmcnt(0)
	ds_write_b128 v1, v[2:5]
	s_waitcnt lgkmcnt(0)
	; wave barrier
	s_and_saveexec_b64 s[0:1], vcc
	s_cbranch_execz .LBB117_155
; %bb.152:
	v_add_u32_e32 v7, -1, v240
	v_add_u32_e32 v8, 0x360, v14
	v_add_u32_e32 v9, 16, v14
	v_mov_b64_e32 v[2:3], 0
	s_mov_b64 s[4:5], 0
	v_mov_b64_e32 v[4:5], 0
.LBB117_153:                            ; =>This Inner Loop Header: Depth=1
	scratch_load_dwordx4 v[10:13], v9, off
	ds_read_b128 v[16:19], v8
	v_add_u32_e32 v7, 1, v7
	v_cmp_lt_u32_e32 vcc, 33, v7
	v_add_u32_e32 v8, 16, v8
	v_add_u32_e32 v9, 16, v9
	s_or_b64 s[4:5], vcc, s[4:5]
	s_waitcnt vmcnt(0) lgkmcnt(0)
	v_mul_f64 v[20:21], v[18:19], v[12:13]
	v_mul_f64 v[12:13], v[16:17], v[12:13]
	v_fma_f64 v[16:17], v[16:17], v[10:11], -v[20:21]
	v_fmac_f64_e32 v[12:13], v[18:19], v[10:11]
	v_add_f64 v[4:5], v[4:5], v[16:17]
	v_add_f64 v[2:3], v[2:3], v[12:13]
	s_andn2_b64 exec, exec, s[4:5]
	s_cbranch_execnz .LBB117_153
; %bb.154:
	s_or_b64 exec, exec, s[4:5]
	v_mov_b32_e32 v0, 0
	ds_read_b128 v[8:11], v0 offset:560
	s_waitcnt lgkmcnt(0)
	v_mul_f64 v[16:17], v[2:3], v[10:11]
	v_mul_f64 v[12:13], v[4:5], v[10:11]
	v_fma_f64 v[10:11], v[4:5], v[8:9], -v[16:17]
	v_fmac_f64_e32 v[12:13], v[2:3], v[8:9]
	scratch_store_dwordx4 off, v[10:13], off offset:576
.LBB117_155:
	s_or_b64 exec, exec, s[0:1]
	; wave barrier
	scratch_load_dwordx4 v[2:5], off, s34
	v_cmp_gt_u32_e32 vcc, 36, v240
	s_waitcnt vmcnt(0)
	ds_write_b128 v1, v[2:5]
	s_waitcnt lgkmcnt(0)
	; wave barrier
	s_and_saveexec_b64 s[0:1], vcc
	s_cbranch_execz .LBB117_159
; %bb.156:
	v_add_u32_e32 v7, -1, v240
	v_add_u32_e32 v8, 0x360, v14
	v_add_u32_e32 v9, 16, v14
	v_mov_b64_e32 v[2:3], 0
	s_mov_b64 s[4:5], 0
	v_mov_b64_e32 v[4:5], 0
.LBB117_157:                            ; =>This Inner Loop Header: Depth=1
	scratch_load_dwordx4 v[10:13], v9, off
	ds_read_b128 v[16:19], v8
	v_add_u32_e32 v7, 1, v7
	v_cmp_lt_u32_e32 vcc, 34, v7
	v_add_u32_e32 v8, 16, v8
	v_add_u32_e32 v9, 16, v9
	s_or_b64 s[4:5], vcc, s[4:5]
	s_waitcnt vmcnt(0) lgkmcnt(0)
	v_mul_f64 v[20:21], v[18:19], v[12:13]
	v_mul_f64 v[12:13], v[16:17], v[12:13]
	v_fma_f64 v[16:17], v[16:17], v[10:11], -v[20:21]
	v_fmac_f64_e32 v[12:13], v[18:19], v[10:11]
	v_add_f64 v[4:5], v[4:5], v[16:17]
	v_add_f64 v[2:3], v[2:3], v[12:13]
	s_andn2_b64 exec, exec, s[4:5]
	s_cbranch_execnz .LBB117_157
; %bb.158:
	s_or_b64 exec, exec, s[4:5]
	v_mov_b32_e32 v0, 0
	ds_read_b128 v[8:11], v0 offset:576
	s_waitcnt lgkmcnt(0)
	v_mul_f64 v[16:17], v[2:3], v[10:11]
	v_mul_f64 v[12:13], v[4:5], v[10:11]
	v_fma_f64 v[10:11], v[4:5], v[8:9], -v[16:17]
	v_fmac_f64_e32 v[12:13], v[2:3], v[8:9]
	scratch_store_dwordx4 off, v[10:13], off offset:592
.LBB117_159:
	s_or_b64 exec, exec, s[0:1]
	; wave barrier
	scratch_load_dwordx4 v[2:5], off, s33
	v_cmp_gt_u32_e32 vcc, 37, v240
	s_waitcnt vmcnt(0)
	ds_write_b128 v1, v[2:5]
	s_waitcnt lgkmcnt(0)
	; wave barrier
	s_and_saveexec_b64 s[0:1], vcc
	s_cbranch_execz .LBB117_163
; %bb.160:
	v_add_u32_e32 v7, -1, v240
	v_add_u32_e32 v8, 0x360, v14
	v_add_u32_e32 v9, 16, v14
	v_mov_b64_e32 v[2:3], 0
	s_mov_b64 s[4:5], 0
	v_mov_b64_e32 v[4:5], 0
.LBB117_161:                            ; =>This Inner Loop Header: Depth=1
	scratch_load_dwordx4 v[10:13], v9, off
	ds_read_b128 v[16:19], v8
	v_add_u32_e32 v7, 1, v7
	v_cmp_lt_u32_e32 vcc, 35, v7
	v_add_u32_e32 v8, 16, v8
	v_add_u32_e32 v9, 16, v9
	s_or_b64 s[4:5], vcc, s[4:5]
	s_waitcnt vmcnt(0) lgkmcnt(0)
	v_mul_f64 v[20:21], v[18:19], v[12:13]
	v_mul_f64 v[12:13], v[16:17], v[12:13]
	v_fma_f64 v[16:17], v[16:17], v[10:11], -v[20:21]
	v_fmac_f64_e32 v[12:13], v[18:19], v[10:11]
	v_add_f64 v[4:5], v[4:5], v[16:17]
	v_add_f64 v[2:3], v[2:3], v[12:13]
	s_andn2_b64 exec, exec, s[4:5]
	s_cbranch_execnz .LBB117_161
; %bb.162:
	s_or_b64 exec, exec, s[4:5]
	v_mov_b32_e32 v0, 0
	ds_read_b128 v[8:11], v0 offset:592
	s_waitcnt lgkmcnt(0)
	v_mul_f64 v[16:17], v[2:3], v[10:11]
	v_mul_f64 v[12:13], v[4:5], v[10:11]
	v_fma_f64 v[10:11], v[4:5], v[8:9], -v[16:17]
	v_fmac_f64_e32 v[12:13], v[2:3], v[8:9]
	scratch_store_dwordx4 off, v[10:13], off offset:608
.LBB117_163:
	s_or_b64 exec, exec, s[0:1]
	; wave barrier
	scratch_load_dwordx4 v[2:5], off, s31
	v_cmp_gt_u32_e32 vcc, 38, v240
	s_waitcnt vmcnt(0)
	ds_write_b128 v1, v[2:5]
	s_waitcnt lgkmcnt(0)
	; wave barrier
	s_and_saveexec_b64 s[0:1], vcc
	s_cbranch_execz .LBB117_167
; %bb.164:
	v_add_u32_e32 v7, -1, v240
	v_add_u32_e32 v8, 0x360, v14
	v_add_u32_e32 v9, 16, v14
	v_mov_b64_e32 v[2:3], 0
	s_mov_b64 s[4:5], 0
	v_mov_b64_e32 v[4:5], 0
.LBB117_165:                            ; =>This Inner Loop Header: Depth=1
	scratch_load_dwordx4 v[10:13], v9, off
	ds_read_b128 v[16:19], v8
	v_add_u32_e32 v7, 1, v7
	v_cmp_lt_u32_e32 vcc, 36, v7
	v_add_u32_e32 v8, 16, v8
	v_add_u32_e32 v9, 16, v9
	s_or_b64 s[4:5], vcc, s[4:5]
	s_waitcnt vmcnt(0) lgkmcnt(0)
	v_mul_f64 v[20:21], v[18:19], v[12:13]
	v_mul_f64 v[12:13], v[16:17], v[12:13]
	v_fma_f64 v[16:17], v[16:17], v[10:11], -v[20:21]
	v_fmac_f64_e32 v[12:13], v[18:19], v[10:11]
	v_add_f64 v[4:5], v[4:5], v[16:17]
	v_add_f64 v[2:3], v[2:3], v[12:13]
	s_andn2_b64 exec, exec, s[4:5]
	s_cbranch_execnz .LBB117_165
; %bb.166:
	s_or_b64 exec, exec, s[4:5]
	v_mov_b32_e32 v0, 0
	ds_read_b128 v[8:11], v0 offset:608
	s_waitcnt lgkmcnt(0)
	v_mul_f64 v[16:17], v[2:3], v[10:11]
	v_mul_f64 v[12:13], v[4:5], v[10:11]
	v_fma_f64 v[10:11], v[4:5], v[8:9], -v[16:17]
	v_fmac_f64_e32 v[12:13], v[2:3], v[8:9]
	scratch_store_dwordx4 off, v[10:13], off offset:624
.LBB117_167:
	s_or_b64 exec, exec, s[0:1]
	; wave barrier
	scratch_load_dwordx4 v[2:5], off, s30
	v_cmp_gt_u32_e32 vcc, 39, v240
	s_waitcnt vmcnt(0)
	ds_write_b128 v1, v[2:5]
	s_waitcnt lgkmcnt(0)
	; wave barrier
	s_and_saveexec_b64 s[0:1], vcc
	s_cbranch_execz .LBB117_171
; %bb.168:
	v_add_u32_e32 v7, -1, v240
	v_add_u32_e32 v8, 0x360, v14
	v_add_u32_e32 v9, 16, v14
	v_mov_b64_e32 v[2:3], 0
	s_mov_b64 s[4:5], 0
	v_mov_b64_e32 v[4:5], 0
.LBB117_169:                            ; =>This Inner Loop Header: Depth=1
	scratch_load_dwordx4 v[10:13], v9, off
	ds_read_b128 v[16:19], v8
	v_add_u32_e32 v7, 1, v7
	v_cmp_lt_u32_e32 vcc, 37, v7
	v_add_u32_e32 v8, 16, v8
	v_add_u32_e32 v9, 16, v9
	s_or_b64 s[4:5], vcc, s[4:5]
	s_waitcnt vmcnt(0) lgkmcnt(0)
	v_mul_f64 v[20:21], v[18:19], v[12:13]
	v_mul_f64 v[12:13], v[16:17], v[12:13]
	v_fma_f64 v[16:17], v[16:17], v[10:11], -v[20:21]
	v_fmac_f64_e32 v[12:13], v[18:19], v[10:11]
	v_add_f64 v[4:5], v[4:5], v[16:17]
	v_add_f64 v[2:3], v[2:3], v[12:13]
	s_andn2_b64 exec, exec, s[4:5]
	s_cbranch_execnz .LBB117_169
; %bb.170:
	s_or_b64 exec, exec, s[4:5]
	v_mov_b32_e32 v0, 0
	ds_read_b128 v[8:11], v0 offset:624
	s_waitcnt lgkmcnt(0)
	v_mul_f64 v[16:17], v[2:3], v[10:11]
	v_mul_f64 v[12:13], v[4:5], v[10:11]
	v_fma_f64 v[10:11], v[4:5], v[8:9], -v[16:17]
	v_fmac_f64_e32 v[12:13], v[2:3], v[8:9]
	scratch_store_dwordx4 off, v[10:13], off offset:640
.LBB117_171:
	s_or_b64 exec, exec, s[0:1]
	; wave barrier
	scratch_load_dwordx4 v[2:5], off, s29
	v_cmp_gt_u32_e32 vcc, 40, v240
	s_waitcnt vmcnt(0)
	ds_write_b128 v1, v[2:5]
	s_waitcnt lgkmcnt(0)
	; wave barrier
	s_and_saveexec_b64 s[0:1], vcc
	s_cbranch_execz .LBB117_175
; %bb.172:
	v_add_u32_e32 v7, -1, v240
	v_add_u32_e32 v8, 0x360, v14
	v_add_u32_e32 v9, 16, v14
	v_mov_b64_e32 v[2:3], 0
	s_mov_b64 s[4:5], 0
	v_mov_b64_e32 v[4:5], 0
.LBB117_173:                            ; =>This Inner Loop Header: Depth=1
	scratch_load_dwordx4 v[10:13], v9, off
	ds_read_b128 v[16:19], v8
	v_add_u32_e32 v7, 1, v7
	v_cmp_lt_u32_e32 vcc, 38, v7
	v_add_u32_e32 v8, 16, v8
	v_add_u32_e32 v9, 16, v9
	s_or_b64 s[4:5], vcc, s[4:5]
	s_waitcnt vmcnt(0) lgkmcnt(0)
	v_mul_f64 v[20:21], v[18:19], v[12:13]
	v_mul_f64 v[12:13], v[16:17], v[12:13]
	v_fma_f64 v[16:17], v[16:17], v[10:11], -v[20:21]
	v_fmac_f64_e32 v[12:13], v[18:19], v[10:11]
	v_add_f64 v[4:5], v[4:5], v[16:17]
	v_add_f64 v[2:3], v[2:3], v[12:13]
	s_andn2_b64 exec, exec, s[4:5]
	s_cbranch_execnz .LBB117_173
; %bb.174:
	s_or_b64 exec, exec, s[4:5]
	v_mov_b32_e32 v0, 0
	ds_read_b128 v[8:11], v0 offset:640
	s_waitcnt lgkmcnt(0)
	v_mul_f64 v[16:17], v[2:3], v[10:11]
	v_mul_f64 v[12:13], v[4:5], v[10:11]
	v_fma_f64 v[10:11], v[4:5], v[8:9], -v[16:17]
	v_fmac_f64_e32 v[12:13], v[2:3], v[8:9]
	scratch_store_dwordx4 off, v[10:13], off offset:656
.LBB117_175:
	s_or_b64 exec, exec, s[0:1]
	; wave barrier
	scratch_load_dwordx4 v[2:5], off, s28
	v_cmp_gt_u32_e32 vcc, 41, v240
	s_waitcnt vmcnt(0)
	ds_write_b128 v1, v[2:5]
	s_waitcnt lgkmcnt(0)
	; wave barrier
	s_and_saveexec_b64 s[0:1], vcc
	s_cbranch_execz .LBB117_179
; %bb.176:
	v_add_u32_e32 v7, -1, v240
	v_add_u32_e32 v8, 0x360, v14
	v_add_u32_e32 v9, 16, v14
	v_mov_b64_e32 v[2:3], 0
	s_mov_b64 s[4:5], 0
	v_mov_b64_e32 v[4:5], 0
.LBB117_177:                            ; =>This Inner Loop Header: Depth=1
	scratch_load_dwordx4 v[10:13], v9, off
	ds_read_b128 v[16:19], v8
	v_add_u32_e32 v7, 1, v7
	v_cmp_lt_u32_e32 vcc, 39, v7
	v_add_u32_e32 v8, 16, v8
	v_add_u32_e32 v9, 16, v9
	s_or_b64 s[4:5], vcc, s[4:5]
	s_waitcnt vmcnt(0) lgkmcnt(0)
	v_mul_f64 v[20:21], v[18:19], v[12:13]
	v_mul_f64 v[12:13], v[16:17], v[12:13]
	v_fma_f64 v[16:17], v[16:17], v[10:11], -v[20:21]
	v_fmac_f64_e32 v[12:13], v[18:19], v[10:11]
	v_add_f64 v[4:5], v[4:5], v[16:17]
	v_add_f64 v[2:3], v[2:3], v[12:13]
	s_andn2_b64 exec, exec, s[4:5]
	s_cbranch_execnz .LBB117_177
; %bb.178:
	s_or_b64 exec, exec, s[4:5]
	v_mov_b32_e32 v0, 0
	ds_read_b128 v[8:11], v0 offset:656
	s_waitcnt lgkmcnt(0)
	v_mul_f64 v[16:17], v[2:3], v[10:11]
	v_mul_f64 v[12:13], v[4:5], v[10:11]
	v_fma_f64 v[10:11], v[4:5], v[8:9], -v[16:17]
	v_fmac_f64_e32 v[12:13], v[2:3], v[8:9]
	scratch_store_dwordx4 off, v[10:13], off offset:672
.LBB117_179:
	s_or_b64 exec, exec, s[0:1]
	; wave barrier
	scratch_load_dwordx4 v[2:5], off, s27
	v_cmp_gt_u32_e32 vcc, 42, v240
	s_waitcnt vmcnt(0)
	ds_write_b128 v1, v[2:5]
	s_waitcnt lgkmcnt(0)
	; wave barrier
	s_and_saveexec_b64 s[0:1], vcc
	s_cbranch_execz .LBB117_183
; %bb.180:
	v_add_u32_e32 v7, -1, v240
	v_add_u32_e32 v8, 0x360, v14
	v_add_u32_e32 v9, 16, v14
	v_mov_b64_e32 v[2:3], 0
	s_mov_b64 s[4:5], 0
	v_mov_b64_e32 v[4:5], 0
.LBB117_181:                            ; =>This Inner Loop Header: Depth=1
	scratch_load_dwordx4 v[10:13], v9, off
	ds_read_b128 v[16:19], v8
	v_add_u32_e32 v7, 1, v7
	v_cmp_lt_u32_e32 vcc, 40, v7
	v_add_u32_e32 v8, 16, v8
	v_add_u32_e32 v9, 16, v9
	s_or_b64 s[4:5], vcc, s[4:5]
	s_waitcnt vmcnt(0) lgkmcnt(0)
	v_mul_f64 v[20:21], v[18:19], v[12:13]
	v_mul_f64 v[12:13], v[16:17], v[12:13]
	v_fma_f64 v[16:17], v[16:17], v[10:11], -v[20:21]
	v_fmac_f64_e32 v[12:13], v[18:19], v[10:11]
	v_add_f64 v[4:5], v[4:5], v[16:17]
	v_add_f64 v[2:3], v[2:3], v[12:13]
	s_andn2_b64 exec, exec, s[4:5]
	s_cbranch_execnz .LBB117_181
; %bb.182:
	s_or_b64 exec, exec, s[4:5]
	v_mov_b32_e32 v0, 0
	ds_read_b128 v[8:11], v0 offset:672
	s_waitcnt lgkmcnt(0)
	v_mul_f64 v[16:17], v[2:3], v[10:11]
	v_mul_f64 v[12:13], v[4:5], v[10:11]
	v_fma_f64 v[10:11], v[4:5], v[8:9], -v[16:17]
	v_fmac_f64_e32 v[12:13], v[2:3], v[8:9]
	scratch_store_dwordx4 off, v[10:13], off offset:688
.LBB117_183:
	s_or_b64 exec, exec, s[0:1]
	; wave barrier
	scratch_load_dwordx4 v[2:5], off, s26
	v_cmp_gt_u32_e32 vcc, 43, v240
	s_waitcnt vmcnt(0)
	ds_write_b128 v1, v[2:5]
	s_waitcnt lgkmcnt(0)
	; wave barrier
	s_and_saveexec_b64 s[0:1], vcc
	s_cbranch_execz .LBB117_187
; %bb.184:
	v_add_u32_e32 v7, -1, v240
	v_add_u32_e32 v8, 0x360, v14
	v_add_u32_e32 v9, 16, v14
	v_mov_b64_e32 v[2:3], 0
	s_mov_b64 s[4:5], 0
	v_mov_b64_e32 v[4:5], 0
.LBB117_185:                            ; =>This Inner Loop Header: Depth=1
	scratch_load_dwordx4 v[10:13], v9, off
	ds_read_b128 v[16:19], v8
	v_add_u32_e32 v7, 1, v7
	v_cmp_lt_u32_e32 vcc, 41, v7
	v_add_u32_e32 v8, 16, v8
	v_add_u32_e32 v9, 16, v9
	s_or_b64 s[4:5], vcc, s[4:5]
	s_waitcnt vmcnt(0) lgkmcnt(0)
	v_mul_f64 v[20:21], v[18:19], v[12:13]
	v_mul_f64 v[12:13], v[16:17], v[12:13]
	v_fma_f64 v[16:17], v[16:17], v[10:11], -v[20:21]
	v_fmac_f64_e32 v[12:13], v[18:19], v[10:11]
	v_add_f64 v[4:5], v[4:5], v[16:17]
	v_add_f64 v[2:3], v[2:3], v[12:13]
	s_andn2_b64 exec, exec, s[4:5]
	s_cbranch_execnz .LBB117_185
; %bb.186:
	s_or_b64 exec, exec, s[4:5]
	v_mov_b32_e32 v0, 0
	ds_read_b128 v[8:11], v0 offset:688
	s_waitcnt lgkmcnt(0)
	v_mul_f64 v[16:17], v[2:3], v[10:11]
	v_mul_f64 v[12:13], v[4:5], v[10:11]
	v_fma_f64 v[10:11], v[4:5], v[8:9], -v[16:17]
	v_fmac_f64_e32 v[12:13], v[2:3], v[8:9]
	scratch_store_dwordx4 off, v[10:13], off offset:704
.LBB117_187:
	s_or_b64 exec, exec, s[0:1]
	; wave barrier
	scratch_load_dwordx4 v[2:5], off, s25
	v_cmp_gt_u32_e32 vcc, 44, v240
	s_waitcnt vmcnt(0)
	ds_write_b128 v1, v[2:5]
	s_waitcnt lgkmcnt(0)
	; wave barrier
	s_and_saveexec_b64 s[0:1], vcc
	s_cbranch_execz .LBB117_191
; %bb.188:
	v_add_u32_e32 v7, -1, v240
	v_add_u32_e32 v8, 0x360, v14
	v_add_u32_e32 v9, 16, v14
	v_mov_b64_e32 v[2:3], 0
	s_mov_b64 s[4:5], 0
	v_mov_b64_e32 v[4:5], 0
.LBB117_189:                            ; =>This Inner Loop Header: Depth=1
	scratch_load_dwordx4 v[10:13], v9, off
	ds_read_b128 v[16:19], v8
	v_add_u32_e32 v7, 1, v7
	v_cmp_lt_u32_e32 vcc, 42, v7
	v_add_u32_e32 v8, 16, v8
	v_add_u32_e32 v9, 16, v9
	s_or_b64 s[4:5], vcc, s[4:5]
	s_waitcnt vmcnt(0) lgkmcnt(0)
	v_mul_f64 v[20:21], v[18:19], v[12:13]
	v_mul_f64 v[12:13], v[16:17], v[12:13]
	v_fma_f64 v[16:17], v[16:17], v[10:11], -v[20:21]
	v_fmac_f64_e32 v[12:13], v[18:19], v[10:11]
	v_add_f64 v[4:5], v[4:5], v[16:17]
	v_add_f64 v[2:3], v[2:3], v[12:13]
	s_andn2_b64 exec, exec, s[4:5]
	s_cbranch_execnz .LBB117_189
; %bb.190:
	s_or_b64 exec, exec, s[4:5]
	v_mov_b32_e32 v0, 0
	ds_read_b128 v[8:11], v0 offset:704
	s_waitcnt lgkmcnt(0)
	v_mul_f64 v[16:17], v[2:3], v[10:11]
	v_mul_f64 v[12:13], v[4:5], v[10:11]
	v_fma_f64 v[10:11], v[4:5], v[8:9], -v[16:17]
	v_fmac_f64_e32 v[12:13], v[2:3], v[8:9]
	scratch_store_dwordx4 off, v[10:13], off offset:720
.LBB117_191:
	s_or_b64 exec, exec, s[0:1]
	; wave barrier
	scratch_load_dwordx4 v[2:5], off, s24
	v_cmp_gt_u32_e32 vcc, 45, v240
	s_waitcnt vmcnt(0)
	ds_write_b128 v1, v[2:5]
	s_waitcnt lgkmcnt(0)
	; wave barrier
	s_and_saveexec_b64 s[0:1], vcc
	s_cbranch_execz .LBB117_195
; %bb.192:
	v_add_u32_e32 v7, -1, v240
	v_add_u32_e32 v8, 0x360, v14
	v_add_u32_e32 v9, 16, v14
	v_mov_b64_e32 v[2:3], 0
	s_mov_b64 s[4:5], 0
	v_mov_b64_e32 v[4:5], 0
.LBB117_193:                            ; =>This Inner Loop Header: Depth=1
	scratch_load_dwordx4 v[10:13], v9, off
	ds_read_b128 v[16:19], v8
	v_add_u32_e32 v7, 1, v7
	v_cmp_lt_u32_e32 vcc, 43, v7
	v_add_u32_e32 v8, 16, v8
	v_add_u32_e32 v9, 16, v9
	s_or_b64 s[4:5], vcc, s[4:5]
	s_waitcnt vmcnt(0) lgkmcnt(0)
	v_mul_f64 v[20:21], v[18:19], v[12:13]
	v_mul_f64 v[12:13], v[16:17], v[12:13]
	v_fma_f64 v[16:17], v[16:17], v[10:11], -v[20:21]
	v_fmac_f64_e32 v[12:13], v[18:19], v[10:11]
	v_add_f64 v[4:5], v[4:5], v[16:17]
	v_add_f64 v[2:3], v[2:3], v[12:13]
	s_andn2_b64 exec, exec, s[4:5]
	s_cbranch_execnz .LBB117_193
; %bb.194:
	s_or_b64 exec, exec, s[4:5]
	v_mov_b32_e32 v0, 0
	ds_read_b128 v[8:11], v0 offset:720
	s_waitcnt lgkmcnt(0)
	v_mul_f64 v[16:17], v[2:3], v[10:11]
	v_mul_f64 v[12:13], v[4:5], v[10:11]
	v_fma_f64 v[10:11], v[4:5], v[8:9], -v[16:17]
	v_fmac_f64_e32 v[12:13], v[2:3], v[8:9]
	scratch_store_dwordx4 off, v[10:13], off offset:736
.LBB117_195:
	s_or_b64 exec, exec, s[0:1]
	; wave barrier
	scratch_load_dwordx4 v[2:5], off, s23
	v_cmp_gt_u32_e32 vcc, 46, v240
	s_waitcnt vmcnt(0)
	ds_write_b128 v1, v[2:5]
	s_waitcnt lgkmcnt(0)
	; wave barrier
	s_and_saveexec_b64 s[0:1], vcc
	s_cbranch_execz .LBB117_199
; %bb.196:
	v_add_u32_e32 v7, -1, v240
	v_add_u32_e32 v8, 0x360, v14
	v_add_u32_e32 v9, 16, v14
	v_mov_b64_e32 v[2:3], 0
	s_mov_b64 s[4:5], 0
	v_mov_b64_e32 v[4:5], 0
.LBB117_197:                            ; =>This Inner Loop Header: Depth=1
	scratch_load_dwordx4 v[10:13], v9, off
	ds_read_b128 v[16:19], v8
	v_add_u32_e32 v7, 1, v7
	v_cmp_lt_u32_e32 vcc, 44, v7
	v_add_u32_e32 v8, 16, v8
	v_add_u32_e32 v9, 16, v9
	s_or_b64 s[4:5], vcc, s[4:5]
	s_waitcnt vmcnt(0) lgkmcnt(0)
	v_mul_f64 v[20:21], v[18:19], v[12:13]
	v_mul_f64 v[12:13], v[16:17], v[12:13]
	v_fma_f64 v[16:17], v[16:17], v[10:11], -v[20:21]
	v_fmac_f64_e32 v[12:13], v[18:19], v[10:11]
	v_add_f64 v[4:5], v[4:5], v[16:17]
	v_add_f64 v[2:3], v[2:3], v[12:13]
	s_andn2_b64 exec, exec, s[4:5]
	s_cbranch_execnz .LBB117_197
; %bb.198:
	s_or_b64 exec, exec, s[4:5]
	v_mov_b32_e32 v0, 0
	ds_read_b128 v[8:11], v0 offset:736
	s_waitcnt lgkmcnt(0)
	v_mul_f64 v[16:17], v[2:3], v[10:11]
	v_mul_f64 v[12:13], v[4:5], v[10:11]
	v_fma_f64 v[10:11], v[4:5], v[8:9], -v[16:17]
	v_fmac_f64_e32 v[12:13], v[2:3], v[8:9]
	scratch_store_dwordx4 off, v[10:13], off offset:752
.LBB117_199:
	s_or_b64 exec, exec, s[0:1]
	; wave barrier
	scratch_load_dwordx4 v[2:5], off, s22
	v_cmp_gt_u32_e32 vcc, 47, v240
	s_waitcnt vmcnt(0)
	ds_write_b128 v1, v[2:5]
	s_waitcnt lgkmcnt(0)
	; wave barrier
	s_and_saveexec_b64 s[0:1], vcc
	s_cbranch_execz .LBB117_203
; %bb.200:
	v_add_u32_e32 v7, -1, v240
	v_add_u32_e32 v8, 0x360, v14
	v_add_u32_e32 v9, 16, v14
	v_mov_b64_e32 v[2:3], 0
	s_mov_b64 s[4:5], 0
	v_mov_b64_e32 v[4:5], 0
.LBB117_201:                            ; =>This Inner Loop Header: Depth=1
	scratch_load_dwordx4 v[10:13], v9, off
	ds_read_b128 v[16:19], v8
	v_add_u32_e32 v7, 1, v7
	v_cmp_lt_u32_e32 vcc, 45, v7
	v_add_u32_e32 v8, 16, v8
	v_add_u32_e32 v9, 16, v9
	s_or_b64 s[4:5], vcc, s[4:5]
	s_waitcnt vmcnt(0) lgkmcnt(0)
	v_mul_f64 v[20:21], v[18:19], v[12:13]
	v_mul_f64 v[12:13], v[16:17], v[12:13]
	v_fma_f64 v[16:17], v[16:17], v[10:11], -v[20:21]
	v_fmac_f64_e32 v[12:13], v[18:19], v[10:11]
	v_add_f64 v[4:5], v[4:5], v[16:17]
	v_add_f64 v[2:3], v[2:3], v[12:13]
	s_andn2_b64 exec, exec, s[4:5]
	s_cbranch_execnz .LBB117_201
; %bb.202:
	s_or_b64 exec, exec, s[4:5]
	v_mov_b32_e32 v0, 0
	ds_read_b128 v[8:11], v0 offset:752
	s_waitcnt lgkmcnt(0)
	v_mul_f64 v[16:17], v[2:3], v[10:11]
	v_mul_f64 v[12:13], v[4:5], v[10:11]
	v_fma_f64 v[10:11], v[4:5], v[8:9], -v[16:17]
	v_fmac_f64_e32 v[12:13], v[2:3], v[8:9]
	scratch_store_dwordx4 off, v[10:13], off offset:768
.LBB117_203:
	s_or_b64 exec, exec, s[0:1]
	; wave barrier
	scratch_load_dwordx4 v[2:5], off, s21
	v_cmp_gt_u32_e32 vcc, 48, v240
	s_waitcnt vmcnt(0)
	ds_write_b128 v1, v[2:5]
	s_waitcnt lgkmcnt(0)
	; wave barrier
	s_and_saveexec_b64 s[0:1], vcc
	s_cbranch_execz .LBB117_207
; %bb.204:
	v_add_u32_e32 v7, -1, v240
	v_add_u32_e32 v8, 0x360, v14
	v_add_u32_e32 v9, 16, v14
	v_mov_b64_e32 v[2:3], 0
	s_mov_b64 s[4:5], 0
	v_mov_b64_e32 v[4:5], 0
.LBB117_205:                            ; =>This Inner Loop Header: Depth=1
	scratch_load_dwordx4 v[10:13], v9, off
	ds_read_b128 v[16:19], v8
	v_add_u32_e32 v7, 1, v7
	v_cmp_lt_u32_e32 vcc, 46, v7
	v_add_u32_e32 v8, 16, v8
	v_add_u32_e32 v9, 16, v9
	s_or_b64 s[4:5], vcc, s[4:5]
	s_waitcnt vmcnt(0) lgkmcnt(0)
	v_mul_f64 v[20:21], v[18:19], v[12:13]
	v_mul_f64 v[12:13], v[16:17], v[12:13]
	v_fma_f64 v[16:17], v[16:17], v[10:11], -v[20:21]
	v_fmac_f64_e32 v[12:13], v[18:19], v[10:11]
	v_add_f64 v[4:5], v[4:5], v[16:17]
	v_add_f64 v[2:3], v[2:3], v[12:13]
	s_andn2_b64 exec, exec, s[4:5]
	s_cbranch_execnz .LBB117_205
; %bb.206:
	s_or_b64 exec, exec, s[4:5]
	v_mov_b32_e32 v0, 0
	ds_read_b128 v[8:11], v0 offset:768
	s_waitcnt lgkmcnt(0)
	v_mul_f64 v[16:17], v[2:3], v[10:11]
	v_mul_f64 v[12:13], v[4:5], v[10:11]
	v_fma_f64 v[10:11], v[4:5], v[8:9], -v[16:17]
	v_fmac_f64_e32 v[12:13], v[2:3], v[8:9]
	scratch_store_dwordx4 off, v[10:13], off offset:784
.LBB117_207:
	s_or_b64 exec, exec, s[0:1]
	; wave barrier
	scratch_load_dwordx4 v[2:5], off, s20
	v_cmp_gt_u32_e32 vcc, 49, v240
	s_waitcnt vmcnt(0)
	ds_write_b128 v1, v[2:5]
	s_waitcnt lgkmcnt(0)
	; wave barrier
	s_and_saveexec_b64 s[0:1], vcc
	s_cbranch_execz .LBB117_211
; %bb.208:
	v_add_u32_e32 v7, -1, v240
	v_add_u32_e32 v8, 0x360, v14
	v_add_u32_e32 v9, 16, v14
	v_mov_b64_e32 v[2:3], 0
	s_mov_b64 s[4:5], 0
	v_mov_b64_e32 v[4:5], 0
.LBB117_209:                            ; =>This Inner Loop Header: Depth=1
	scratch_load_dwordx4 v[10:13], v9, off
	ds_read_b128 v[16:19], v8
	v_add_u32_e32 v7, 1, v7
	v_cmp_lt_u32_e32 vcc, 47, v7
	v_add_u32_e32 v8, 16, v8
	v_add_u32_e32 v9, 16, v9
	s_or_b64 s[4:5], vcc, s[4:5]
	s_waitcnt vmcnt(0) lgkmcnt(0)
	v_mul_f64 v[20:21], v[18:19], v[12:13]
	v_mul_f64 v[12:13], v[16:17], v[12:13]
	v_fma_f64 v[16:17], v[16:17], v[10:11], -v[20:21]
	v_fmac_f64_e32 v[12:13], v[18:19], v[10:11]
	v_add_f64 v[4:5], v[4:5], v[16:17]
	v_add_f64 v[2:3], v[2:3], v[12:13]
	s_andn2_b64 exec, exec, s[4:5]
	s_cbranch_execnz .LBB117_209
; %bb.210:
	s_or_b64 exec, exec, s[4:5]
	v_mov_b32_e32 v0, 0
	ds_read_b128 v[8:11], v0 offset:784
	s_waitcnt lgkmcnt(0)
	v_mul_f64 v[16:17], v[2:3], v[10:11]
	v_mul_f64 v[12:13], v[4:5], v[10:11]
	v_fma_f64 v[10:11], v[4:5], v[8:9], -v[16:17]
	v_fmac_f64_e32 v[12:13], v[2:3], v[8:9]
	scratch_store_dwordx4 off, v[10:13], off offset:800
.LBB117_211:
	s_or_b64 exec, exec, s[0:1]
	; wave barrier
	scratch_load_dwordx4 v[2:5], off, s19
	v_cmp_gt_u32_e32 vcc, 50, v240
	s_waitcnt vmcnt(0)
	ds_write_b128 v1, v[2:5]
	s_waitcnt lgkmcnt(0)
	; wave barrier
	s_and_saveexec_b64 s[0:1], vcc
	s_cbranch_execz .LBB117_215
; %bb.212:
	v_add_u32_e32 v7, -1, v240
	v_add_u32_e32 v8, 0x360, v14
	v_add_u32_e32 v9, 16, v14
	v_mov_b64_e32 v[2:3], 0
	s_mov_b64 s[4:5], 0
	v_mov_b64_e32 v[4:5], 0
.LBB117_213:                            ; =>This Inner Loop Header: Depth=1
	scratch_load_dwordx4 v[10:13], v9, off
	ds_read_b128 v[16:19], v8
	v_add_u32_e32 v7, 1, v7
	v_cmp_lt_u32_e32 vcc, 48, v7
	v_add_u32_e32 v8, 16, v8
	v_add_u32_e32 v9, 16, v9
	s_or_b64 s[4:5], vcc, s[4:5]
	s_waitcnt vmcnt(0) lgkmcnt(0)
	v_mul_f64 v[20:21], v[18:19], v[12:13]
	v_mul_f64 v[12:13], v[16:17], v[12:13]
	v_fma_f64 v[16:17], v[16:17], v[10:11], -v[20:21]
	v_fmac_f64_e32 v[12:13], v[18:19], v[10:11]
	v_add_f64 v[4:5], v[4:5], v[16:17]
	v_add_f64 v[2:3], v[2:3], v[12:13]
	s_andn2_b64 exec, exec, s[4:5]
	s_cbranch_execnz .LBB117_213
; %bb.214:
	s_or_b64 exec, exec, s[4:5]
	v_mov_b32_e32 v0, 0
	ds_read_b128 v[8:11], v0 offset:800
	s_waitcnt lgkmcnt(0)
	v_mul_f64 v[16:17], v[2:3], v[10:11]
	v_mul_f64 v[12:13], v[4:5], v[10:11]
	v_fma_f64 v[10:11], v[4:5], v[8:9], -v[16:17]
	v_fmac_f64_e32 v[12:13], v[2:3], v[8:9]
	scratch_store_dwordx4 off, v[10:13], off offset:816
.LBB117_215:
	s_or_b64 exec, exec, s[0:1]
	; wave barrier
	scratch_load_dwordx4 v[2:5], off, s18
	v_cmp_gt_u32_e32 vcc, 51, v240
	s_waitcnt vmcnt(0)
	ds_write_b128 v1, v[2:5]
	s_waitcnt lgkmcnt(0)
	; wave barrier
	s_and_saveexec_b64 s[0:1], vcc
	s_cbranch_execz .LBB117_219
; %bb.216:
	v_add_u32_e32 v7, -1, v240
	v_add_u32_e32 v8, 0x360, v14
	v_add_u32_e32 v9, 16, v14
	v_mov_b64_e32 v[2:3], 0
	s_mov_b64 s[4:5], 0
	v_mov_b64_e32 v[4:5], 0
.LBB117_217:                            ; =>This Inner Loop Header: Depth=1
	scratch_load_dwordx4 v[10:13], v9, off
	ds_read_b128 v[16:19], v8
	v_add_u32_e32 v7, 1, v7
	v_cmp_lt_u32_e32 vcc, 49, v7
	v_add_u32_e32 v8, 16, v8
	v_add_u32_e32 v9, 16, v9
	s_or_b64 s[4:5], vcc, s[4:5]
	s_waitcnt vmcnt(0) lgkmcnt(0)
	v_mul_f64 v[20:21], v[18:19], v[12:13]
	v_mul_f64 v[12:13], v[16:17], v[12:13]
	v_fma_f64 v[16:17], v[16:17], v[10:11], -v[20:21]
	v_fmac_f64_e32 v[12:13], v[18:19], v[10:11]
	v_add_f64 v[4:5], v[4:5], v[16:17]
	v_add_f64 v[2:3], v[2:3], v[12:13]
	s_andn2_b64 exec, exec, s[4:5]
	s_cbranch_execnz .LBB117_217
; %bb.218:
	s_or_b64 exec, exec, s[4:5]
	v_mov_b32_e32 v0, 0
	ds_read_b128 v[8:11], v0 offset:816
	s_waitcnt lgkmcnt(0)
	v_mul_f64 v[16:17], v[2:3], v[10:11]
	v_mul_f64 v[12:13], v[4:5], v[10:11]
	v_fma_f64 v[10:11], v[4:5], v[8:9], -v[16:17]
	v_fmac_f64_e32 v[12:13], v[2:3], v[8:9]
	scratch_store_dwordx4 off, v[10:13], off offset:832
.LBB117_219:
	s_or_b64 exec, exec, s[0:1]
	; wave barrier
	scratch_load_dwordx4 v[2:5], off, s17
	v_cmp_gt_u32_e32 vcc, 52, v240
	s_waitcnt vmcnt(0)
	ds_write_b128 v1, v[2:5]
	s_waitcnt lgkmcnt(0)
	; wave barrier
	s_and_saveexec_b64 s[0:1], vcc
	s_cbranch_execz .LBB117_223
; %bb.220:
	v_add_u32_e32 v7, -1, v240
	v_add_u32_e32 v8, 0x360, v14
	v_add_u32_e32 v9, 16, v14
	v_mov_b64_e32 v[2:3], 0
	s_mov_b64 s[4:5], 0
	v_mov_b64_e32 v[4:5], 0
.LBB117_221:                            ; =>This Inner Loop Header: Depth=1
	scratch_load_dwordx4 v[10:13], v9, off
	ds_read_b128 v[16:19], v8
	v_add_u32_e32 v7, 1, v7
	v_cmp_lt_u32_e32 vcc, 50, v7
	v_add_u32_e32 v8, 16, v8
	v_add_u32_e32 v9, 16, v9
	s_or_b64 s[4:5], vcc, s[4:5]
	s_waitcnt vmcnt(0) lgkmcnt(0)
	v_mul_f64 v[20:21], v[18:19], v[12:13]
	v_mul_f64 v[12:13], v[16:17], v[12:13]
	v_fma_f64 v[16:17], v[16:17], v[10:11], -v[20:21]
	v_fmac_f64_e32 v[12:13], v[18:19], v[10:11]
	v_add_f64 v[4:5], v[4:5], v[16:17]
	v_add_f64 v[2:3], v[2:3], v[12:13]
	s_andn2_b64 exec, exec, s[4:5]
	s_cbranch_execnz .LBB117_221
; %bb.222:
	s_or_b64 exec, exec, s[4:5]
	v_mov_b32_e32 v0, 0
	ds_read_b128 v[8:11], v0 offset:832
	s_waitcnt lgkmcnt(0)
	v_mul_f64 v[16:17], v[2:3], v[10:11]
	v_mul_f64 v[12:13], v[4:5], v[10:11]
	v_fma_f64 v[10:11], v[4:5], v[8:9], -v[16:17]
	v_fmac_f64_e32 v[12:13], v[2:3], v[8:9]
	scratch_store_dwordx4 off, v[10:13], off offset:848
.LBB117_223:
	s_or_b64 exec, exec, s[0:1]
	; wave barrier
	scratch_load_dwordx4 v[2:5], off, s16
	v_cmp_ne_u32_e32 vcc, 53, v240
	s_waitcnt vmcnt(0)
	ds_write_b128 v1, v[2:5]
	s_waitcnt lgkmcnt(0)
	; wave barrier
	s_and_saveexec_b64 s[0:1], vcc
	s_cbranch_execz .LBB117_227
; %bb.224:
	v_add_u32_e32 v1, 0x360, v14
	v_add_u32_e32 v7, 16, v14
	v_mov_b64_e32 v[2:3], 0
	s_mov_b64 s[4:5], 0
	v_mov_b64_e32 v[4:5], 0
.LBB117_225:                            ; =>This Inner Loop Header: Depth=1
	scratch_load_dwordx4 v[8:11], v7, off
	ds_read_b128 v[12:15], v1
	v_add_u32_e32 v6, 1, v6
	v_cmp_lt_u32_e32 vcc, 51, v6
	v_add_u32_e32 v1, 16, v1
	v_add_u32_e32 v7, 16, v7
	s_or_b64 s[4:5], vcc, s[4:5]
	s_waitcnt vmcnt(0) lgkmcnt(0)
	v_mul_f64 v[16:17], v[14:15], v[10:11]
	v_mul_f64 v[10:11], v[12:13], v[10:11]
	v_fma_f64 v[12:13], v[12:13], v[8:9], -v[16:17]
	v_fmac_f64_e32 v[10:11], v[14:15], v[8:9]
	v_add_f64 v[4:5], v[4:5], v[12:13]
	v_add_f64 v[2:3], v[2:3], v[10:11]
	s_andn2_b64 exec, exec, s[4:5]
	s_cbranch_execnz .LBB117_225
; %bb.226:
	s_or_b64 exec, exec, s[4:5]
	v_mov_b32_e32 v0, 0
	ds_read_b128 v[6:9], v0 offset:848
	s_waitcnt lgkmcnt(0)
	v_mul_f64 v[12:13], v[2:3], v[8:9]
	v_mul_f64 v[10:11], v[4:5], v[8:9]
	v_fma_f64 v[8:9], v[4:5], v[6:7], -v[12:13]
	v_fmac_f64_e32 v[10:11], v[2:3], v[6:7]
	scratch_store_dwordx4 off, v[8:11], off offset:864
.LBB117_227:
	s_or_b64 exec, exec, s[0:1]
	s_mov_b64 s[4:5], -1
	; wave barrier
.LBB117_228:
	s_and_b64 vcc, exec, s[4:5]
	s_cbranch_vccz .LBB117_230
; %bb.229:
	s_lshl_b64 s[0:1], s[2:3], 2
	s_add_u32 s0, s6, s0
	s_addc_u32 s1, s7, s1
	v_mov_b32_e32 v0, 0
	global_load_dword v0, v0, s[0:1]
	s_waitcnt vmcnt(0)
	v_cmp_ne_u32_e32 vcc, 0, v0
	s_cbranch_vccz .LBB117_231
.LBB117_230:
	s_endpgm
.LBB117_231:
	v_mov_b32_e32 v0, 0x360
	v_lshl_add_u32 v0, v240, 4, v0
	v_accvgpr_write_b32 a109, v0
	v_cmp_eq_u32_e32 vcc, 53, v240
	s_and_saveexec_b64 s[0:1], vcc
	s_cbranch_execz .LBB117_233
; %bb.232:
	scratch_load_dwordx4 v[2:5], off, s17
	v_mov_b32_e32 v6, 0
	v_mov_b32_e32 v7, v6
	;; [unrolled: 1-line block ×4, first 2 shown]
	v_accvgpr_read_b32 v0, a109
	scratch_store_dwordx4 off, v[6:9], off offset:848
	s_waitcnt vmcnt(1)
	ds_write_b128 v0, v[2:5]
.LBB117_233:
	s_or_b64 exec, exec, s[0:1]
	s_waitcnt lgkmcnt(0)
	; wave barrier
	scratch_load_dwordx4 v[4:7], off, off offset:864
	scratch_load_dwordx4 v[8:11], off, off offset:848
	v_mov_b32_e32 v2, 0
	ds_read_b128 v[12:15], v2 offset:1712
	v_cmp_lt_u32_e32 vcc, 51, v240
	s_waitcnt vmcnt(1) lgkmcnt(0)
	v_mul_f64 v[16:17], v[12:13], v[6:7]
	v_mul_f64 v[6:7], v[14:15], v[6:7]
	v_fmac_f64_e32 v[16:17], v[14:15], v[4:5]
	v_fma_f64 v[4:5], v[12:13], v[4:5], -v[6:7]
	v_add_f64 v[6:7], v[16:17], 0
	v_add_f64 v[4:5], v[4:5], 0
	s_waitcnt vmcnt(0)
	v_add_f64 v[4:5], v[8:9], -v[4:5]
	v_add_f64 v[6:7], v[10:11], -v[6:7]
	scratch_store_dwordx4 off, v[4:7], off offset:848
	s_and_saveexec_b64 s[0:1], vcc
	s_cbranch_execz .LBB117_235
; %bb.234:
	scratch_load_dwordx4 v[6:9], off, s18
	v_mov_b32_e32 v3, v2
	v_mov_b32_e32 v4, v2
	;; [unrolled: 1-line block ×3, first 2 shown]
	v_accvgpr_read_b32 v0, a109
	scratch_store_dwordx4 off, v[2:5], off offset:832
	s_waitcnt vmcnt(1)
	ds_write_b128 v0, v[6:9]
.LBB117_235:
	s_or_b64 exec, exec, s[0:1]
	s_waitcnt lgkmcnt(0)
	; wave barrier
	scratch_load_dwordx4 v[4:7], off, off offset:848
	scratch_load_dwordx4 v[8:11], off, off offset:864
	;; [unrolled: 1-line block ×3, first 2 shown]
	ds_read_b128 v[16:19], v2 offset:1696
	ds_read_b128 v[20:23], v2 offset:1712
	v_cmp_lt_u32_e32 vcc, 50, v240
	s_waitcnt vmcnt(2) lgkmcnt(1)
	v_mul_f64 v[2:3], v[16:17], v[6:7]
	v_mul_f64 v[6:7], v[18:19], v[6:7]
	s_waitcnt vmcnt(1) lgkmcnt(0)
	v_mul_f64 v[24:25], v[20:21], v[10:11]
	v_mul_f64 v[10:11], v[22:23], v[10:11]
	v_fmac_f64_e32 v[2:3], v[18:19], v[4:5]
	v_fma_f64 v[4:5], v[16:17], v[4:5], -v[6:7]
	v_fmac_f64_e32 v[24:25], v[22:23], v[8:9]
	v_fma_f64 v[6:7], v[20:21], v[8:9], -v[10:11]
	v_add_f64 v[2:3], v[2:3], 0
	v_add_f64 v[4:5], v[4:5], 0
	;; [unrolled: 1-line block ×4, first 2 shown]
	s_waitcnt vmcnt(0)
	v_add_f64 v[2:3], v[12:13], -v[2:3]
	v_add_f64 v[4:5], v[14:15], -v[8:9]
	scratch_store_dwordx4 off, v[2:5], off offset:832
	s_and_saveexec_b64 s[0:1], vcc
	s_cbranch_execz .LBB117_237
; %bb.236:
	scratch_load_dwordx4 v[2:5], off, s19
	v_mov_b32_e32 v6, 0
	v_mov_b32_e32 v7, v6
	;; [unrolled: 1-line block ×4, first 2 shown]
	v_accvgpr_read_b32 v0, a109
	scratch_store_dwordx4 off, v[6:9], off offset:816
	s_waitcnt vmcnt(1)
	ds_write_b128 v0, v[2:5]
.LBB117_237:
	s_or_b64 exec, exec, s[0:1]
	s_waitcnt lgkmcnt(0)
	; wave barrier
	scratch_load_dwordx4 v[4:7], off, off offset:832
	scratch_load_dwordx4 v[8:11], off, off offset:848
	scratch_load_dwordx4 v[12:15], off, off offset:864
	scratch_load_dwordx4 v[16:19], off, off offset:816
	v_mov_b32_e32 v2, 0
	ds_read_b128 v[20:23], v2 offset:1680
	ds_read_b128 v[24:27], v2 offset:1696
	;; [unrolled: 1-line block ×3, first 2 shown]
	v_cmp_lt_u32_e32 vcc, 49, v240
	s_waitcnt vmcnt(3) lgkmcnt(2)
	v_mul_f64 v[32:33], v[20:21], v[6:7]
	v_mul_f64 v[6:7], v[22:23], v[6:7]
	s_waitcnt vmcnt(2) lgkmcnt(1)
	v_mul_f64 v[34:35], v[24:25], v[10:11]
	v_mul_f64 v[10:11], v[26:27], v[10:11]
	v_fmac_f64_e32 v[32:33], v[22:23], v[4:5]
	v_fma_f64 v[4:5], v[20:21], v[4:5], -v[6:7]
	s_waitcnt vmcnt(1) lgkmcnt(0)
	v_mul_f64 v[36:37], v[28:29], v[14:15]
	v_mul_f64 v[14:15], v[30:31], v[14:15]
	v_fmac_f64_e32 v[34:35], v[26:27], v[8:9]
	v_fma_f64 v[6:7], v[24:25], v[8:9], -v[10:11]
	v_add_f64 v[10:11], v[32:33], 0
	v_add_f64 v[4:5], v[4:5], 0
	v_fmac_f64_e32 v[36:37], v[30:31], v[12:13]
	v_fma_f64 v[8:9], v[28:29], v[12:13], -v[14:15]
	v_add_f64 v[10:11], v[10:11], v[34:35]
	v_add_f64 v[4:5], v[4:5], v[6:7]
	;; [unrolled: 1-line block ×4, first 2 shown]
	s_waitcnt vmcnt(0)
	v_add_f64 v[4:5], v[16:17], -v[4:5]
	v_add_f64 v[6:7], v[18:19], -v[6:7]
	scratch_store_dwordx4 off, v[4:7], off offset:816
	s_and_saveexec_b64 s[0:1], vcc
	s_cbranch_execz .LBB117_239
; %bb.238:
	scratch_load_dwordx4 v[6:9], off, s20
	v_mov_b32_e32 v3, v2
	v_mov_b32_e32 v4, v2
	;; [unrolled: 1-line block ×3, first 2 shown]
	v_accvgpr_read_b32 v0, a109
	scratch_store_dwordx4 off, v[2:5], off offset:800
	s_waitcnt vmcnt(1)
	ds_write_b128 v0, v[6:9]
.LBB117_239:
	s_or_b64 exec, exec, s[0:1]
	s_waitcnt lgkmcnt(0)
	; wave barrier
	scratch_load_dwordx4 v[4:7], off, off offset:816
	scratch_load_dwordx4 v[8:11], off, off offset:832
	;; [unrolled: 1-line block ×5, first 2 shown]
	ds_read_b128 v[24:27], v2 offset:1664
	ds_read_b128 v[28:31], v2 offset:1680
	;; [unrolled: 1-line block ×4, first 2 shown]
	v_cmp_lt_u32_e32 vcc, 48, v240
	s_waitcnt vmcnt(4) lgkmcnt(3)
	v_mul_f64 v[2:3], v[24:25], v[6:7]
	v_mul_f64 v[6:7], v[26:27], v[6:7]
	s_waitcnt vmcnt(3) lgkmcnt(2)
	v_mul_f64 v[40:41], v[28:29], v[10:11]
	v_mul_f64 v[10:11], v[30:31], v[10:11]
	v_fmac_f64_e32 v[2:3], v[26:27], v[4:5]
	v_fma_f64 v[4:5], v[24:25], v[4:5], -v[6:7]
	s_waitcnt vmcnt(2) lgkmcnt(1)
	v_mul_f64 v[42:43], v[32:33], v[14:15]
	v_mul_f64 v[14:15], v[34:35], v[14:15]
	v_fmac_f64_e32 v[40:41], v[30:31], v[8:9]
	v_fma_f64 v[6:7], v[28:29], v[8:9], -v[10:11]
	v_add_f64 v[2:3], v[2:3], 0
	v_add_f64 v[4:5], v[4:5], 0
	s_waitcnt vmcnt(1) lgkmcnt(0)
	v_mul_f64 v[44:45], v[36:37], v[18:19]
	v_mul_f64 v[18:19], v[38:39], v[18:19]
	v_fmac_f64_e32 v[42:43], v[34:35], v[12:13]
	v_fma_f64 v[8:9], v[32:33], v[12:13], -v[14:15]
	v_add_f64 v[2:3], v[2:3], v[40:41]
	v_add_f64 v[4:5], v[4:5], v[6:7]
	v_fmac_f64_e32 v[44:45], v[38:39], v[16:17]
	v_fma_f64 v[10:11], v[36:37], v[16:17], -v[18:19]
	v_add_f64 v[2:3], v[2:3], v[42:43]
	v_add_f64 v[4:5], v[4:5], v[8:9]
	;; [unrolled: 1-line block ×4, first 2 shown]
	s_waitcnt vmcnt(0)
	v_add_f64 v[2:3], v[20:21], -v[2:3]
	v_add_f64 v[4:5], v[22:23], -v[6:7]
	scratch_store_dwordx4 off, v[2:5], off offset:800
	s_and_saveexec_b64 s[0:1], vcc
	s_cbranch_execz .LBB117_241
; %bb.240:
	scratch_load_dwordx4 v[2:5], off, s21
	v_mov_b32_e32 v6, 0
	v_mov_b32_e32 v7, v6
	;; [unrolled: 1-line block ×4, first 2 shown]
	v_accvgpr_read_b32 v0, a109
	scratch_store_dwordx4 off, v[6:9], off offset:784
	s_waitcnt vmcnt(1)
	ds_write_b128 v0, v[2:5]
.LBB117_241:
	s_or_b64 exec, exec, s[0:1]
	s_waitcnt lgkmcnt(0)
	; wave barrier
	scratch_load_dwordx4 v[4:7], off, off offset:800
	scratch_load_dwordx4 v[8:11], off, off offset:816
	;; [unrolled: 1-line block ×6, first 2 shown]
	v_mov_b32_e32 v2, 0
	ds_read_b128 v[28:31], v2 offset:1648
	ds_read_b128 v[32:35], v2 offset:1664
	;; [unrolled: 1-line block ×5, first 2 shown]
	v_cmp_lt_u32_e32 vcc, 47, v240
	s_waitcnt vmcnt(5) lgkmcnt(4)
	v_mul_f64 v[48:49], v[28:29], v[6:7]
	v_mul_f64 v[6:7], v[30:31], v[6:7]
	s_waitcnt vmcnt(4) lgkmcnt(3)
	v_mul_f64 v[50:51], v[32:33], v[10:11]
	s_waitcnt vmcnt(3) lgkmcnt(2)
	v_mul_f64 v[52:53], v[36:37], v[14:15]
	v_mul_f64 v[10:11], v[34:35], v[10:11]
	;; [unrolled: 1-line block ×3, first 2 shown]
	v_fmac_f64_e32 v[48:49], v[30:31], v[4:5]
	v_fma_f64 v[4:5], v[28:29], v[4:5], -v[6:7]
	v_fmac_f64_e32 v[50:51], v[34:35], v[8:9]
	v_fma_f64 v[6:7], v[32:33], v[8:9], -v[10:11]
	v_fma_f64 v[8:9], v[36:37], v[12:13], -v[14:15]
	v_add_f64 v[14:15], v[48:49], 0
	v_add_f64 v[4:5], v[4:5], 0
	s_waitcnt vmcnt(2) lgkmcnt(1)
	v_mul_f64 v[54:55], v[40:41], v[18:19]
	v_mul_f64 v[18:19], v[42:43], v[18:19]
	v_fmac_f64_e32 v[52:53], v[38:39], v[12:13]
	v_add_f64 v[14:15], v[14:15], v[50:51]
	v_add_f64 v[4:5], v[4:5], v[6:7]
	s_waitcnt vmcnt(1) lgkmcnt(0)
	v_mul_f64 v[56:57], v[44:45], v[22:23]
	v_mul_f64 v[22:23], v[46:47], v[22:23]
	v_fmac_f64_e32 v[54:55], v[42:43], v[16:17]
	v_fma_f64 v[10:11], v[40:41], v[16:17], -v[18:19]
	v_add_f64 v[6:7], v[14:15], v[52:53]
	v_add_f64 v[4:5], v[4:5], v[8:9]
	v_fmac_f64_e32 v[56:57], v[46:47], v[20:21]
	v_fma_f64 v[12:13], v[44:45], v[20:21], -v[22:23]
	v_add_f64 v[6:7], v[6:7], v[54:55]
	v_add_f64 v[4:5], v[4:5], v[10:11]
	;; [unrolled: 1-line block ×4, first 2 shown]
	s_waitcnt vmcnt(0)
	v_add_f64 v[4:5], v[24:25], -v[4:5]
	v_add_f64 v[6:7], v[26:27], -v[6:7]
	scratch_store_dwordx4 off, v[4:7], off offset:784
	s_and_saveexec_b64 s[0:1], vcc
	s_cbranch_execz .LBB117_243
; %bb.242:
	scratch_load_dwordx4 v[6:9], off, s22
	v_mov_b32_e32 v3, v2
	v_mov_b32_e32 v4, v2
	;; [unrolled: 1-line block ×3, first 2 shown]
	v_accvgpr_read_b32 v0, a109
	scratch_store_dwordx4 off, v[2:5], off offset:768
	s_waitcnt vmcnt(1)
	ds_write_b128 v0, v[6:9]
.LBB117_243:
	s_or_b64 exec, exec, s[0:1]
	s_waitcnt lgkmcnt(0)
	; wave barrier
	ds_read_b128 v[4:7], v2 offset:1632
	ds_read_b128 v[8:11], v2 offset:1648
	ds_read_b128 v[12:15], v2 offset:1664
	ds_read_b128 v[16:19], v2 offset:1680
	scratch_load_dwordx4 v[20:23], off, off offset:784
	scratch_load_dwordx4 v[40:43], off, off offset:848
	v_cmp_lt_u32_e32 vcc, 46, v240
	scratch_load_dwordx4 v[48:51], off, off offset:864
	s_waitcnt vmcnt(2) lgkmcnt(3)
	v_mul_f64 v[24:25], v[4:5], v[22:23]
	v_fmac_f64_e32 v[24:25], v[6:7], v[20:21]
	v_add_f64 v[28:29], v[24:25], 0
	scratch_load_dwordx4 v[24:27], off, off offset:800
	s_waitcnt vmcnt(0) lgkmcnt(2)
	v_mul_f64 v[30:31], v[8:9], v[26:27]
	v_fmac_f64_e32 v[30:31], v[10:11], v[24:25]
	v_add_f64 v[32:33], v[28:29], v[30:31]
	;; [unrolled: 5-line block ×4, first 2 shown]
	ds_read_b128 v[36:39], v2 offset:1696
	s_waitcnt lgkmcnt(0)
	v_mul_f64 v[46:47], v[36:37], v[42:43]
	v_fmac_f64_e32 v[46:47], v[38:39], v[40:41]
	v_add_f64 v[52:53], v[44:45], v[46:47]
	ds_read_b128 v[44:47], v2 offset:1712
	s_waitcnt lgkmcnt(0)
	v_mul_f64 v[2:3], v[44:45], v[50:51]
	v_fmac_f64_e32 v[2:3], v[46:47], v[48:49]
	v_add_f64 v[52:53], v[52:53], v[2:3]
	v_mul_f64 v[2:3], v[6:7], v[22:23]
	v_fma_f64 v[2:3], v[4:5], v[20:21], -v[2:3]
	v_mul_f64 v[4:5], v[10:11], v[26:27]
	v_add_f64 v[2:3], v[2:3], 0
	v_fma_f64 v[4:5], v[8:9], v[24:25], -v[4:5]
	v_add_f64 v[2:3], v[2:3], v[4:5]
	v_mul_f64 v[4:5], v[14:15], v[30:31]
	v_fma_f64 v[4:5], v[12:13], v[28:29], -v[4:5]
	v_add_f64 v[2:3], v[2:3], v[4:5]
	v_mul_f64 v[4:5], v[18:19], v[34:35]
	v_fma_f64 v[4:5], v[16:17], v[32:33], -v[4:5]
	v_add_f64 v[2:3], v[2:3], v[4:5]
	v_mul_f64 v[4:5], v[38:39], v[42:43]
	v_fma_f64 v[4:5], v[36:37], v[40:41], -v[4:5]
	v_add_f64 v[2:3], v[2:3], v[4:5]
	v_mul_f64 v[4:5], v[46:47], v[50:51]
	v_fma_f64 v[4:5], v[44:45], v[48:49], -v[4:5]
	v_add_f64 v[6:7], v[2:3], v[4:5]
	scratch_load_dwordx4 v[2:5], off, off offset:768
	s_waitcnt vmcnt(0)
	v_add_f64 v[2:3], v[2:3], -v[6:7]
	v_add_f64 v[4:5], v[4:5], -v[52:53]
	scratch_store_dwordx4 off, v[2:5], off offset:768
	s_and_saveexec_b64 s[0:1], vcc
	s_cbranch_execz .LBB117_245
; %bb.244:
	scratch_load_dwordx4 v[2:5], off, s23
	v_mov_b32_e32 v6, 0
	v_mov_b32_e32 v7, v6
	;; [unrolled: 1-line block ×4, first 2 shown]
	v_accvgpr_read_b32 v0, a109
	scratch_store_dwordx4 off, v[6:9], off offset:752
	s_waitcnt vmcnt(1)
	ds_write_b128 v0, v[2:5]
.LBB117_245:
	s_or_b64 exec, exec, s[0:1]
	s_waitcnt lgkmcnt(0)
	; wave barrier
	scratch_load_dwordx4 v[4:7], off, off offset:768
	scratch_load_dwordx4 v[8:11], off, off offset:784
	;; [unrolled: 1-line block ×8, first 2 shown]
	v_mov_b32_e32 v2, 0
	ds_read_b128 v[36:39], v2 offset:1616
	ds_read_b128 v[40:43], v2 offset:1632
	;; [unrolled: 1-line block ×7, first 2 shown]
	v_cmp_lt_u32_e32 vcc, 45, v240
	s_waitcnt vmcnt(7) lgkmcnt(6)
	v_mul_f64 v[64:65], v[36:37], v[6:7]
	v_mul_f64 v[6:7], v[38:39], v[6:7]
	s_waitcnt vmcnt(6) lgkmcnt(5)
	v_mul_f64 v[66:67], v[40:41], v[10:11]
	s_waitcnt vmcnt(4) lgkmcnt(3)
	v_mul_f64 v[70:71], v[48:49], v[18:19]
	v_mul_f64 v[10:11], v[42:43], v[10:11]
	;; [unrolled: 1-line block ×3, first 2 shown]
	v_fmac_f64_e32 v[64:65], v[38:39], v[4:5]
	v_fma_f64 v[4:5], v[36:37], v[4:5], -v[6:7]
	v_mul_f64 v[68:69], v[44:45], v[14:15]
	v_mul_f64 v[14:15], v[46:47], v[14:15]
	v_fmac_f64_e32 v[66:67], v[42:43], v[8:9]
	v_fma_f64 v[6:7], v[40:41], v[8:9], -v[10:11]
	v_fma_f64 v[10:11], v[48:49], v[16:17], -v[18:19]
	v_add_f64 v[18:19], v[64:65], 0
	v_add_f64 v[4:5], v[4:5], 0
	v_fmac_f64_e32 v[68:69], v[46:47], v[12:13]
	v_fma_f64 v[8:9], v[44:45], v[12:13], -v[14:15]
	v_add_f64 v[18:19], v[18:19], v[66:67]
	v_add_f64 v[4:5], v[4:5], v[6:7]
	s_waitcnt vmcnt(3) lgkmcnt(2)
	v_mul_f64 v[72:73], v[52:53], v[22:23]
	v_mul_f64 v[22:23], v[54:55], v[22:23]
	v_fmac_f64_e32 v[70:71], v[50:51], v[16:17]
	v_add_f64 v[6:7], v[18:19], v[68:69]
	v_add_f64 v[4:5], v[4:5], v[8:9]
	s_waitcnt vmcnt(2) lgkmcnt(1)
	v_mul_f64 v[74:75], v[56:57], v[26:27]
	v_mul_f64 v[26:27], v[58:59], v[26:27]
	v_fmac_f64_e32 v[72:73], v[54:55], v[20:21]
	v_fma_f64 v[12:13], v[52:53], v[20:21], -v[22:23]
	v_add_f64 v[6:7], v[6:7], v[70:71]
	v_add_f64 v[4:5], v[4:5], v[10:11]
	s_waitcnt vmcnt(1) lgkmcnt(0)
	v_mul_f64 v[76:77], v[60:61], v[30:31]
	v_mul_f64 v[30:31], v[62:63], v[30:31]
	v_fmac_f64_e32 v[74:75], v[58:59], v[24:25]
	v_fma_f64 v[14:15], v[56:57], v[24:25], -v[26:27]
	v_add_f64 v[6:7], v[6:7], v[72:73]
	v_add_f64 v[4:5], v[4:5], v[12:13]
	v_fmac_f64_e32 v[76:77], v[62:63], v[28:29]
	v_fma_f64 v[16:17], v[60:61], v[28:29], -v[30:31]
	v_add_f64 v[6:7], v[6:7], v[74:75]
	v_add_f64 v[4:5], v[4:5], v[14:15]
	;; [unrolled: 1-line block ×4, first 2 shown]
	s_waitcnt vmcnt(0)
	v_add_f64 v[4:5], v[32:33], -v[4:5]
	v_add_f64 v[6:7], v[34:35], -v[6:7]
	scratch_store_dwordx4 off, v[4:7], off offset:752
	s_and_saveexec_b64 s[0:1], vcc
	s_cbranch_execz .LBB117_247
; %bb.246:
	scratch_load_dwordx4 v[6:9], off, s24
	v_mov_b32_e32 v3, v2
	v_mov_b32_e32 v4, v2
	v_mov_b32_e32 v5, v2
	v_accvgpr_read_b32 v0, a109
	scratch_store_dwordx4 off, v[2:5], off offset:736
	s_waitcnt vmcnt(1)
	ds_write_b128 v0, v[6:9]
.LBB117_247:
	s_or_b64 exec, exec, s[0:1]
	s_waitcnt lgkmcnt(0)
	; wave barrier
	scratch_load_dwordx4 v[4:7], off, off offset:752
	scratch_load_dwordx4 v[8:11], off, off offset:768
	;; [unrolled: 1-line block ×9, first 2 shown]
	ds_read_b128 v[40:43], v2 offset:1600
	ds_read_b128 v[44:47], v2 offset:1616
	;; [unrolled: 1-line block ×8, first 2 shown]
	v_cmp_lt_u32_e32 vcc, 44, v240
	s_waitcnt vmcnt(8) lgkmcnt(7)
	v_mul_f64 v[2:3], v[40:41], v[6:7]
	v_mul_f64 v[6:7], v[42:43], v[6:7]
	s_waitcnt vmcnt(7) lgkmcnt(6)
	v_mul_f64 v[72:73], v[44:45], v[10:11]
	v_mul_f64 v[10:11], v[46:47], v[10:11]
	v_fmac_f64_e32 v[2:3], v[42:43], v[4:5]
	v_fma_f64 v[4:5], v[40:41], v[4:5], -v[6:7]
	s_waitcnt vmcnt(6) lgkmcnt(5)
	v_mul_f64 v[74:75], v[48:49], v[14:15]
	v_mul_f64 v[14:15], v[50:51], v[14:15]
	v_fmac_f64_e32 v[72:73], v[46:47], v[8:9]
	v_fma_f64 v[6:7], v[44:45], v[8:9], -v[10:11]
	v_add_f64 v[2:3], v[2:3], 0
	v_add_f64 v[4:5], v[4:5], 0
	s_waitcnt vmcnt(5) lgkmcnt(4)
	v_mul_f64 v[76:77], v[52:53], v[18:19]
	v_mul_f64 v[18:19], v[54:55], v[18:19]
	v_fmac_f64_e32 v[74:75], v[50:51], v[12:13]
	v_fma_f64 v[8:9], v[48:49], v[12:13], -v[14:15]
	v_add_f64 v[2:3], v[2:3], v[72:73]
	v_add_f64 v[4:5], v[4:5], v[6:7]
	;; [unrolled: 7-line block ×6, first 2 shown]
	v_fmac_f64_e32 v[84:85], v[70:71], v[32:33]
	v_fma_f64 v[18:19], v[68:69], v[32:33], -v[34:35]
	v_add_f64 v[2:3], v[2:3], v[82:83]
	v_add_f64 v[4:5], v[4:5], v[16:17]
	;; [unrolled: 1-line block ×4, first 2 shown]
	s_waitcnt vmcnt(0)
	v_add_f64 v[2:3], v[36:37], -v[2:3]
	v_add_f64 v[4:5], v[38:39], -v[6:7]
	scratch_store_dwordx4 off, v[2:5], off offset:736
	s_and_saveexec_b64 s[0:1], vcc
	s_cbranch_execz .LBB117_249
; %bb.248:
	scratch_load_dwordx4 v[2:5], off, s25
	v_mov_b32_e32 v6, 0
	v_mov_b32_e32 v7, v6
	;; [unrolled: 1-line block ×4, first 2 shown]
	v_accvgpr_read_b32 v0, a109
	scratch_store_dwordx4 off, v[6:9], off offset:720
	s_waitcnt vmcnt(1)
	ds_write_b128 v0, v[2:5]
.LBB117_249:
	s_or_b64 exec, exec, s[0:1]
	s_waitcnt lgkmcnt(0)
	; wave barrier
	scratch_load_dwordx4 v[4:7], off, off offset:736
	scratch_load_dwordx4 v[8:11], off, off offset:752
	;; [unrolled: 1-line block ×10, first 2 shown]
	v_mov_b32_e32 v2, 0
	ds_read_b128 v[44:47], v2 offset:1584
	ds_read_b128 v[48:51], v2 offset:1600
	;; [unrolled: 1-line block ×9, first 2 shown]
	v_cmp_lt_u32_e32 vcc, 43, v240
	s_waitcnt vmcnt(9) lgkmcnt(8)
	v_mul_f64 v[80:81], v[44:45], v[6:7]
	v_mul_f64 v[6:7], v[46:47], v[6:7]
	s_waitcnt vmcnt(8) lgkmcnt(7)
	v_mul_f64 v[82:83], v[48:49], v[10:11]
	s_waitcnt vmcnt(7) lgkmcnt(6)
	;; [unrolled: 2-line block ×3, first 2 shown]
	v_mul_f64 v[88:89], v[60:61], v[22:23]
	v_mul_f64 v[10:11], v[50:51], v[10:11]
	;; [unrolled: 1-line block ×4, first 2 shown]
	v_fmac_f64_e32 v[80:81], v[46:47], v[4:5]
	v_fma_f64 v[4:5], v[44:45], v[4:5], -v[6:7]
	v_fmac_f64_e32 v[82:83], v[50:51], v[8:9]
	v_fmac_f64_e32 v[84:85], v[54:55], v[12:13]
	v_fma_f64 v[6:7], v[48:49], v[8:9], -v[10:11]
	v_fma_f64 v[8:9], v[52:53], v[12:13], -v[14:15]
	;; [unrolled: 1-line block ×3, first 2 shown]
	v_add_f64 v[22:23], v[80:81], 0
	v_add_f64 v[4:5], v[4:5], 0
	v_mul_f64 v[86:87], v[56:57], v[18:19]
	v_mul_f64 v[18:19], v[58:59], v[18:19]
	v_add_f64 v[22:23], v[22:23], v[82:83]
	v_add_f64 v[4:5], v[4:5], v[6:7]
	v_fmac_f64_e32 v[86:87], v[58:59], v[16:17]
	v_fma_f64 v[10:11], v[56:57], v[16:17], -v[18:19]
	v_add_f64 v[6:7], v[22:23], v[84:85]
	v_add_f64 v[4:5], v[4:5], v[8:9]
	s_waitcnt vmcnt(4) lgkmcnt(3)
	v_mul_f64 v[90:91], v[64:65], v[26:27]
	v_mul_f64 v[26:27], v[66:67], v[26:27]
	v_fmac_f64_e32 v[88:89], v[62:63], v[20:21]
	v_add_f64 v[6:7], v[6:7], v[86:87]
	v_add_f64 v[4:5], v[4:5], v[10:11]
	s_waitcnt vmcnt(3) lgkmcnt(2)
	v_mul_f64 v[92:93], v[68:69], v[30:31]
	v_mul_f64 v[30:31], v[70:71], v[30:31]
	v_fmac_f64_e32 v[90:91], v[66:67], v[24:25]
	v_fma_f64 v[14:15], v[64:65], v[24:25], -v[26:27]
	v_add_f64 v[6:7], v[6:7], v[88:89]
	v_add_f64 v[4:5], v[4:5], v[12:13]
	s_waitcnt vmcnt(2) lgkmcnt(1)
	v_mul_f64 v[94:95], v[72:73], v[34:35]
	v_mul_f64 v[34:35], v[74:75], v[34:35]
	v_fmac_f64_e32 v[92:93], v[70:71], v[28:29]
	v_fma_f64 v[16:17], v[68:69], v[28:29], -v[30:31]
	;; [unrolled: 7-line block ×3, first 2 shown]
	v_add_f64 v[6:7], v[6:7], v[92:93]
	v_add_f64 v[4:5], v[4:5], v[16:17]
	v_fmac_f64_e32 v[96:97], v[78:79], v[36:37]
	v_fma_f64 v[20:21], v[76:77], v[36:37], -v[38:39]
	v_add_f64 v[6:7], v[6:7], v[94:95]
	v_add_f64 v[4:5], v[4:5], v[18:19]
	;; [unrolled: 1-line block ×4, first 2 shown]
	s_waitcnt vmcnt(0)
	v_add_f64 v[4:5], v[40:41], -v[4:5]
	v_add_f64 v[6:7], v[42:43], -v[6:7]
	scratch_store_dwordx4 off, v[4:7], off offset:720
	s_and_saveexec_b64 s[0:1], vcc
	s_cbranch_execz .LBB117_251
; %bb.250:
	scratch_load_dwordx4 v[6:9], off, s26
	v_mov_b32_e32 v3, v2
	v_mov_b32_e32 v4, v2
	;; [unrolled: 1-line block ×3, first 2 shown]
	v_accvgpr_read_b32 v0, a109
	scratch_store_dwordx4 off, v[2:5], off offset:704
	s_waitcnt vmcnt(1)
	ds_write_b128 v0, v[6:9]
.LBB117_251:
	s_or_b64 exec, exec, s[0:1]
	s_waitcnt lgkmcnt(0)
	; wave barrier
	scratch_load_dwordx4 v[4:7], off, off offset:720
	scratch_load_dwordx4 v[8:11], off, off offset:736
	;; [unrolled: 1-line block ×11, first 2 shown]
	ds_read_b128 v[48:51], v2 offset:1568
	ds_read_b128 v[52:55], v2 offset:1584
	;; [unrolled: 1-line block ×10, first 2 shown]
	v_cmp_lt_u32_e32 vcc, 42, v240
	s_waitcnt vmcnt(10) lgkmcnt(9)
	v_mul_f64 v[2:3], v[48:49], v[6:7]
	v_mul_f64 v[6:7], v[50:51], v[6:7]
	s_waitcnt vmcnt(9) lgkmcnt(8)
	v_mul_f64 v[88:89], v[52:53], v[10:11]
	v_mul_f64 v[10:11], v[54:55], v[10:11]
	v_fmac_f64_e32 v[2:3], v[50:51], v[4:5]
	v_fma_f64 v[4:5], v[48:49], v[4:5], -v[6:7]
	s_waitcnt vmcnt(8) lgkmcnt(7)
	v_mul_f64 v[90:91], v[56:57], v[14:15]
	v_mul_f64 v[14:15], v[58:59], v[14:15]
	v_fmac_f64_e32 v[88:89], v[54:55], v[8:9]
	v_fma_f64 v[6:7], v[52:53], v[8:9], -v[10:11]
	v_add_f64 v[2:3], v[2:3], 0
	v_add_f64 v[4:5], v[4:5], 0
	s_waitcnt vmcnt(7) lgkmcnt(6)
	v_mul_f64 v[92:93], v[60:61], v[18:19]
	v_mul_f64 v[18:19], v[62:63], v[18:19]
	v_fmac_f64_e32 v[90:91], v[58:59], v[12:13]
	v_fma_f64 v[8:9], v[56:57], v[12:13], -v[14:15]
	v_add_f64 v[2:3], v[2:3], v[88:89]
	v_add_f64 v[4:5], v[4:5], v[6:7]
	;; [unrolled: 7-line block ×8, first 2 shown]
	v_fmac_f64_e32 v[104:105], v[86:87], v[40:41]
	v_fma_f64 v[22:23], v[84:85], v[40:41], -v[42:43]
	v_add_f64 v[2:3], v[2:3], v[102:103]
	v_add_f64 v[4:5], v[4:5], v[20:21]
	;; [unrolled: 1-line block ×4, first 2 shown]
	s_waitcnt vmcnt(0)
	v_add_f64 v[2:3], v[44:45], -v[2:3]
	v_add_f64 v[4:5], v[46:47], -v[6:7]
	scratch_store_dwordx4 off, v[2:5], off offset:704
	s_and_saveexec_b64 s[0:1], vcc
	s_cbranch_execz .LBB117_253
; %bb.252:
	scratch_load_dwordx4 v[2:5], off, s27
	v_mov_b32_e32 v6, 0
	v_mov_b32_e32 v7, v6
	;; [unrolled: 1-line block ×4, first 2 shown]
	v_accvgpr_read_b32 v0, a109
	scratch_store_dwordx4 off, v[6:9], off offset:688
	s_waitcnt vmcnt(1)
	ds_write_b128 v0, v[2:5]
.LBB117_253:
	s_or_b64 exec, exec, s[0:1]
	s_waitcnt lgkmcnt(0)
	; wave barrier
	scratch_load_dwordx4 v[4:7], off, off offset:704
	scratch_load_dwordx4 v[8:11], off, off offset:720
	;; [unrolled: 1-line block ×12, first 2 shown]
	v_mov_b32_e32 v2, 0
	ds_read_b128 v[52:55], v2 offset:1552
	ds_read_b128 v[56:59], v2 offset:1568
	;; [unrolled: 1-line block ×11, first 2 shown]
	v_cmp_lt_u32_e32 vcc, 41, v240
	s_waitcnt vmcnt(11) lgkmcnt(10)
	v_mul_f64 v[96:97], v[52:53], v[6:7]
	v_mul_f64 v[6:7], v[54:55], v[6:7]
	s_waitcnt vmcnt(10) lgkmcnt(9)
	v_mul_f64 v[98:99], v[56:57], v[10:11]
	s_waitcnt vmcnt(9) lgkmcnt(8)
	v_mul_f64 v[100:101], v[60:61], v[14:15]
	v_mul_f64 v[10:11], v[58:59], v[10:11]
	s_waitcnt vmcnt(6) lgkmcnt(5)
	v_mul_f64 v[106:107], v[72:73], v[26:27]
	v_mul_f64 v[14:15], v[62:63], v[14:15]
	;; [unrolled: 1-line block ×3, first 2 shown]
	v_fmac_f64_e32 v[96:97], v[54:55], v[4:5]
	v_fma_f64 v[4:5], v[52:53], v[4:5], -v[6:7]
	v_fmac_f64_e32 v[98:99], v[58:59], v[8:9]
	v_fma_f64 v[6:7], v[56:57], v[8:9], -v[10:11]
	v_fma_f64 v[8:9], v[60:61], v[12:13], -v[14:15]
	;; [unrolled: 1-line block ×3, first 2 shown]
	v_add_f64 v[26:27], v[96:97], 0
	v_add_f64 v[4:5], v[4:5], 0
	v_mul_f64 v[102:103], v[64:65], v[18:19]
	v_mul_f64 v[18:19], v[66:67], v[18:19]
	v_fmac_f64_e32 v[100:101], v[62:63], v[12:13]
	v_add_f64 v[26:27], v[26:27], v[98:99]
	v_add_f64 v[4:5], v[4:5], v[6:7]
	v_mul_f64 v[104:105], v[68:69], v[22:23]
	v_mul_f64 v[22:23], v[70:71], v[22:23]
	v_fmac_f64_e32 v[102:103], v[66:67], v[16:17]
	v_fma_f64 v[10:11], v[64:65], v[16:17], -v[18:19]
	v_add_f64 v[6:7], v[26:27], v[100:101]
	v_add_f64 v[4:5], v[4:5], v[8:9]
	v_fmac_f64_e32 v[104:105], v[70:71], v[20:21]
	v_fma_f64 v[12:13], v[68:69], v[20:21], -v[22:23]
	v_add_f64 v[6:7], v[6:7], v[102:103]
	v_add_f64 v[4:5], v[4:5], v[10:11]
	s_waitcnt vmcnt(5) lgkmcnt(4)
	v_mul_f64 v[108:109], v[76:77], v[30:31]
	v_mul_f64 v[30:31], v[78:79], v[30:31]
	v_fmac_f64_e32 v[106:107], v[74:75], v[24:25]
	v_add_f64 v[6:7], v[6:7], v[104:105]
	v_add_f64 v[4:5], v[4:5], v[12:13]
	s_waitcnt vmcnt(4) lgkmcnt(3)
	v_mul_f64 v[110:111], v[80:81], v[34:35]
	v_mul_f64 v[34:35], v[82:83], v[34:35]
	v_fmac_f64_e32 v[108:109], v[78:79], v[28:29]
	v_fma_f64 v[16:17], v[76:77], v[28:29], -v[30:31]
	v_add_f64 v[6:7], v[6:7], v[106:107]
	v_add_f64 v[4:5], v[4:5], v[14:15]
	s_waitcnt vmcnt(3) lgkmcnt(2)
	v_mul_f64 v[112:113], v[84:85], v[38:39]
	v_mul_f64 v[38:39], v[86:87], v[38:39]
	v_fmac_f64_e32 v[110:111], v[82:83], v[32:33]
	v_fma_f64 v[18:19], v[80:81], v[32:33], -v[34:35]
	;; [unrolled: 7-line block ×4, first 2 shown]
	v_add_f64 v[6:7], v[6:7], v[112:113]
	v_add_f64 v[4:5], v[4:5], v[20:21]
	v_fmac_f64_e32 v[116:117], v[94:95], v[44:45]
	v_fma_f64 v[24:25], v[92:93], v[44:45], -v[46:47]
	v_add_f64 v[6:7], v[6:7], v[114:115]
	v_add_f64 v[4:5], v[4:5], v[22:23]
	;; [unrolled: 1-line block ×4, first 2 shown]
	s_waitcnt vmcnt(0)
	v_add_f64 v[4:5], v[48:49], -v[4:5]
	v_add_f64 v[6:7], v[50:51], -v[6:7]
	scratch_store_dwordx4 off, v[4:7], off offset:688
	s_and_saveexec_b64 s[0:1], vcc
	s_cbranch_execz .LBB117_255
; %bb.254:
	scratch_load_dwordx4 v[6:9], off, s28
	v_mov_b32_e32 v3, v2
	v_mov_b32_e32 v4, v2
	;; [unrolled: 1-line block ×3, first 2 shown]
	v_accvgpr_read_b32 v0, a109
	scratch_store_dwordx4 off, v[2:5], off offset:672
	s_waitcnt vmcnt(1)
	ds_write_b128 v0, v[6:9]
.LBB117_255:
	s_or_b64 exec, exec, s[0:1]
	s_waitcnt lgkmcnt(0)
	; wave barrier
	scratch_load_dwordx4 v[4:7], off, off offset:688
	scratch_load_dwordx4 v[8:11], off, off offset:704
	;; [unrolled: 1-line block ×12, first 2 shown]
	ds_read_b128 v[52:55], v2 offset:1536
	ds_read_b128 v[56:59], v2 offset:1552
	ds_read_b128 v[60:63], v2 offset:1568
	ds_read_b128 v[64:67], v2 offset:1584
	scratch_load_dwordx4 v[68:71], off, off offset:672
	ds_read_b128 v[72:75], v2 offset:1600
	ds_read_b128 v[76:79], v2 offset:1616
	;; [unrolled: 1-line block ×8, first 2 shown]
	v_cmp_lt_u32_e32 vcc, 40, v240
	s_waitcnt vmcnt(12) lgkmcnt(11)
	v_mul_f64 v[2:3], v[52:53], v[6:7]
	s_waitcnt vmcnt(11) lgkmcnt(10)
	v_mul_f64 v[104:105], v[56:57], v[10:11]
	v_fmac_f64_e32 v[2:3], v[54:55], v[4:5]
	s_waitcnt vmcnt(10) lgkmcnt(9)
	v_mul_f64 v[106:107], v[60:61], v[14:15]
	v_mul_f64 v[6:7], v[54:55], v[6:7]
	v_fmac_f64_e32 v[104:105], v[58:59], v[8:9]
	v_add_f64 v[2:3], v[2:3], 0
	s_waitcnt vmcnt(9) lgkmcnt(8)
	v_mul_f64 v[108:109], v[64:65], v[18:19]
	v_mul_f64 v[10:11], v[58:59], v[10:11]
	v_fmac_f64_e32 v[106:107], v[62:63], v[12:13]
	v_fma_f64 v[4:5], v[52:53], v[4:5], -v[6:7]
	v_add_f64 v[2:3], v[2:3], v[104:105]
	s_waitcnt vmcnt(8) lgkmcnt(7)
	v_mul_f64 v[110:111], v[72:73], v[22:23]
	v_mul_f64 v[14:15], v[62:63], v[14:15]
	v_fmac_f64_e32 v[108:109], v[66:67], v[16:17]
	v_fma_f64 v[6:7], v[56:57], v[8:9], -v[10:11]
	v_add_f64 v[4:5], v[4:5], 0
	v_add_f64 v[2:3], v[2:3], v[106:107]
	s_waitcnt vmcnt(7) lgkmcnt(6)
	v_mul_f64 v[112:113], v[76:77], v[26:27]
	v_mul_f64 v[18:19], v[66:67], v[18:19]
	v_fmac_f64_e32 v[110:111], v[74:75], v[20:21]
	v_fma_f64 v[8:9], v[60:61], v[12:13], -v[14:15]
	v_add_f64 v[4:5], v[4:5], v[6:7]
	v_add_f64 v[2:3], v[2:3], v[108:109]
	s_waitcnt vmcnt(6) lgkmcnt(5)
	v_mul_f64 v[114:115], v[80:81], v[30:31]
	v_mul_f64 v[22:23], v[74:75], v[22:23]
	v_fmac_f64_e32 v[112:113], v[78:79], v[24:25]
	v_fma_f64 v[10:11], v[64:65], v[16:17], -v[18:19]
	v_add_f64 v[4:5], v[4:5], v[8:9]
	v_add_f64 v[2:3], v[2:3], v[110:111]
	s_waitcnt vmcnt(5) lgkmcnt(4)
	v_mul_f64 v[116:117], v[84:85], v[34:35]
	v_mul_f64 v[26:27], v[78:79], v[26:27]
	v_fmac_f64_e32 v[114:115], v[82:83], v[28:29]
	v_fma_f64 v[12:13], v[72:73], v[20:21], -v[22:23]
	v_add_f64 v[4:5], v[4:5], v[10:11]
	v_add_f64 v[2:3], v[2:3], v[112:113]
	s_waitcnt vmcnt(4) lgkmcnt(3)
	v_mul_f64 v[118:119], v[88:89], v[38:39]
	v_mul_f64 v[30:31], v[82:83], v[30:31]
	v_fmac_f64_e32 v[116:117], v[86:87], v[32:33]
	v_fma_f64 v[14:15], v[76:77], v[24:25], -v[26:27]
	v_add_f64 v[4:5], v[4:5], v[12:13]
	v_add_f64 v[2:3], v[2:3], v[114:115]
	s_waitcnt vmcnt(3) lgkmcnt(2)
	v_mul_f64 v[120:121], v[92:93], v[42:43]
	v_mul_f64 v[34:35], v[86:87], v[34:35]
	v_fmac_f64_e32 v[118:119], v[90:91], v[36:37]
	v_fma_f64 v[16:17], v[80:81], v[28:29], -v[30:31]
	v_add_f64 v[4:5], v[4:5], v[14:15]
	v_add_f64 v[2:3], v[2:3], v[116:117]
	s_waitcnt vmcnt(2) lgkmcnt(1)
	v_mul_f64 v[122:123], v[96:97], v[46:47]
	v_mul_f64 v[38:39], v[90:91], v[38:39]
	v_fmac_f64_e32 v[120:121], v[94:95], v[40:41]
	v_fma_f64 v[18:19], v[84:85], v[32:33], -v[34:35]
	v_add_f64 v[4:5], v[4:5], v[16:17]
	v_add_f64 v[2:3], v[2:3], v[118:119]
	s_waitcnt vmcnt(1) lgkmcnt(0)
	v_mul_f64 v[124:125], v[100:101], v[50:51]
	v_mul_f64 v[42:43], v[94:95], v[42:43]
	v_fmac_f64_e32 v[122:123], v[98:99], v[44:45]
	v_fma_f64 v[20:21], v[88:89], v[36:37], -v[38:39]
	v_add_f64 v[4:5], v[4:5], v[18:19]
	v_add_f64 v[2:3], v[2:3], v[120:121]
	v_mul_f64 v[46:47], v[98:99], v[46:47]
	v_fmac_f64_e32 v[124:125], v[102:103], v[48:49]
	v_fma_f64 v[22:23], v[92:93], v[40:41], -v[42:43]
	v_add_f64 v[4:5], v[4:5], v[20:21]
	v_add_f64 v[2:3], v[2:3], v[122:123]
	;; [unrolled: 1-line block ×4, first 2 shown]
	v_fma_f64 v[2:3], v[96:97], v[44:45], -v[46:47]
	v_add_f64 v[2:3], v[4:5], v[2:3]
	v_mul_f64 v[4:5], v[102:103], v[50:51]
	v_fma_f64 v[4:5], v[100:101], v[48:49], -v[4:5]
	v_add_f64 v[2:3], v[2:3], v[4:5]
	s_waitcnt vmcnt(0)
	v_add_f64 v[2:3], v[68:69], -v[2:3]
	v_add_f64 v[4:5], v[70:71], -v[6:7]
	scratch_store_dwordx4 off, v[2:5], off offset:672
	s_and_saveexec_b64 s[0:1], vcc
	s_cbranch_execz .LBB117_257
; %bb.256:
	scratch_load_dwordx4 v[2:5], off, s29
	v_mov_b32_e32 v6, 0
	v_mov_b32_e32 v7, v6
	;; [unrolled: 1-line block ×4, first 2 shown]
	v_accvgpr_read_b32 v0, a109
	scratch_store_dwordx4 off, v[6:9], off offset:656
	s_waitcnt vmcnt(1)
	ds_write_b128 v0, v[2:5]
.LBB117_257:
	s_or_b64 exec, exec, s[0:1]
	s_waitcnt lgkmcnt(0)
	; wave barrier
	scratch_load_dwordx4 v[4:7], off, off offset:672
	scratch_load_dwordx4 v[8:11], off, off offset:688
	;; [unrolled: 1-line block ×14, first 2 shown]
	v_mov_b32_e32 v2, 0
	ds_read_b128 v[60:63], v2 offset:1520
	ds_read_b128 v[64:67], v2 offset:1536
	;; [unrolled: 1-line block ×13, first 2 shown]
	v_cmp_lt_u32_e32 vcc, 39, v240
	s_waitcnt vmcnt(13) lgkmcnt(12)
	v_mul_f64 v[112:113], v[60:61], v[6:7]
	v_mul_f64 v[6:7], v[62:63], v[6:7]
	s_waitcnt vmcnt(12) lgkmcnt(11)
	v_mul_f64 v[114:115], v[64:65], v[10:11]
	v_mul_f64 v[10:11], v[66:67], v[10:11]
	v_fmac_f64_e32 v[112:113], v[62:63], v[4:5]
	v_fma_f64 v[4:5], v[60:61], v[4:5], -v[6:7]
	s_waitcnt vmcnt(11) lgkmcnt(10)
	v_mul_f64 v[116:117], v[68:69], v[14:15]
	v_mul_f64 v[14:15], v[70:71], v[14:15]
	v_fma_f64 v[6:7], v[64:65], v[8:9], -v[10:11]
	v_add_f64 v[4:5], v[4:5], 0
	s_waitcnt vmcnt(10) lgkmcnt(9)
	v_mul_f64 v[118:119], v[72:73], v[18:19]
	v_mul_f64 v[18:19], v[74:75], v[18:19]
	v_fmac_f64_e32 v[114:115], v[66:67], v[8:9]
	v_fma_f64 v[8:9], v[68:69], v[12:13], -v[14:15]
	v_add_f64 v[4:5], v[4:5], v[6:7]
	s_waitcnt vmcnt(9) lgkmcnt(8)
	v_mul_f64 v[120:121], v[76:77], v[22:23]
	v_mul_f64 v[22:23], v[78:79], v[22:23]
	v_fma_f64 v[10:11], v[72:73], v[16:17], -v[18:19]
	v_add_f64 v[4:5], v[4:5], v[8:9]
	s_waitcnt vmcnt(8) lgkmcnt(7)
	v_mul_f64 v[122:123], v[80:81], v[26:27]
	v_mul_f64 v[26:27], v[82:83], v[26:27]
	v_fmac_f64_e32 v[116:117], v[70:71], v[12:13]
	v_fma_f64 v[12:13], v[76:77], v[20:21], -v[22:23]
	v_add_f64 v[22:23], v[112:113], 0
	v_add_f64 v[4:5], v[4:5], v[10:11]
	s_waitcnt vmcnt(7) lgkmcnt(6)
	v_mul_f64 v[124:125], v[84:85], v[30:31]
	v_mul_f64 v[30:31], v[86:87], v[30:31]
	v_fma_f64 v[14:15], v[80:81], v[24:25], -v[26:27]
	v_add_f64 v[22:23], v[22:23], v[114:115]
	v_add_f64 v[4:5], v[4:5], v[12:13]
	s_waitcnt vmcnt(6) lgkmcnt(5)
	v_mul_f64 v[126:127], v[88:89], v[34:35]
	v_mul_f64 v[34:35], v[90:91], v[34:35]
	v_fmac_f64_e32 v[118:119], v[74:75], v[16:17]
	v_fma_f64 v[16:17], v[84:85], v[28:29], -v[30:31]
	v_add_f64 v[6:7], v[22:23], v[116:117]
	v_add_f64 v[4:5], v[4:5], v[14:15]
	s_waitcnt vmcnt(5) lgkmcnt(4)
	v_mul_f64 v[128:129], v[92:93], v[38:39]
	v_mul_f64 v[38:39], v[94:95], v[38:39]
	v_fmac_f64_e32 v[120:121], v[78:79], v[20:21]
	v_fma_f64 v[18:19], v[88:89], v[32:33], -v[34:35]
	v_add_f64 v[6:7], v[6:7], v[118:119]
	v_add_f64 v[4:5], v[4:5], v[16:17]
	v_fmac_f64_e32 v[122:123], v[82:83], v[24:25]
	v_fma_f64 v[20:21], v[92:93], v[36:37], -v[38:39]
	v_add_f64 v[6:7], v[6:7], v[120:121]
	v_add_f64 v[4:5], v[4:5], v[18:19]
	s_waitcnt vmcnt(4) lgkmcnt(3)
	v_mul_f64 v[8:9], v[98:99], v[42:43]
	v_fmac_f64_e32 v[124:125], v[86:87], v[28:29]
	v_add_f64 v[6:7], v[6:7], v[122:123]
	v_add_f64 v[4:5], v[4:5], v[20:21]
	v_fma_f64 v[8:9], v[96:97], v[40:41], -v[8:9]
	v_fmac_f64_e32 v[126:127], v[90:91], v[32:33]
	v_add_f64 v[6:7], v[6:7], v[124:125]
	v_add_f64 v[4:5], v[4:5], v[8:9]
	s_waitcnt vmcnt(3) lgkmcnt(2)
	v_mul_f64 v[8:9], v[102:103], v[46:47]
	v_mul_f64 v[130:131], v[96:97], v[42:43]
	v_fmac_f64_e32 v[128:129], v[94:95], v[36:37]
	v_add_f64 v[6:7], v[6:7], v[126:127]
	v_fma_f64 v[8:9], v[100:101], v[44:45], -v[8:9]
	v_mul_f64 v[132:133], v[100:101], v[46:47]
	v_fmac_f64_e32 v[130:131], v[98:99], v[40:41]
	v_add_f64 v[6:7], v[6:7], v[128:129]
	v_add_f64 v[4:5], v[4:5], v[8:9]
	s_waitcnt vmcnt(2) lgkmcnt(1)
	v_mul_f64 v[8:9], v[106:107], v[50:51]
	v_mul_f64 v[134:135], v[104:105], v[50:51]
	v_fmac_f64_e32 v[132:133], v[102:103], v[44:45]
	v_add_f64 v[6:7], v[6:7], v[130:131]
	v_fma_f64 v[8:9], v[104:105], v[48:49], -v[8:9]
	s_waitcnt vmcnt(1) lgkmcnt(0)
	v_mul_f64 v[136:137], v[108:109], v[54:55]
	v_fmac_f64_e32 v[134:135], v[106:107], v[48:49]
	v_add_f64 v[6:7], v[6:7], v[132:133]
	v_add_f64 v[4:5], v[4:5], v[8:9]
	v_mul_f64 v[8:9], v[110:111], v[54:55]
	v_fmac_f64_e32 v[136:137], v[110:111], v[52:53]
	v_add_f64 v[6:7], v[6:7], v[134:135]
	v_fma_f64 v[8:9], v[108:109], v[52:53], -v[8:9]
	v_add_f64 v[6:7], v[6:7], v[136:137]
	v_add_f64 v[4:5], v[4:5], v[8:9]
	s_waitcnt vmcnt(0)
	v_add_f64 v[4:5], v[56:57], -v[4:5]
	v_add_f64 v[6:7], v[58:59], -v[6:7]
	scratch_store_dwordx4 off, v[4:7], off offset:656
	s_and_saveexec_b64 s[0:1], vcc
	s_cbranch_execz .LBB117_259
; %bb.258:
	scratch_load_dwordx4 v[6:9], off, s30
	v_mov_b32_e32 v3, v2
	v_mov_b32_e32 v4, v2
	;; [unrolled: 1-line block ×3, first 2 shown]
	v_accvgpr_read_b32 v0, a109
	scratch_store_dwordx4 off, v[2:5], off offset:640
	s_waitcnt vmcnt(1)
	ds_write_b128 v0, v[6:9]
.LBB117_259:
	s_or_b64 exec, exec, s[0:1]
	s_waitcnt lgkmcnt(0)
	; wave barrier
	scratch_load_dwordx4 v[4:7], off, off offset:656
	scratch_load_dwordx4 v[8:11], off, off offset:672
	scratch_load_dwordx4 v[12:15], off, off offset:688
	scratch_load_dwordx4 v[16:19], off, off offset:704
	scratch_load_dwordx4 v[20:23], off, off offset:720
	scratch_load_dwordx4 v[24:27], off, off offset:736
	scratch_load_dwordx4 v[28:31], off, off offset:752
	scratch_load_dwordx4 v[32:35], off, off offset:768
	scratch_load_dwordx4 v[36:39], off, off offset:784
	scratch_load_dwordx4 v[40:43], off, off offset:800
	scratch_load_dwordx4 v[44:47], off, off offset:816
	scratch_load_dwordx4 v[48:51], off, off offset:832
	scratch_load_dwordx4 v[52:55], off, off offset:848
	scratch_load_dwordx4 v[56:59], off, off offset:864
	ds_read_b128 v[60:63], v2 offset:1504
	ds_read_b128 v[64:67], v2 offset:1520
	;; [unrolled: 1-line block ×14, first 2 shown]
	scratch_load_dwordx4 v[116:119], off, off offset:640
	v_cmp_lt_u32_e32 vcc, 38, v240
	s_waitcnt vmcnt(14) lgkmcnt(13)
	v_mul_f64 v[2:3], v[60:61], v[6:7]
	s_waitcnt vmcnt(13) lgkmcnt(12)
	v_mul_f64 v[120:121], v[64:65], v[10:11]
	v_fmac_f64_e32 v[2:3], v[62:63], v[4:5]
	s_waitcnt vmcnt(12) lgkmcnt(11)
	v_mul_f64 v[122:123], v[68:69], v[14:15]
	v_fmac_f64_e32 v[120:121], v[66:67], v[8:9]
	v_add_f64 v[2:3], v[2:3], 0
	s_waitcnt vmcnt(11) lgkmcnt(10)
	v_mul_f64 v[124:125], v[72:73], v[18:19]
	v_fmac_f64_e32 v[122:123], v[70:71], v[12:13]
	v_add_f64 v[2:3], v[2:3], v[120:121]
	;; [unrolled: 4-line block ×4, first 2 shown]
	s_waitcnt vmcnt(8) lgkmcnt(7)
	v_mul_f64 v[130:131], v[84:85], v[30:31]
	v_mul_f64 v[6:7], v[62:63], v[6:7]
	v_fmac_f64_e32 v[128:129], v[82:83], v[24:25]
	v_add_f64 v[2:3], v[2:3], v[126:127]
	s_waitcnt vmcnt(7) lgkmcnt(6)
	v_mul_f64 v[132:133], v[88:89], v[34:35]
	v_mul_f64 v[10:11], v[66:67], v[10:11]
	v_fmac_f64_e32 v[130:131], v[86:87], v[28:29]
	v_fma_f64 v[4:5], v[60:61], v[4:5], -v[6:7]
	v_add_f64 v[2:3], v[2:3], v[128:129]
	s_waitcnt vmcnt(6) lgkmcnt(5)
	v_mul_f64 v[134:135], v[92:93], v[38:39]
	v_mul_f64 v[14:15], v[70:71], v[14:15]
	v_fmac_f64_e32 v[132:133], v[90:91], v[32:33]
	v_fma_f64 v[6:7], v[64:65], v[8:9], -v[10:11]
	v_add_f64 v[4:5], v[4:5], 0
	v_add_f64 v[2:3], v[2:3], v[130:131]
	s_waitcnt vmcnt(5) lgkmcnt(4)
	v_mul_f64 v[136:137], v[96:97], v[42:43]
	v_mul_f64 v[18:19], v[74:75], v[18:19]
	v_fmac_f64_e32 v[134:135], v[94:95], v[36:37]
	v_fma_f64 v[8:9], v[68:69], v[12:13], -v[14:15]
	v_add_f64 v[4:5], v[4:5], v[6:7]
	;; [unrolled: 7-line block ×6, first 2 shown]
	v_add_f64 v[2:3], v[2:3], v[140:141]
	v_fmac_f64_e32 v[144:145], v[114:115], v[56:57]
	v_fma_f64 v[18:19], v[88:89], v[32:33], -v[34:35]
	v_add_f64 v[4:5], v[4:5], v[16:17]
	v_add_f64 v[2:3], v[2:3], v[142:143]
	;; [unrolled: 1-line block ×4, first 2 shown]
	v_mul_f64 v[4:5], v[94:95], v[38:39]
	v_fma_f64 v[4:5], v[92:93], v[36:37], -v[4:5]
	v_add_f64 v[2:3], v[2:3], v[4:5]
	v_mul_f64 v[4:5], v[98:99], v[42:43]
	v_fma_f64 v[4:5], v[96:97], v[40:41], -v[4:5]
	v_add_f64 v[2:3], v[2:3], v[4:5]
	;; [unrolled: 3-line block ×6, first 2 shown]
	s_waitcnt vmcnt(0)
	v_add_f64 v[2:3], v[116:117], -v[2:3]
	v_add_f64 v[4:5], v[118:119], -v[6:7]
	scratch_store_dwordx4 off, v[2:5], off offset:640
	s_and_saveexec_b64 s[0:1], vcc
	s_cbranch_execz .LBB117_261
; %bb.260:
	scratch_load_dwordx4 v[2:5], off, s31
	v_mov_b32_e32 v6, 0
	v_mov_b32_e32 v7, v6
	;; [unrolled: 1-line block ×4, first 2 shown]
	v_accvgpr_read_b32 v0, a109
	scratch_store_dwordx4 off, v[6:9], off offset:624
	s_waitcnt vmcnt(1)
	ds_write_b128 v0, v[2:5]
.LBB117_261:
	s_or_b64 exec, exec, s[0:1]
	v_mov_b32_e32 v2, 0
	s_waitcnt lgkmcnt(0)
	; wave barrier
	ds_read_b128 v[16:19], v2 offset:1488
	ds_read_b128 v[12:15], v2 offset:1504
	;; [unrolled: 1-line block ×4, first 2 shown]
	scratch_load_dwordx4 v[20:23], off, off offset:640
	scratch_load_dwordx4 v[40:43], off, off offset:704
	;; [unrolled: 1-line block ×9, first 2 shown]
	v_cmp_lt_u32_e32 vcc, 37, v240
	scratch_load_dwordx4 v[50:53], off, off offset:720
	scratch_load_dwordx4 v[58:61], off, off offset:736
	;; [unrolled: 1-line block ×3, first 2 shown]
	s_waitcnt vmcnt(11) lgkmcnt(3)
	v_mul_f64 v[24:25], v[16:17], v[22:23]
	v_fmac_f64_e32 v[24:25], v[18:19], v[20:21]
	v_add_f64 v[28:29], v[24:25], 0
	scratch_load_dwordx4 v[24:27], off, off offset:656
	v_mul_f64 v[18:19], v[18:19], v[22:23]
	v_fma_f64 v[16:17], v[16:17], v[20:21], -v[18:19]
	v_add_f64 v[16:17], v[16:17], 0
	s_waitcnt vmcnt(0) lgkmcnt(2)
	v_mul_f64 v[30:31], v[12:13], v[26:27]
	v_fmac_f64_e32 v[30:31], v[14:15], v[24:25]
	v_add_f64 v[32:33], v[28:29], v[30:31]
	scratch_load_dwordx4 v[28:31], off, off offset:672
	v_mul_f64 v[14:15], v[14:15], v[26:27]
	v_fma_f64 v[12:13], v[12:13], v[24:25], -v[14:15]
	v_add_f64 v[12:13], v[16:17], v[12:13]
	s_waitcnt vmcnt(0) lgkmcnt(1)
	v_mul_f64 v[34:35], v[8:9], v[30:31]
	v_fmac_f64_e32 v[34:35], v[10:11], v[28:29]
	v_add_f64 v[36:37], v[32:33], v[34:35]
	scratch_load_dwordx4 v[32:35], off, off offset:688
	v_mul_f64 v[10:11], v[10:11], v[30:31]
	v_fma_f64 v[8:9], v[8:9], v[28:29], -v[10:11]
	v_add_f64 v[8:9], v[12:13], v[8:9]
	s_waitcnt vmcnt(0) lgkmcnt(0)
	v_mul_f64 v[38:39], v[4:5], v[34:35]
	v_fmac_f64_e32 v[38:39], v[6:7], v[32:33]
	v_add_f64 v[44:45], v[36:37], v[38:39]
	ds_read_b128 v[36:39], v2 offset:1552
	v_mul_f64 v[6:7], v[6:7], v[34:35]
	v_fma_f64 v[4:5], v[4:5], v[32:33], -v[6:7]
	v_add_f64 v[4:5], v[8:9], v[4:5]
	s_waitcnt lgkmcnt(0)
	v_mul_f64 v[46:47], v[36:37], v[42:43]
	v_fmac_f64_e32 v[46:47], v[38:39], v[40:41]
	v_add_f64 v[48:49], v[44:45], v[46:47]
	ds_read_b128 v[44:47], v2 offset:1568
	v_mul_f64 v[6:7], v[38:39], v[42:43]
	v_fma_f64 v[6:7], v[36:37], v[40:41], -v[6:7]
	v_add_f64 v[4:5], v[4:5], v[6:7]
	s_waitcnt lgkmcnt(0)
	;; [unrolled: 8-line block ×11, first 2 shown]
	v_mul_f64 v[6:7], v[120:121], v[124:125]
	v_fma_f64 v[6:7], v[118:119], v[122:123], -v[6:7]
	v_add_f64 v[8:9], v[4:5], v[6:7]
	scratch_load_dwordx4 v[4:7], off, off offset:624
	v_mul_f64 v[126:127], v[118:119], v[124:125]
	v_fmac_f64_e32 v[126:127], v[120:121], v[122:123]
	v_add_f64 v[48:49], v[48:49], v[126:127]
	s_waitcnt vmcnt(0)
	v_add_f64 v[4:5], v[4:5], -v[8:9]
	v_add_f64 v[6:7], v[6:7], -v[48:49]
	scratch_store_dwordx4 off, v[4:7], off offset:624
	s_and_saveexec_b64 s[0:1], vcc
	s_cbranch_execz .LBB117_263
; %bb.262:
	scratch_load_dwordx4 v[6:9], off, s33
	v_mov_b32_e32 v3, v2
	v_mov_b32_e32 v4, v2
	v_mov_b32_e32 v5, v2
	v_accvgpr_read_b32 v0, a109
	scratch_store_dwordx4 off, v[2:5], off offset:608
	s_waitcnt vmcnt(1)
	ds_write_b128 v0, v[6:9]
.LBB117_263:
	s_or_b64 exec, exec, s[0:1]
	s_waitcnt lgkmcnt(0)
	; wave barrier
	ds_read_b128 v[16:19], v2 offset:1472
	ds_read_b128 v[12:15], v2 offset:1488
	;; [unrolled: 1-line block ×4, first 2 shown]
	scratch_load_dwordx4 v[20:23], off, off offset:624
	scratch_load_dwordx4 v[40:43], off, off offset:688
	;; [unrolled: 1-line block ×10, first 2 shown]
	v_cmp_lt_u32_e32 vcc, 36, v240
	scratch_load_dwordx4 v[48:51], off, off offset:704
	scratch_load_dwordx4 v[56:59], off, off offset:720
	;; [unrolled: 1-line block ×3, first 2 shown]
	s_waitcnt vmcnt(12) lgkmcnt(3)
	v_mul_f64 v[24:25], v[16:17], v[22:23]
	v_fmac_f64_e32 v[24:25], v[18:19], v[20:21]
	v_add_f64 v[28:29], v[24:25], 0
	scratch_load_dwordx4 v[24:27], off, off offset:640
	s_waitcnt vmcnt(0) lgkmcnt(2)
	v_mul_f64 v[30:31], v[12:13], v[26:27]
	v_fmac_f64_e32 v[30:31], v[14:15], v[24:25]
	v_add_f64 v[32:33], v[28:29], v[30:31]
	scratch_load_dwordx4 v[28:31], off, off offset:656
	v_mul_f64 v[14:15], v[14:15], v[26:27]
	v_fma_f64 v[12:13], v[12:13], v[24:25], -v[14:15]
	s_waitcnt vmcnt(0) lgkmcnt(1)
	v_mul_f64 v[34:35], v[8:9], v[30:31]
	v_fmac_f64_e32 v[34:35], v[10:11], v[28:29]
	v_add_f64 v[36:37], v[32:33], v[34:35]
	scratch_load_dwordx4 v[32:35], off, off offset:672
	v_mul_f64 v[10:11], v[10:11], v[30:31]
	v_fma_f64 v[8:9], v[8:9], v[28:29], -v[10:11]
	s_waitcnt vmcnt(0) lgkmcnt(0)
	v_mul_f64 v[38:39], v[4:5], v[34:35]
	v_fmac_f64_e32 v[38:39], v[6:7], v[32:33]
	v_add_f64 v[44:45], v[36:37], v[38:39]
	ds_read_b128 v[36:39], v2 offset:1536
	v_mul_f64 v[6:7], v[6:7], v[34:35]
	v_fma_f64 v[4:5], v[4:5], v[32:33], -v[6:7]
	s_waitcnt lgkmcnt(0)
	v_mul_f64 v[46:47], v[36:37], v[42:43]
	v_fmac_f64_e32 v[46:47], v[38:39], v[40:41]
	v_add_f64 v[52:53], v[44:45], v[46:47]
	ds_read_b128 v[44:47], v2 offset:1552
	s_waitcnt lgkmcnt(0)
	v_mul_f64 v[54:55], v[44:45], v[50:51]
	v_fmac_f64_e32 v[54:55], v[46:47], v[48:49]
	v_add_f64 v[60:61], v[52:53], v[54:55]
	ds_read_b128 v[52:55], v2 offset:1568
	;; [unrolled: 5-line block ×11, first 2 shown]
	s_waitcnt lgkmcnt(0)
	v_mul_f64 v[2:3], v[126:127], v[132:133]
	v_fmac_f64_e32 v[2:3], v[128:129], v[130:131]
	v_add_f64 v[64:65], v[64:65], v[2:3]
	v_mul_f64 v[2:3], v[18:19], v[22:23]
	v_fma_f64 v[2:3], v[16:17], v[20:21], -v[2:3]
	v_add_f64 v[2:3], v[2:3], 0
	v_add_f64 v[2:3], v[2:3], v[12:13]
	;; [unrolled: 1-line block ×4, first 2 shown]
	v_mul_f64 v[4:5], v[38:39], v[42:43]
	v_fma_f64 v[4:5], v[36:37], v[40:41], -v[4:5]
	v_add_f64 v[2:3], v[2:3], v[4:5]
	v_mul_f64 v[4:5], v[46:47], v[50:51]
	v_fma_f64 v[4:5], v[44:45], v[48:49], -v[4:5]
	v_add_f64 v[2:3], v[2:3], v[4:5]
	;; [unrolled: 3-line block ×12, first 2 shown]
	scratch_load_dwordx4 v[2:5], off, off offset:608
	s_waitcnt vmcnt(0)
	v_add_f64 v[2:3], v[2:3], -v[6:7]
	v_add_f64 v[4:5], v[4:5], -v[64:65]
	scratch_store_dwordx4 off, v[2:5], off offset:608
	s_and_saveexec_b64 s[0:1], vcc
	s_cbranch_execz .LBB117_265
; %bb.264:
	scratch_load_dwordx4 v[2:5], off, s34
	v_mov_b32_e32 v6, 0
	v_mov_b32_e32 v7, v6
	;; [unrolled: 1-line block ×4, first 2 shown]
	v_accvgpr_read_b32 v0, a109
	scratch_store_dwordx4 off, v[6:9], off offset:592
	s_waitcnt vmcnt(1)
	ds_write_b128 v0, v[2:5]
.LBB117_265:
	s_or_b64 exec, exec, s[0:1]
	v_mov_b32_e32 v2, 0
	s_waitcnt lgkmcnt(0)
	; wave barrier
	ds_read_b128 v[16:19], v2 offset:1456
	ds_read_b128 v[12:15], v2 offset:1472
	;; [unrolled: 1-line block ×4, first 2 shown]
	scratch_load_dwordx4 v[20:23], off, off offset:608
	scratch_load_dwordx4 v[40:43], off, off offset:672
	;; [unrolled: 1-line block ×11, first 2 shown]
	v_cmp_lt_u32_e32 vcc, 35, v240
	scratch_load_dwordx4 v[48:51], off, off offset:688
	scratch_load_dwordx4 v[56:59], off, off offset:704
	;; [unrolled: 1-line block ×3, first 2 shown]
	s_waitcnt vmcnt(13) lgkmcnt(3)
	v_mul_f64 v[24:25], v[16:17], v[22:23]
	v_fmac_f64_e32 v[24:25], v[18:19], v[20:21]
	v_add_f64 v[28:29], v[24:25], 0
	scratch_load_dwordx4 v[24:27], off, off offset:624
	v_mul_f64 v[18:19], v[18:19], v[22:23]
	v_fma_f64 v[16:17], v[16:17], v[20:21], -v[18:19]
	v_add_f64 v[16:17], v[16:17], 0
	s_waitcnt vmcnt(0) lgkmcnt(2)
	v_mul_f64 v[30:31], v[12:13], v[26:27]
	v_fmac_f64_e32 v[30:31], v[14:15], v[24:25]
	v_add_f64 v[32:33], v[28:29], v[30:31]
	scratch_load_dwordx4 v[28:31], off, off offset:640
	v_mul_f64 v[14:15], v[14:15], v[26:27]
	v_fma_f64 v[12:13], v[12:13], v[24:25], -v[14:15]
	v_add_f64 v[12:13], v[16:17], v[12:13]
	s_waitcnt vmcnt(0) lgkmcnt(1)
	v_mul_f64 v[34:35], v[8:9], v[30:31]
	v_fmac_f64_e32 v[34:35], v[10:11], v[28:29]
	v_add_f64 v[36:37], v[32:33], v[34:35]
	scratch_load_dwordx4 v[32:35], off, off offset:656
	v_mul_f64 v[10:11], v[10:11], v[30:31]
	v_fma_f64 v[8:9], v[8:9], v[28:29], -v[10:11]
	v_add_f64 v[8:9], v[12:13], v[8:9]
	s_waitcnt vmcnt(0) lgkmcnt(0)
	v_mul_f64 v[38:39], v[4:5], v[34:35]
	v_fmac_f64_e32 v[38:39], v[6:7], v[32:33]
	v_add_f64 v[44:45], v[36:37], v[38:39]
	ds_read_b128 v[36:39], v2 offset:1520
	v_mul_f64 v[6:7], v[6:7], v[34:35]
	v_fma_f64 v[4:5], v[4:5], v[32:33], -v[6:7]
	v_add_f64 v[4:5], v[8:9], v[4:5]
	s_waitcnt lgkmcnt(0)
	v_mul_f64 v[46:47], v[36:37], v[42:43]
	v_fmac_f64_e32 v[46:47], v[38:39], v[40:41]
	v_add_f64 v[52:53], v[44:45], v[46:47]
	ds_read_b128 v[44:47], v2 offset:1536
	v_mul_f64 v[6:7], v[38:39], v[42:43]
	v_fma_f64 v[6:7], v[36:37], v[40:41], -v[6:7]
	v_add_f64 v[4:5], v[4:5], v[6:7]
	s_waitcnt lgkmcnt(0)
	;; [unrolled: 8-line block ×13, first 2 shown]
	v_mul_f64 v[6:7], v[136:137], v[140:141]
	v_fma_f64 v[6:7], v[134:135], v[138:139], -v[6:7]
	v_add_f64 v[8:9], v[4:5], v[6:7]
	scratch_load_dwordx4 v[4:7], off, off offset:592
	v_mul_f64 v[142:143], v[134:135], v[140:141]
	v_fmac_f64_e32 v[142:143], v[136:137], v[138:139]
	v_add_f64 v[72:73], v[72:73], v[142:143]
	s_waitcnt vmcnt(0)
	v_add_f64 v[4:5], v[4:5], -v[8:9]
	v_add_f64 v[6:7], v[6:7], -v[72:73]
	scratch_store_dwordx4 off, v[4:7], off offset:592
	s_and_saveexec_b64 s[0:1], vcc
	s_cbranch_execz .LBB117_267
; %bb.266:
	scratch_load_dwordx4 v[6:9], off, s35
	v_mov_b32_e32 v3, v2
	v_mov_b32_e32 v4, v2
	v_mov_b32_e32 v5, v2
	v_accvgpr_read_b32 v0, a109
	scratch_store_dwordx4 off, v[2:5], off offset:576
	s_waitcnt vmcnt(1)
	ds_write_b128 v0, v[6:9]
.LBB117_267:
	s_or_b64 exec, exec, s[0:1]
	s_waitcnt lgkmcnt(0)
	; wave barrier
	ds_read_b128 v[16:19], v2 offset:1440
	ds_read_b128 v[12:15], v2 offset:1456
	;; [unrolled: 1-line block ×4, first 2 shown]
	scratch_load_dwordx4 v[20:23], off, off offset:592
	scratch_load_dwordx4 v[40:43], off, off offset:656
	;; [unrolled: 1-line block ×12, first 2 shown]
	v_cmp_lt_u32_e32 vcc, 34, v240
	scratch_load_dwordx4 v[48:51], off, off offset:672
	scratch_load_dwordx4 v[56:59], off, off offset:688
	;; [unrolled: 1-line block ×3, first 2 shown]
	s_waitcnt vmcnt(14) lgkmcnt(3)
	v_mul_f64 v[24:25], v[16:17], v[22:23]
	v_fmac_f64_e32 v[24:25], v[18:19], v[20:21]
	v_add_f64 v[28:29], v[24:25], 0
	scratch_load_dwordx4 v[24:27], off, off offset:608
	s_waitcnt vmcnt(0) lgkmcnt(2)
	v_mul_f64 v[30:31], v[12:13], v[26:27]
	v_fmac_f64_e32 v[30:31], v[14:15], v[24:25]
	v_add_f64 v[32:33], v[28:29], v[30:31]
	scratch_load_dwordx4 v[28:31], off, off offset:624
	v_mul_f64 v[14:15], v[14:15], v[26:27]
	v_fma_f64 v[12:13], v[12:13], v[24:25], -v[14:15]
	s_waitcnt vmcnt(0) lgkmcnt(1)
	v_mul_f64 v[34:35], v[8:9], v[30:31]
	v_fmac_f64_e32 v[34:35], v[10:11], v[28:29]
	v_add_f64 v[36:37], v[32:33], v[34:35]
	scratch_load_dwordx4 v[32:35], off, off offset:640
	v_mul_f64 v[10:11], v[10:11], v[30:31]
	v_fma_f64 v[8:9], v[8:9], v[28:29], -v[10:11]
	s_waitcnt vmcnt(0) lgkmcnt(0)
	v_mul_f64 v[38:39], v[4:5], v[34:35]
	v_fmac_f64_e32 v[38:39], v[6:7], v[32:33]
	v_add_f64 v[44:45], v[36:37], v[38:39]
	ds_read_b128 v[36:39], v2 offset:1504
	v_mul_f64 v[6:7], v[6:7], v[34:35]
	v_fma_f64 v[4:5], v[4:5], v[32:33], -v[6:7]
	s_waitcnt lgkmcnt(0)
	v_mul_f64 v[46:47], v[36:37], v[42:43]
	v_fmac_f64_e32 v[46:47], v[38:39], v[40:41]
	v_add_f64 v[52:53], v[44:45], v[46:47]
	ds_read_b128 v[44:47], v2 offset:1520
	s_waitcnt lgkmcnt(0)
	v_mul_f64 v[54:55], v[44:45], v[50:51]
	v_fmac_f64_e32 v[54:55], v[46:47], v[48:49]
	v_add_f64 v[60:61], v[52:53], v[54:55]
	ds_read_b128 v[52:55], v2 offset:1536
	s_waitcnt lgkmcnt(0)
	v_mul_f64 v[62:63], v[52:53], v[58:59]
	v_fmac_f64_e32 v[62:63], v[54:55], v[56:57]
	v_add_f64 v[68:69], v[60:61], v[62:63]
	ds_read_b128 v[60:63], v2 offset:1552
	s_waitcnt lgkmcnt(0)
	v_mul_f64 v[70:71], v[60:61], v[66:67]
	v_fmac_f64_e32 v[70:71], v[62:63], v[64:65]
	v_add_f64 v[76:77], v[68:69], v[70:71]
	ds_read_b128 v[68:71], v2 offset:1568
	s_waitcnt lgkmcnt(0)
	v_mul_f64 v[78:79], v[68:69], v[74:75]
	v_fmac_f64_e32 v[78:79], v[70:71], v[72:73]
	v_add_f64 v[80:81], v[76:77], v[78:79]
	ds_read_b128 v[76:79], v2 offset:1584
	s_waitcnt lgkmcnt(0)
	v_mul_f64 v[86:87], v[76:77], v[84:85]
	v_fmac_f64_e32 v[86:87], v[78:79], v[82:83]
	v_add_f64 v[80:81], v[80:81], v[86:87]
	ds_read_b128 v[86:89], v2 offset:1600
	s_waitcnt lgkmcnt(0)
	v_mul_f64 v[94:95], v[86:87], v[92:93]
	v_fmac_f64_e32 v[94:95], v[88:89], v[90:91]
	v_add_f64 v[80:81], v[80:81], v[94:95]
	ds_read_b128 v[94:97], v2 offset:1616
	s_waitcnt lgkmcnt(0)
	v_mul_f64 v[102:103], v[94:95], v[100:101]
	v_fmac_f64_e32 v[102:103], v[96:97], v[98:99]
	v_add_f64 v[80:81], v[80:81], v[102:103]
	ds_read_b128 v[102:105], v2 offset:1632
	s_waitcnt lgkmcnt(0)
	v_mul_f64 v[110:111], v[102:103], v[108:109]
	v_fmac_f64_e32 v[110:111], v[104:105], v[106:107]
	v_add_f64 v[80:81], v[80:81], v[110:111]
	ds_read_b128 v[110:113], v2 offset:1648
	s_waitcnt lgkmcnt(0)
	v_mul_f64 v[118:119], v[110:111], v[116:117]
	v_fmac_f64_e32 v[118:119], v[112:113], v[114:115]
	v_add_f64 v[80:81], v[80:81], v[118:119]
	ds_read_b128 v[118:121], v2 offset:1664
	s_waitcnt lgkmcnt(0)
	v_mul_f64 v[126:127], v[118:119], v[124:125]
	v_fmac_f64_e32 v[126:127], v[120:121], v[122:123]
	v_add_f64 v[80:81], v[80:81], v[126:127]
	ds_read_b128 v[126:129], v2 offset:1680
	s_waitcnt lgkmcnt(0)
	v_mul_f64 v[134:135], v[126:127], v[132:133]
	v_fmac_f64_e32 v[134:135], v[128:129], v[130:131]
	v_add_f64 v[80:81], v[80:81], v[134:135]
	ds_read_b128 v[134:137], v2 offset:1696
	s_waitcnt lgkmcnt(0)
	v_mul_f64 v[142:143], v[134:135], v[140:141]
	v_fmac_f64_e32 v[142:143], v[136:137], v[138:139]
	v_add_f64 v[80:81], v[80:81], v[142:143]
	ds_read_b128 v[142:145], v2 offset:1712
	s_waitcnt lgkmcnt(0)
	v_mul_f64 v[2:3], v[142:143], v[148:149]
	v_fmac_f64_e32 v[2:3], v[144:145], v[146:147]
	v_add_f64 v[80:81], v[80:81], v[2:3]
	v_mul_f64 v[2:3], v[18:19], v[22:23]
	v_fma_f64 v[2:3], v[16:17], v[20:21], -v[2:3]
	v_add_f64 v[2:3], v[2:3], 0
	v_add_f64 v[2:3], v[2:3], v[12:13]
	;; [unrolled: 1-line block ×4, first 2 shown]
	v_mul_f64 v[4:5], v[38:39], v[42:43]
	v_fma_f64 v[4:5], v[36:37], v[40:41], -v[4:5]
	v_add_f64 v[2:3], v[2:3], v[4:5]
	v_mul_f64 v[4:5], v[46:47], v[50:51]
	v_fma_f64 v[4:5], v[44:45], v[48:49], -v[4:5]
	v_add_f64 v[2:3], v[2:3], v[4:5]
	;; [unrolled: 3-line block ×14, first 2 shown]
	scratch_load_dwordx4 v[2:5], off, off offset:576
	s_waitcnt vmcnt(0)
	v_add_f64 v[2:3], v[2:3], -v[6:7]
	v_add_f64 v[4:5], v[4:5], -v[80:81]
	scratch_store_dwordx4 off, v[2:5], off offset:576
	s_and_saveexec_b64 s[0:1], vcc
	s_cbranch_execz .LBB117_269
; %bb.268:
	scratch_load_dwordx4 v[2:5], off, s36
	v_mov_b32_e32 v6, 0
	v_mov_b32_e32 v7, v6
	;; [unrolled: 1-line block ×4, first 2 shown]
	v_accvgpr_read_b32 v0, a109
	scratch_store_dwordx4 off, v[6:9], off offset:560
	s_waitcnt vmcnt(1)
	ds_write_b128 v0, v[2:5]
.LBB117_269:
	s_or_b64 exec, exec, s[0:1]
	v_mov_b32_e32 v2, 0
	s_waitcnt lgkmcnt(0)
	; wave barrier
	ds_read_b128 v[16:19], v2 offset:1424
	ds_read_b128 v[12:15], v2 offset:1440
	;; [unrolled: 1-line block ×4, first 2 shown]
	scratch_load_dwordx4 v[20:23], off, off offset:576
	scratch_load_dwordx4 v[40:43], off, off offset:640
	;; [unrolled: 1-line block ×13, first 2 shown]
	v_cmp_lt_u32_e32 vcc, 33, v240
	scratch_load_dwordx4 v[48:51], off, off offset:656
	scratch_load_dwordx4 v[56:59], off, off offset:672
	;; [unrolled: 1-line block ×3, first 2 shown]
	s_waitcnt vmcnt(15) lgkmcnt(3)
	v_mul_f64 v[24:25], v[16:17], v[22:23]
	v_fmac_f64_e32 v[24:25], v[18:19], v[20:21]
	v_add_f64 v[28:29], v[24:25], 0
	scratch_load_dwordx4 v[24:27], off, off offset:592
	v_mul_f64 v[18:19], v[18:19], v[22:23]
	v_fma_f64 v[16:17], v[16:17], v[20:21], -v[18:19]
	v_add_f64 v[16:17], v[16:17], 0
	s_waitcnt vmcnt(0) lgkmcnt(2)
	v_mul_f64 v[30:31], v[12:13], v[26:27]
	v_fmac_f64_e32 v[30:31], v[14:15], v[24:25]
	v_add_f64 v[32:33], v[28:29], v[30:31]
	scratch_load_dwordx4 v[28:31], off, off offset:608
	v_mul_f64 v[14:15], v[14:15], v[26:27]
	v_fma_f64 v[12:13], v[12:13], v[24:25], -v[14:15]
	v_add_f64 v[12:13], v[16:17], v[12:13]
	;; [unrolled: 8-line block ×3, first 2 shown]
	s_waitcnt vmcnt(0) lgkmcnt(0)
	v_mul_f64 v[38:39], v[4:5], v[34:35]
	v_fmac_f64_e32 v[38:39], v[6:7], v[32:33]
	v_add_f64 v[44:45], v[36:37], v[38:39]
	ds_read_b128 v[36:39], v2 offset:1488
	v_mul_f64 v[6:7], v[6:7], v[34:35]
	v_fma_f64 v[4:5], v[4:5], v[32:33], -v[6:7]
	v_add_f64 v[4:5], v[8:9], v[4:5]
	s_waitcnt lgkmcnt(0)
	v_mul_f64 v[46:47], v[36:37], v[42:43]
	v_fmac_f64_e32 v[46:47], v[38:39], v[40:41]
	v_add_f64 v[52:53], v[44:45], v[46:47]
	ds_read_b128 v[44:47], v2 offset:1504
	v_mul_f64 v[6:7], v[38:39], v[42:43]
	v_fma_f64 v[6:7], v[36:37], v[40:41], -v[6:7]
	v_add_f64 v[4:5], v[4:5], v[6:7]
	s_waitcnt lgkmcnt(0)
	;; [unrolled: 8-line block ×15, first 2 shown]
	v_mul_f64 v[6:7], v[152:153], v[156:157]
	v_fma_f64 v[6:7], v[150:151], v[154:155], -v[6:7]
	v_add_f64 v[8:9], v[4:5], v[6:7]
	scratch_load_dwordx4 v[4:7], off, off offset:560
	v_mul_f64 v[158:159], v[150:151], v[156:157]
	v_fmac_f64_e32 v[158:159], v[152:153], v[154:155]
	v_add_f64 v[88:89], v[88:89], v[158:159]
	s_waitcnt vmcnt(0)
	v_add_f64 v[4:5], v[4:5], -v[8:9]
	v_add_f64 v[6:7], v[6:7], -v[88:89]
	scratch_store_dwordx4 off, v[4:7], off offset:560
	s_and_saveexec_b64 s[0:1], vcc
	s_cbranch_execz .LBB117_271
; %bb.270:
	scratch_load_dwordx4 v[6:9], off, s37
	v_mov_b32_e32 v3, v2
	v_mov_b32_e32 v4, v2
	;; [unrolled: 1-line block ×3, first 2 shown]
	v_accvgpr_read_b32 v0, a109
	scratch_store_dwordx4 off, v[2:5], off offset:544
	s_waitcnt vmcnt(1)
	ds_write_b128 v0, v[6:9]
.LBB117_271:
	s_or_b64 exec, exec, s[0:1]
	s_waitcnt lgkmcnt(0)
	; wave barrier
	ds_read_b128 v[16:19], v2 offset:1408
	ds_read_b128 v[12:15], v2 offset:1424
	;; [unrolled: 1-line block ×4, first 2 shown]
	scratch_load_dwordx4 v[20:23], off, off offset:560
	scratch_load_dwordx4 v[40:43], off, off offset:624
	;; [unrolled: 1-line block ×14, first 2 shown]
	v_cmp_lt_u32_e32 vcc, 32, v240
	scratch_load_dwordx4 v[48:51], off, off offset:640
	scratch_load_dwordx4 v[56:59], off, off offset:656
	;; [unrolled: 1-line block ×3, first 2 shown]
	s_waitcnt vmcnt(16) lgkmcnt(3)
	v_mul_f64 v[24:25], v[16:17], v[22:23]
	v_fmac_f64_e32 v[24:25], v[18:19], v[20:21]
	v_add_f64 v[28:29], v[24:25], 0
	scratch_load_dwordx4 v[24:27], off, off offset:576
	s_waitcnt vmcnt(0) lgkmcnt(2)
	v_mul_f64 v[30:31], v[12:13], v[26:27]
	v_fmac_f64_e32 v[30:31], v[14:15], v[24:25]
	v_add_f64 v[32:33], v[28:29], v[30:31]
	scratch_load_dwordx4 v[28:31], off, off offset:592
	v_mul_f64 v[14:15], v[14:15], v[26:27]
	v_fma_f64 v[12:13], v[12:13], v[24:25], -v[14:15]
	s_waitcnt vmcnt(0) lgkmcnt(1)
	v_mul_f64 v[34:35], v[8:9], v[30:31]
	v_fmac_f64_e32 v[34:35], v[10:11], v[28:29]
	v_add_f64 v[36:37], v[32:33], v[34:35]
	scratch_load_dwordx4 v[32:35], off, off offset:608
	v_mul_f64 v[10:11], v[10:11], v[30:31]
	v_fma_f64 v[8:9], v[8:9], v[28:29], -v[10:11]
	s_waitcnt vmcnt(0) lgkmcnt(0)
	v_mul_f64 v[38:39], v[4:5], v[34:35]
	v_fmac_f64_e32 v[38:39], v[6:7], v[32:33]
	v_add_f64 v[44:45], v[36:37], v[38:39]
	ds_read_b128 v[36:39], v2 offset:1472
	v_mul_f64 v[6:7], v[6:7], v[34:35]
	v_fma_f64 v[4:5], v[4:5], v[32:33], -v[6:7]
	s_waitcnt lgkmcnt(0)
	v_mul_f64 v[46:47], v[36:37], v[42:43]
	v_fmac_f64_e32 v[46:47], v[38:39], v[40:41]
	v_add_f64 v[52:53], v[44:45], v[46:47]
	ds_read_b128 v[44:47], v2 offset:1488
	s_waitcnt lgkmcnt(0)
	v_mul_f64 v[54:55], v[44:45], v[50:51]
	v_fmac_f64_e32 v[54:55], v[46:47], v[48:49]
	v_add_f64 v[60:61], v[52:53], v[54:55]
	ds_read_b128 v[52:55], v2 offset:1504
	s_waitcnt lgkmcnt(0)
	v_mul_f64 v[62:63], v[52:53], v[58:59]
	v_fmac_f64_e32 v[62:63], v[54:55], v[56:57]
	v_add_f64 v[68:69], v[60:61], v[62:63]
	ds_read_b128 v[60:63], v2 offset:1520
	s_waitcnt lgkmcnt(0)
	v_mul_f64 v[70:71], v[60:61], v[66:67]
	v_fmac_f64_e32 v[70:71], v[62:63], v[64:65]
	v_add_f64 v[76:77], v[68:69], v[70:71]
	ds_read_b128 v[68:71], v2 offset:1536
	s_waitcnt lgkmcnt(0)
	v_mul_f64 v[78:79], v[68:69], v[74:75]
	v_fmac_f64_e32 v[78:79], v[70:71], v[72:73]
	v_add_f64 v[84:85], v[76:77], v[78:79]
	ds_read_b128 v[76:79], v2 offset:1552
	s_waitcnt lgkmcnt(0)
	v_mul_f64 v[86:87], v[76:77], v[82:83]
	v_fmac_f64_e32 v[86:87], v[78:79], v[80:81]
	v_add_f64 v[92:93], v[84:85], v[86:87]
	ds_read_b128 v[84:87], v2 offset:1568
	s_waitcnt lgkmcnt(0)
	v_mul_f64 v[94:95], v[84:85], v[90:91]
	v_fmac_f64_e32 v[94:95], v[86:87], v[88:89]
	v_add_f64 v[96:97], v[92:93], v[94:95]
	ds_read_b128 v[92:95], v2 offset:1584
	s_waitcnt lgkmcnt(0)
	v_mul_f64 v[102:103], v[92:93], v[100:101]
	v_fmac_f64_e32 v[102:103], v[94:95], v[98:99]
	v_add_f64 v[96:97], v[96:97], v[102:103]
	ds_read_b128 v[102:105], v2 offset:1600
	s_waitcnt lgkmcnt(0)
	v_mul_f64 v[110:111], v[102:103], v[108:109]
	v_fmac_f64_e32 v[110:111], v[104:105], v[106:107]
	v_add_f64 v[96:97], v[96:97], v[110:111]
	ds_read_b128 v[110:113], v2 offset:1616
	s_waitcnt lgkmcnt(0)
	v_mul_f64 v[118:119], v[110:111], v[116:117]
	v_fmac_f64_e32 v[118:119], v[112:113], v[114:115]
	v_add_f64 v[96:97], v[96:97], v[118:119]
	ds_read_b128 v[118:121], v2 offset:1632
	s_waitcnt lgkmcnt(0)
	v_mul_f64 v[126:127], v[118:119], v[124:125]
	v_fmac_f64_e32 v[126:127], v[120:121], v[122:123]
	v_add_f64 v[96:97], v[96:97], v[126:127]
	ds_read_b128 v[126:129], v2 offset:1648
	s_waitcnt lgkmcnt(0)
	v_mul_f64 v[134:135], v[126:127], v[132:133]
	v_fmac_f64_e32 v[134:135], v[128:129], v[130:131]
	v_add_f64 v[96:97], v[96:97], v[134:135]
	ds_read_b128 v[134:137], v2 offset:1664
	s_waitcnt lgkmcnt(0)
	v_mul_f64 v[142:143], v[134:135], v[140:141]
	v_fmac_f64_e32 v[142:143], v[136:137], v[138:139]
	v_add_f64 v[96:97], v[96:97], v[142:143]
	ds_read_b128 v[142:145], v2 offset:1680
	s_waitcnt lgkmcnt(0)
	v_mul_f64 v[150:151], v[142:143], v[148:149]
	v_fmac_f64_e32 v[150:151], v[144:145], v[146:147]
	v_add_f64 v[96:97], v[96:97], v[150:151]
	ds_read_b128 v[150:153], v2 offset:1696
	s_waitcnt lgkmcnt(0)
	v_mul_f64 v[158:159], v[150:151], v[156:157]
	v_fmac_f64_e32 v[158:159], v[152:153], v[154:155]
	v_add_f64 v[96:97], v[96:97], v[158:159]
	ds_read_b128 v[158:161], v2 offset:1712
	s_waitcnt lgkmcnt(0)
	v_mul_f64 v[2:3], v[158:159], v[164:165]
	v_fmac_f64_e32 v[2:3], v[160:161], v[162:163]
	v_add_f64 v[96:97], v[96:97], v[2:3]
	v_mul_f64 v[2:3], v[18:19], v[22:23]
	v_fma_f64 v[2:3], v[16:17], v[20:21], -v[2:3]
	v_add_f64 v[2:3], v[2:3], 0
	v_add_f64 v[2:3], v[2:3], v[12:13]
	;; [unrolled: 1-line block ×4, first 2 shown]
	v_mul_f64 v[4:5], v[38:39], v[42:43]
	v_fma_f64 v[4:5], v[36:37], v[40:41], -v[4:5]
	v_add_f64 v[2:3], v[2:3], v[4:5]
	v_mul_f64 v[4:5], v[46:47], v[50:51]
	v_fma_f64 v[4:5], v[44:45], v[48:49], -v[4:5]
	v_add_f64 v[2:3], v[2:3], v[4:5]
	;; [unrolled: 3-line block ×16, first 2 shown]
	scratch_load_dwordx4 v[2:5], off, off offset:544
	s_waitcnt vmcnt(0)
	v_add_f64 v[2:3], v[2:3], -v[6:7]
	v_add_f64 v[4:5], v[4:5], -v[96:97]
	scratch_store_dwordx4 off, v[2:5], off offset:544
	s_and_saveexec_b64 s[0:1], vcc
	s_cbranch_execz .LBB117_273
; %bb.272:
	scratch_load_dwordx4 v[2:5], off, s38
	v_mov_b32_e32 v6, 0
	v_mov_b32_e32 v7, v6
	;; [unrolled: 1-line block ×4, first 2 shown]
	v_accvgpr_read_b32 v0, a109
	scratch_store_dwordx4 off, v[6:9], off offset:528
	s_waitcnt vmcnt(1)
	ds_write_b128 v0, v[2:5]
.LBB117_273:
	s_or_b64 exec, exec, s[0:1]
	v_mov_b32_e32 v2, 0
	s_waitcnt lgkmcnt(0)
	; wave barrier
	ds_read_b128 v[16:19], v2 offset:1392
	ds_read_b128 v[12:15], v2 offset:1408
	;; [unrolled: 1-line block ×4, first 2 shown]
	scratch_load_dwordx4 v[20:23], off, off offset:544
	scratch_load_dwordx4 v[40:43], off, off offset:608
	;; [unrolled: 1-line block ×15, first 2 shown]
	v_cmp_lt_u32_e32 vcc, 31, v240
	scratch_load_dwordx4 v[48:51], off, off offset:624
	scratch_load_dwordx4 v[56:59], off, off offset:640
	;; [unrolled: 1-line block ×3, first 2 shown]
	s_waitcnt vmcnt(17) lgkmcnt(3)
	v_mul_f64 v[24:25], v[16:17], v[22:23]
	v_fmac_f64_e32 v[24:25], v[18:19], v[20:21]
	v_add_f64 v[28:29], v[24:25], 0
	scratch_load_dwordx4 v[24:27], off, off offset:560
	v_mul_f64 v[18:19], v[18:19], v[22:23]
	v_fma_f64 v[16:17], v[16:17], v[20:21], -v[18:19]
	v_add_f64 v[16:17], v[16:17], 0
	s_waitcnt vmcnt(0) lgkmcnt(2)
	v_mul_f64 v[30:31], v[12:13], v[26:27]
	v_fmac_f64_e32 v[30:31], v[14:15], v[24:25]
	v_add_f64 v[32:33], v[28:29], v[30:31]
	scratch_load_dwordx4 v[28:31], off, off offset:576
	v_mul_f64 v[14:15], v[14:15], v[26:27]
	v_fma_f64 v[12:13], v[12:13], v[24:25], -v[14:15]
	v_add_f64 v[12:13], v[16:17], v[12:13]
	;; [unrolled: 8-line block ×3, first 2 shown]
	s_waitcnt vmcnt(0) lgkmcnt(0)
	v_mul_f64 v[38:39], v[4:5], v[34:35]
	v_fmac_f64_e32 v[38:39], v[6:7], v[32:33]
	v_add_f64 v[44:45], v[36:37], v[38:39]
	ds_read_b128 v[36:39], v2 offset:1456
	v_mul_f64 v[6:7], v[6:7], v[34:35]
	v_fma_f64 v[4:5], v[4:5], v[32:33], -v[6:7]
	v_add_f64 v[4:5], v[8:9], v[4:5]
	s_waitcnt lgkmcnt(0)
	v_mul_f64 v[46:47], v[36:37], v[42:43]
	v_fmac_f64_e32 v[46:47], v[38:39], v[40:41]
	v_add_f64 v[52:53], v[44:45], v[46:47]
	ds_read_b128 v[44:47], v2 offset:1472
	v_mul_f64 v[6:7], v[38:39], v[42:43]
	v_fma_f64 v[6:7], v[36:37], v[40:41], -v[6:7]
	v_add_f64 v[4:5], v[4:5], v[6:7]
	s_waitcnt lgkmcnt(0)
	;; [unrolled: 8-line block ×17, first 2 shown]
	v_mul_f64 v[6:7], v[168:169], v[172:173]
	v_fma_f64 v[6:7], v[166:167], v[170:171], -v[6:7]
	v_add_f64 v[8:9], v[4:5], v[6:7]
	scratch_load_dwordx4 v[4:7], off, off offset:528
	v_mul_f64 v[174:175], v[166:167], v[172:173]
	v_fmac_f64_e32 v[174:175], v[168:169], v[170:171]
	v_add_f64 v[104:105], v[104:105], v[174:175]
	s_waitcnt vmcnt(0)
	v_add_f64 v[4:5], v[4:5], -v[8:9]
	v_add_f64 v[6:7], v[6:7], -v[104:105]
	scratch_store_dwordx4 off, v[4:7], off offset:528
	s_and_saveexec_b64 s[0:1], vcc
	s_cbranch_execz .LBB117_275
; %bb.274:
	scratch_load_dwordx4 v[6:9], off, s39
	v_mov_b32_e32 v3, v2
	v_mov_b32_e32 v4, v2
	;; [unrolled: 1-line block ×3, first 2 shown]
	v_accvgpr_read_b32 v0, a109
	scratch_store_dwordx4 off, v[2:5], off offset:512
	s_waitcnt vmcnt(1)
	ds_write_b128 v0, v[6:9]
.LBB117_275:
	s_or_b64 exec, exec, s[0:1]
	s_waitcnt lgkmcnt(0)
	; wave barrier
	ds_read_b128 v[16:19], v2 offset:1376
	ds_read_b128 v[12:15], v2 offset:1392
	ds_read_b128 v[8:11], v2 offset:1408
	ds_read_b128 v[4:7], v2 offset:1424
	scratch_load_dwordx4 v[20:23], off, off offset:528
	scratch_load_dwordx4 v[40:43], off, off offset:592
	;; [unrolled: 1-line block ×16, first 2 shown]
	v_cmp_lt_u32_e32 vcc, 30, v240
	scratch_load_dwordx4 v[48:51], off, off offset:608
	scratch_load_dwordx4 v[56:59], off, off offset:624
	;; [unrolled: 1-line block ×3, first 2 shown]
	s_waitcnt vmcnt(18) lgkmcnt(3)
	v_mul_f64 v[24:25], v[16:17], v[22:23]
	v_fmac_f64_e32 v[24:25], v[18:19], v[20:21]
	v_add_f64 v[28:29], v[24:25], 0
	scratch_load_dwordx4 v[24:27], off, off offset:544
	s_waitcnt vmcnt(0) lgkmcnt(2)
	v_mul_f64 v[30:31], v[12:13], v[26:27]
	v_fmac_f64_e32 v[30:31], v[14:15], v[24:25]
	v_add_f64 v[32:33], v[28:29], v[30:31]
	scratch_load_dwordx4 v[28:31], off, off offset:560
	v_mul_f64 v[14:15], v[14:15], v[26:27]
	v_fma_f64 v[12:13], v[12:13], v[24:25], -v[14:15]
	s_waitcnt vmcnt(0) lgkmcnt(1)
	v_mul_f64 v[34:35], v[8:9], v[30:31]
	v_fmac_f64_e32 v[34:35], v[10:11], v[28:29]
	v_add_f64 v[36:37], v[32:33], v[34:35]
	scratch_load_dwordx4 v[32:35], off, off offset:576
	v_mul_f64 v[10:11], v[10:11], v[30:31]
	v_fma_f64 v[8:9], v[8:9], v[28:29], -v[10:11]
	s_waitcnt vmcnt(0) lgkmcnt(0)
	v_mul_f64 v[38:39], v[4:5], v[34:35]
	v_fmac_f64_e32 v[38:39], v[6:7], v[32:33]
	v_add_f64 v[44:45], v[36:37], v[38:39]
	ds_read_b128 v[36:39], v2 offset:1440
	v_mul_f64 v[6:7], v[6:7], v[34:35]
	v_fma_f64 v[4:5], v[4:5], v[32:33], -v[6:7]
	s_waitcnt lgkmcnt(0)
	v_mul_f64 v[46:47], v[36:37], v[42:43]
	v_fmac_f64_e32 v[46:47], v[38:39], v[40:41]
	v_add_f64 v[52:53], v[44:45], v[46:47]
	ds_read_b128 v[44:47], v2 offset:1456
	s_waitcnt lgkmcnt(0)
	v_mul_f64 v[54:55], v[44:45], v[50:51]
	v_fmac_f64_e32 v[54:55], v[46:47], v[48:49]
	v_add_f64 v[60:61], v[52:53], v[54:55]
	ds_read_b128 v[52:55], v2 offset:1472
	;; [unrolled: 5-line block ×17, first 2 shown]
	s_waitcnt lgkmcnt(0)
	v_mul_f64 v[2:3], v[174:175], v[180:181]
	v_fmac_f64_e32 v[2:3], v[176:177], v[178:179]
	v_add_f64 v[120:121], v[120:121], v[2:3]
	v_mul_f64 v[2:3], v[18:19], v[22:23]
	v_fma_f64 v[2:3], v[16:17], v[20:21], -v[2:3]
	v_add_f64 v[2:3], v[2:3], 0
	v_add_f64 v[2:3], v[2:3], v[12:13]
	;; [unrolled: 1-line block ×4, first 2 shown]
	v_mul_f64 v[4:5], v[38:39], v[42:43]
	v_fma_f64 v[4:5], v[36:37], v[40:41], -v[4:5]
	v_add_f64 v[2:3], v[2:3], v[4:5]
	v_mul_f64 v[4:5], v[46:47], v[50:51]
	v_fma_f64 v[4:5], v[44:45], v[48:49], -v[4:5]
	v_add_f64 v[2:3], v[2:3], v[4:5]
	;; [unrolled: 3-line block ×18, first 2 shown]
	scratch_load_dwordx4 v[2:5], off, off offset:512
	s_waitcnt vmcnt(0)
	v_add_f64 v[2:3], v[2:3], -v[6:7]
	v_add_f64 v[4:5], v[4:5], -v[120:121]
	scratch_store_dwordx4 off, v[2:5], off offset:512
	s_and_saveexec_b64 s[0:1], vcc
	s_cbranch_execz .LBB117_277
; %bb.276:
	scratch_load_dwordx4 v[2:5], off, s40
	v_mov_b32_e32 v6, 0
	v_mov_b32_e32 v7, v6
	;; [unrolled: 1-line block ×4, first 2 shown]
	v_accvgpr_read_b32 v0, a109
	scratch_store_dwordx4 off, v[6:9], off offset:496
	s_waitcnt vmcnt(1)
	ds_write_b128 v0, v[2:5]
.LBB117_277:
	s_or_b64 exec, exec, s[0:1]
	v_mov_b32_e32 v2, 0
	s_waitcnt lgkmcnt(0)
	; wave barrier
	ds_read_b128 v[16:19], v2 offset:1360
	ds_read_b128 v[12:15], v2 offset:1376
	;; [unrolled: 1-line block ×4, first 2 shown]
	scratch_load_dwordx4 v[20:23], off, off offset:512
	scratch_load_dwordx4 v[40:43], off, off offset:576
	scratch_load_dwordx4 v[72:75], off, off offset:640
	scratch_load_dwordx4 v[80:83], off, off offset:656
	scratch_load_dwordx4 v[88:91], off, off offset:672
	scratch_load_dwordx4 v[96:99], off, off offset:688
	scratch_load_dwordx4 v[104:107], off, off offset:704
	scratch_load_dwordx4 v[112:115], off, off offset:720
	scratch_load_dwordx4 v[120:123], off, off offset:736
	scratch_load_dwordx4 v[130:133], off, off offset:752
	scratch_load_dwordx4 v[138:141], off, off offset:768
	scratch_load_dwordx4 v[146:149], off, off offset:784
	scratch_load_dwordx4 v[154:157], off, off offset:800
	scratch_load_dwordx4 v[162:165], off, off offset:816
	scratch_load_dwordx4 v[170:173], off, off offset:832
	scratch_load_dwordx4 v[178:181], off, off offset:848
	scratch_load_dwordx4 v[186:189], off, off offset:864
	v_cmp_lt_u32_e32 vcc, 29, v240
	scratch_load_dwordx4 v[48:51], off, off offset:592
	scratch_load_dwordx4 v[56:59], off, off offset:608
	;; [unrolled: 1-line block ×3, first 2 shown]
	s_waitcnt vmcnt(19) lgkmcnt(3)
	v_mul_f64 v[24:25], v[16:17], v[22:23]
	v_fmac_f64_e32 v[24:25], v[18:19], v[20:21]
	v_add_f64 v[28:29], v[24:25], 0
	scratch_load_dwordx4 v[24:27], off, off offset:528
	v_mul_f64 v[18:19], v[18:19], v[22:23]
	v_fma_f64 v[16:17], v[16:17], v[20:21], -v[18:19]
	v_add_f64 v[16:17], v[16:17], 0
	s_waitcnt vmcnt(0) lgkmcnt(2)
	v_mul_f64 v[30:31], v[12:13], v[26:27]
	v_fmac_f64_e32 v[30:31], v[14:15], v[24:25]
	v_add_f64 v[32:33], v[28:29], v[30:31]
	scratch_load_dwordx4 v[28:31], off, off offset:544
	v_mul_f64 v[14:15], v[14:15], v[26:27]
	v_fma_f64 v[12:13], v[12:13], v[24:25], -v[14:15]
	v_add_f64 v[12:13], v[16:17], v[12:13]
	;; [unrolled: 8-line block ×3, first 2 shown]
	s_waitcnt vmcnt(0) lgkmcnt(0)
	v_mul_f64 v[38:39], v[4:5], v[34:35]
	v_fmac_f64_e32 v[38:39], v[6:7], v[32:33]
	v_add_f64 v[44:45], v[36:37], v[38:39]
	ds_read_b128 v[36:39], v2 offset:1424
	v_mul_f64 v[6:7], v[6:7], v[34:35]
	v_fma_f64 v[4:5], v[4:5], v[32:33], -v[6:7]
	v_add_f64 v[4:5], v[8:9], v[4:5]
	s_waitcnt lgkmcnt(0)
	v_mul_f64 v[46:47], v[36:37], v[42:43]
	v_fmac_f64_e32 v[46:47], v[38:39], v[40:41]
	v_add_f64 v[52:53], v[44:45], v[46:47]
	ds_read_b128 v[44:47], v2 offset:1440
	v_mul_f64 v[6:7], v[38:39], v[42:43]
	v_fma_f64 v[6:7], v[36:37], v[40:41], -v[6:7]
	v_add_f64 v[4:5], v[4:5], v[6:7]
	s_waitcnt lgkmcnt(0)
	;; [unrolled: 8-line block ×19, first 2 shown]
	v_mul_f64 v[6:7], v[184:185], v[188:189]
	v_fma_f64 v[6:7], v[182:183], v[186:187], -v[6:7]
	v_add_f64 v[8:9], v[4:5], v[6:7]
	scratch_load_dwordx4 v[4:7], off, off offset:496
	v_mul_f64 v[190:191], v[182:183], v[188:189]
	v_fmac_f64_e32 v[190:191], v[184:185], v[186:187]
	v_add_f64 v[128:129], v[128:129], v[190:191]
	s_waitcnt vmcnt(0)
	v_add_f64 v[4:5], v[4:5], -v[8:9]
	v_add_f64 v[6:7], v[6:7], -v[128:129]
	scratch_store_dwordx4 off, v[4:7], off offset:496
	s_and_saveexec_b64 s[0:1], vcc
	s_cbranch_execz .LBB117_279
; %bb.278:
	scratch_load_dwordx4 v[6:9], off, s41
	v_mov_b32_e32 v3, v2
	v_mov_b32_e32 v4, v2
	v_mov_b32_e32 v5, v2
	v_accvgpr_read_b32 v0, a109
	scratch_store_dwordx4 off, v[2:5], off offset:480
	s_waitcnt vmcnt(1)
	ds_write_b128 v0, v[6:9]
.LBB117_279:
	s_or_b64 exec, exec, s[0:1]
	s_waitcnt lgkmcnt(0)
	; wave barrier
	ds_read_b128 v[16:19], v2 offset:1344
	ds_read_b128 v[12:15], v2 offset:1360
	ds_read_b128 v[8:11], v2 offset:1376
	ds_read_b128 v[4:7], v2 offset:1392
	scratch_load_dwordx4 v[20:23], off, off offset:496
	scratch_load_dwordx4 v[40:43], off, off offset:560
	;; [unrolled: 1-line block ×18, first 2 shown]
	v_cmp_lt_u32_e32 vcc, 28, v240
	scratch_load_dwordx4 v[48:51], off, off offset:576
	scratch_load_dwordx4 v[56:59], off, off offset:592
	;; [unrolled: 1-line block ×3, first 2 shown]
	s_waitcnt vmcnt(20) lgkmcnt(3)
	v_mul_f64 v[24:25], v[16:17], v[22:23]
	v_fmac_f64_e32 v[24:25], v[18:19], v[20:21]
	v_add_f64 v[28:29], v[24:25], 0
	scratch_load_dwordx4 v[24:27], off, off offset:512
	s_waitcnt vmcnt(0) lgkmcnt(2)
	v_mul_f64 v[30:31], v[12:13], v[26:27]
	v_fmac_f64_e32 v[30:31], v[14:15], v[24:25]
	v_add_f64 v[32:33], v[28:29], v[30:31]
	scratch_load_dwordx4 v[28:31], off, off offset:528
	v_mul_f64 v[14:15], v[14:15], v[26:27]
	v_fma_f64 v[12:13], v[12:13], v[24:25], -v[14:15]
	s_waitcnt vmcnt(0) lgkmcnt(1)
	v_mul_f64 v[34:35], v[8:9], v[30:31]
	v_fmac_f64_e32 v[34:35], v[10:11], v[28:29]
	v_add_f64 v[36:37], v[32:33], v[34:35]
	scratch_load_dwordx4 v[32:35], off, off offset:544
	v_mul_f64 v[10:11], v[10:11], v[30:31]
	v_fma_f64 v[8:9], v[8:9], v[28:29], -v[10:11]
	s_waitcnt vmcnt(0) lgkmcnt(0)
	v_mul_f64 v[38:39], v[4:5], v[34:35]
	v_fmac_f64_e32 v[38:39], v[6:7], v[32:33]
	v_add_f64 v[44:45], v[36:37], v[38:39]
	ds_read_b128 v[36:39], v2 offset:1408
	v_mul_f64 v[6:7], v[6:7], v[34:35]
	v_fma_f64 v[4:5], v[4:5], v[32:33], -v[6:7]
	s_waitcnt lgkmcnt(0)
	v_mul_f64 v[46:47], v[36:37], v[42:43]
	v_fmac_f64_e32 v[46:47], v[38:39], v[40:41]
	v_add_f64 v[52:53], v[44:45], v[46:47]
	ds_read_b128 v[44:47], v2 offset:1424
	s_waitcnt lgkmcnt(0)
	v_mul_f64 v[54:55], v[44:45], v[50:51]
	v_fmac_f64_e32 v[54:55], v[46:47], v[48:49]
	v_add_f64 v[60:61], v[52:53], v[54:55]
	ds_read_b128 v[52:55], v2 offset:1440
	;; [unrolled: 5-line block ×19, first 2 shown]
	s_waitcnt lgkmcnt(0)
	v_mul_f64 v[2:3], v[190:191], v[196:197]
	v_fmac_f64_e32 v[2:3], v[192:193], v[194:195]
	v_add_f64 v[148:149], v[148:149], v[2:3]
	v_mul_f64 v[2:3], v[18:19], v[22:23]
	v_fma_f64 v[2:3], v[16:17], v[20:21], -v[2:3]
	v_add_f64 v[2:3], v[2:3], 0
	v_add_f64 v[2:3], v[2:3], v[12:13]
	;; [unrolled: 1-line block ×4, first 2 shown]
	v_mul_f64 v[4:5], v[38:39], v[42:43]
	v_fma_f64 v[4:5], v[36:37], v[40:41], -v[4:5]
	v_add_f64 v[2:3], v[2:3], v[4:5]
	v_mul_f64 v[4:5], v[46:47], v[50:51]
	v_fma_f64 v[4:5], v[44:45], v[48:49], -v[4:5]
	v_add_f64 v[2:3], v[2:3], v[4:5]
	;; [unrolled: 3-line block ×20, first 2 shown]
	scratch_load_dwordx4 v[2:5], off, off offset:480
	s_waitcnt vmcnt(0)
	v_add_f64 v[2:3], v[2:3], -v[6:7]
	v_add_f64 v[4:5], v[4:5], -v[148:149]
	scratch_store_dwordx4 off, v[2:5], off offset:480
	s_and_saveexec_b64 s[0:1], vcc
	s_cbranch_execz .LBB117_281
; %bb.280:
	scratch_load_dwordx4 v[2:5], off, s42
	v_mov_b32_e32 v6, 0
	v_mov_b32_e32 v7, v6
	v_mov_b32_e32 v8, v6
	v_mov_b32_e32 v9, v6
	v_accvgpr_read_b32 v0, a109
	scratch_store_dwordx4 off, v[6:9], off offset:464
	s_waitcnt vmcnt(1)
	ds_write_b128 v0, v[2:5]
.LBB117_281:
	s_or_b64 exec, exec, s[0:1]
	v_mov_b32_e32 v2, 0
	s_waitcnt lgkmcnt(0)
	; wave barrier
	ds_read_b128 v[16:19], v2 offset:1328
	ds_read_b128 v[12:15], v2 offset:1344
	;; [unrolled: 1-line block ×4, first 2 shown]
	scratch_load_dwordx4 v[20:23], off, off offset:480
	scratch_load_dwordx4 v[40:43], off, off offset:544
	;; [unrolled: 1-line block ×19, first 2 shown]
	v_cmp_lt_u32_e32 vcc, 27, v240
	scratch_load_dwordx4 v[48:51], off, off offset:560
	scratch_load_dwordx4 v[56:59], off, off offset:576
	;; [unrolled: 1-line block ×3, first 2 shown]
	s_waitcnt vmcnt(21) lgkmcnt(3)
	v_mul_f64 v[24:25], v[16:17], v[22:23]
	v_fmac_f64_e32 v[24:25], v[18:19], v[20:21]
	v_add_f64 v[28:29], v[24:25], 0
	scratch_load_dwordx4 v[24:27], off, off offset:496
	v_mul_f64 v[18:19], v[18:19], v[22:23]
	v_fma_f64 v[16:17], v[16:17], v[20:21], -v[18:19]
	v_add_f64 v[16:17], v[16:17], 0
	s_waitcnt vmcnt(0) lgkmcnt(2)
	v_mul_f64 v[30:31], v[12:13], v[26:27]
	v_fmac_f64_e32 v[30:31], v[14:15], v[24:25]
	v_add_f64 v[32:33], v[28:29], v[30:31]
	scratch_load_dwordx4 v[28:31], off, off offset:512
	v_mul_f64 v[14:15], v[14:15], v[26:27]
	v_fma_f64 v[12:13], v[12:13], v[24:25], -v[14:15]
	v_add_f64 v[12:13], v[16:17], v[12:13]
	s_waitcnt vmcnt(0) lgkmcnt(1)
	v_mul_f64 v[34:35], v[8:9], v[30:31]
	v_fmac_f64_e32 v[34:35], v[10:11], v[28:29]
	v_add_f64 v[36:37], v[32:33], v[34:35]
	scratch_load_dwordx4 v[32:35], off, off offset:528
	v_mul_f64 v[10:11], v[10:11], v[30:31]
	v_fma_f64 v[8:9], v[8:9], v[28:29], -v[10:11]
	v_add_f64 v[8:9], v[12:13], v[8:9]
	s_waitcnt vmcnt(0) lgkmcnt(0)
	v_mul_f64 v[38:39], v[4:5], v[34:35]
	v_fmac_f64_e32 v[38:39], v[6:7], v[32:33]
	v_add_f64 v[44:45], v[36:37], v[38:39]
	ds_read_b128 v[36:39], v2 offset:1392
	v_mul_f64 v[6:7], v[6:7], v[34:35]
	v_fma_f64 v[4:5], v[4:5], v[32:33], -v[6:7]
	v_add_f64 v[4:5], v[8:9], v[4:5]
	s_waitcnt lgkmcnt(0)
	v_mul_f64 v[46:47], v[36:37], v[42:43]
	v_fmac_f64_e32 v[46:47], v[38:39], v[40:41]
	v_add_f64 v[52:53], v[44:45], v[46:47]
	ds_read_b128 v[44:47], v2 offset:1408
	v_mul_f64 v[6:7], v[38:39], v[42:43]
	v_fma_f64 v[6:7], v[36:37], v[40:41], -v[6:7]
	v_add_f64 v[4:5], v[4:5], v[6:7]
	s_waitcnt lgkmcnt(0)
	;; [unrolled: 8-line block ×21, first 2 shown]
	v_mul_f64 v[6:7], v[200:201], v[204:205]
	v_fma_f64 v[6:7], v[198:199], v[202:203], -v[6:7]
	v_add_f64 v[8:9], v[4:5], v[6:7]
	scratch_load_dwordx4 v[4:7], off, off offset:464
	v_mul_f64 v[206:207], v[198:199], v[204:205]
	v_fmac_f64_e32 v[206:207], v[200:201], v[202:203]
	v_add_f64 v[144:145], v[144:145], v[206:207]
	s_waitcnt vmcnt(0)
	v_add_f64 v[4:5], v[4:5], -v[8:9]
	v_add_f64 v[6:7], v[6:7], -v[144:145]
	scratch_store_dwordx4 off, v[4:7], off offset:464
	s_and_saveexec_b64 s[0:1], vcc
	s_cbranch_execz .LBB117_283
; %bb.282:
	scratch_load_dwordx4 v[6:9], off, s43
	v_mov_b32_e32 v3, v2
	v_mov_b32_e32 v4, v2
	;; [unrolled: 1-line block ×3, first 2 shown]
	v_accvgpr_read_b32 v0, a109
	scratch_store_dwordx4 off, v[2:5], off offset:448
	s_waitcnt vmcnt(1)
	ds_write_b128 v0, v[6:9]
.LBB117_283:
	s_or_b64 exec, exec, s[0:1]
	s_waitcnt lgkmcnt(0)
	; wave barrier
	ds_read_b128 v[16:19], v2 offset:1312
	ds_read_b128 v[12:15], v2 offset:1328
	;; [unrolled: 1-line block ×4, first 2 shown]
	scratch_load_dwordx4 v[20:23], off, off offset:464
	scratch_load_dwordx4 v[40:43], off, off offset:528
	;; [unrolled: 1-line block ×20, first 2 shown]
	v_cmp_lt_u32_e32 vcc, 26, v240
	scratch_load_dwordx4 v[48:51], off, off offset:544
	scratch_load_dwordx4 v[56:59], off, off offset:560
	;; [unrolled: 1-line block ×3, first 2 shown]
	s_waitcnt vmcnt(22) lgkmcnt(3)
	v_mul_f64 v[24:25], v[16:17], v[22:23]
	v_fmac_f64_e32 v[24:25], v[18:19], v[20:21]
	v_add_f64 v[28:29], v[24:25], 0
	scratch_load_dwordx4 v[24:27], off, off offset:480
	s_waitcnt vmcnt(0) lgkmcnt(2)
	v_mul_f64 v[30:31], v[12:13], v[26:27]
	v_fmac_f64_e32 v[30:31], v[14:15], v[24:25]
	v_add_f64 v[32:33], v[28:29], v[30:31]
	scratch_load_dwordx4 v[28:31], off, off offset:496
	v_mul_f64 v[14:15], v[14:15], v[26:27]
	v_fma_f64 v[12:13], v[12:13], v[24:25], -v[14:15]
	s_waitcnt vmcnt(0) lgkmcnt(1)
	v_mul_f64 v[34:35], v[8:9], v[30:31]
	v_fmac_f64_e32 v[34:35], v[10:11], v[28:29]
	v_add_f64 v[36:37], v[32:33], v[34:35]
	scratch_load_dwordx4 v[32:35], off, off offset:512
	v_mul_f64 v[10:11], v[10:11], v[30:31]
	v_fma_f64 v[8:9], v[8:9], v[28:29], -v[10:11]
	s_waitcnt vmcnt(0) lgkmcnt(0)
	v_mul_f64 v[38:39], v[4:5], v[34:35]
	v_fmac_f64_e32 v[38:39], v[6:7], v[32:33]
	v_add_f64 v[44:45], v[36:37], v[38:39]
	ds_read_b128 v[36:39], v2 offset:1376
	v_mul_f64 v[6:7], v[6:7], v[34:35]
	v_fma_f64 v[4:5], v[4:5], v[32:33], -v[6:7]
	s_waitcnt lgkmcnt(0)
	v_mul_f64 v[46:47], v[36:37], v[42:43]
	v_fmac_f64_e32 v[46:47], v[38:39], v[40:41]
	v_add_f64 v[52:53], v[44:45], v[46:47]
	ds_read_b128 v[44:47], v2 offset:1392
	s_waitcnt lgkmcnt(0)
	v_mul_f64 v[54:55], v[44:45], v[50:51]
	v_fmac_f64_e32 v[54:55], v[46:47], v[48:49]
	v_add_f64 v[60:61], v[52:53], v[54:55]
	ds_read_b128 v[52:55], v2 offset:1408
	;; [unrolled: 5-line block ×21, first 2 shown]
	s_waitcnt lgkmcnt(0)
	v_mul_f64 v[2:3], v[206:207], v[212:213]
	v_fmac_f64_e32 v[2:3], v[208:209], v[210:211]
	v_add_f64 v[168:169], v[168:169], v[2:3]
	v_mul_f64 v[2:3], v[18:19], v[22:23]
	v_fma_f64 v[2:3], v[16:17], v[20:21], -v[2:3]
	v_add_f64 v[2:3], v[2:3], 0
	v_add_f64 v[2:3], v[2:3], v[12:13]
	;; [unrolled: 1-line block ×4, first 2 shown]
	v_mul_f64 v[4:5], v[38:39], v[42:43]
	v_fma_f64 v[4:5], v[36:37], v[40:41], -v[4:5]
	v_add_f64 v[2:3], v[2:3], v[4:5]
	v_mul_f64 v[4:5], v[46:47], v[50:51]
	v_fma_f64 v[4:5], v[44:45], v[48:49], -v[4:5]
	v_add_f64 v[2:3], v[2:3], v[4:5]
	;; [unrolled: 3-line block ×22, first 2 shown]
	scratch_load_dwordx4 v[2:5], off, off offset:448
	s_waitcnt vmcnt(0)
	v_add_f64 v[2:3], v[2:3], -v[6:7]
	v_add_f64 v[4:5], v[4:5], -v[168:169]
	scratch_store_dwordx4 off, v[2:5], off offset:448
	s_and_saveexec_b64 s[0:1], vcc
	s_cbranch_execz .LBB117_285
; %bb.284:
	scratch_load_dwordx4 v[2:5], off, s44
	v_mov_b32_e32 v6, 0
	v_mov_b32_e32 v7, v6
	;; [unrolled: 1-line block ×4, first 2 shown]
	v_accvgpr_read_b32 v0, a109
	scratch_store_dwordx4 off, v[6:9], off offset:432
	s_waitcnt vmcnt(1)
	ds_write_b128 v0, v[2:5]
.LBB117_285:
	s_or_b64 exec, exec, s[0:1]
	v_mov_b32_e32 v2, 0
	s_waitcnt lgkmcnt(0)
	; wave barrier
	ds_read_b128 v[16:19], v2 offset:1296
	ds_read_b128 v[12:15], v2 offset:1312
	;; [unrolled: 1-line block ×4, first 2 shown]
	scratch_load_dwordx4 v[20:23], off, off offset:448
	scratch_load_dwordx4 v[40:43], off, off offset:512
	scratch_load_dwordx4 v[72:75], off, off offset:576
	scratch_load_dwordx4 v[80:83], off, off offset:592
	scratch_load_dwordx4 v[88:91], off, off offset:608
	scratch_load_dwordx4 v[96:99], off, off offset:624
	scratch_load_dwordx4 v[104:107], off, off offset:640
	scratch_load_dwordx4 v[112:115], off, off offset:656
	scratch_load_dwordx4 v[120:123], off, off offset:672
	scratch_load_dwordx4 v[128:131], off, off offset:688
	scratch_load_dwordx4 v[136:139], off, off offset:704
	scratch_load_dwordx4 v[144:147], off, off offset:720
	scratch_load_dwordx4 v[152:155], off, off offset:736
	scratch_load_dwordx4 v[162:165], off, off offset:752
	scratch_load_dwordx4 v[170:173], off, off offset:768
	scratch_load_dwordx4 v[178:181], off, off offset:784
	scratch_load_dwordx4 v[186:189], off, off offset:800
	scratch_load_dwordx4 v[194:197], off, off offset:816
	scratch_load_dwordx4 v[202:205], off, off offset:832
	scratch_load_dwordx4 v[210:213], off, off offset:848
	scratch_load_dwordx4 v[218:221], off, off offset:864
	v_cmp_lt_u32_e32 vcc, 25, v240
	scratch_load_dwordx4 v[48:51], off, off offset:528
	scratch_load_dwordx4 v[56:59], off, off offset:544
	;; [unrolled: 1-line block ×3, first 2 shown]
	s_waitcnt vmcnt(23) lgkmcnt(3)
	v_mul_f64 v[24:25], v[16:17], v[22:23]
	v_fmac_f64_e32 v[24:25], v[18:19], v[20:21]
	v_add_f64 v[28:29], v[24:25], 0
	scratch_load_dwordx4 v[24:27], off, off offset:464
	v_mul_f64 v[18:19], v[18:19], v[22:23]
	v_fma_f64 v[16:17], v[16:17], v[20:21], -v[18:19]
	v_add_f64 v[16:17], v[16:17], 0
	s_waitcnt vmcnt(0) lgkmcnt(2)
	v_mul_f64 v[30:31], v[12:13], v[26:27]
	v_fmac_f64_e32 v[30:31], v[14:15], v[24:25]
	v_add_f64 v[32:33], v[28:29], v[30:31]
	scratch_load_dwordx4 v[28:31], off, off offset:480
	v_mul_f64 v[14:15], v[14:15], v[26:27]
	v_fma_f64 v[12:13], v[12:13], v[24:25], -v[14:15]
	v_add_f64 v[12:13], v[16:17], v[12:13]
	;; [unrolled: 8-line block ×3, first 2 shown]
	s_waitcnt vmcnt(0) lgkmcnt(0)
	v_mul_f64 v[38:39], v[4:5], v[34:35]
	v_fmac_f64_e32 v[38:39], v[6:7], v[32:33]
	v_add_f64 v[44:45], v[36:37], v[38:39]
	ds_read_b128 v[36:39], v2 offset:1360
	v_mul_f64 v[6:7], v[6:7], v[34:35]
	v_fma_f64 v[4:5], v[4:5], v[32:33], -v[6:7]
	v_add_f64 v[4:5], v[8:9], v[4:5]
	s_waitcnt lgkmcnt(0)
	v_mul_f64 v[46:47], v[36:37], v[42:43]
	v_fmac_f64_e32 v[46:47], v[38:39], v[40:41]
	v_add_f64 v[52:53], v[44:45], v[46:47]
	ds_read_b128 v[44:47], v2 offset:1376
	v_mul_f64 v[6:7], v[38:39], v[42:43]
	v_fma_f64 v[6:7], v[36:37], v[40:41], -v[6:7]
	v_add_f64 v[4:5], v[4:5], v[6:7]
	s_waitcnt lgkmcnt(0)
	;; [unrolled: 8-line block ×23, first 2 shown]
	v_mul_f64 v[6:7], v[216:217], v[220:221]
	v_fma_f64 v[6:7], v[214:215], v[218:219], -v[6:7]
	v_add_f64 v[8:9], v[4:5], v[6:7]
	scratch_load_dwordx4 v[4:7], off, off offset:432
	v_mul_f64 v[222:223], v[214:215], v[220:221]
	v_fmac_f64_e32 v[222:223], v[216:217], v[218:219]
	v_add_f64 v[160:161], v[160:161], v[222:223]
	s_waitcnt vmcnt(0)
	v_add_f64 v[4:5], v[4:5], -v[8:9]
	v_add_f64 v[6:7], v[6:7], -v[160:161]
	scratch_store_dwordx4 off, v[4:7], off offset:432
	s_and_saveexec_b64 s[0:1], vcc
	s_cbranch_execz .LBB117_287
; %bb.286:
	scratch_load_dwordx4 v[6:9], off, s45
	v_mov_b32_e32 v3, v2
	v_mov_b32_e32 v4, v2
	;; [unrolled: 1-line block ×3, first 2 shown]
	v_accvgpr_read_b32 v0, a109
	scratch_store_dwordx4 off, v[2:5], off offset:416
	s_waitcnt vmcnt(1)
	ds_write_b128 v0, v[6:9]
.LBB117_287:
	s_or_b64 exec, exec, s[0:1]
	s_waitcnt lgkmcnt(0)
	; wave barrier
	ds_read_b128 v[16:19], v2 offset:1280
	ds_read_b128 v[12:15], v2 offset:1296
	;; [unrolled: 1-line block ×4, first 2 shown]
	scratch_load_dwordx4 v[20:23], off, off offset:432
	scratch_load_dwordx4 v[40:43], off, off offset:496
	;; [unrolled: 1-line block ×22, first 2 shown]
	v_cmp_lt_u32_e32 vcc, 24, v240
	scratch_load_dwordx4 v[48:51], off, off offset:512
	scratch_load_dwordx4 v[56:59], off, off offset:528
	;; [unrolled: 1-line block ×3, first 2 shown]
	s_waitcnt vmcnt(24) lgkmcnt(3)
	v_mul_f64 v[24:25], v[16:17], v[22:23]
	v_fmac_f64_e32 v[24:25], v[18:19], v[20:21]
	v_add_f64 v[28:29], v[24:25], 0
	scratch_load_dwordx4 v[24:27], off, off offset:448
	s_waitcnt vmcnt(0) lgkmcnt(2)
	v_mul_f64 v[30:31], v[12:13], v[26:27]
	v_fmac_f64_e32 v[30:31], v[14:15], v[24:25]
	v_add_f64 v[32:33], v[28:29], v[30:31]
	scratch_load_dwordx4 v[28:31], off, off offset:464
	v_mul_f64 v[14:15], v[14:15], v[26:27]
	v_fma_f64 v[12:13], v[12:13], v[24:25], -v[14:15]
	s_waitcnt vmcnt(0) lgkmcnt(1)
	v_mul_f64 v[34:35], v[8:9], v[30:31]
	v_fmac_f64_e32 v[34:35], v[10:11], v[28:29]
	v_add_f64 v[36:37], v[32:33], v[34:35]
	scratch_load_dwordx4 v[32:35], off, off offset:480
	v_mul_f64 v[10:11], v[10:11], v[30:31]
	v_fma_f64 v[8:9], v[8:9], v[28:29], -v[10:11]
	s_waitcnt vmcnt(0) lgkmcnt(0)
	v_mul_f64 v[38:39], v[4:5], v[34:35]
	v_fmac_f64_e32 v[38:39], v[6:7], v[32:33]
	v_add_f64 v[44:45], v[36:37], v[38:39]
	ds_read_b128 v[36:39], v2 offset:1344
	v_mul_f64 v[6:7], v[6:7], v[34:35]
	v_fma_f64 v[4:5], v[4:5], v[32:33], -v[6:7]
	s_waitcnt lgkmcnt(0)
	v_mul_f64 v[46:47], v[36:37], v[42:43]
	v_fmac_f64_e32 v[46:47], v[38:39], v[40:41]
	v_add_f64 v[52:53], v[44:45], v[46:47]
	ds_read_b128 v[44:47], v2 offset:1360
	s_waitcnt lgkmcnt(0)
	v_mul_f64 v[54:55], v[44:45], v[50:51]
	v_fmac_f64_e32 v[54:55], v[46:47], v[48:49]
	v_add_f64 v[60:61], v[52:53], v[54:55]
	ds_read_b128 v[52:55], v2 offset:1376
	;; [unrolled: 5-line block ×23, first 2 shown]
	s_waitcnt lgkmcnt(0)
	v_mul_f64 v[2:3], v[222:223], v[228:229]
	v_fmac_f64_e32 v[2:3], v[224:225], v[226:227]
	v_add_f64 v[176:177], v[176:177], v[2:3]
	v_mul_f64 v[2:3], v[18:19], v[22:23]
	v_fma_f64 v[2:3], v[16:17], v[20:21], -v[2:3]
	v_add_f64 v[2:3], v[2:3], 0
	v_add_f64 v[2:3], v[2:3], v[12:13]
	;; [unrolled: 1-line block ×4, first 2 shown]
	v_mul_f64 v[4:5], v[38:39], v[42:43]
	v_fma_f64 v[4:5], v[36:37], v[40:41], -v[4:5]
	v_add_f64 v[2:3], v[2:3], v[4:5]
	v_mul_f64 v[4:5], v[46:47], v[50:51]
	v_fma_f64 v[4:5], v[44:45], v[48:49], -v[4:5]
	v_add_f64 v[2:3], v[2:3], v[4:5]
	;; [unrolled: 3-line block ×24, first 2 shown]
	scratch_load_dwordx4 v[2:5], off, off offset:416
	s_waitcnt vmcnt(0)
	v_add_f64 v[2:3], v[2:3], -v[6:7]
	v_add_f64 v[4:5], v[4:5], -v[176:177]
	scratch_store_dwordx4 off, v[2:5], off offset:416
	s_and_saveexec_b64 s[0:1], vcc
	s_cbranch_execz .LBB117_289
; %bb.288:
	scratch_load_dwordx4 v[2:5], off, s46
	v_mov_b32_e32 v6, 0
	v_mov_b32_e32 v7, v6
	;; [unrolled: 1-line block ×4, first 2 shown]
	v_accvgpr_read_b32 v0, a109
	scratch_store_dwordx4 off, v[6:9], off offset:400
	s_waitcnt vmcnt(1)
	ds_write_b128 v0, v[2:5]
.LBB117_289:
	s_or_b64 exec, exec, s[0:1]
	v_mov_b32_e32 v2, 0
	s_waitcnt lgkmcnt(0)
	; wave barrier
	ds_read_b128 v[16:19], v2 offset:1264
	ds_read_b128 v[12:15], v2 offset:1280
	;; [unrolled: 1-line block ×4, first 2 shown]
	scratch_load_dwordx4 v[20:23], off, off offset:416
	scratch_load_dwordx4 v[40:43], off, off offset:480
	;; [unrolled: 1-line block ×23, first 2 shown]
	v_cmp_lt_u32_e32 vcc, 23, v240
	scratch_load_dwordx4 v[48:51], off, off offset:496
	scratch_load_dwordx4 v[56:59], off, off offset:512
	;; [unrolled: 1-line block ×3, first 2 shown]
	s_waitcnt vmcnt(25) lgkmcnt(3)
	v_mul_f64 v[24:25], v[16:17], v[22:23]
	v_fmac_f64_e32 v[24:25], v[18:19], v[20:21]
	v_add_f64 v[28:29], v[24:25], 0
	scratch_load_dwordx4 v[24:27], off, off offset:432
	v_mul_f64 v[18:19], v[18:19], v[22:23]
	v_fma_f64 v[16:17], v[16:17], v[20:21], -v[18:19]
	v_add_f64 v[16:17], v[16:17], 0
	s_waitcnt vmcnt(0) lgkmcnt(2)
	v_mul_f64 v[30:31], v[12:13], v[26:27]
	v_fmac_f64_e32 v[30:31], v[14:15], v[24:25]
	v_add_f64 v[32:33], v[28:29], v[30:31]
	scratch_load_dwordx4 v[28:31], off, off offset:448
	v_mul_f64 v[14:15], v[14:15], v[26:27]
	v_fma_f64 v[12:13], v[12:13], v[24:25], -v[14:15]
	v_add_f64 v[12:13], v[16:17], v[12:13]
	s_waitcnt vmcnt(0) lgkmcnt(1)
	v_mul_f64 v[34:35], v[8:9], v[30:31]
	v_fmac_f64_e32 v[34:35], v[10:11], v[28:29]
	v_add_f64 v[36:37], v[32:33], v[34:35]
	scratch_load_dwordx4 v[32:35], off, off offset:464
	v_mul_f64 v[10:11], v[10:11], v[30:31]
	v_fma_f64 v[8:9], v[8:9], v[28:29], -v[10:11]
	v_add_f64 v[8:9], v[12:13], v[8:9]
	s_waitcnt vmcnt(0) lgkmcnt(0)
	v_mul_f64 v[38:39], v[4:5], v[34:35]
	v_fmac_f64_e32 v[38:39], v[6:7], v[32:33]
	v_add_f64 v[44:45], v[36:37], v[38:39]
	ds_read_b128 v[36:39], v2 offset:1328
	v_mul_f64 v[6:7], v[6:7], v[34:35]
	v_fma_f64 v[4:5], v[4:5], v[32:33], -v[6:7]
	v_add_f64 v[4:5], v[8:9], v[4:5]
	s_waitcnt lgkmcnt(0)
	v_mul_f64 v[46:47], v[36:37], v[42:43]
	v_fmac_f64_e32 v[46:47], v[38:39], v[40:41]
	v_add_f64 v[52:53], v[44:45], v[46:47]
	ds_read_b128 v[44:47], v2 offset:1344
	v_mul_f64 v[6:7], v[38:39], v[42:43]
	v_fma_f64 v[6:7], v[36:37], v[40:41], -v[6:7]
	v_add_f64 v[4:5], v[4:5], v[6:7]
	s_waitcnt lgkmcnt(0)
	;; [unrolled: 8-line block ×25, first 2 shown]
	v_mul_f64 v[6:7], v[232:233], v[236:237]
	v_fma_f64 v[6:7], v[230:231], v[234:235], -v[6:7]
	v_add_f64 v[8:9], v[4:5], v[6:7]
	scratch_load_dwordx4 v[4:7], off, off offset:400
	v_mul_f64 v[238:239], v[230:231], v[236:237]
	v_fmac_f64_e32 v[238:239], v[232:233], v[234:235]
	v_add_f64 v[176:177], v[176:177], v[238:239]
	s_waitcnt vmcnt(0)
	v_add_f64 v[4:5], v[4:5], -v[8:9]
	v_add_f64 v[6:7], v[6:7], -v[176:177]
	scratch_store_dwordx4 off, v[4:7], off offset:400
	s_and_saveexec_b64 s[0:1], vcc
	s_cbranch_execz .LBB117_291
; %bb.290:
	scratch_load_dwordx4 v[6:9], off, s47
	v_mov_b32_e32 v3, v2
	v_mov_b32_e32 v4, v2
	;; [unrolled: 1-line block ×3, first 2 shown]
	v_accvgpr_read_b32 v0, a109
	scratch_store_dwordx4 off, v[2:5], off offset:384
	s_waitcnt vmcnt(1)
	ds_write_b128 v0, v[6:9]
.LBB117_291:
	s_or_b64 exec, exec, s[0:1]
	s_waitcnt lgkmcnt(0)
	; wave barrier
	ds_read_b128 v[16:19], v2 offset:1248
	ds_read_b128 v[12:15], v2 offset:1264
	ds_read_b128 v[8:11], v2 offset:1280
	ds_read_b128 v[4:7], v2 offset:1296
	scratch_load_dwordx4 v[20:23], off, off offset:400
	scratch_load_dwordx4 v[40:43], off, off offset:464
	;; [unrolled: 1-line block ×24, first 2 shown]
	v_cmp_lt_u32_e32 vcc, 22, v240
	scratch_load_dwordx4 v[48:51], off, off offset:480
	scratch_load_dwordx4 v[56:59], off, off offset:496
	;; [unrolled: 1-line block ×3, first 2 shown]
	ds_read_b128 v[250:253], v2 offset:1712
	s_waitcnt vmcnt(26) lgkmcnt(4)
	v_mul_f64 v[24:25], v[16:17], v[22:23]
	v_fmac_f64_e32 v[24:25], v[18:19], v[20:21]
	v_add_f64 v[28:29], v[24:25], 0
	scratch_load_dwordx4 v[24:27], off, off offset:416
	s_waitcnt vmcnt(0) lgkmcnt(3)
	v_mul_f64 v[30:31], v[12:13], v[26:27]
	v_fmac_f64_e32 v[30:31], v[14:15], v[24:25]
	v_add_f64 v[32:33], v[28:29], v[30:31]
	scratch_load_dwordx4 v[28:31], off, off offset:432
	v_mul_f64 v[14:15], v[14:15], v[26:27]
	v_fma_f64 v[12:13], v[12:13], v[24:25], -v[14:15]
	s_waitcnt vmcnt(0) lgkmcnt(2)
	v_mul_f64 v[34:35], v[8:9], v[30:31]
	v_fmac_f64_e32 v[34:35], v[10:11], v[28:29]
	v_add_f64 v[36:37], v[32:33], v[34:35]
	scratch_load_dwordx4 v[32:35], off, off offset:448
	v_mul_f64 v[10:11], v[10:11], v[30:31]
	v_fma_f64 v[8:9], v[8:9], v[28:29], -v[10:11]
	s_waitcnt vmcnt(0) lgkmcnt(1)
	v_mul_f64 v[38:39], v[4:5], v[34:35]
	v_fmac_f64_e32 v[38:39], v[6:7], v[32:33]
	v_add_f64 v[44:45], v[36:37], v[38:39]
	ds_read_b128 v[36:39], v2 offset:1312
	v_mul_f64 v[6:7], v[6:7], v[34:35]
	v_fma_f64 v[4:5], v[4:5], v[32:33], -v[6:7]
	s_waitcnt lgkmcnt(0)
	v_mul_f64 v[46:47], v[36:37], v[42:43]
	v_fmac_f64_e32 v[46:47], v[38:39], v[40:41]
	v_add_f64 v[52:53], v[44:45], v[46:47]
	ds_read_b128 v[44:47], v2 offset:1328
	s_waitcnt lgkmcnt(0)
	v_mul_f64 v[54:55], v[44:45], v[50:51]
	v_fmac_f64_e32 v[54:55], v[46:47], v[48:49]
	v_add_f64 v[60:61], v[52:53], v[54:55]
	ds_read_b128 v[52:55], v2 offset:1344
	;; [unrolled: 5-line block ×24, first 2 shown]
	v_mul_f64 v[2:3], v[250:251], v[244:245]
	v_fmac_f64_e32 v[2:3], v[252:253], v[242:243]
	s_waitcnt lgkmcnt(0)
	v_mul_f64 v[238:239], v[230:231], v[236:237]
	v_fmac_f64_e32 v[238:239], v[232:233], v[234:235]
	v_add_f64 v[184:185], v[184:185], v[238:239]
	v_add_f64 v[184:185], v[184:185], v[2:3]
	v_mul_f64 v[2:3], v[18:19], v[22:23]
	v_fma_f64 v[2:3], v[16:17], v[20:21], -v[2:3]
	v_add_f64 v[2:3], v[2:3], 0
	v_add_f64 v[2:3], v[2:3], v[12:13]
	;; [unrolled: 1-line block ×4, first 2 shown]
	v_mul_f64 v[4:5], v[38:39], v[42:43]
	v_fma_f64 v[4:5], v[36:37], v[40:41], -v[4:5]
	v_add_f64 v[2:3], v[2:3], v[4:5]
	v_mul_f64 v[4:5], v[46:47], v[50:51]
	v_fma_f64 v[4:5], v[44:45], v[48:49], -v[4:5]
	v_add_f64 v[2:3], v[2:3], v[4:5]
	;; [unrolled: 3-line block ×26, first 2 shown]
	scratch_load_dwordx4 v[2:5], off, off offset:384
	s_waitcnt vmcnt(0)
	v_add_f64 v[2:3], v[2:3], -v[6:7]
	v_add_f64 v[4:5], v[4:5], -v[184:185]
	scratch_store_dwordx4 off, v[2:5], off offset:384
	s_and_saveexec_b64 s[0:1], vcc
	s_cbranch_execz .LBB117_293
; %bb.292:
	scratch_load_dwordx4 v[2:5], off, s48
	v_mov_b32_e32 v6, 0
	v_mov_b32_e32 v7, v6
	;; [unrolled: 1-line block ×4, first 2 shown]
	v_accvgpr_read_b32 v0, a109
	scratch_store_dwordx4 off, v[6:9], off offset:368
	s_waitcnt vmcnt(1)
	ds_write_b128 v0, v[2:5]
.LBB117_293:
	s_or_b64 exec, exec, s[0:1]
	s_waitcnt lgkmcnt(0)
	; wave barrier
	scratch_load_dwordx4 v[16:19], off, off offset:384
	scratch_load_dwordx4 v[12:15], off, off offset:400
	;; [unrolled: 1-line block ×32, first 2 shown]
	v_mov_b32_e32 v2, 0
	ds_read_b128 v[132:135], v2 offset:1232
	ds_read_b128 v[136:139], v2 offset:1248
	;; [unrolled: 1-line block ×17, first 2 shown]
	v_cmp_lt_u32_e32 vcc, 21, v240
	s_waitcnt vmcnt(31) lgkmcnt(14)
	v_mul_f64 v[200:201], v[132:133], v[18:19]
	s_waitcnt vmcnt(30)
	v_mul_f64 v[202:203], v[136:137], v[14:15]
	v_fmac_f64_e32 v[200:201], v[134:135], v[16:17]
	s_waitcnt vmcnt(29)
	v_mul_f64 v[204:205], v[140:141], v[10:11]
	v_fmac_f64_e32 v[202:203], v[138:139], v[12:13]
	v_add_f64 v[200:201], v[200:201], 0
	s_waitcnt vmcnt(28) lgkmcnt(13)
	v_mul_f64 v[206:207], v[144:145], v[6:7]
	v_fmac_f64_e32 v[204:205], v[142:143], v[8:9]
	v_add_f64 v[200:201], v[200:201], v[202:203]
	s_waitcnt vmcnt(27) lgkmcnt(12)
	v_mul_f64 v[208:209], v[148:149], v[22:23]
	v_fmac_f64_e32 v[206:207], v[146:147], v[4:5]
	v_add_f64 v[200:201], v[200:201], v[204:205]
	s_waitcnt vmcnt(26) lgkmcnt(11)
	v_mul_f64 v[210:211], v[152:153], v[26:27]
	v_fmac_f64_e32 v[208:209], v[150:151], v[20:21]
	v_add_f64 v[200:201], v[200:201], v[206:207]
	s_waitcnt vmcnt(25) lgkmcnt(10)
	v_mul_f64 v[212:213], v[156:157], v[30:31]
	v_fmac_f64_e32 v[210:211], v[154:155], v[24:25]
	v_add_f64 v[200:201], v[200:201], v[208:209]
	s_waitcnt vmcnt(24) lgkmcnt(9)
	v_mul_f64 v[214:215], v[160:161], v[34:35]
	v_fmac_f64_e32 v[212:213], v[158:159], v[28:29]
	v_add_f64 v[200:201], v[200:201], v[210:211]
	s_waitcnt vmcnt(23) lgkmcnt(8)
	v_mul_f64 v[216:217], v[164:165], v[38:39]
	v_fmac_f64_e32 v[214:215], v[162:163], v[32:33]
	v_add_f64 v[200:201], v[200:201], v[212:213]
	s_waitcnt vmcnt(22) lgkmcnt(7)
	v_mul_f64 v[218:219], v[168:169], v[42:43]
	v_fmac_f64_e32 v[216:217], v[166:167], v[36:37]
	v_add_f64 v[200:201], v[200:201], v[214:215]
	s_waitcnt vmcnt(21) lgkmcnt(6)
	v_mul_f64 v[220:221], v[172:173], v[46:47]
	v_fmac_f64_e32 v[218:219], v[170:171], v[40:41]
	v_add_f64 v[200:201], v[200:201], v[216:217]
	s_waitcnt vmcnt(20) lgkmcnt(5)
	v_mul_f64 v[222:223], v[176:177], v[50:51]
	v_fmac_f64_e32 v[220:221], v[174:175], v[44:45]
	v_add_f64 v[200:201], v[200:201], v[218:219]
	s_waitcnt vmcnt(19) lgkmcnt(4)
	v_mul_f64 v[224:225], v[180:181], v[54:55]
	v_fmac_f64_e32 v[222:223], v[178:179], v[48:49]
	v_add_f64 v[200:201], v[200:201], v[220:221]
	s_waitcnt vmcnt(18) lgkmcnt(3)
	v_mul_f64 v[226:227], v[184:185], v[58:59]
	v_fmac_f64_e32 v[224:225], v[182:183], v[52:53]
	v_add_f64 v[200:201], v[200:201], v[222:223]
	s_waitcnt vmcnt(17) lgkmcnt(2)
	v_mul_f64 v[228:229], v[188:189], v[62:63]
	v_fmac_f64_e32 v[226:227], v[186:187], v[56:57]
	v_add_f64 v[200:201], v[200:201], v[224:225]
	v_fmac_f64_e32 v[228:229], v[190:191], v[60:61]
	v_add_f64 v[200:201], v[200:201], v[226:227]
	s_waitcnt vmcnt(16) lgkmcnt(1)
	v_mul_f64 v[202:203], v[192:193], v[66:67]
	v_add_f64 v[200:201], v[200:201], v[228:229]
	v_fmac_f64_e32 v[202:203], v[194:195], v[64:65]
	s_waitcnt vmcnt(15) lgkmcnt(0)
	v_mul_f64 v[206:207], v[196:197], v[70:71]
	v_add_f64 v[204:205], v[200:201], v[202:203]
	ds_read_b128 v[200:203], v2 offset:1504
	v_fmac_f64_e32 v[206:207], v[198:199], v[68:69]
	v_add_f64 v[208:209], v[204:205], v[206:207]
	ds_read_b128 v[204:207], v2 offset:1520
	v_mul_f64 v[18:19], v[134:135], v[18:19]
	s_waitcnt vmcnt(14) lgkmcnt(1)
	v_mul_f64 v[210:211], v[200:201], v[74:75]
	v_fmac_f64_e32 v[210:211], v[202:203], v[72:73]
	v_add_f64 v[212:213], v[208:209], v[210:211]
	s_waitcnt vmcnt(13) lgkmcnt(0)
	v_mul_f64 v[214:215], v[204:205], v[78:79]
	ds_read_b128 v[208:211], v2 offset:1536
	v_fmac_f64_e32 v[214:215], v[206:207], v[76:77]
	v_add_f64 v[216:217], v[212:213], v[214:215]
	ds_read_b128 v[212:215], v2 offset:1552
	v_fma_f64 v[244:245], v[132:133], v[16:17], -v[18:19]
	s_waitcnt vmcnt(12) lgkmcnt(1)
	v_mul_f64 v[218:219], v[208:209], v[82:83]
	v_fmac_f64_e32 v[218:219], v[210:211], v[80:81]
	v_add_f64 v[220:221], v[216:217], v[218:219]
	s_waitcnt vmcnt(11) lgkmcnt(0)
	v_mul_f64 v[222:223], v[212:213], v[86:87]
	ds_read_b128 v[216:219], v2 offset:1568
	v_fmac_f64_e32 v[222:223], v[214:215], v[84:85]
	v_add_f64 v[224:225], v[220:221], v[222:223]
	ds_read_b128 v[220:223], v2 offset:1584
	ds_read_b128 v[16:19], v2 offset:1664
	s_waitcnt vmcnt(10) lgkmcnt(2)
	v_mul_f64 v[226:227], v[216:217], v[90:91]
	v_fmac_f64_e32 v[226:227], v[218:219], v[88:89]
	v_add_f64 v[228:229], v[224:225], v[226:227]
	s_waitcnt vmcnt(9) lgkmcnt(1)
	v_mul_f64 v[230:231], v[220:221], v[94:95]
	ds_read_b128 v[224:227], v2 offset:1600
	v_fmac_f64_e32 v[230:231], v[222:223], v[92:93]
	v_add_f64 v[232:233], v[228:229], v[230:231]
	ds_read_b128 v[228:231], v2 offset:1616
	v_mul_f64 v[14:15], v[138:139], v[14:15]
	s_waitcnt vmcnt(8) lgkmcnt(1)
	v_mul_f64 v[234:235], v[224:225], v[98:99]
	v_fmac_f64_e32 v[234:235], v[226:227], v[96:97]
	v_add_f64 v[236:237], v[232:233], v[234:235]
	s_waitcnt vmcnt(7) lgkmcnt(0)
	v_mul_f64 v[238:239], v[228:229], v[102:103]
	ds_read_b128 v[232:235], v2 offset:1632
	v_fmac_f64_e32 v[238:239], v[230:231], v[100:101]
	v_add_f64 v[242:243], v[236:237], v[238:239]
	ds_read_b128 v[236:239], v2 offset:1648
	v_fma_f64 v[136:137], v[136:137], v[12:13], -v[14:15]
	s_waitcnt vmcnt(6) lgkmcnt(1)
	v_mul_f64 v[132:133], v[232:233], v[106:107]
	v_fmac_f64_e32 v[132:133], v[234:235], v[104:105]
	v_add_f64 v[132:133], v[242:243], v[132:133]
	s_waitcnt vmcnt(5) lgkmcnt(0)
	v_mul_f64 v[134:135], v[236:237], v[110:111]
	v_fmac_f64_e32 v[134:135], v[238:239], v[108:109]
	v_add_f64 v[132:133], v[132:133], v[134:135]
	ds_read_b128 v[12:15], v2 offset:1680
	s_waitcnt vmcnt(4)
	v_mul_f64 v[134:135], v[16:17], v[114:115]
	v_fmac_f64_e32 v[134:135], v[18:19], v[112:113]
	v_add_f64 v[138:139], v[132:133], v[134:135]
	ds_read_b128 v[132:135], v2 offset:1696
	v_mul_f64 v[10:11], v[142:143], v[10:11]
	v_fma_f64 v[140:141], v[140:141], v[8:9], -v[10:11]
	ds_read_b128 v[8:11], v2 offset:1712
	s_waitcnt vmcnt(3) lgkmcnt(2)
	v_mul_f64 v[142:143], v[12:13], v[118:119]
	v_fmac_f64_e32 v[142:143], v[14:15], v[116:117]
	v_add_f64 v[138:139], v[138:139], v[142:143]
	s_waitcnt vmcnt(2) lgkmcnt(1)
	v_mul_f64 v[142:143], v[132:133], v[122:123]
	v_fmac_f64_e32 v[142:143], v[134:135], v[120:121]
	v_add_f64 v[138:139], v[138:139], v[142:143]
	;; [unrolled: 4-line block ×3, first 2 shown]
	v_add_f64 v[142:143], v[244:245], 0
	v_add_f64 v[136:137], v[142:143], v[136:137]
	v_mul_f64 v[6:7], v[146:147], v[6:7]
	v_add_f64 v[136:137], v[136:137], v[140:141]
	v_fma_f64 v[4:5], v[144:145], v[4:5], -v[6:7]
	v_mul_f64 v[6:7], v[150:151], v[22:23]
	v_add_f64 v[4:5], v[136:137], v[4:5]
	v_fma_f64 v[6:7], v[148:149], v[20:21], -v[6:7]
	v_add_f64 v[4:5], v[4:5], v[6:7]
	v_mul_f64 v[6:7], v[154:155], v[26:27]
	v_fma_f64 v[6:7], v[152:153], v[24:25], -v[6:7]
	v_add_f64 v[4:5], v[4:5], v[6:7]
	v_mul_f64 v[6:7], v[158:159], v[30:31]
	;; [unrolled: 3-line block ×26, first 2 shown]
	v_fma_f64 v[6:7], v[8:9], v[124:125], -v[6:7]
	v_add_f64 v[4:5], v[4:5], v[6:7]
	s_waitcnt vmcnt(0)
	v_add_f64 v[4:5], v[128:129], -v[4:5]
	v_add_f64 v[6:7], v[130:131], -v[138:139]
	scratch_store_dwordx4 off, v[4:7], off offset:368
	s_and_saveexec_b64 s[0:1], vcc
	s_cbranch_execz .LBB117_295
; %bb.294:
	scratch_load_dwordx4 v[6:9], off, s49
	v_mov_b32_e32 v3, v2
	v_mov_b32_e32 v4, v2
	;; [unrolled: 1-line block ×3, first 2 shown]
	v_accvgpr_read_b32 v0, a109
	scratch_store_dwordx4 off, v[2:5], off offset:352
	s_waitcnt vmcnt(1)
	ds_write_b128 v0, v[6:9]
.LBB117_295:
	s_or_b64 exec, exec, s[0:1]
	s_waitcnt lgkmcnt(0)
	; wave barrier
	scratch_load_dwordx4 v[140:143], off, off offset:368
	scratch_load_dwordx4 v[148:151], off, off offset:384
	;; [unrolled: 1-line block ×16, first 2 shown]
	ds_read_b128 v[188:191], v2 offset:1216
	ds_read_b128 v[184:187], v2 offset:1232
	scratch_load_dwordx4 v[56:59], off, off offset:624
	ds_read_b128 v[192:195], v2 offset:1248
	ds_read_b128 v[68:71], v2 offset:1264
	scratch_load_dwordx4 v[60:63], off, off offset:640
	ds_read_b128 v[88:91], v2 offset:1280
	ds_read_b128 v[84:87], v2 offset:1296
	;; [unrolled: 1-line block ×4, first 2 shown]
	scratch_load_dwordx4 v[64:67], off, off offset:656
	ds_read_b128 v[100:103], v2 offset:1344
	ds_read_b128 v[96:99], v2 offset:1360
	scratch_load_dwordx4 v[72:75], off, off offset:672
	ds_read_b128 v[116:119], v2 offset:1376
	ds_read_b128 v[112:115], v2 offset:1392
	;; [unrolled: 1-line block ×4, first 2 shown]
	scratch_load_dwordx4 v[92:95], off, off offset:688
	ds_read_b128 v[132:135], v2 offset:1440
	ds_read_b128 v[128:131], v2 offset:1456
	;; [unrolled: 1-line block ×3, first 2 shown]
	scratch_load_dwordx4 v[120:123], off, off offset:704
	scratch_load_dwordx4 v[136:139], off, off offset:720
	;; [unrolled: 1-line block ×11, first 2 shown]
	v_cmp_lt_u32_e32 vcc, 20, v240
	s_waitcnt vmcnt(31) lgkmcnt(14)
	v_mul_f64 v[200:201], v[188:189], v[142:143]
	s_waitcnt vmcnt(30)
	v_mul_f64 v[202:203], v[184:185], v[150:151]
	v_fmac_f64_e32 v[200:201], v[190:191], v[140:141]
	s_waitcnt vmcnt(29)
	v_mul_f64 v[204:205], v[192:193], v[154:155]
	v_fmac_f64_e32 v[202:203], v[186:187], v[148:149]
	v_add_f64 v[200:201], v[200:201], 0
	s_waitcnt vmcnt(28) lgkmcnt(13)
	v_mul_f64 v[206:207], v[68:69], v[6:7]
	v_fmac_f64_e32 v[204:205], v[194:195], v[152:153]
	v_add_f64 v[200:201], v[200:201], v[202:203]
	s_waitcnt vmcnt(27) lgkmcnt(12)
	;; [unrolled: 4-line block ×13, first 2 shown]
	v_mul_f64 v[230:231], v[128:129], v[54:55]
	v_fmac_f64_e32 v[228:229], v[134:135], v[48:49]
	v_add_f64 v[200:201], v[200:201], v[226:227]
	v_add_f64 v[200:201], v[200:201], v[228:229]
	v_fmac_f64_e32 v[230:231], v[130:131], v[52:53]
	s_waitcnt vmcnt(15) lgkmcnt(0)
	v_mul_f64 v[206:207], v[124:125], v[58:59]
	v_add_f64 v[204:205], v[200:201], v[230:231]
	ds_read_b128 v[200:203], v2 offset:1488
	v_fmac_f64_e32 v[206:207], v[126:127], v[56:57]
	v_add_f64 v[208:209], v[204:205], v[206:207]
	ds_read_b128 v[204:207], v2 offset:1504
	v_mul_f64 v[142:143], v[190:191], v[142:143]
	s_waitcnt vmcnt(14) lgkmcnt(1)
	v_mul_f64 v[210:211], v[200:201], v[62:63]
	v_fmac_f64_e32 v[210:211], v[202:203], v[60:61]
	v_add_f64 v[212:213], v[208:209], v[210:211]
	s_waitcnt vmcnt(13) lgkmcnt(0)
	v_mul_f64 v[214:215], v[204:205], v[66:67]
	ds_read_b128 v[208:211], v2 offset:1520
	v_fmac_f64_e32 v[214:215], v[206:207], v[64:65]
	v_add_f64 v[216:217], v[212:213], v[214:215]
	ds_read_b128 v[212:215], v2 offset:1536
	v_fma_f64 v[250:251], v[188:189], v[140:141], -v[142:143]
	s_waitcnt vmcnt(12) lgkmcnt(1)
	v_mul_f64 v[218:219], v[208:209], v[74:75]
	v_fmac_f64_e32 v[218:219], v[210:211], v[72:73]
	v_add_f64 v[220:221], v[216:217], v[218:219]
	s_waitcnt vmcnt(11) lgkmcnt(0)
	v_mul_f64 v[222:223], v[212:213], v[94:95]
	ds_read_b128 v[216:219], v2 offset:1552
	v_fmac_f64_e32 v[222:223], v[214:215], v[92:93]
	v_add_f64 v[224:225], v[220:221], v[222:223]
	ds_read_b128 v[220:223], v2 offset:1568
	ds_read_b128 v[140:143], v2 offset:1648
	s_waitcnt vmcnt(10) lgkmcnt(2)
	v_mul_f64 v[226:227], v[216:217], v[122:123]
	v_fmac_f64_e32 v[226:227], v[218:219], v[120:121]
	v_add_f64 v[228:229], v[224:225], v[226:227]
	s_waitcnt vmcnt(9) lgkmcnt(1)
	v_mul_f64 v[230:231], v[220:221], v[138:139]
	ds_read_b128 v[224:227], v2 offset:1584
	v_fmac_f64_e32 v[230:231], v[222:223], v[136:137]
	v_add_f64 v[232:233], v[228:229], v[230:231]
	ds_read_b128 v[228:231], v2 offset:1600
	v_mul_f64 v[150:151], v[186:187], v[150:151]
	s_waitcnt vmcnt(8) lgkmcnt(1)
	v_mul_f64 v[234:235], v[224:225], v[146:147]
	v_fmac_f64_e32 v[234:235], v[226:227], v[144:145]
	v_add_f64 v[236:237], v[232:233], v[234:235]
	s_waitcnt vmcnt(7) lgkmcnt(0)
	v_mul_f64 v[238:239], v[228:229], v[158:159]
	ds_read_b128 v[232:235], v2 offset:1616
	v_fmac_f64_e32 v[238:239], v[230:231], v[156:157]
	v_add_f64 v[242:243], v[236:237], v[238:239]
	ds_read_b128 v[236:239], v2 offset:1632
	v_fma_f64 v[252:253], v[184:185], v[148:149], -v[150:151]
	s_waitcnt vmcnt(6) lgkmcnt(1)
	v_mul_f64 v[244:245], v[232:233], v[162:163]
	v_fmac_f64_e32 v[244:245], v[234:235], v[160:161]
	ds_read_b128 v[148:151], v2 offset:1664
	s_waitcnt vmcnt(5) lgkmcnt(1)
	v_mul_f64 v[188:189], v[236:237], v[166:167]
	v_add_f64 v[242:243], v[242:243], v[244:245]
	v_fmac_f64_e32 v[188:189], v[238:239], v[164:165]
	s_waitcnt vmcnt(4)
	v_mul_f64 v[184:185], v[140:141], v[170:171]
	v_add_f64 v[188:189], v[242:243], v[188:189]
	v_fmac_f64_e32 v[184:185], v[142:143], v[168:169]
	v_add_f64 v[188:189], v[188:189], v[184:185]
	ds_read_b128 v[184:187], v2 offset:1680
	v_mul_f64 v[154:155], v[194:195], v[154:155]
	s_waitcnt vmcnt(3) lgkmcnt(1)
	v_mul_f64 v[190:191], v[148:149], v[174:175]
	v_fma_f64 v[244:245], v[192:193], v[152:153], -v[154:155]
	ds_read_b128 v[152:155], v2 offset:1696
	v_fmac_f64_e32 v[190:191], v[150:151], v[172:173]
	v_add_f64 v[242:243], v[188:189], v[190:191]
	ds_read_b128 v[188:191], v2 offset:1712
	s_waitcnt vmcnt(2) lgkmcnt(2)
	v_mul_f64 v[192:193], v[184:185], v[178:179]
	v_fmac_f64_e32 v[192:193], v[186:187], v[176:177]
	v_add_f64 v[2:3], v[242:243], v[192:193]
	s_waitcnt vmcnt(1) lgkmcnt(1)
	v_mul_f64 v[192:193], v[152:153], v[182:183]
	v_fmac_f64_e32 v[192:193], v[154:155], v[180:181]
	v_add_f64 v[2:3], v[2:3], v[192:193]
	s_waitcnt vmcnt(0) lgkmcnt(0)
	v_mul_f64 v[192:193], v[188:189], v[198:199]
	v_fmac_f64_e32 v[192:193], v[190:191], v[196:197]
	v_add_f64 v[2:3], v[2:3], v[192:193]
	scratch_load_dwordx4 v[192:195], off, off offset:352
	v_add_f64 v[242:243], v[250:251], 0
	v_add_f64 v[242:243], v[242:243], v[252:253]
	v_mul_f64 v[6:7], v[70:71], v[6:7]
	v_add_f64 v[242:243], v[242:243], v[244:245]
	v_fma_f64 v[4:5], v[68:69], v[4:5], -v[6:7]
	v_mul_f64 v[6:7], v[90:91], v[10:11]
	v_add_f64 v[4:5], v[242:243], v[4:5]
	v_fma_f64 v[6:7], v[88:89], v[8:9], -v[6:7]
	v_add_f64 v[4:5], v[4:5], v[6:7]
	v_mul_f64 v[6:7], v[86:87], v[14:15]
	v_fma_f64 v[6:7], v[84:85], v[12:13], -v[6:7]
	v_add_f64 v[4:5], v[4:5], v[6:7]
	v_mul_f64 v[6:7], v[82:83], v[18:19]
	;; [unrolled: 3-line block ×27, first 2 shown]
	v_fma_f64 v[6:7], v[188:189], v[196:197], -v[6:7]
	v_add_f64 v[4:5], v[4:5], v[6:7]
	s_waitcnt vmcnt(0)
	v_add_f64 v[4:5], v[192:193], -v[4:5]
	v_add_f64 v[6:7], v[194:195], -v[2:3]
	scratch_store_dwordx4 off, v[4:7], off offset:352
	s_and_saveexec_b64 s[0:1], vcc
	s_cbranch_execz .LBB117_297
; %bb.296:
	scratch_load_dwordx4 v[2:5], off, s50
	v_mov_b32_e32 v6, 0
	v_mov_b32_e32 v7, v6
	;; [unrolled: 1-line block ×4, first 2 shown]
	v_accvgpr_read_b32 v0, a109
	scratch_store_dwordx4 off, v[6:9], off offset:336
	s_waitcnt vmcnt(1)
	ds_write_b128 v0, v[2:5]
.LBB117_297:
	s_or_b64 exec, exec, s[0:1]
	s_waitcnt lgkmcnt(0)
	; wave barrier
	scratch_load_dwordx4 v[108:111], off, off offset:352
	scratch_load_dwordx4 v[116:119], off, off offset:368
	;; [unrolled: 1-line block ×33, first 2 shown]
	v_mov_b32_e32 v2, 0
	ds_read_b128 v[220:223], v2 offset:1200
	ds_read_b128 v[224:227], v2 offset:1216
	;; [unrolled: 1-line block ×16, first 2 shown]
	v_cmp_lt_u32_e32 vcc, 19, v240
	s_waitcnt vmcnt(32) lgkmcnt(14)
	v_mul_f64 v[180:181], v[220:221], v[110:111]
	s_waitcnt vmcnt(31)
	v_mul_f64 v[182:183], v[224:225], v[118:119]
	v_fmac_f64_e32 v[180:181], v[222:223], v[108:109]
	s_waitcnt vmcnt(30) lgkmcnt(13)
	v_mul_f64 v[184:185], v[234:235], v[122:123]
	v_fmac_f64_e32 v[182:183], v[226:227], v[116:117]
	v_add_f64 v[180:181], v[180:181], 0
	s_waitcnt vmcnt(29) lgkmcnt(12)
	v_mul_f64 v[186:187], v[242:243], v[126:127]
	v_fmac_f64_e32 v[184:185], v[236:237], v[120:121]
	v_add_f64 v[180:181], v[180:181], v[182:183]
	;; [unrolled: 4-line block ×13, first 2 shown]
	v_fmac_f64_e32 v[208:209], v[142:143], v[40:41]
	v_add_f64 v[180:181], v[180:181], v[206:207]
	v_add_f64 v[184:185], v[180:181], v[208:209]
	ds_read_b128 v[180:183], v2 offset:1456
	s_waitcnt vmcnt(17) lgkmcnt(1)
	v_mul_f64 v[186:187], v[136:137], v[46:47]
	v_fmac_f64_e32 v[186:187], v[138:139], v[44:45]
	v_add_f64 v[188:189], v[184:185], v[186:187]
	ds_read_b128 v[184:187], v2 offset:1472
	s_waitcnt vmcnt(16) lgkmcnt(1)
	v_mul_f64 v[190:191], v[180:181], v[50:51]
	v_fmac_f64_e32 v[190:191], v[182:183], v[48:49]
	;; [unrolled: 5-line block ×10, first 2 shown]
	v_mul_f64 v[110:111], v[222:223], v[110:111]
	v_add_f64 v[228:229], v[228:229], v[230:231]
	v_fma_f64 v[230:231], v[220:221], v[108:109], -v[110:111]
	ds_read_b128 v[108:111], v2 offset:1616
	s_waitcnt vmcnt(7) lgkmcnt(1)
	v_mul_f64 v[220:221], v[216:217], v[86:87]
	v_mul_f64 v[118:119], v[226:227], v[118:119]
	v_fmac_f64_e32 v[220:221], v[218:219], v[84:85]
	v_fma_f64 v[232:233], v[224:225], v[116:117], -v[118:119]
	ds_read_b128 v[116:119], v2 offset:1632
	s_waitcnt vmcnt(6) lgkmcnt(1)
	v_mul_f64 v[222:223], v[108:109], v[90:91]
	v_add_f64 v[220:221], v[228:229], v[220:221]
	v_fmac_f64_e32 v[222:223], v[110:111], v[88:89]
	v_add_f64 v[224:225], v[220:221], v[222:223]
	ds_read_b128 v[220:223], v2 offset:1648
	v_mul_f64 v[122:123], v[236:237], v[122:123]
	v_fma_f64 v[234:235], v[234:235], v[120:121], -v[122:123]
	ds_read_b128 v[120:123], v2 offset:1664
	s_waitcnt vmcnt(5) lgkmcnt(2)
	v_mul_f64 v[226:227], v[116:117], v[94:95]
	v_fmac_f64_e32 v[226:227], v[118:119], v[92:93]
	v_mul_f64 v[126:127], v[244:245], v[126:127]
	v_add_f64 v[224:225], v[224:225], v[226:227]
	s_waitcnt vmcnt(4) lgkmcnt(1)
	v_mul_f64 v[226:227], v[220:221], v[98:99]
	v_fma_f64 v[236:237], v[242:243], v[124:125], -v[126:127]
	ds_read_b128 v[124:127], v2 offset:1680
	v_fmac_f64_e32 v[226:227], v[222:223], v[96:97]
	v_add_f64 v[228:229], v[224:225], v[226:227]
	s_waitcnt vmcnt(3) lgkmcnt(1)
	v_mul_f64 v[238:239], v[120:121], v[102:103]
	ds_read_b128 v[224:227], v2 offset:1696
	v_fmac_f64_e32 v[238:239], v[122:123], v[100:101]
	v_mul_f64 v[130:131], v[252:253], v[130:131]
	v_add_f64 v[228:229], v[228:229], v[238:239]
	v_fma_f64 v[238:239], v[250:251], v[128:129], -v[130:131]
	ds_read_b128 v[128:131], v2 offset:1712
	s_waitcnt vmcnt(2) lgkmcnt(2)
	v_mul_f64 v[242:243], v[124:125], v[106:107]
	v_fmac_f64_e32 v[242:243], v[126:127], v[104:105]
	v_add_f64 v[228:229], v[228:229], v[242:243]
	s_waitcnt vmcnt(1) lgkmcnt(1)
	v_mul_f64 v[242:243], v[224:225], v[114:115]
	v_fmac_f64_e32 v[242:243], v[226:227], v[112:113]
	v_add_f64 v[228:229], v[228:229], v[242:243]
	;; [unrolled: 4-line block ×3, first 2 shown]
	scratch_load_dwordx4 v[242:245], off, off offset:336
	v_add_f64 v[230:231], v[230:231], 0
	v_add_f64 v[230:231], v[230:231], v[232:233]
	;; [unrolled: 1-line block ×4, first 2 shown]
	v_mul_f64 v[6:7], v[178:179], v[6:7]
	v_add_f64 v[230:231], v[230:231], v[238:239]
	v_fma_f64 v[4:5], v[176:177], v[4:5], -v[6:7]
	v_mul_f64 v[6:7], v[174:175], v[10:11]
	v_add_f64 v[4:5], v[230:231], v[4:5]
	v_fma_f64 v[6:7], v[172:173], v[8:9], -v[6:7]
	v_add_f64 v[4:5], v[4:5], v[6:7]
	v_mul_f64 v[6:7], v[170:171], v[14:15]
	v_fma_f64 v[6:7], v[168:169], v[12:13], -v[6:7]
	v_add_f64 v[4:5], v[4:5], v[6:7]
	v_mul_f64 v[6:7], v[166:167], v[18:19]
	;; [unrolled: 3-line block ×26, first 2 shown]
	v_fma_f64 v[6:7], v[128:129], v[132:133], -v[6:7]
	v_add_f64 v[4:5], v[4:5], v[6:7]
	s_waitcnt vmcnt(0)
	v_add_f64 v[4:5], v[242:243], -v[4:5]
	v_add_f64 v[6:7], v[244:245], -v[228:229]
	scratch_store_dwordx4 off, v[4:7], off offset:336
	s_and_saveexec_b64 s[0:1], vcc
	s_cbranch_execz .LBB117_299
; %bb.298:
	scratch_load_dwordx4 v[6:9], off, s51
	v_mov_b32_e32 v3, v2
	v_mov_b32_e32 v4, v2
	;; [unrolled: 1-line block ×3, first 2 shown]
	v_accvgpr_read_b32 v0, a109
	scratch_store_dwordx4 off, v[2:5], off offset:320
	s_waitcnt vmcnt(1)
	ds_write_b128 v0, v[6:9]
.LBB117_299:
	s_or_b64 exec, exec, s[0:1]
	s_waitcnt lgkmcnt(0)
	; wave barrier
	scratch_load_dwordx4 v[144:147], off, off offset:336
	scratch_load_dwordx4 v[152:155], off, off offset:352
	;; [unrolled: 1-line block ×16, first 2 shown]
	ds_read_b128 v[196:199], v2 offset:1184
	ds_read_b128 v[188:191], v2 offset:1200
	ds_read_b128 v[180:183], v2 offset:1216
	scratch_load_dwordx4 v[48:51], off, off offset:592
	ds_read_b128 v[192:195], v2 offset:1232
	ds_read_b128 v[184:187], v2 offset:1248
	ds_read_b128 v[64:67], v2 offset:1264
	scratch_load_dwordx4 v[52:55], off, off offset:608
	;; [unrolled: 4-line block ×5, first 2 shown]
	ds_read_b128 v[116:119], v2 offset:1424
	ds_read_b128 v[112:115], v2 offset:1440
	scratch_load_dwordx4 v[108:111], off, off offset:672
	scratch_load_dwordx4 v[120:123], off, off offset:688
	;; [unrolled: 1-line block ×12, first 2 shown]
	v_cmp_lt_u32_e32 vcc, 18, v240
	s_waitcnt vmcnt(32) lgkmcnt(14)
	v_mul_f64 v[204:205], v[196:197], v[146:147]
	s_waitcnt vmcnt(31)
	v_mul_f64 v[206:207], v[188:189], v[154:155]
	v_fmac_f64_e32 v[204:205], v[198:199], v[144:145]
	s_waitcnt vmcnt(30)
	v_mul_f64 v[208:209], v[180:181], v[158:159]
	v_fmac_f64_e32 v[206:207], v[190:191], v[152:153]
	v_add_f64 v[204:205], v[204:205], 0
	s_waitcnt vmcnt(29) lgkmcnt(13)
	v_mul_f64 v[210:211], v[192:193], v[162:163]
	v_fmac_f64_e32 v[208:209], v[182:183], v[156:157]
	v_add_f64 v[204:205], v[204:205], v[206:207]
	s_waitcnt vmcnt(28) lgkmcnt(12)
	;; [unrolled: 4-line block ×12, first 2 shown]
	v_mul_f64 v[232:233], v[96:97], v[42:43]
	v_fmac_f64_e32 v[230:231], v[102:103], v[36:37]
	v_add_f64 v[204:205], v[204:205], v[228:229]
	v_fmac_f64_e32 v[232:233], v[98:99], v[40:41]
	v_add_f64 v[204:205], v[204:205], v[230:231]
	s_waitcnt vmcnt(17) lgkmcnt(1)
	v_mul_f64 v[206:207], v[116:117], v[46:47]
	v_add_f64 v[204:205], v[204:205], v[232:233]
	v_fmac_f64_e32 v[206:207], v[118:119], v[44:45]
	s_waitcnt vmcnt(16) lgkmcnt(0)
	v_mul_f64 v[210:211], v[112:113], v[50:51]
	v_add_f64 v[208:209], v[204:205], v[206:207]
	ds_read_b128 v[204:207], v2 offset:1456
	v_fmac_f64_e32 v[210:211], v[114:115], v[48:49]
	v_add_f64 v[212:213], v[208:209], v[210:211]
	ds_read_b128 v[208:211], v2 offset:1472
	v_mul_f64 v[146:147], v[198:199], v[146:147]
	s_waitcnt vmcnt(15) lgkmcnt(1)
	v_mul_f64 v[214:215], v[204:205], v[54:55]
	v_fmac_f64_e32 v[214:215], v[206:207], v[52:53]
	v_add_f64 v[216:217], v[212:213], v[214:215]
	s_waitcnt vmcnt(14) lgkmcnt(0)
	v_mul_f64 v[218:219], v[208:209], v[58:59]
	ds_read_b128 v[212:215], v2 offset:1488
	v_fmac_f64_e32 v[218:219], v[210:211], v[56:57]
	v_add_f64 v[220:221], v[216:217], v[218:219]
	ds_read_b128 v[216:219], v2 offset:1504
	v_mul_f64 v[154:155], v[190:191], v[154:155]
	s_waitcnt vmcnt(13) lgkmcnt(1)
	v_mul_f64 v[222:223], v[212:213], v[62:63]
	v_fmac_f64_e32 v[222:223], v[214:215], v[60:61]
	v_add_f64 v[224:225], v[220:221], v[222:223]
	s_waitcnt vmcnt(12) lgkmcnt(0)
	v_mul_f64 v[226:227], v[216:217], v[94:95]
	ds_read_b128 v[220:223], v2 offset:1520
	v_fmac_f64_e32 v[226:227], v[218:219], v[92:93]
	v_add_f64 v[228:229], v[224:225], v[226:227]
	ds_read_b128 v[224:227], v2 offset:1536
	v_fma_f64 v[250:251], v[188:189], v[152:153], -v[154:155]
	s_waitcnt vmcnt(11) lgkmcnt(1)
	v_mul_f64 v[230:231], v[220:221], v[110:111]
	v_fmac_f64_e32 v[230:231], v[222:223], v[108:109]
	v_add_f64 v[232:233], v[228:229], v[230:231]
	s_waitcnt vmcnt(10) lgkmcnt(0)
	v_mul_f64 v[234:235], v[224:225], v[122:123]
	ds_read_b128 v[228:231], v2 offset:1552
	v_fmac_f64_e32 v[234:235], v[226:227], v[120:121]
	v_add_f64 v[236:237], v[232:233], v[234:235]
	ds_read_b128 v[232:235], v2 offset:1568
	ds_read_b128 v[152:155], v2 offset:1616
	s_waitcnt vmcnt(9) lgkmcnt(2)
	v_mul_f64 v[238:239], v[228:229], v[126:127]
	v_fmac_f64_e32 v[238:239], v[230:231], v[124:125]
	v_add_f64 v[242:243], v[236:237], v[238:239]
	s_waitcnt vmcnt(8) lgkmcnt(1)
	v_mul_f64 v[244:245], v[232:233], v[130:131]
	ds_read_b128 v[236:239], v2 offset:1584
	v_fmac_f64_e32 v[244:245], v[234:235], v[128:129]
	v_add_f64 v[242:243], v[242:243], v[244:245]
	v_fma_f64 v[244:245], v[196:197], v[144:145], -v[146:147]
	ds_read_b128 v[144:147], v2 offset:1600
	s_waitcnt vmcnt(7) lgkmcnt(1)
	v_mul_f64 v[196:197], v[236:237], v[134:135]
	v_fmac_f64_e32 v[196:197], v[238:239], v[132:133]
	v_add_f64 v[188:189], v[242:243], v[196:197]
	v_mul_f64 v[158:159], v[182:183], v[158:159]
	s_waitcnt vmcnt(6) lgkmcnt(0)
	v_mul_f64 v[190:191], v[144:145], v[138:139]
	v_fmac_f64_e32 v[190:191], v[146:147], v[136:137]
	v_add_f64 v[196:197], v[188:189], v[190:191]
	ds_read_b128 v[188:191], v2 offset:1632
	v_fma_f64 v[242:243], v[180:181], v[156:157], -v[158:159]
	ds_read_b128 v[156:159], v2 offset:1648
	s_waitcnt vmcnt(5)
	v_mul_f64 v[198:199], v[152:153], v[142:143]
	v_fmac_f64_e32 v[198:199], v[154:155], v[140:141]
	s_waitcnt vmcnt(4) lgkmcnt(1)
	v_mul_f64 v[180:181], v[188:189], v[150:151]
	v_add_f64 v[196:197], v[196:197], v[198:199]
	v_fmac_f64_e32 v[180:181], v[190:191], v[148:149]
	v_mul_f64 v[162:163], v[194:195], v[162:163]
	v_add_f64 v[198:199], v[196:197], v[180:181]
	v_fma_f64 v[196:197], v[192:193], v[160:161], -v[162:163]
	ds_read_b128 v[160:163], v2 offset:1664
	s_waitcnt vmcnt(3) lgkmcnt(1)
	v_mul_f64 v[192:193], v[156:157], v[166:167]
	ds_read_b128 v[180:183], v2 offset:1680
	v_fmac_f64_e32 v[192:193], v[158:159], v[164:165]
	v_mul_f64 v[170:171], v[186:187], v[170:171]
	v_add_f64 v[192:193], v[198:199], v[192:193]
	v_fma_f64 v[198:199], v[184:185], v[168:169], -v[170:171]
	ds_read_b128 v[168:171], v2 offset:1696
	s_waitcnt vmcnt(2) lgkmcnt(2)
	v_mul_f64 v[184:185], v[160:161], v[174:175]
	v_fmac_f64_e32 v[184:185], v[162:163], v[172:173]
	s_waitcnt vmcnt(1) lgkmcnt(1)
	v_mul_f64 v[186:187], v[180:181], v[178:179]
	v_add_f64 v[184:185], v[192:193], v[184:185]
	v_fmac_f64_e32 v[186:187], v[182:183], v[176:177]
	v_add_f64 v[184:185], v[184:185], v[186:187]
	s_waitcnt vmcnt(0) lgkmcnt(0)
	v_mul_f64 v[186:187], v[168:169], v[202:203]
	v_fmac_f64_e32 v[186:187], v[170:171], v[200:201]
	v_add_f64 v[252:253], v[184:185], v[186:187]
	scratch_load_dwordx4 v[184:187], off, off offset:864
	v_add_f64 v[244:245], v[244:245], 0
	v_add_f64 v[244:245], v[244:245], v[250:251]
	;; [unrolled: 1-line block ×3, first 2 shown]
	scratch_load_dwordx4 v[242:245], off, off offset:320
	v_add_f64 v[196:197], v[250:251], v[196:197]
	v_mul_f64 v[6:7], v[66:67], v[6:7]
	v_add_f64 v[196:197], v[196:197], v[198:199]
	v_fma_f64 v[4:5], v[64:65], v[4:5], -v[6:7]
	v_mul_f64 v[6:7], v[78:79], v[10:11]
	v_add_f64 v[4:5], v[196:197], v[4:5]
	v_fma_f64 v[6:7], v[76:77], v[8:9], -v[6:7]
	v_add_f64 v[4:5], v[4:5], v[6:7]
	v_mul_f64 v[6:7], v[74:75], v[14:15]
	v_fma_f64 v[6:7], v[72:73], v[12:13], -v[6:7]
	v_add_f64 v[4:5], v[4:5], v[6:7]
	v_mul_f64 v[6:7], v[70:71], v[18:19]
	;; [unrolled: 3-line block ×24, first 2 shown]
	ds_read_b128 v[192:195], v2 offset:1712
	v_fma_f64 v[6:7], v[160:161], v[172:173], -v[6:7]
	v_add_f64 v[4:5], v[4:5], v[6:7]
	v_mul_f64 v[6:7], v[182:183], v[178:179]
	v_fma_f64 v[6:7], v[180:181], v[176:177], -v[6:7]
	v_add_f64 v[4:5], v[4:5], v[6:7]
	v_mul_f64 v[6:7], v[170:171], v[202:203]
	v_fma_f64 v[6:7], v[168:169], v[200:201], -v[6:7]
	s_waitcnt vmcnt(1) lgkmcnt(0)
	v_mul_f64 v[2:3], v[192:193], v[186:187]
	v_add_f64 v[4:5], v[4:5], v[6:7]
	v_mul_f64 v[6:7], v[194:195], v[186:187]
	v_fmac_f64_e32 v[2:3], v[194:195], v[184:185]
	v_fma_f64 v[6:7], v[192:193], v[184:185], -v[6:7]
	v_add_f64 v[2:3], v[252:253], v[2:3]
	v_add_f64 v[4:5], v[4:5], v[6:7]
	s_waitcnt vmcnt(0)
	v_add_f64 v[4:5], v[242:243], -v[4:5]
	v_add_f64 v[6:7], v[244:245], -v[2:3]
	scratch_store_dwordx4 off, v[4:7], off offset:320
	s_and_saveexec_b64 s[0:1], vcc
	s_cbranch_execz .LBB117_301
; %bb.300:
	scratch_load_dwordx4 v[2:5], off, s52
	v_mov_b32_e32 v6, 0
	v_mov_b32_e32 v7, v6
	;; [unrolled: 1-line block ×4, first 2 shown]
	v_accvgpr_read_b32 v0, a109
	scratch_store_dwordx4 off, v[6:9], off offset:304
	s_waitcnt vmcnt(1)
	ds_write_b128 v0, v[2:5]
.LBB117_301:
	s_or_b64 exec, exec, s[0:1]
	s_waitcnt lgkmcnt(0)
	; wave barrier
	scratch_load_dwordx4 v[184:187], off, off offset:320
	scratch_load_dwordx4 v[188:191], off, off offset:336
	scratch_load_dwordx4 v[196:199], off, off offset:352
	scratch_load_dwordx4 v[200:203], off, off offset:368
	scratch_load_dwordx4 v[208:211], off, off offset:384
	scratch_load_dwordx4 v[212:215], off, off offset:400
	scratch_load_dwordx4 v[220:223], off, off offset:416
	scratch_load_dwordx4 v[4:7], off, off offset:432
	scratch_load_dwordx4 v[8:11], off, off offset:448
	scratch_load_dwordx4 v[12:15], off, off offset:464
	scratch_load_dwordx4 v[16:19], off, off offset:480
	scratch_load_dwordx4 v[20:23], off, off offset:496
	scratch_load_dwordx4 v[24:27], off, off offset:512
	scratch_load_dwordx4 v[28:31], off, off offset:528
	scratch_load_dwordx4 v[32:35], off, off offset:544
	scratch_load_dwordx4 v[36:39], off, off offset:560
	scratch_load_dwordx4 v[40:43], off, off offset:576
	scratch_load_dwordx4 v[44:47], off, off offset:592
	scratch_load_dwordx4 v[48:51], off, off offset:608
	scratch_load_dwordx4 v[52:55], off, off offset:624
	scratch_load_dwordx4 v[56:59], off, off offset:640
	scratch_load_dwordx4 v[60:63], off, off offset:656
	scratch_load_dwordx4 v[64:67], off, off offset:672
	scratch_load_dwordx4 v[68:71], off, off offset:688
	scratch_load_dwordx4 v[72:75], off, off offset:704
	scratch_load_dwordx4 v[76:79], off, off offset:720
	scratch_load_dwordx4 v[80:83], off, off offset:736
	scratch_load_dwordx4 v[84:87], off, off offset:752
	scratch_load_dwordx4 v[88:91], off, off offset:768
	scratch_load_dwordx4 v[92:95], off, off offset:784
	scratch_load_dwordx4 v[100:103], off, off offset:800
	scratch_load_dwordx4 v[96:99], off, off offset:816
	v_mov_b32_e32 v2, 0
	ds_read_b128 v[192:195], v2 offset:1168
	ds_read_b128 v[204:207], v2 offset:1184
	;; [unrolled: 1-line block ×16, first 2 shown]
	v_cmp_lt_u32_e32 vcc, 17, v240
	s_waitcnt vmcnt(31) lgkmcnt(14)
	v_mul_f64 v[104:105], v[192:193], v[186:187]
	s_waitcnt vmcnt(30)
	v_mul_f64 v[106:107], v[204:205], v[190:191]
	v_fmac_f64_e32 v[104:105], v[194:195], v[184:185]
	s_waitcnt vmcnt(29) lgkmcnt(13)
	v_mul_f64 v[112:113], v[216:217], v[198:199]
	v_fmac_f64_e32 v[106:107], v[206:207], v[188:189]
	v_add_f64 v[104:105], v[104:105], 0
	s_waitcnt vmcnt(28) lgkmcnt(12)
	v_mul_f64 v[114:115], v[224:225], v[202:203]
	v_fmac_f64_e32 v[112:113], v[218:219], v[196:197]
	v_add_f64 v[104:105], v[104:105], v[106:107]
	;; [unrolled: 4-line block ×10, first 2 shown]
	ds_read_b128 v[152:155], v2 offset:1424
	ds_read_b128 v[156:159], v2 offset:1440
	s_waitcnt vmcnt(19) lgkmcnt(5)
	v_mul_f64 v[164:165], v[124:125], v[26:27]
	v_fmac_f64_e32 v[162:163], v[134:135], v[20:21]
	v_add_f64 v[104:105], v[104:105], v[160:161]
	s_waitcnt vmcnt(18) lgkmcnt(4)
	v_mul_f64 v[166:167], v[120:121], v[30:31]
	v_fmac_f64_e32 v[164:165], v[126:127], v[24:25]
	v_add_f64 v[104:105], v[104:105], v[162:163]
	;; [unrolled: 4-line block ×4, first 2 shown]
	v_add_f64 v[112:113], v[104:105], v[168:169]
	v_fmac_f64_e32 v[170:171], v[110:111], v[36:37]
	scratch_load_dwordx4 v[104:107], off, off offset:832
	s_waitcnt vmcnt(16) lgkmcnt(1)
	v_mul_f64 v[114:115], v[152:153], v[42:43]
	v_add_f64 v[112:113], v[112:113], v[170:171]
	v_fmac_f64_e32 v[114:115], v[154:155], v[40:41]
	v_add_f64 v[128:129], v[112:113], v[114:115]
	scratch_load_dwordx4 v[112:115], off, off offset:848
	s_waitcnt vmcnt(16) lgkmcnt(0)
	v_mul_f64 v[130:131], v[156:157], v[46:47]
	v_fmac_f64_e32 v[130:131], v[158:159], v[44:45]
	v_add_f64 v[168:169], v[128:129], v[130:131]
	scratch_load_dwordx4 v[128:131], off, off offset:864
	ds_read_b128 v[160:163], v2 offset:1456
	ds_read_b128 v[164:167], v2 offset:1472
	v_mul_f64 v[186:187], v[194:195], v[186:187]
	v_fma_f64 v[254:255], v[192:193], v[184:185], -v[186:187]
	ds_read_b128 v[184:187], v2 offset:1552
	s_waitcnt vmcnt(16) lgkmcnt(2)
	v_mul_f64 v[170:171], v[160:161], v[50:51]
	v_fmac_f64_e32 v[170:171], v[162:163], v[48:49]
	s_waitcnt vmcnt(15) lgkmcnt(1)
	v_mul_f64 v[174:175], v[164:165], v[54:55]
	v_add_f64 v[172:173], v[168:169], v[170:171]
	ds_read_b128 v[168:171], v2 offset:1488
	v_fmac_f64_e32 v[174:175], v[166:167], v[52:53]
	v_add_f64 v[176:177], v[172:173], v[174:175]
	ds_read_b128 v[172:175], v2 offset:1504
	v_mul_f64 v[190:191], v[206:207], v[190:191]
	s_waitcnt vmcnt(14) lgkmcnt(1)
	v_mul_f64 v[178:179], v[168:169], v[58:59]
	v_fmac_f64_e32 v[178:179], v[170:171], v[56:57]
	v_add_f64 v[180:181], v[176:177], v[178:179]
	s_waitcnt vmcnt(13) lgkmcnt(0)
	v_mul_f64 v[182:183], v[172:173], v[62:63]
	ds_read_b128 v[176:179], v2 offset:1520
	v_fmac_f64_e32 v[182:183], v[174:175], v[60:61]
	v_add_f64 v[232:233], v[180:181], v[182:183]
	ds_read_b128 v[180:183], v2 offset:1536
	v_fma_f64 v[246:247], v[204:205], v[188:189], -v[190:191]
	s_waitcnt vmcnt(12) lgkmcnt(1)
	v_mul_f64 v[234:235], v[176:177], v[66:67]
	v_fmac_f64_e32 v[234:235], v[178:179], v[64:65]
	v_add_f64 v[232:233], v[232:233], v[234:235]
	s_waitcnt vmcnt(11) lgkmcnt(0)
	v_mul_f64 v[192:193], v[180:181], v[70:71]
	v_fmac_f64_e32 v[192:193], v[182:183], v[68:69]
	ds_read_b128 v[188:191], v2 offset:1568
	s_waitcnt vmcnt(10)
	v_mul_f64 v[194:195], v[184:185], v[74:75]
	v_add_f64 v[192:193], v[232:233], v[192:193]
	v_fmac_f64_e32 v[194:195], v[186:187], v[72:73]
	v_add_f64 v[204:205], v[192:193], v[194:195]
	ds_read_b128 v[192:195], v2 offset:1584
	v_mul_f64 v[198:199], v[218:219], v[198:199]
	v_fma_f64 v[248:249], v[216:217], v[196:197], -v[198:199]
	ds_read_b128 v[196:199], v2 offset:1600
	s_waitcnt vmcnt(9) lgkmcnt(2)
	v_mul_f64 v[206:207], v[188:189], v[78:79]
	v_fmac_f64_e32 v[206:207], v[190:191], v[76:77]
	v_add_f64 v[204:205], v[204:205], v[206:207]
	s_waitcnt vmcnt(8) lgkmcnt(1)
	v_mul_f64 v[206:207], v[192:193], v[82:83]
	v_fmac_f64_e32 v[206:207], v[194:195], v[80:81]
	v_mul_f64 v[202:203], v[226:227], v[202:203]
	v_add_f64 v[204:205], v[204:205], v[206:207]
	v_fma_f64 v[234:235], v[224:225], v[200:201], -v[202:203]
	ds_read_b128 v[200:203], v2 offset:1616
	s_waitcnt vmcnt(7) lgkmcnt(1)
	v_mul_f64 v[206:207], v[196:197], v[86:87]
	v_fmac_f64_e32 v[206:207], v[198:199], v[84:85]
	v_add_f64 v[216:217], v[204:205], v[206:207]
	ds_read_b128 v[204:207], v2 offset:1632
	v_mul_f64 v[210:211], v[230:231], v[210:211]
	v_fma_f64 v[236:237], v[228:229], v[208:209], -v[210:211]
	ds_read_b128 v[208:211], v2 offset:1648
	s_waitcnt vmcnt(6) lgkmcnt(2)
	v_mul_f64 v[218:219], v[200:201], v[90:91]
	v_fmac_f64_e32 v[218:219], v[202:203], v[88:89]
	v_add_f64 v[216:217], v[216:217], v[218:219]
	s_waitcnt vmcnt(5) lgkmcnt(1)
	v_mul_f64 v[218:219], v[204:205], v[94:95]
	v_fmac_f64_e32 v[218:219], v[206:207], v[92:93]
	v_mul_f64 v[214:215], v[244:245], v[214:215]
	v_fma_f64 v[238:239], v[242:243], v[212:213], -v[214:215]
	ds_read_b128 v[212:215], v2 offset:1664
	v_add_f64 v[216:217], v[216:217], v[218:219]
	s_waitcnt vmcnt(4) lgkmcnt(1)
	v_mul_f64 v[218:219], v[208:209], v[102:103]
	v_fmac_f64_e32 v[218:219], v[210:211], v[100:101]
	v_add_f64 v[224:225], v[216:217], v[218:219]
	ds_read_b128 v[216:219], v2 offset:1680
	v_mul_f64 v[222:223], v[252:253], v[222:223]
	v_fma_f64 v[250:251], v[250:251], v[220:221], -v[222:223]
	ds_read_b128 v[220:223], v2 offset:1696
	s_waitcnt vmcnt(3) lgkmcnt(2)
	v_mul_f64 v[226:227], v[212:213], v[98:99]
	v_fmac_f64_e32 v[226:227], v[214:215], v[96:97]
	v_add_f64 v[224:225], v[224:225], v[226:227]
	s_waitcnt vmcnt(2) lgkmcnt(1)
	v_mul_f64 v[226:227], v[216:217], v[106:107]
	v_fmac_f64_e32 v[226:227], v[218:219], v[104:105]
	v_add_f64 v[224:225], v[224:225], v[226:227]
	;; [unrolled: 4-line block ×3, first 2 shown]
	ds_read_b128 v[224:227], v2 offset:1712
	v_mul_f64 v[6:7], v[150:151], v[6:7]
	v_fma_f64 v[4:5], v[148:149], v[4:5], -v[6:7]
	v_mul_f64 v[6:7], v[146:147], v[10:11]
	v_fma_f64 v[6:7], v[144:145], v[8:9], -v[6:7]
	s_waitcnt vmcnt(0) lgkmcnt(0)
	v_mul_f64 v[230:231], v[224:225], v[130:131]
	v_fmac_f64_e32 v[230:231], v[226:227], v[128:129]
	v_add_f64 v[232:233], v[228:229], v[230:231]
	v_add_f64 v[228:229], v[254:255], 0
	;; [unrolled: 1-line block ×4, first 2 shown]
	scratch_load_dwordx4 v[228:231], off, off offset:304
	v_add_f64 v[234:235], v[252:253], v[234:235]
	v_add_f64 v[234:235], v[234:235], v[236:237]
	v_add_f64 v[234:235], v[234:235], v[238:239]
	v_add_f64 v[234:235], v[234:235], v[250:251]
	v_add_f64 v[4:5], v[234:235], v[4:5]
	v_add_f64 v[4:5], v[4:5], v[6:7]
	v_mul_f64 v[6:7], v[142:143], v[14:15]
	v_fma_f64 v[6:7], v[140:141], v[12:13], -v[6:7]
	v_add_f64 v[4:5], v[4:5], v[6:7]
	v_mul_f64 v[6:7], v[138:139], v[18:19]
	v_fma_f64 v[6:7], v[136:137], v[16:17], -v[6:7]
	v_add_f64 v[4:5], v[4:5], v[6:7]
	;; [unrolled: 3-line block ×26, first 2 shown]
	s_waitcnt vmcnt(0)
	v_add_f64 v[4:5], v[228:229], -v[4:5]
	v_add_f64 v[6:7], v[230:231], -v[232:233]
	scratch_store_dwordx4 off, v[4:7], off offset:304
	s_and_saveexec_b64 s[0:1], vcc
	s_cbranch_execz .LBB117_303
; %bb.302:
	scratch_load_dwordx4 v[6:9], off, s53
	v_mov_b32_e32 v3, v2
	v_mov_b32_e32 v4, v2
	;; [unrolled: 1-line block ×3, first 2 shown]
	v_accvgpr_read_b32 v0, a109
	scratch_store_dwordx4 off, v[2:5], off offset:288
	s_waitcnt vmcnt(1)
	ds_write_b128 v0, v[6:9]
.LBB117_303:
	s_or_b64 exec, exec, s[0:1]
	s_waitcnt lgkmcnt(0)
	; wave barrier
	scratch_load_dwordx4 v[140:143], off, off offset:304
	scratch_load_dwordx4 v[144:147], off, off offset:320
	;; [unrolled: 1-line block ×16, first 2 shown]
	ds_read_b128 v[208:211], v2 offset:1152
	ds_read_b128 v[200:203], v2 offset:1168
	;; [unrolled: 1-line block ×3, first 2 shown]
	scratch_load_dwordx4 v[40:43], off, off offset:560
	ds_read_b128 v[204:207], v2 offset:1200
	ds_read_b128 v[192:195], v2 offset:1216
	;; [unrolled: 1-line block ×3, first 2 shown]
	scratch_load_dwordx4 v[44:47], off, off offset:576
	ds_read_b128 v[196:199], v2 offset:1248
	ds_read_b128 v[64:67], v2 offset:1264
	;; [unrolled: 1-line block ×4, first 2 shown]
	scratch_load_dwordx4 v[48:51], off, off offset:592
	ds_read_b128 v[72:75], v2 offset:1312
	ds_read_b128 v[68:71], v2 offset:1328
	scratch_load_dwordx4 v[56:59], off, off offset:608
	ds_read_b128 v[92:95], v2 offset:1344
	ds_read_b128 v[88:91], v2 offset:1360
	;; [unrolled: 1-line block ×4, first 2 shown]
	scratch_load_dwordx4 v[76:79], off, off offset:624
	scratch_load_dwordx4 v[96:99], off, off offset:640
	;; [unrolled: 1-line block ×12, first 2 shown]
	ds_read_b128 v[168:171], v2 offset:1408
	v_accvgpr_write_b32 a108, v240
	v_cmp_lt_u32_e32 vcc, 16, v240
	s_waitcnt vmcnt(31) lgkmcnt(14)
	v_mul_f64 v[172:173], v[208:209], v[142:143]
	s_waitcnt vmcnt(30)
	v_mul_f64 v[174:175], v[200:201], v[146:147]
	v_fmac_f64_e32 v[172:173], v[210:211], v[140:141]
	s_waitcnt vmcnt(29)
	v_mul_f64 v[176:177], v[188:189], v[150:151]
	v_fmac_f64_e32 v[174:175], v[202:203], v[144:145]
	v_add_f64 v[172:173], v[172:173], 0
	s_waitcnt vmcnt(28) lgkmcnt(13)
	v_mul_f64 v[178:179], v[204:205], v[154:155]
	v_fmac_f64_e32 v[176:177], v[190:191], v[148:149]
	v_add_f64 v[172:173], v[172:173], v[174:175]
	s_waitcnt vmcnt(27) lgkmcnt(12)
	;; [unrolled: 4-line block ×10, first 2 shown]
	v_mul_f64 v[224:225], v[92:93], v[26:27]
	v_fmac_f64_e32 v[222:223], v[70:71], v[20:21]
	v_add_f64 v[172:173], v[172:173], v[220:221]
	ds_read_b128 v[212:215], v2 offset:1424
	s_waitcnt vmcnt(18) lgkmcnt(4)
	v_mul_f64 v[226:227], v[88:89], v[30:31]
	v_fmac_f64_e32 v[224:225], v[94:95], v[24:25]
	v_add_f64 v[172:173], v[172:173], v[222:223]
	ds_read_b128 v[216:219], v2 offset:1440
	ds_read_b128 v[220:223], v2 offset:1456
	s_waitcnt vmcnt(17) lgkmcnt(5)
	v_mul_f64 v[228:229], v[84:85], v[34:35]
	v_fmac_f64_e32 v[226:227], v[90:91], v[28:29]
	v_add_f64 v[172:173], v[172:173], v[224:225]
	s_waitcnt vmcnt(16) lgkmcnt(4)
	v_mul_f64 v[230:231], v[80:81], v[38:39]
	v_fmac_f64_e32 v[228:229], v[86:87], v[32:33]
	v_add_f64 v[172:173], v[172:173], v[226:227]
	v_add_f64 v[176:177], v[172:173], v[228:229]
	v_fmac_f64_e32 v[230:231], v[82:83], v[36:37]
	s_waitcnt vmcnt(15) lgkmcnt(3)
	v_mul_f64 v[178:179], v[168:169], v[42:43]
	v_add_f64 v[176:177], v[176:177], v[230:231]
	v_fmac_f64_e32 v[178:179], v[170:171], v[40:41]
	s_waitcnt vmcnt(14) lgkmcnt(2)
	v_mul_f64 v[182:183], v[212:213], v[46:47]
	;; [unrolled: 4-line block ×3, first 2 shown]
	v_add_f64 v[224:225], v[180:181], v[182:183]
	v_fmac_f64_e32 v[226:227], v[218:219], v[48:49]
	v_add_f64 v[228:229], v[224:225], v[226:227]
	ds_read_b128 v[224:227], v2 offset:1472
	s_waitcnt vmcnt(12) lgkmcnt(1)
	v_mul_f64 v[230:231], v[220:221], v[58:59]
	v_fmac_f64_e32 v[230:231], v[222:223], v[56:57]
	v_add_f64 v[232:233], v[228:229], v[230:231]
	ds_read_b128 v[228:231], v2 offset:1488
	s_waitcnt vmcnt(11) lgkmcnt(1)
	v_mul_f64 v[234:235], v[224:225], v[78:79]
	;; [unrolled: 5-line block ×4, first 2 shown]
	v_fmac_f64_e32 v[244:245], v[234:235], v[100:101]
	v_mul_f64 v[142:143], v[210:211], v[142:143]
	v_add_f64 v[242:243], v[242:243], v[244:245]
	v_fma_f64 v[244:245], v[208:209], v[140:141], -v[142:143]
	ds_read_b128 v[140:143], v2 offset:1536
	s_waitcnt vmcnt(8) lgkmcnt(1)
	v_mul_f64 v[208:209], v[236:237], v[106:107]
	v_fmac_f64_e32 v[208:209], v[238:239], v[104:105]
	v_mul_f64 v[146:147], v[202:203], v[146:147]
	v_add_f64 v[208:209], v[242:243], v[208:209]
	v_fma_f64 v[242:243], v[200:201], v[144:145], -v[146:147]
	ds_read_b128 v[144:147], v2 offset:1552
	s_waitcnt vmcnt(7) lgkmcnt(1)
	v_mul_f64 v[200:201], v[140:141], v[110:111]
	scratch_load_dwordx4 v[172:175], off, off offset:816
	v_fmac_f64_e32 v[200:201], v[142:143], v[108:109]
	v_add_f64 v[208:209], v[208:209], v[200:201]
	ds_read_b128 v[200:203], v2 offset:1568
	v_mul_f64 v[150:151], v[190:191], v[150:151]
	scratch_load_dwordx4 v[176:179], off, off offset:832
	scratch_load_dwordx4 v[180:183], off, off offset:848
	v_fma_f64 v[246:247], v[188:189], v[148:149], -v[150:151]
	ds_read_b128 v[148:151], v2 offset:1584
	s_waitcnt vmcnt(9) lgkmcnt(2)
	v_mul_f64 v[210:211], v[144:145], v[114:115]
	v_fmac_f64_e32 v[210:211], v[146:147], v[112:113]
	s_waitcnt vmcnt(8) lgkmcnt(1)
	v_mul_f64 v[188:189], v[200:201], v[118:119]
	v_add_f64 v[208:209], v[208:209], v[210:211]
	v_fmac_f64_e32 v[188:189], v[202:203], v[116:117]
	v_mul_f64 v[154:155], v[206:207], v[154:155]
	s_waitcnt vmcnt(7) lgkmcnt(0)
	v_mul_f64 v[190:191], v[148:149], v[122:123]
	v_add_f64 v[188:189], v[208:209], v[188:189]
	v_fma_f64 v[248:249], v[204:205], v[152:153], -v[154:155]
	ds_read_b128 v[152:155], v2 offset:1600
	v_fmac_f64_e32 v[190:191], v[150:151], v[120:121]
	v_add_f64 v[204:205], v[188:189], v[190:191]
	ds_read_b128 v[188:191], v2 offset:1616
	v_mul_f64 v[158:159], v[194:195], v[158:159]
	s_waitcnt vmcnt(6) lgkmcnt(1)
	v_mul_f64 v[206:207], v[152:153], v[126:127]
	v_fmac_f64_e32 v[206:207], v[154:155], v[124:125]
	v_fma_f64 v[250:251], v[192:193], v[156:157], -v[158:159]
	s_waitcnt vmcnt(5) lgkmcnt(0)
	v_mul_f64 v[192:193], v[188:189], v[130:131]
	v_add_f64 v[204:205], v[204:205], v[206:207]
	v_fmac_f64_e32 v[192:193], v[190:191], v[128:129]
	v_mul_f64 v[162:163], v[186:187], v[162:163]
	v_add_f64 v[244:245], v[244:245], 0
	v_fma_f64 v[208:209], v[184:185], v[160:161], -v[162:163]
	v_add_f64 v[184:185], v[204:205], v[192:193]
	scratch_load_dwordx4 v[204:207], off, off offset:864
	v_add_f64 v[242:243], v[244:245], v[242:243]
	v_add_f64 v[242:243], v[242:243], v[246:247]
	;; [unrolled: 1-line block ×4, first 2 shown]
	scratch_load_dwordx4 v[242:245], off, off offset:288
	v_mul_f64 v[166:167], v[198:199], v[166:167]
	v_fma_f64 v[210:211], v[196:197], v[164:165], -v[166:167]
	v_add_f64 v[208:209], v[250:251], v[208:209]
	v_mul_f64 v[6:7], v[66:67], v[6:7]
	v_add_f64 v[208:209], v[208:209], v[210:211]
	v_fma_f64 v[4:5], v[64:65], v[4:5], -v[6:7]
	v_mul_f64 v[6:7], v[62:63], v[10:11]
	v_add_f64 v[4:5], v[208:209], v[4:5]
	v_fma_f64 v[6:7], v[60:61], v[8:9], -v[6:7]
	v_add_f64 v[4:5], v[4:5], v[6:7]
	v_mul_f64 v[6:7], v[54:55], v[14:15]
	v_fma_f64 v[6:7], v[52:53], v[12:13], -v[6:7]
	v_add_f64 v[4:5], v[4:5], v[6:7]
	v_mul_f64 v[6:7], v[74:75], v[18:19]
	;; [unrolled: 3-line block ×12, first 2 shown]
	v_fma_f64 v[6:7], v[224:225], v[76:77], -v[6:7]
	ds_read_b128 v[156:159], v2 offset:1632
	ds_read_b128 v[160:163], v2 offset:1648
	v_add_f64 v[4:5], v[4:5], v[6:7]
	v_mul_f64 v[6:7], v[230:231], v[98:99]
	v_fma_f64 v[6:7], v[228:229], v[96:97], -v[6:7]
	v_add_f64 v[4:5], v[4:5], v[6:7]
	v_mul_f64 v[6:7], v[234:235], v[102:103]
	v_fma_f64 v[6:7], v[232:233], v[100:101], -v[6:7]
	v_add_f64 v[4:5], v[4:5], v[6:7]
	v_mul_f64 v[6:7], v[238:239], v[106:107]
	s_waitcnt vmcnt(6) lgkmcnt(1)
	v_mul_f64 v[186:187], v[156:157], v[138:139]
	v_fma_f64 v[6:7], v[236:237], v[104:105], -v[6:7]
	v_fmac_f64_e32 v[186:187], v[158:159], v[136:137]
	v_add_f64 v[4:5], v[4:5], v[6:7]
	v_mul_f64 v[6:7], v[142:143], v[110:111]
	v_add_f64 v[192:193], v[184:185], v[186:187]
	ds_read_b128 v[184:187], v2 offset:1664
	ds_read_b128 v[164:167], v2 offset:1680
	v_fma_f64 v[6:7], v[140:141], v[108:109], -v[6:7]
	v_add_f64 v[4:5], v[4:5], v[6:7]
	v_mul_f64 v[6:7], v[146:147], v[114:115]
	v_fma_f64 v[6:7], v[144:145], v[112:113], -v[6:7]
	s_waitcnt vmcnt(5) lgkmcnt(2)
	v_mul_f64 v[194:195], v[160:161], v[134:135]
	v_add_f64 v[4:5], v[4:5], v[6:7]
	v_mul_f64 v[6:7], v[202:203], v[118:119]
	v_fmac_f64_e32 v[194:195], v[162:163], v[132:133]
	v_fma_f64 v[6:7], v[200:201], v[116:117], -v[6:7]
	v_add_f64 v[192:193], v[192:193], v[194:195]
	s_waitcnt vmcnt(4) lgkmcnt(1)
	v_mul_f64 v[194:195], v[184:185], v[174:175]
	v_add_f64 v[4:5], v[4:5], v[6:7]
	v_mul_f64 v[6:7], v[150:151], v[122:123]
	v_fmac_f64_e32 v[194:195], v[186:187], v[172:173]
	v_fma_f64 v[6:7], v[148:149], v[120:121], -v[6:7]
	v_add_f64 v[192:193], v[192:193], v[194:195]
	;; [unrolled: 7-line block ×3, first 2 shown]
	ds_read_b128 v[192:195], v2 offset:1696
	v_add_f64 v[4:5], v[4:5], v[6:7]
	v_mul_f64 v[6:7], v[190:191], v[130:131]
	v_fma_f64 v[6:7], v[188:189], v[128:129], -v[6:7]
	v_add_f64 v[4:5], v[4:5], v[6:7]
	v_mul_f64 v[6:7], v[158:159], v[138:139]
	v_fma_f64 v[6:7], v[156:157], v[136:137], -v[6:7]
	v_add_f64 v[4:5], v[4:5], v[6:7]
	v_mul_f64 v[6:7], v[162:163], v[134:135]
	s_waitcnt vmcnt(2) lgkmcnt(0)
	v_mul_f64 v[198:199], v[192:193], v[182:183]
	v_fma_f64 v[6:7], v[160:161], v[132:133], -v[6:7]
	v_fmac_f64_e32 v[198:199], v[194:195], v[180:181]
	v_add_f64 v[4:5], v[4:5], v[6:7]
	v_mul_f64 v[6:7], v[186:187], v[174:175]
	v_add_f64 v[252:253], v[196:197], v[198:199]
	ds_read_b128 v[196:199], v2 offset:1712
	v_fma_f64 v[6:7], v[184:185], v[172:173], -v[6:7]
	v_add_f64 v[4:5], v[4:5], v[6:7]
	v_mul_f64 v[6:7], v[166:167], v[178:179]
	v_fma_f64 v[6:7], v[164:165], v[176:177], -v[6:7]
	v_add_f64 v[4:5], v[4:5], v[6:7]
	v_mul_f64 v[6:7], v[194:195], v[182:183]
	v_fma_f64 v[6:7], v[192:193], v[180:181], -v[6:7]
	s_waitcnt vmcnt(1) lgkmcnt(0)
	v_mul_f64 v[2:3], v[196:197], v[206:207]
	v_add_f64 v[4:5], v[4:5], v[6:7]
	v_mul_f64 v[6:7], v[198:199], v[206:207]
	v_fmac_f64_e32 v[2:3], v[198:199], v[204:205]
	v_fma_f64 v[6:7], v[196:197], v[204:205], -v[6:7]
	v_add_f64 v[2:3], v[252:253], v[2:3]
	v_add_f64 v[4:5], v[4:5], v[6:7]
	s_waitcnt vmcnt(0)
	v_add_f64 v[4:5], v[242:243], -v[4:5]
	v_add_f64 v[6:7], v[244:245], -v[2:3]
	scratch_store_dwordx4 off, v[4:7], off offset:288
	s_and_saveexec_b64 s[0:1], vcc
	s_cbranch_execz .LBB117_305
; %bb.304:
	scratch_load_dwordx4 v[2:5], off, s54
	v_mov_b32_e32 v6, 0
	v_mov_b32_e32 v7, v6
	;; [unrolled: 1-line block ×4, first 2 shown]
	v_accvgpr_read_b32 v0, a109
	scratch_store_dwordx4 off, v[6:9], off offset:272
	s_waitcnt vmcnt(1)
	ds_write_b128 v0, v[2:5]
.LBB117_305:
	s_or_b64 exec, exec, s[0:1]
	s_waitcnt lgkmcnt(0)
	; wave barrier
	scratch_load_dwordx4 v[168:171], off, off offset:288
	scratch_load_dwordx4 v[172:175], off, off offset:304
	;; [unrolled: 1-line block ×32, first 2 shown]
	v_mov_b32_e32 v2, 0
	ds_read_b128 v[176:179], v2 offset:1136
	ds_read_b128 v[188:191], v2 offset:1152
	ds_read_b128 v[200:203], v2 offset:1168
	ds_read_b128 v[212:215], v2 offset:1184
	ds_read_b128 v[220:223], v2 offset:1200
	ds_read_b128 v[224:227], v2 offset:1216
	ds_read_b128 v[228:231], v2 offset:1232
	ds_read_b128 v[242:245], v2 offset:1248
	ds_read_b128 v[250:253], v2 offset:1264
	ds_read_b128 v[140:143], v2 offset:1280
	ds_read_b128 v[136:139], v2 offset:1296
	ds_read_b128 v[128:131], v2 offset:1312
	ds_read_b128 v[124:127], v2 offset:1328
	ds_read_b128 v[116:119], v2 offset:1344
	ds_read_b128 v[112:115], v2 offset:1360
	ds_read_b128 v[100:103], v2 offset:1376
	ds_read_b128 v[96:99], v2 offset:1392
	v_accvgpr_read_b32 v0, a108
	v_cmp_lt_u32_e32 vcc, 15, v0
	s_waitcnt vmcnt(31) lgkmcnt(14)
	v_mul_f64 v[104:105], v[176:177], v[170:171]
	s_waitcnt vmcnt(30)
	v_mul_f64 v[106:107], v[188:189], v[174:175]
	v_fmac_f64_e32 v[104:105], v[178:179], v[168:169]
	s_waitcnt vmcnt(29)
	v_mul_f64 v[108:109], v[200:201], v[182:183]
	v_fmac_f64_e32 v[106:107], v[190:191], v[172:173]
	v_add_f64 v[104:105], v[104:105], 0
	s_waitcnt vmcnt(28) lgkmcnt(13)
	v_mul_f64 v[110:111], v[212:213], v[186:187]
	v_fmac_f64_e32 v[108:109], v[202:203], v[180:181]
	v_add_f64 v[104:105], v[104:105], v[106:107]
	s_waitcnt vmcnt(27) lgkmcnt(12)
	;; [unrolled: 4-line block ×12, first 2 shown]
	v_mul_f64 v[156:157], v[112:113], v[26:27]
	v_fmac_f64_e32 v[154:155], v[118:119], v[20:21]
	v_add_f64 v[104:105], v[104:105], v[152:153]
	v_fmac_f64_e32 v[156:157], v[114:115], v[24:25]
	v_add_f64 v[104:105], v[104:105], v[154:155]
	s_waitcnt vmcnt(16) lgkmcnt(1)
	v_mul_f64 v[106:107], v[100:101], v[30:31]
	v_add_f64 v[104:105], v[104:105], v[156:157]
	v_fmac_f64_e32 v[106:107], v[102:103], v[28:29]
	v_add_f64 v[108:109], v[104:105], v[106:107]
	ds_read_b128 v[144:147], v2 offset:1408
	ds_read_b128 v[148:151], v2 offset:1424
	scratch_load_dwordx4 v[104:107], off, off offset:800
	s_waitcnt vmcnt(16) lgkmcnt(2)
	v_mul_f64 v[110:111], v[96:97], v[34:35]
	v_fmac_f64_e32 v[110:111], v[98:99], v[32:33]
	v_add_f64 v[120:121], v[108:109], v[110:111]
	scratch_load_dwordx4 v[108:111], off, off offset:816
	s_waitcnt vmcnt(16) lgkmcnt(1)
	v_mul_f64 v[122:123], v[144:145], v[38:39]
	v_fmac_f64_e32 v[122:123], v[146:147], v[36:37]
	v_add_f64 v[132:133], v[120:121], v[122:123]
	s_waitcnt vmcnt(15) lgkmcnt(0)
	v_mul_f64 v[134:135], v[148:149], v[42:43]
	scratch_load_dwordx4 v[120:123], off, off offset:832
	v_fmac_f64_e32 v[134:135], v[150:151], v[40:41]
	v_add_f64 v[160:161], v[132:133], v[134:135]
	scratch_load_dwordx4 v[132:135], off, off offset:848
	ds_read_b128 v[152:155], v2 offset:1440
	ds_read_b128 v[156:159], v2 offset:1456
	v_mul_f64 v[170:171], v[178:179], v[170:171]
	v_fma_f64 v[246:247], v[176:177], v[168:169], -v[170:171]
	ds_read_b128 v[168:171], v2 offset:1504
	s_waitcnt vmcnt(16) lgkmcnt(2)
	v_mul_f64 v[162:163], v[152:153], v[46:47]
	v_fmac_f64_e32 v[162:163], v[154:155], v[44:45]
	s_waitcnt vmcnt(15) lgkmcnt(1)
	v_mul_f64 v[166:167], v[156:157], v[50:51]
	v_add_f64 v[164:165], v[160:161], v[162:163]
	ds_read_b128 v[160:163], v2 offset:1472
	v_fmac_f64_e32 v[166:167], v[158:159], v[48:49]
	v_add_f64 v[232:233], v[164:165], v[166:167]
	ds_read_b128 v[164:167], v2 offset:1488
	v_mul_f64 v[174:175], v[190:191], v[174:175]
	s_waitcnt vmcnt(14) lgkmcnt(1)
	v_mul_f64 v[234:235], v[160:161], v[54:55]
	v_fmac_f64_e32 v[234:235], v[162:163], v[52:53]
	v_add_f64 v[232:233], v[232:233], v[234:235]
	s_waitcnt vmcnt(13) lgkmcnt(0)
	v_mul_f64 v[176:177], v[164:165], v[58:59]
	v_fmac_f64_e32 v[176:177], v[166:167], v[56:57]
	v_fma_f64 v[248:249], v[188:189], v[172:173], -v[174:175]
	ds_read_b128 v[172:175], v2 offset:1520
	s_waitcnt vmcnt(12)
	v_mul_f64 v[178:179], v[168:169], v[62:63]
	v_add_f64 v[176:177], v[232:233], v[176:177]
	v_fmac_f64_e32 v[178:179], v[170:171], v[60:61]
	v_add_f64 v[188:189], v[176:177], v[178:179]
	ds_read_b128 v[176:179], v2 offset:1536
	v_mul_f64 v[182:183], v[202:203], v[182:183]
	v_fma_f64 v[254:255], v[200:201], v[180:181], -v[182:183]
	ds_read_b128 v[180:183], v2 offset:1552
	s_waitcnt vmcnt(11) lgkmcnt(2)
	v_mul_f64 v[190:191], v[172:173], v[66:67]
	v_fmac_f64_e32 v[190:191], v[174:175], v[64:65]
	v_add_f64 v[188:189], v[188:189], v[190:191]
	s_waitcnt vmcnt(10) lgkmcnt(1)
	v_mul_f64 v[190:191], v[176:177], v[70:71]
	v_fmac_f64_e32 v[190:191], v[178:179], v[68:69]
	v_mul_f64 v[186:187], v[214:215], v[186:187]
	v_fma_f64 v[240:241], v[212:213], v[184:185], -v[186:187]
	ds_read_b128 v[184:187], v2 offset:1568
	v_add_f64 v[188:189], v[188:189], v[190:191]
	s_waitcnt vmcnt(9) lgkmcnt(1)
	v_mul_f64 v[190:191], v[180:181], v[74:75]
	v_fmac_f64_e32 v[190:191], v[182:183], v[72:73]
	v_add_f64 v[200:201], v[188:189], v[190:191]
	ds_read_b128 v[188:191], v2 offset:1584
	v_mul_f64 v[194:195], v[222:223], v[194:195]
	v_fma_f64 v[232:233], v[220:221], v[192:193], -v[194:195]
	ds_read_b128 v[192:195], v2 offset:1600
	s_waitcnt vmcnt(8) lgkmcnt(2)
	v_mul_f64 v[202:203], v[184:185], v[78:79]
	v_fmac_f64_e32 v[202:203], v[186:187], v[76:77]
	v_add_f64 v[200:201], v[200:201], v[202:203]
	s_waitcnt vmcnt(7) lgkmcnt(1)
	v_mul_f64 v[202:203], v[188:189], v[82:83]
	v_fmac_f64_e32 v[202:203], v[190:191], v[80:81]
	v_mul_f64 v[198:199], v[226:227], v[198:199]
	v_add_f64 v[200:201], v[200:201], v[202:203]
	v_fma_f64 v[234:235], v[224:225], v[196:197], -v[198:199]
	ds_read_b128 v[196:199], v2 offset:1616
	s_waitcnt vmcnt(6) lgkmcnt(1)
	v_mul_f64 v[202:203], v[192:193], v[86:87]
	v_fmac_f64_e32 v[202:203], v[194:195], v[84:85]
	v_add_f64 v[212:213], v[200:201], v[202:203]
	ds_read_b128 v[200:203], v2 offset:1632
	v_mul_f64 v[206:207], v[230:231], v[206:207]
	v_fma_f64 v[236:237], v[228:229], v[204:205], -v[206:207]
	ds_read_b128 v[204:207], v2 offset:1648
	s_waitcnt vmcnt(5) lgkmcnt(2)
	v_mul_f64 v[214:215], v[196:197], v[94:95]
	v_fmac_f64_e32 v[214:215], v[198:199], v[92:93]
	v_add_f64 v[212:213], v[212:213], v[214:215]
	s_waitcnt vmcnt(4) lgkmcnt(1)
	v_mul_f64 v[214:215], v[200:201], v[90:91]
	v_fmac_f64_e32 v[214:215], v[202:203], v[88:89]
	v_mul_f64 v[210:211], v[244:245], v[210:211]
	v_fma_f64 v[238:239], v[242:243], v[208:209], -v[210:211]
	ds_read_b128 v[208:211], v2 offset:1664
	v_add_f64 v[212:213], v[212:213], v[214:215]
	s_waitcnt vmcnt(3) lgkmcnt(1)
	v_mul_f64 v[214:215], v[204:205], v[106:107]
	v_fmac_f64_e32 v[214:215], v[206:207], v[104:105]
	v_add_f64 v[220:221], v[212:213], v[214:215]
	ds_read_b128 v[212:215], v2 offset:1680
	v_mul_f64 v[218:219], v[252:253], v[218:219]
	v_fma_f64 v[250:251], v[250:251], v[216:217], -v[218:219]
	ds_read_b128 v[216:219], v2 offset:1696
	ds_read_b128 v[224:227], v2 offset:1712
	s_waitcnt vmcnt(2) lgkmcnt(3)
	v_mul_f64 v[222:223], v[208:209], v[110:111]
	v_fmac_f64_e32 v[222:223], v[210:211], v[108:109]
	v_add_f64 v[220:221], v[220:221], v[222:223]
	s_waitcnt vmcnt(1) lgkmcnt(2)
	v_mul_f64 v[222:223], v[212:213], v[122:123]
	v_fmac_f64_e32 v[222:223], v[214:215], v[120:121]
	v_add_f64 v[220:221], v[220:221], v[222:223]
	;; [unrolled: 4-line block ×3, first 2 shown]
	scratch_load_dwordx4 v[220:223], off, off offset:864
	v_mul_f64 v[6:7], v[142:143], v[6:7]
	v_fma_f64 v[4:5], v[140:141], v[4:5], -v[6:7]
	v_mul_f64 v[6:7], v[138:139], v[10:11]
	v_fma_f64 v[6:7], v[136:137], v[8:9], -v[6:7]
	s_waitcnt vmcnt(0) lgkmcnt(0)
	v_mul_f64 v[230:231], v[224:225], v[222:223]
	v_fmac_f64_e32 v[230:231], v[226:227], v[220:221]
	v_add_f64 v[242:243], v[228:229], v[230:231]
	v_add_f64 v[228:229], v[246:247], 0
	;; [unrolled: 1-line block ×6, first 2 shown]
	scratch_load_dwordx4 v[228:231], off, off offset:272
	v_add_f64 v[232:233], v[252:253], v[234:235]
	v_add_f64 v[232:233], v[232:233], v[236:237]
	;; [unrolled: 1-line block ×6, first 2 shown]
	v_mul_f64 v[6:7], v[130:131], v[14:15]
	v_fma_f64 v[6:7], v[128:129], v[12:13], -v[6:7]
	v_add_f64 v[4:5], v[4:5], v[6:7]
	v_mul_f64 v[6:7], v[126:127], v[18:19]
	v_fma_f64 v[6:7], v[124:125], v[16:17], -v[6:7]
	v_add_f64 v[4:5], v[4:5], v[6:7]
	v_mul_f64 v[6:7], v[118:119], v[22:23]
	v_fma_f64 v[6:7], v[116:117], v[20:21], -v[6:7]
	v_add_f64 v[4:5], v[4:5], v[6:7]
	v_mul_f64 v[6:7], v[114:115], v[26:27]
	v_fma_f64 v[6:7], v[112:113], v[24:25], -v[6:7]
	v_add_f64 v[4:5], v[4:5], v[6:7]
	v_mul_f64 v[6:7], v[102:103], v[30:31]
	v_fma_f64 v[6:7], v[100:101], v[28:29], -v[6:7]
	v_add_f64 v[4:5], v[4:5], v[6:7]
	v_mul_f64 v[6:7], v[98:99], v[34:35]
	v_fma_f64 v[6:7], v[96:97], v[32:33], -v[6:7]
	v_add_f64 v[4:5], v[4:5], v[6:7]
	v_mul_f64 v[6:7], v[146:147], v[38:39]
	v_fma_f64 v[6:7], v[144:145], v[36:37], -v[6:7]
	v_add_f64 v[4:5], v[4:5], v[6:7]
	v_mul_f64 v[6:7], v[150:151], v[42:43]
	v_fma_f64 v[6:7], v[148:149], v[40:41], -v[6:7]
	v_add_f64 v[4:5], v[4:5], v[6:7]
	v_mul_f64 v[6:7], v[154:155], v[46:47]
	v_fma_f64 v[6:7], v[152:153], v[44:45], -v[6:7]
	v_add_f64 v[4:5], v[4:5], v[6:7]
	v_mul_f64 v[6:7], v[158:159], v[50:51]
	v_fma_f64 v[6:7], v[156:157], v[48:49], -v[6:7]
	v_add_f64 v[4:5], v[4:5], v[6:7]
	v_mul_f64 v[6:7], v[162:163], v[54:55]
	v_fma_f64 v[6:7], v[160:161], v[52:53], -v[6:7]
	v_add_f64 v[4:5], v[4:5], v[6:7]
	v_mul_f64 v[6:7], v[166:167], v[58:59]
	v_fma_f64 v[6:7], v[164:165], v[56:57], -v[6:7]
	v_add_f64 v[4:5], v[4:5], v[6:7]
	v_mul_f64 v[6:7], v[170:171], v[62:63]
	v_fma_f64 v[6:7], v[168:169], v[60:61], -v[6:7]
	v_add_f64 v[4:5], v[4:5], v[6:7]
	v_mul_f64 v[6:7], v[174:175], v[66:67]
	v_fma_f64 v[6:7], v[172:173], v[64:65], -v[6:7]
	v_add_f64 v[4:5], v[4:5], v[6:7]
	v_mul_f64 v[6:7], v[178:179], v[70:71]
	v_fma_f64 v[6:7], v[176:177], v[68:69], -v[6:7]
	v_add_f64 v[4:5], v[4:5], v[6:7]
	v_mul_f64 v[6:7], v[182:183], v[74:75]
	v_fma_f64 v[6:7], v[180:181], v[72:73], -v[6:7]
	v_add_f64 v[4:5], v[4:5], v[6:7]
	v_mul_f64 v[6:7], v[186:187], v[78:79]
	v_fma_f64 v[6:7], v[184:185], v[76:77], -v[6:7]
	v_add_f64 v[4:5], v[4:5], v[6:7]
	v_mul_f64 v[6:7], v[190:191], v[82:83]
	v_fma_f64 v[6:7], v[188:189], v[80:81], -v[6:7]
	v_add_f64 v[4:5], v[4:5], v[6:7]
	v_mul_f64 v[6:7], v[194:195], v[86:87]
	v_fma_f64 v[6:7], v[192:193], v[84:85], -v[6:7]
	v_add_f64 v[4:5], v[4:5], v[6:7]
	v_mul_f64 v[6:7], v[198:199], v[94:95]
	v_fma_f64 v[6:7], v[196:197], v[92:93], -v[6:7]
	v_add_f64 v[4:5], v[4:5], v[6:7]
	v_mul_f64 v[6:7], v[202:203], v[90:91]
	v_fma_f64 v[6:7], v[200:201], v[88:89], -v[6:7]
	v_add_f64 v[4:5], v[4:5], v[6:7]
	v_mul_f64 v[6:7], v[206:207], v[106:107]
	v_fma_f64 v[6:7], v[204:205], v[104:105], -v[6:7]
	v_add_f64 v[4:5], v[4:5], v[6:7]
	v_mul_f64 v[6:7], v[210:211], v[110:111]
	v_fma_f64 v[6:7], v[208:209], v[108:109], -v[6:7]
	v_add_f64 v[4:5], v[4:5], v[6:7]
	v_mul_f64 v[6:7], v[214:215], v[122:123]
	v_fma_f64 v[6:7], v[212:213], v[120:121], -v[6:7]
	v_add_f64 v[4:5], v[4:5], v[6:7]
	v_mul_f64 v[6:7], v[218:219], v[134:135]
	v_fma_f64 v[6:7], v[216:217], v[132:133], -v[6:7]
	v_add_f64 v[4:5], v[4:5], v[6:7]
	v_mul_f64 v[6:7], v[226:227], v[222:223]
	v_fma_f64 v[6:7], v[224:225], v[220:221], -v[6:7]
	v_add_f64 v[4:5], v[4:5], v[6:7]
	s_waitcnt vmcnt(0)
	v_add_f64 v[4:5], v[228:229], -v[4:5]
	v_add_f64 v[6:7], v[230:231], -v[242:243]
	scratch_store_dwordx4 off, v[4:7], off offset:272
	s_and_saveexec_b64 s[0:1], vcc
	s_cbranch_execz .LBB117_307
; %bb.306:
	scratch_load_dwordx4 v[6:9], off, s55
	v_mov_b32_e32 v3, v2
	v_mov_b32_e32 v4, v2
	v_mov_b32_e32 v5, v2
	v_accvgpr_read_b32 v0, a109
	scratch_store_dwordx4 off, v[2:5], off offset:256
	s_waitcnt vmcnt(1)
	ds_write_b128 v0, v[6:9]
.LBB117_307:
	s_or_b64 exec, exec, s[0:1]
	s_waitcnt lgkmcnt(0)
	; wave barrier
	scratch_load_dwordx4 v[168:171], off, off offset:272
	scratch_load_dwordx4 v[172:175], off, off offset:288
	;; [unrolled: 1-line block ×16, first 2 shown]
	ds_read_b128 v[232:235], v2 offset:1120
	ds_read_b128 v[176:179], v2 offset:1136
	scratch_load_dwordx4 v[32:35], off, off offset:528
	ds_read_b128 v[236:239], v2 offset:1152
	ds_read_b128 v[188:191], v2 offset:1168
	;; [unrolled: 1-line block ×5, first 2 shown]
	scratch_load_dwordx4 v[36:39], off, off offset:544
	ds_read_b128 v[224:227], v2 offset:1232
	ds_read_b128 v[220:223], v2 offset:1248
	;; [unrolled: 1-line block ×3, first 2 shown]
	scratch_load_dwordx4 v[40:43], off, off offset:560
	ds_read_b128 v[64:67], v2 offset:1280
	ds_read_b128 v[60:63], v2 offset:1296
	;; [unrolled: 1-line block ×4, first 2 shown]
	scratch_load_dwordx4 v[48:51], off, off offset:576
	ds_read_b128 v[80:83], v2 offset:1344
	ds_read_b128 v[72:75], v2 offset:1360
	;; [unrolled: 1-line block ×3, first 2 shown]
	scratch_load_dwordx4 v[76:79], off, off offset:592
	scratch_load_dwordx4 v[84:87], off, off offset:608
	;; [unrolled: 1-line block ×12, first 2 shown]
	v_accvgpr_read_b32 v0, a108
	v_cmp_lt_u32_e32 vcc, 14, v0
	s_waitcnt vmcnt(31) lgkmcnt(14)
	v_mul_f64 v[128:129], v[232:233], v[170:171]
	s_waitcnt vmcnt(30)
	v_mul_f64 v[130:131], v[176:177], v[174:175]
	v_fmac_f64_e32 v[128:129], v[234:235], v[168:169]
	s_waitcnt vmcnt(29)
	v_mul_f64 v[132:133], v[236:237], v[182:183]
	v_fmac_f64_e32 v[130:131], v[178:179], v[172:173]
	v_add_f64 v[128:129], v[128:129], 0
	s_waitcnt vmcnt(28) lgkmcnt(13)
	v_mul_f64 v[134:135], v[188:189], v[186:187]
	v_fmac_f64_e32 v[132:133], v[238:239], v[180:181]
	v_add_f64 v[128:129], v[128:129], v[130:131]
	s_waitcnt vmcnt(27) lgkmcnt(12)
	;; [unrolled: 4-line block ×13, first 2 shown]
	v_mul_f64 v[158:159], v[72:73], v[30:31]
	v_fmac_f64_e32 v[156:157], v[82:83], v[24:25]
	v_add_f64 v[128:129], v[128:129], v[154:155]
	v_add_f64 v[128:129], v[128:129], v[156:157]
	v_fmac_f64_e32 v[158:159], v[74:75], v[28:29]
	v_add_f64 v[132:133], v[128:129], v[158:159]
	ds_read_b128 v[144:147], v2 offset:1392
	ds_read_b128 v[148:151], v2 offset:1408
	scratch_load_dwordx4 v[128:131], off, off offset:784
	s_waitcnt vmcnt(16) lgkmcnt(2)
	v_mul_f64 v[134:135], v[68:69], v[34:35]
	v_fmac_f64_e32 v[134:135], v[70:71], v[32:33]
	s_waitcnt vmcnt(15) lgkmcnt(1)
	v_mul_f64 v[138:139], v[144:145], v[38:39]
	v_add_f64 v[136:137], v[132:133], v[134:135]
	scratch_load_dwordx4 v[132:135], off, off offset:800
	v_fmac_f64_e32 v[138:139], v[146:147], v[36:37]
	v_add_f64 v[140:141], v[136:137], v[138:139]
	s_waitcnt vmcnt(15) lgkmcnt(0)
	v_mul_f64 v[142:143], v[148:149], v[42:43]
	scratch_load_dwordx4 v[136:139], off, off offset:816
	v_fmac_f64_e32 v[142:143], v[150:151], v[40:41]
	v_add_f64 v[160:161], v[140:141], v[142:143]
	scratch_load_dwordx4 v[140:143], off, off offset:832
	ds_read_b128 v[152:155], v2 offset:1424
	ds_read_b128 v[156:159], v2 offset:1440
	v_mul_f64 v[170:171], v[234:235], v[170:171]
	v_mul_f64 v[174:175], v[178:179], v[174:175]
	;; [unrolled: 1-line block ×3, first 2 shown]
	s_waitcnt vmcnt(16) lgkmcnt(1)
	v_mul_f64 v[162:163], v[152:153], v[50:51]
	v_fmac_f64_e32 v[162:163], v[154:155], v[48:49]
	v_add_f64 v[164:165], v[160:161], v[162:163]
	ds_read_b128 v[160:163], v2 offset:1456
	s_waitcnt vmcnt(15) lgkmcnt(1)
	v_mul_f64 v[166:167], v[156:157], v[78:79]
	v_fmac_f64_e32 v[166:167], v[158:159], v[76:77]
	v_add_f64 v[240:241], v[164:165], v[166:167]
	ds_read_b128 v[164:167], v2 offset:1472
	s_waitcnt vmcnt(14) lgkmcnt(1)
	v_mul_f64 v[242:243], v[160:161], v[86:87]
	v_fmac_f64_e32 v[242:243], v[162:163], v[84:85]
	v_add_f64 v[240:241], v[240:241], v[242:243]
	v_fma_f64 v[242:243], v[232:233], v[168:169], -v[170:171]
	ds_read_b128 v[168:171], v2 offset:1488
	s_waitcnt vmcnt(13) lgkmcnt(1)
	v_mul_f64 v[232:233], v[164:165], v[90:91]
	v_fmac_f64_e32 v[232:233], v[166:167], v[88:89]
	v_add_f64 v[232:233], v[240:241], v[232:233]
	v_fma_f64 v[240:241], v[176:177], v[172:173], -v[174:175]
	ds_read_b128 v[172:175], v2 offset:1504
	s_waitcnt vmcnt(12) lgkmcnt(1)
	v_mul_f64 v[176:177], v[168:169], v[94:95]
	v_fmac_f64_e32 v[176:177], v[170:171], v[92:93]
	v_add_f64 v[232:233], v[232:233], v[176:177]
	ds_read_b128 v[176:179], v2 offset:1520
	v_fma_f64 v[236:237], v[236:237], v[180:181], -v[182:183]
	ds_read_b128 v[180:183], v2 offset:1536
	s_waitcnt vmcnt(11) lgkmcnt(2)
	v_mul_f64 v[234:235], v[172:173], v[98:99]
	v_fmac_f64_e32 v[234:235], v[174:175], v[96:97]
	v_add_f64 v[232:233], v[232:233], v[234:235]
	s_waitcnt vmcnt(10) lgkmcnt(1)
	v_mul_f64 v[234:235], v[176:177], v[102:103]
	v_fmac_f64_e32 v[234:235], v[178:179], v[100:101]
	v_mul_f64 v[186:187], v[190:191], v[186:187]
	s_waitcnt vmcnt(9) lgkmcnt(0)
	v_mul_f64 v[190:191], v[180:181], v[106:107]
	v_fma_f64 v[238:239], v[188:189], v[184:185], -v[186:187]
	ds_read_b128 v[184:187], v2 offset:1552
	v_add_f64 v[188:189], v[232:233], v[234:235]
	v_fmac_f64_e32 v[190:191], v[182:183], v[104:105]
	v_add_f64 v[232:233], v[188:189], v[190:191]
	ds_read_b128 v[188:191], v2 offset:1568
	v_mul_f64 v[194:195], v[230:231], v[194:195]
	v_fma_f64 v[244:245], v[228:229], v[192:193], -v[194:195]
	ds_read_b128 v[192:195], v2 offset:1584
	s_waitcnt vmcnt(8) lgkmcnt(2)
	v_mul_f64 v[234:235], v[184:185], v[110:111]
	v_fmac_f64_e32 v[234:235], v[186:187], v[108:109]
	s_waitcnt vmcnt(7) lgkmcnt(1)
	v_mul_f64 v[228:229], v[188:189], v[114:115]
	v_mul_f64 v[198:199], v[202:203], v[198:199]
	v_add_f64 v[232:233], v[232:233], v[234:235]
	v_fmac_f64_e32 v[228:229], v[190:191], v[112:113]
	v_fma_f64 v[246:247], v[200:201], v[196:197], -v[198:199]
	ds_read_b128 v[196:199], v2 offset:1600
	s_waitcnt vmcnt(6) lgkmcnt(1)
	v_mul_f64 v[200:201], v[192:193], v[118:119]
	v_add_f64 v[228:229], v[232:233], v[228:229]
	v_fmac_f64_e32 v[200:201], v[194:195], v[116:117]
	v_add_f64 v[228:229], v[228:229], v[200:201]
	ds_read_b128 v[200:203], v2 offset:1616
	v_mul_f64 v[206:207], v[214:215], v[206:207]
	v_fma_f64 v[248:249], v[212:213], v[204:205], -v[206:207]
	ds_read_b128 v[204:207], v2 offset:1632
	s_waitcnt vmcnt(5) lgkmcnt(2)
	v_mul_f64 v[230:231], v[196:197], v[126:127]
	v_fmac_f64_e32 v[230:231], v[198:199], v[124:125]
	s_waitcnt vmcnt(4) lgkmcnt(1)
	v_mul_f64 v[212:213], v[200:201], v[122:123]
	v_add_f64 v[228:229], v[228:229], v[230:231]
	v_fmac_f64_e32 v[212:213], v[202:203], v[120:121]
	v_mul_f64 v[210:211], v[226:227], v[210:211]
	s_waitcnt vmcnt(3) lgkmcnt(0)
	v_mul_f64 v[214:215], v[204:205], v[130:131]
	v_fma_f64 v[250:251], v[224:225], v[208:209], -v[210:211]
	ds_read_b128 v[208:211], v2 offset:1648
	v_add_f64 v[212:213], v[228:229], v[212:213]
	v_fmac_f64_e32 v[214:215], v[206:207], v[128:129]
	v_add_f64 v[224:225], v[212:213], v[214:215]
	ds_read_b128 v[212:215], v2 offset:1664
	v_mul_f64 v[218:219], v[222:223], v[218:219]
	v_fma_f64 v[252:253], v[220:221], v[216:217], -v[218:219]
	ds_read_b128 v[216:219], v2 offset:1680
	s_waitcnt vmcnt(2) lgkmcnt(2)
	v_mul_f64 v[220:221], v[208:209], v[134:135]
	v_fmac_f64_e32 v[220:221], v[210:211], v[132:133]
	s_waitcnt vmcnt(1) lgkmcnt(1)
	v_mul_f64 v[222:223], v[212:213], v[138:139]
	v_add_f64 v[220:221], v[224:225], v[220:221]
	v_fmac_f64_e32 v[222:223], v[214:215], v[136:137]
	v_add_f64 v[220:221], v[220:221], v[222:223]
	ds_read_b128 v[224:227], v2 offset:1696
	s_waitcnt vmcnt(0) lgkmcnt(1)
	v_mul_f64 v[222:223], v[216:217], v[142:143]
	v_fmac_f64_e32 v[222:223], v[218:219], v[140:141]
	v_add_f64 v[228:229], v[220:221], v[222:223]
	scratch_load_dwordx4 v[220:223], off, off offset:848
	scratch_load_dwordx4 v[232:235], off, off offset:864
	v_add_f64 v[242:243], v[242:243], 0
	v_add_f64 v[240:241], v[242:243], v[240:241]
	;; [unrolled: 1-line block ×6, first 2 shown]
	v_mul_f64 v[6:7], v[46:47], v[6:7]
	v_fma_f64 v[4:5], v[44:45], v[4:5], -v[6:7]
	v_mul_f64 v[6:7], v[66:67], v[10:11]
	v_fma_f64 v[6:7], v[64:65], v[8:9], -v[6:7]
	s_waitcnt vmcnt(1) lgkmcnt(0)
	v_mul_f64 v[230:231], v[224:225], v[222:223]
	v_fmac_f64_e32 v[230:231], v[226:227], v[220:221]
	v_add_f64 v[254:255], v[228:229], v[230:231]
	ds_read_b128 v[228:231], v2 offset:1712
	s_waitcnt vmcnt(0) lgkmcnt(0)
	v_mul_f64 v[2:3], v[228:229], v[234:235]
	v_fmac_f64_e32 v[2:3], v[230:231], v[232:233]
	v_add_f64 v[2:3], v[254:255], v[2:3]
	v_add_f64 v[254:255], v[236:237], v[248:249]
	scratch_load_dwordx4 v[236:239], off, off offset:256
	v_add_f64 v[240:241], v[254:255], v[250:251]
	v_add_f64 v[240:241], v[240:241], v[252:253]
	;; [unrolled: 1-line block ×4, first 2 shown]
	v_mul_f64 v[6:7], v[62:63], v[14:15]
	v_fma_f64 v[6:7], v[60:61], v[12:13], -v[6:7]
	v_add_f64 v[4:5], v[4:5], v[6:7]
	v_mul_f64 v[6:7], v[58:59], v[18:19]
	v_fma_f64 v[6:7], v[56:57], v[16:17], -v[6:7]
	v_add_f64 v[4:5], v[4:5], v[6:7]
	v_mul_f64 v[6:7], v[54:55], v[22:23]
	v_fma_f64 v[6:7], v[52:53], v[20:21], -v[6:7]
	v_add_f64 v[4:5], v[4:5], v[6:7]
	v_mul_f64 v[6:7], v[82:83], v[26:27]
	v_fma_f64 v[6:7], v[80:81], v[24:25], -v[6:7]
	v_add_f64 v[4:5], v[4:5], v[6:7]
	v_mul_f64 v[6:7], v[74:75], v[30:31]
	v_fma_f64 v[6:7], v[72:73], v[28:29], -v[6:7]
	v_add_f64 v[4:5], v[4:5], v[6:7]
	v_mul_f64 v[6:7], v[70:71], v[34:35]
	v_fma_f64 v[6:7], v[68:69], v[32:33], -v[6:7]
	v_add_f64 v[4:5], v[4:5], v[6:7]
	v_mul_f64 v[6:7], v[146:147], v[38:39]
	v_fma_f64 v[6:7], v[144:145], v[36:37], -v[6:7]
	v_add_f64 v[4:5], v[4:5], v[6:7]
	v_mul_f64 v[6:7], v[150:151], v[42:43]
	v_fma_f64 v[6:7], v[148:149], v[40:41], -v[6:7]
	v_add_f64 v[4:5], v[4:5], v[6:7]
	v_mul_f64 v[6:7], v[154:155], v[50:51]
	v_fma_f64 v[6:7], v[152:153], v[48:49], -v[6:7]
	v_add_f64 v[4:5], v[4:5], v[6:7]
	v_mul_f64 v[6:7], v[158:159], v[78:79]
	v_fma_f64 v[6:7], v[156:157], v[76:77], -v[6:7]
	v_add_f64 v[4:5], v[4:5], v[6:7]
	v_mul_f64 v[6:7], v[162:163], v[86:87]
	v_fma_f64 v[6:7], v[160:161], v[84:85], -v[6:7]
	v_add_f64 v[4:5], v[4:5], v[6:7]
	v_mul_f64 v[6:7], v[166:167], v[90:91]
	v_fma_f64 v[6:7], v[164:165], v[88:89], -v[6:7]
	v_add_f64 v[4:5], v[4:5], v[6:7]
	v_mul_f64 v[6:7], v[170:171], v[94:95]
	v_fma_f64 v[6:7], v[168:169], v[92:93], -v[6:7]
	v_add_f64 v[4:5], v[4:5], v[6:7]
	v_mul_f64 v[6:7], v[174:175], v[98:99]
	v_fma_f64 v[6:7], v[172:173], v[96:97], -v[6:7]
	v_add_f64 v[4:5], v[4:5], v[6:7]
	v_mul_f64 v[6:7], v[178:179], v[102:103]
	v_fma_f64 v[6:7], v[176:177], v[100:101], -v[6:7]
	v_add_f64 v[4:5], v[4:5], v[6:7]
	v_mul_f64 v[6:7], v[182:183], v[106:107]
	v_fma_f64 v[6:7], v[180:181], v[104:105], -v[6:7]
	v_add_f64 v[4:5], v[4:5], v[6:7]
	v_mul_f64 v[6:7], v[186:187], v[110:111]
	v_fma_f64 v[6:7], v[184:185], v[108:109], -v[6:7]
	v_add_f64 v[4:5], v[4:5], v[6:7]
	v_mul_f64 v[6:7], v[190:191], v[114:115]
	v_fma_f64 v[6:7], v[188:189], v[112:113], -v[6:7]
	v_add_f64 v[4:5], v[4:5], v[6:7]
	v_mul_f64 v[6:7], v[194:195], v[118:119]
	v_fma_f64 v[6:7], v[192:193], v[116:117], -v[6:7]
	v_add_f64 v[4:5], v[4:5], v[6:7]
	v_mul_f64 v[6:7], v[198:199], v[126:127]
	v_fma_f64 v[6:7], v[196:197], v[124:125], -v[6:7]
	v_add_f64 v[4:5], v[4:5], v[6:7]
	v_mul_f64 v[6:7], v[202:203], v[122:123]
	v_fma_f64 v[6:7], v[200:201], v[120:121], -v[6:7]
	v_add_f64 v[4:5], v[4:5], v[6:7]
	v_mul_f64 v[6:7], v[206:207], v[130:131]
	v_fma_f64 v[6:7], v[204:205], v[128:129], -v[6:7]
	v_add_f64 v[4:5], v[4:5], v[6:7]
	v_mul_f64 v[6:7], v[210:211], v[134:135]
	v_fma_f64 v[6:7], v[208:209], v[132:133], -v[6:7]
	v_add_f64 v[4:5], v[4:5], v[6:7]
	v_mul_f64 v[6:7], v[214:215], v[138:139]
	v_fma_f64 v[6:7], v[212:213], v[136:137], -v[6:7]
	v_add_f64 v[4:5], v[4:5], v[6:7]
	v_mul_f64 v[6:7], v[218:219], v[142:143]
	v_fma_f64 v[6:7], v[216:217], v[140:141], -v[6:7]
	v_add_f64 v[4:5], v[4:5], v[6:7]
	v_mul_f64 v[6:7], v[226:227], v[222:223]
	v_fma_f64 v[6:7], v[224:225], v[220:221], -v[6:7]
	v_add_f64 v[4:5], v[4:5], v[6:7]
	v_mul_f64 v[6:7], v[230:231], v[234:235]
	v_fma_f64 v[6:7], v[228:229], v[232:233], -v[6:7]
	v_add_f64 v[4:5], v[4:5], v[6:7]
	s_waitcnt vmcnt(0)
	v_add_f64 v[4:5], v[236:237], -v[4:5]
	v_add_f64 v[6:7], v[238:239], -v[2:3]
	scratch_store_dwordx4 off, v[4:7], off offset:256
	s_and_saveexec_b64 s[0:1], vcc
	s_cbranch_execz .LBB117_309
; %bb.308:
	scratch_load_dwordx4 v[2:5], off, s56
	v_mov_b32_e32 v6, 0
	v_mov_b32_e32 v7, v6
	;; [unrolled: 1-line block ×4, first 2 shown]
	v_accvgpr_read_b32 v0, a109
	scratch_store_dwordx4 off, v[6:9], off offset:240
	s_waitcnt vmcnt(1)
	ds_write_b128 v0, v[2:5]
.LBB117_309:
	s_or_b64 exec, exec, s[0:1]
	s_waitcnt lgkmcnt(0)
	; wave barrier
	scratch_load_dwordx4 v[80:83], off, off offset:256
	scratch_load_dwordx4 v[84:87], off, off offset:272
	scratch_load_dwordx4 v[88:91], off, off offset:288
	scratch_load_dwordx4 v[92:95], off, off offset:304
	scratch_load_dwordx4 v[96:99], off, off offset:320
	scratch_load_dwordx4 v[100:103], off, off offset:336
	scratch_load_dwordx4 v[104:107], off, off offset:352
	scratch_load_dwordx4 v[108:111], off, off offset:368
	scratch_load_dwordx4 v[112:115], off, off offset:384
	scratch_load_dwordx4 v[116:119], off, off offset:400
	scratch_load_dwordx4 v[120:123], off, off offset:416
	scratch_load_dwordx4 v[4:7], off, off offset:432
	scratch_load_dwordx4 v[8:11], off, off offset:448
	scratch_load_dwordx4 v[12:15], off, off offset:464
	scratch_load_dwordx4 v[16:19], off, off offset:480
	scratch_load_dwordx4 v[20:23], off, off offset:496
	scratch_load_dwordx4 v[24:27], off, off offset:512
	scratch_load_dwordx4 v[28:31], off, off offset:528
	scratch_load_dwordx4 v[32:35], off, off offset:544
	scratch_load_dwordx4 v[36:39], off, off offset:560
	scratch_load_dwordx4 v[40:43], off, off offset:576
	scratch_load_dwordx4 v[44:47], off, off offset:592
	scratch_load_dwordx4 v[48:51], off, off offset:608
	scratch_load_dwordx4 v[52:55], off, off offset:624
	scratch_load_dwordx4 v[56:59], off, off offset:640
	scratch_load_dwordx4 v[60:63], off, off offset:656
	scratch_load_dwordx4 v[64:67], off, off offset:672
	scratch_load_dwordx4 v[68:71], off, off offset:688
	scratch_load_dwordx4 v[72:75], off, off offset:704
	scratch_load_dwordx4 v[76:79], off, off offset:720
	scratch_load_dwordx4 v[124:127], off, off offset:736
	v_mov_b32_e32 v2, 0
	ds_read_b128 v[196:199], v2 offset:1104
	ds_read_b128 v[200:203], v2 offset:1120
	;; [unrolled: 1-line block ×20, first 2 shown]
	s_waitcnt vmcnt(30) lgkmcnt(14)
	v_mul_f64 v[140:141], v[196:197], v[82:83]
	s_waitcnt vmcnt(29)
	v_mul_f64 v[142:143], v[200:201], v[86:87]
	v_fmac_f64_e32 v[140:141], v[198:199], v[80:81]
	s_waitcnt vmcnt(28)
	v_mul_f64 v[152:153], v[204:205], v[90:91]
	v_fmac_f64_e32 v[142:143], v[202:203], v[84:85]
	v_add_f64 v[140:141], v[140:141], 0
	s_waitcnt vmcnt(27)
	v_mul_f64 v[154:155], v[208:209], v[94:95]
	v_fmac_f64_e32 v[152:153], v[206:207], v[88:89]
	v_add_f64 v[140:141], v[140:141], v[142:143]
	;; [unrolled: 4-line block ×4, first 2 shown]
	s_waitcnt vmcnt(24) lgkmcnt(13)
	v_mul_f64 v[164:165], v[220:221], v[106:107]
	v_fmac_f64_e32 v[162:163], v[218:219], v[100:101]
	v_add_f64 v[140:141], v[140:141], v[160:161]
	s_waitcnt vmcnt(23) lgkmcnt(12)
	v_mul_f64 v[166:167], v[224:225], v[110:111]
	v_fmac_f64_e32 v[164:165], v[222:223], v[104:105]
	v_add_f64 v[140:141], v[140:141], v[162:163]
	;; [unrolled: 4-line block ×8, first 2 shown]
	v_fmac_f64_e32 v[178:179], v[146:147], v[12:13]
	v_add_f64 v[140:141], v[140:141], v[176:177]
	v_add_f64 v[140:141], v[140:141], v[178:179]
	ds_read_b128 v[176:179], v2 offset:1376
	s_waitcnt vmcnt(16) lgkmcnt(6)
	v_mul_f64 v[180:181], v[136:137], v[18:19]
	s_waitcnt vmcnt(15) lgkmcnt(5)
	v_mul_f64 v[182:183], v[132:133], v[22:23]
	v_fmac_f64_e32 v[180:181], v[138:139], v[16:17]
	v_add_f64 v[152:153], v[140:141], v[180:181]
	v_fmac_f64_e32 v[182:183], v[134:135], v[20:21]
	scratch_load_dwordx4 v[140:143], off, off offset:752
	s_waitcnt vmcnt(15) lgkmcnt(4)
	v_mul_f64 v[154:155], v[128:129], v[26:27]
	v_add_f64 v[152:153], v[152:153], v[182:183]
	v_fmac_f64_e32 v[154:155], v[130:131], v[24:25]
	v_add_f64 v[160:161], v[152:153], v[154:155]
	ds_read_b128 v[180:183], v2 offset:1392
	s_waitcnt vmcnt(14) lgkmcnt(1)
	v_mul_f64 v[162:163], v[176:177], v[30:31]
	scratch_load_dwordx4 v[152:155], off, off offset:768
	v_fmac_f64_e32 v[162:163], v[178:179], v[28:29]
	v_add_f64 v[164:165], v[160:161], v[162:163]
	scratch_load_dwordx4 v[160:163], off, off offset:784
	s_waitcnt vmcnt(15) lgkmcnt(0)
	v_mul_f64 v[166:167], v[180:181], v[34:35]
	v_fmac_f64_e32 v[166:167], v[182:183], v[32:33]
	v_add_f64 v[168:169], v[164:165], v[166:167]
	s_waitcnt vmcnt(14)
	v_mul_f64 v[170:171], v[184:185], v[38:39]
	scratch_load_dwordx4 v[164:167], off, off offset:800
	v_fmac_f64_e32 v[170:171], v[186:187], v[36:37]
	v_add_f64 v[168:169], v[168:169], v[170:171]
	s_waitcnt vmcnt(14)
	v_mul_f64 v[170:171], v[188:189], v[42:43]
	scratch_load_dwordx4 v[172:175], off, off offset:816
	v_fmac_f64_e32 v[170:171], v[190:191], v[40:41]
	v_add_f64 v[232:233], v[168:169], v[170:171]
	scratch_load_dwordx4 v[168:171], off, off offset:832
	v_mul_f64 v[82:83], v[198:199], v[82:83]
	v_fma_f64 v[240:241], v[196:197], v[80:81], -v[82:83]
	ds_read_b128 v[196:199], v2 offset:1456
	s_waitcnt vmcnt(15)
	v_mul_f64 v[80:81], v[192:193], v[46:47]
	v_fmac_f64_e32 v[80:81], v[194:195], v[44:45]
	v_add_f64 v[232:233], v[232:233], v[80:81]
	v_mul_f64 v[80:81], v[202:203], v[86:87]
	v_fma_f64 v[246:247], v[200:201], v[84:85], -v[80:81]
	scratch_load_dwordx4 v[80:83], off, off offset:848
	ds_read_b128 v[84:87], v2 offset:1472
	v_mul_f64 v[90:91], v[206:207], v[90:91]
	v_fma_f64 v[248:249], v[204:205], v[88:89], -v[90:91]
	ds_read_b128 v[88:91], v2 offset:1488
	s_waitcnt vmcnt(15) lgkmcnt(2)
	v_mul_f64 v[200:201], v[196:197], v[50:51]
	v_fmac_f64_e32 v[200:201], v[198:199], v[48:49]
	s_waitcnt vmcnt(14) lgkmcnt(1)
	v_mul_f64 v[202:203], v[84:85], v[54:55]
	v_add_f64 v[200:201], v[232:233], v[200:201]
	v_fmac_f64_e32 v[202:203], v[86:87], v[52:53]
	v_mul_f64 v[94:95], v[210:211], v[94:95]
	v_fma_f64 v[254:255], v[208:209], v[92:93], -v[94:95]
	ds_read_b128 v[92:95], v2 offset:1504
	v_add_f64 v[200:201], v[200:201], v[202:203]
	s_waitcnt vmcnt(13) lgkmcnt(1)
	v_mul_f64 v[202:203], v[88:89], v[58:59]
	v_fmac_f64_e32 v[202:203], v[90:91], v[56:57]
	v_add_f64 v[204:205], v[200:201], v[202:203]
	ds_read_b128 v[200:203], v2 offset:1520
	v_mul_f64 v[98:99], v[214:215], v[98:99]
	v_fma_f64 v[232:233], v[212:213], v[96:97], -v[98:99]
	ds_read_b128 v[96:99], v2 offset:1536
	s_waitcnt vmcnt(12) lgkmcnt(2)
	v_mul_f64 v[206:207], v[92:93], v[62:63]
	v_fmac_f64_e32 v[206:207], v[94:95], v[60:61]
	v_add_f64 v[204:205], v[204:205], v[206:207]
	s_waitcnt vmcnt(11) lgkmcnt(1)
	v_mul_f64 v[206:207], v[200:201], v[66:67]
	v_fmac_f64_e32 v[206:207], v[202:203], v[64:65]
	v_mul_f64 v[102:103], v[218:219], v[102:103]
	v_add_f64 v[204:205], v[204:205], v[206:207]
	v_fma_f64 v[238:239], v[216:217], v[100:101], -v[102:103]
	ds_read_b128 v[100:103], v2 offset:1552
	s_waitcnt vmcnt(10) lgkmcnt(1)
	v_mul_f64 v[206:207], v[96:97], v[70:71]
	v_fmac_f64_e32 v[206:207], v[98:99], v[68:69]
	v_add_f64 v[208:209], v[204:205], v[206:207]
	ds_read_b128 v[204:207], v2 offset:1568
	v_mul_f64 v[106:107], v[222:223], v[106:107]
	v_fma_f64 v[0:1], v[220:221], v[104:105], -v[106:107]
	ds_read_b128 v[104:107], v2 offset:1584
	s_waitcnt vmcnt(9) lgkmcnt(2)
	v_mul_f64 v[210:211], v[100:101], v[74:75]
	v_fmac_f64_e32 v[210:211], v[102:103], v[72:73]
	v_add_f64 v[208:209], v[208:209], v[210:211]
	s_waitcnt vmcnt(8) lgkmcnt(1)
	v_mul_f64 v[210:211], v[204:205], v[78:79]
	v_fmac_f64_e32 v[210:211], v[206:207], v[76:77]
	v_mul_f64 v[110:111], v[226:227], v[110:111]
	v_fma_f64 v[234:235], v[224:225], v[108:109], -v[110:111]
	ds_read_b128 v[108:111], v2 offset:1600
	v_add_f64 v[208:209], v[208:209], v[210:211]
	s_waitcnt vmcnt(7) lgkmcnt(1)
	v_mul_f64 v[210:211], v[104:105], v[126:127]
	v_fmac_f64_e32 v[210:211], v[106:107], v[124:125]
	v_add_f64 v[212:213], v[208:209], v[210:211]
	ds_read_b128 v[208:211], v2 offset:1616
	v_mul_f64 v[114:115], v[230:231], v[114:115]
	v_fma_f64 v[236:237], v[228:229], v[112:113], -v[114:115]
	ds_read_b128 v[112:115], v2 offset:1632
	s_waitcnt vmcnt(6) lgkmcnt(2)
	v_mul_f64 v[214:215], v[108:109], v[142:143]
	v_fmac_f64_e32 v[214:215], v[110:111], v[140:141]
	v_add_f64 v[212:213], v[212:213], v[214:215]
	s_waitcnt vmcnt(5) lgkmcnt(1)
	v_mul_f64 v[214:215], v[208:209], v[154:155]
	v_fmac_f64_e32 v[214:215], v[210:211], v[152:153]
	v_mul_f64 v[118:119], v[244:245], v[118:119]
	v_add_f64 v[212:213], v[212:213], v[214:215]
	v_fma_f64 v[244:245], v[242:243], v[116:117], -v[118:119]
	ds_read_b128 v[116:119], v2 offset:1648
	s_waitcnt vmcnt(4) lgkmcnt(1)
	v_mul_f64 v[214:215], v[112:113], v[162:163]
	v_fmac_f64_e32 v[214:215], v[114:115], v[160:161]
	v_add_f64 v[216:217], v[212:213], v[214:215]
	ds_read_b128 v[212:215], v2 offset:1664
	v_mul_f64 v[122:123], v[252:253], v[122:123]
	v_fma_f64 v[250:251], v[250:251], v[120:121], -v[122:123]
	ds_read_b128 v[120:123], v2 offset:1680
	s_waitcnt vmcnt(3) lgkmcnt(2)
	v_mul_f64 v[218:219], v[116:117], v[166:167]
	v_fmac_f64_e32 v[218:219], v[118:119], v[164:165]
	v_add_f64 v[216:217], v[216:217], v[218:219]
	s_waitcnt vmcnt(2) lgkmcnt(1)
	v_mul_f64 v[218:219], v[212:213], v[174:175]
	v_fmac_f64_e32 v[218:219], v[214:215], v[172:173]
	v_add_f64 v[216:217], v[216:217], v[218:219]
	s_waitcnt vmcnt(1) lgkmcnt(0)
	v_mul_f64 v[218:219], v[120:121], v[170:171]
	v_fmac_f64_e32 v[218:219], v[122:123], v[168:169]
	v_add_f64 v[220:221], v[216:217], v[218:219]
	ds_read_b128 v[216:219], v2 offset:1696
	ds_read_b128 v[224:227], v2 offset:1712
	v_mul_f64 v[6:7], v[158:159], v[6:7]
	v_fma_f64 v[4:5], v[156:157], v[4:5], -v[6:7]
	s_waitcnt vmcnt(0) lgkmcnt(1)
	v_mul_f64 v[222:223], v[216:217], v[82:83]
	v_fmac_f64_e32 v[222:223], v[218:219], v[80:81]
	v_add_f64 v[228:229], v[220:221], v[222:223]
	scratch_load_dwordx4 v[220:223], off, off offset:864
	s_waitcnt vmcnt(0) lgkmcnt(0)
	v_mul_f64 v[230:231], v[224:225], v[222:223]
	v_fmac_f64_e32 v[230:231], v[226:227], v[220:221]
	v_add_f64 v[242:243], v[228:229], v[230:231]
	v_add_f64 v[228:229], v[240:241], 0
	;; [unrolled: 1-line block ×8, first 2 shown]
	scratch_load_dwordx4 v[228:231], off, off offset:240
	v_add_f64 v[0:1], v[252:253], v[234:235]
	v_add_f64 v[0:1], v[0:1], v[236:237]
	;; [unrolled: 1-line block ×5, first 2 shown]
	v_mul_f64 v[4:5], v[150:151], v[10:11]
	v_fma_f64 v[4:5], v[148:149], v[8:9], -v[4:5]
	v_add_f64 v[0:1], v[0:1], v[4:5]
	v_mul_f64 v[4:5], v[146:147], v[14:15]
	v_fma_f64 v[4:5], v[144:145], v[12:13], -v[4:5]
	v_add_f64 v[0:1], v[0:1], v[4:5]
	;; [unrolled: 3-line block ×27, first 2 shown]
	s_waitcnt vmcnt(0)
	v_add_f64 v[4:5], v[228:229], -v[0:1]
	v_accvgpr_read_b32 v0, a108
	v_add_f64 v[6:7], v[230:231], -v[242:243]
	v_cmp_lt_u32_e32 vcc, 13, v0
	scratch_store_dwordx4 off, v[4:7], off offset:240
	s_and_saveexec_b64 s[0:1], vcc
	s_cbranch_execz .LBB117_311
; %bb.310:
	scratch_load_dwordx4 v[6:9], off, s57
	v_mov_b32_e32 v3, v2
	v_mov_b32_e32 v4, v2
	v_mov_b32_e32 v5, v2
	v_accvgpr_read_b32 v0, a109
	scratch_store_dwordx4 off, v[2:5], off offset:224
	s_waitcnt vmcnt(1)
	ds_write_b128 v0, v[6:9]
.LBB117_311:
	s_or_b64 exec, exec, s[0:1]
	s_waitcnt lgkmcnt(0)
	; wave barrier
	scratch_load_dwordx4 v[132:135], off, off offset:240
	scratch_load_dwordx4 v[160:163], off, off offset:256
	;; [unrolled: 1-line block ×16, first 2 shown]
	ds_read_b128 v[156:159], v2 offset:1088
	ds_read_b128 v[172:175], v2 offset:1104
	scratch_load_dwordx4 v[24:27], off, off offset:496
	ds_read_b128 v[232:235], v2 offset:1120
	ds_read_b128 v[228:231], v2 offset:1136
	scratch_load_dwordx4 v[28:31], off, off offset:512
	ds_read_b128 v[236:239], v2 offset:1152
	ds_read_b128 v[184:187], v2 offset:1168
	;; [unrolled: 1-line block ×5, first 2 shown]
	scratch_load_dwordx4 v[32:35], off, off offset:528
	ds_read_b128 v[220:223], v2 offset:1232
	ds_read_b128 v[216:219], v2 offset:1248
	;; [unrolled: 1-line block ×3, first 2 shown]
	scratch_load_dwordx4 v[36:39], off, off offset:544
	ds_read_b128 v[64:67], v2 offset:1280
	ds_read_b128 v[60:63], v2 offset:1296
	;; [unrolled: 1-line block ×5, first 2 shown]
	scratch_load_dwordx4 v[52:55], off, off offset:560
	scratch_load_dwordx4 v[68:71], off, off offset:576
	;; [unrolled: 1-line block ×11, first 2 shown]
	ds_read_b128 v[144:147], v2 offset:1392
	ds_read_b128 v[148:151], v2 offset:1408
	ds_read_b128 v[152:155], v2 offset:1424
	s_waitcnt vmcnt(30) lgkmcnt(14)
	v_mul_f64 v[0:1], v[156:157], v[134:135]
	s_waitcnt vmcnt(29)
	v_mul_f64 v[108:109], v[172:173], v[162:163]
	v_fmac_f64_e32 v[0:1], v[158:159], v[132:133]
	s_waitcnt vmcnt(28)
	v_mul_f64 v[110:111], v[232:233], v[166:167]
	v_fmac_f64_e32 v[108:109], v[174:175], v[160:161]
	v_add_f64 v[0:1], v[0:1], 0
	s_waitcnt vmcnt(27)
	v_mul_f64 v[112:113], v[228:229], v[170:171]
	v_fmac_f64_e32 v[110:111], v[234:235], v[164:165]
	v_add_f64 v[0:1], v[0:1], v[108:109]
	;; [unrolled: 4-line block ×4, first 2 shown]
	s_waitcnt vmcnt(24) lgkmcnt(13)
	v_mul_f64 v[118:119], v[224:225], v[190:191]
	v_fmac_f64_e32 v[116:117], v[186:187], v[180:181]
	v_add_f64 v[0:1], v[0:1], v[114:115]
	s_waitcnt vmcnt(23) lgkmcnt(12)
	v_mul_f64 v[120:121], v[196:197], v[194:195]
	v_fmac_f64_e32 v[118:119], v[226:227], v[188:189]
	v_add_f64 v[0:1], v[0:1], v[116:117]
	;; [unrolled: 4-line block ×9, first 2 shown]
	v_fmac_f64_e32 v[138:139], v[58:59], v[16:17]
	v_add_f64 v[0:1], v[0:1], v[136:137]
	v_add_f64 v[0:1], v[0:1], v[138:139]
	ds_read_b128 v[136:139], v2 offset:1360
	s_waitcnt vmcnt(15) lgkmcnt(5)
	v_mul_f64 v[140:141], v[48:49], v[22:23]
	v_fmac_f64_e32 v[140:141], v[50:51], v[20:21]
	s_waitcnt vmcnt(14) lgkmcnt(4)
	v_mul_f64 v[112:113], v[44:45], v[26:27]
	scratch_load_dwordx4 v[108:111], off, off offset:736
	v_add_f64 v[0:1], v[0:1], v[140:141]
	v_fmac_f64_e32 v[112:113], v[46:47], v[24:25]
	v_add_f64 v[0:1], v[0:1], v[112:113]
	scratch_load_dwordx4 v[112:115], off, off offset:752
	ds_read_b128 v[140:143], v2 offset:1376
	s_waitcnt vmcnt(15) lgkmcnt(1)
	v_mul_f64 v[116:117], v[136:137], v[30:31]
	v_fmac_f64_e32 v[116:117], v[138:139], v[28:29]
	v_add_f64 v[0:1], v[0:1], v[116:117]
	scratch_load_dwordx4 v[116:119], off, off offset:768
	s_waitcnt vmcnt(15) lgkmcnt(0)
	v_mul_f64 v[120:121], v[140:141], v[34:35]
	v_fmac_f64_e32 v[120:121], v[142:143], v[32:33]
	s_waitcnt vmcnt(14)
	v_mul_f64 v[124:125], v[144:145], v[38:39]
	v_add_f64 v[0:1], v[0:1], v[120:121]
	scratch_load_dwordx4 v[120:123], off, off offset:784
	v_fmac_f64_e32 v[124:125], v[146:147], v[36:37]
	v_add_f64 v[0:1], v[0:1], v[124:125]
	s_waitcnt vmcnt(14)
	v_mul_f64 v[124:125], v[148:149], v[54:55]
	scratch_load_dwordx4 v[128:131], off, off offset:800
	v_fmac_f64_e32 v[124:125], v[150:151], v[52:53]
	v_add_f64 v[0:1], v[0:1], v[124:125]
	scratch_load_dwordx4 v[124:127], off, off offset:816
	v_mul_f64 v[134:135], v[158:159], v[134:135]
	v_fma_f64 v[240:241], v[156:157], v[132:133], -v[134:135]
	ds_read_b128 v[156:159], v2 offset:1440
	s_waitcnt vmcnt(15)
	v_mul_f64 v[132:133], v[152:153], v[70:71]
	v_fmac_f64_e32 v[132:133], v[154:155], v[68:69]
	v_add_f64 v[0:1], v[0:1], v[132:133]
	v_mul_f64 v[132:133], v[174:175], v[162:163]
	v_fma_f64 v[242:243], v[172:173], v[160:161], -v[132:133]
	scratch_load_dwordx4 v[132:135], off, off offset:832
	ds_read_b128 v[160:163], v2 offset:1456
	v_mul_f64 v[166:167], v[234:235], v[166:167]
	v_fma_f64 v[244:245], v[232:233], v[164:165], -v[166:167]
	ds_read_b128 v[164:167], v2 offset:1472
	s_waitcnt vmcnt(15) lgkmcnt(2)
	v_mul_f64 v[172:173], v[156:157], v[74:75]
	v_fmac_f64_e32 v[172:173], v[158:159], v[72:73]
	v_add_f64 v[0:1], v[0:1], v[172:173]
	s_waitcnt vmcnt(14) lgkmcnt(1)
	v_mul_f64 v[172:173], v[160:161], v[78:79]
	v_fmac_f64_e32 v[172:173], v[162:163], v[76:77]
	v_mul_f64 v[170:171], v[230:231], v[170:171]
	v_fma_f64 v[246:247], v[228:229], v[168:169], -v[170:171]
	ds_read_b128 v[168:171], v2 offset:1488
	v_add_f64 v[0:1], v[0:1], v[172:173]
	s_waitcnt vmcnt(13) lgkmcnt(1)
	v_mul_f64 v[172:173], v[164:165], v[82:83]
	v_fmac_f64_e32 v[172:173], v[166:167], v[80:81]
	v_add_f64 v[0:1], v[0:1], v[172:173]
	ds_read_b128 v[172:175], v2 offset:1504
	v_mul_f64 v[178:179], v[238:239], v[178:179]
	v_fma_f64 v[236:237], v[236:237], v[176:177], -v[178:179]
	ds_read_b128 v[176:179], v2 offset:1520
	s_waitcnt vmcnt(12) lgkmcnt(2)
	v_mul_f64 v[228:229], v[168:169], v[86:87]
	v_fmac_f64_e32 v[228:229], v[170:171], v[84:85]
	v_add_f64 v[0:1], v[0:1], v[228:229]
	s_waitcnt vmcnt(11) lgkmcnt(1)
	v_mul_f64 v[228:229], v[172:173], v[90:91]
	v_mul_f64 v[182:183], v[186:187], v[182:183]
	v_fmac_f64_e32 v[228:229], v[174:175], v[88:89]
	v_fma_f64 v[238:239], v[184:185], v[180:181], -v[182:183]
	ds_read_b128 v[180:183], v2 offset:1536
	s_waitcnt vmcnt(10) lgkmcnt(1)
	v_mul_f64 v[184:185], v[176:177], v[94:95]
	v_add_f64 v[0:1], v[0:1], v[228:229]
	v_fmac_f64_e32 v[184:185], v[178:179], v[92:93]
	v_add_f64 v[0:1], v[0:1], v[184:185]
	ds_read_b128 v[184:187], v2 offset:1552
	v_mul_f64 v[190:191], v[226:227], v[190:191]
	v_fma_f64 v[248:249], v[224:225], v[188:189], -v[190:191]
	ds_read_b128 v[188:191], v2 offset:1568
	s_waitcnt vmcnt(9) lgkmcnt(2)
	v_mul_f64 v[228:229], v[180:181], v[98:99]
	v_fmac_f64_e32 v[228:229], v[182:183], v[96:97]
	s_waitcnt vmcnt(8) lgkmcnt(1)
	v_mul_f64 v[224:225], v[184:185], v[102:103]
	v_mul_f64 v[194:195], v[198:199], v[194:195]
	v_add_f64 v[0:1], v[0:1], v[228:229]
	v_fmac_f64_e32 v[224:225], v[186:187], v[100:101]
	v_fma_f64 v[254:255], v[196:197], v[192:193], -v[194:195]
	s_waitcnt vmcnt(7) lgkmcnt(0)
	v_mul_f64 v[196:197], v[188:189], v[106:107]
	ds_read_b128 v[192:195], v2 offset:1584
	v_add_f64 v[0:1], v[0:1], v[224:225]
	v_fmac_f64_e32 v[196:197], v[190:191], v[104:105]
	v_add_f64 v[0:1], v[0:1], v[196:197]
	ds_read_b128 v[196:199], v2 offset:1600
	v_mul_f64 v[202:203], v[210:211], v[202:203]
	v_fma_f64 v[250:251], v[208:209], v[200:201], -v[202:203]
	ds_read_b128 v[200:203], v2 offset:1616
	s_waitcnt vmcnt(6) lgkmcnt(2)
	v_mul_f64 v[224:225], v[192:193], v[110:111]
	v_fmac_f64_e32 v[224:225], v[194:195], v[108:109]
	s_waitcnt vmcnt(5) lgkmcnt(1)
	v_mul_f64 v[208:209], v[196:197], v[114:115]
	v_add_f64 v[0:1], v[0:1], v[224:225]
	v_fmac_f64_e32 v[208:209], v[198:199], v[112:113]
	v_add_f64 v[208:209], v[0:1], v[208:209]
	v_mul_f64 v[0:1], v[222:223], v[206:207]
	v_fma_f64 v[0:1], v[220:221], v[204:205], -v[0:1]
	ds_read_b128 v[204:207], v2 offset:1632
	s_waitcnt vmcnt(4) lgkmcnt(1)
	v_mul_f64 v[210:211], v[200:201], v[118:119]
	v_fmac_f64_e32 v[210:211], v[202:203], v[116:117]
	v_add_f64 v[220:221], v[208:209], v[210:211]
	ds_read_b128 v[208:211], v2 offset:1648
	v_mul_f64 v[214:215], v[218:219], v[214:215]
	v_fma_f64 v[252:253], v[216:217], v[212:213], -v[214:215]
	ds_read_b128 v[212:215], v2 offset:1664
	s_waitcnt vmcnt(3) lgkmcnt(2)
	v_mul_f64 v[216:217], v[204:205], v[122:123]
	v_fmac_f64_e32 v[216:217], v[206:207], v[120:121]
	s_waitcnt vmcnt(2) lgkmcnt(1)
	v_mul_f64 v[218:219], v[208:209], v[130:131]
	v_add_f64 v[216:217], v[220:221], v[216:217]
	v_fmac_f64_e32 v[218:219], v[210:211], v[128:129]
	v_add_f64 v[216:217], v[216:217], v[218:219]
	s_waitcnt vmcnt(1) lgkmcnt(0)
	v_mul_f64 v[218:219], v[212:213], v[126:127]
	v_fmac_f64_e32 v[218:219], v[214:215], v[124:125]
	v_add_f64 v[220:221], v[216:217], v[218:219]
	ds_read_b128 v[216:219], v2 offset:1680
	ds_read_b128 v[224:227], v2 offset:1696
	scratch_load_dwordx4 v[232:235], off, off offset:864
	v_accvgpr_write_b32 a111, v1
	v_accvgpr_write_b32 a110, v0
	s_waitcnt vmcnt(1) lgkmcnt(1)
	v_mul_f64 v[222:223], v[216:217], v[134:135]
	v_fmac_f64_e32 v[222:223], v[218:219], v[132:133]
	v_add_f64 v[228:229], v[220:221], v[222:223]
	scratch_load_dwordx4 v[220:223], off, off offset:848
	v_mul_f64 v[6:7], v[42:43], v[6:7]
	v_fma_f64 v[4:5], v[40:41], v[4:5], -v[6:7]
	s_waitcnt vmcnt(0) lgkmcnt(0)
	v_mul_f64 v[230:231], v[224:225], v[222:223]
	v_fmac_f64_e32 v[230:231], v[226:227], v[220:221]
	v_add_f64 v[0:1], v[228:229], v[230:231]
	ds_read_b128 v[228:231], v2 offset:1712
	s_waitcnt lgkmcnt(0)
	v_mul_f64 v[2:3], v[228:229], v[234:235]
	v_fmac_f64_e32 v[2:3], v[230:231], v[232:233]
	v_add_f64 v[2:3], v[0:1], v[2:3]
	v_add_f64 v[0:1], v[240:241], 0
	;; [unrolled: 1-line block ×7, first 2 shown]
	scratch_load_dwordx4 v[236:239], off, off offset:224
	v_add_f64 v[0:1], v[0:1], v[248:249]
	v_add_f64 v[0:1], v[0:1], v[254:255]
	;; [unrolled: 1-line block ×3, first 2 shown]
	v_accvgpr_read_b32 v0, a110
	v_accvgpr_read_b32 v1, a111
	v_add_f64 v[0:1], v[254:255], v[0:1]
	v_add_f64 v[0:1], v[0:1], v[252:253]
	v_add_f64 v[0:1], v[0:1], v[4:5]
	v_mul_f64 v[4:5], v[66:67], v[10:11]
	v_fma_f64 v[4:5], v[64:65], v[8:9], -v[4:5]
	v_add_f64 v[0:1], v[0:1], v[4:5]
	v_mul_f64 v[4:5], v[62:63], v[14:15]
	v_fma_f64 v[4:5], v[60:61], v[12:13], -v[4:5]
	v_add_f64 v[0:1], v[0:1], v[4:5]
	;; [unrolled: 3-line block ×28, first 2 shown]
	s_waitcnt vmcnt(0)
	v_add_f64 v[4:5], v[236:237], -v[0:1]
	v_accvgpr_read_b32 v0, a108
	v_add_f64 v[6:7], v[238:239], -v[2:3]
	v_cmp_lt_u32_e32 vcc, 12, v0
	scratch_store_dwordx4 off, v[4:7], off offset:224
	s_and_saveexec_b64 s[0:1], vcc
	s_cbranch_execz .LBB117_313
; %bb.312:
	scratch_load_dwordx4 v[2:5], off, s58
	v_mov_b32_e32 v6, 0
	v_mov_b32_e32 v7, v6
	;; [unrolled: 1-line block ×4, first 2 shown]
	v_accvgpr_read_b32 v0, a109
	scratch_store_dwordx4 off, v[6:9], off offset:208
	s_waitcnt vmcnt(1)
	ds_write_b128 v0, v[2:5]
.LBB117_313:
	s_or_b64 exec, exec, s[0:1]
	s_waitcnt lgkmcnt(0)
	; wave barrier
	scratch_load_dwordx4 v[112:115], off, off offset:224
	scratch_load_dwordx4 v[116:119], off, off offset:240
	;; [unrolled: 1-line block ×30, first 2 shown]
	v_mov_b32_e32 v2, 0
	ds_read_b128 v[144:147], v2 offset:1072
	ds_read_b128 v[156:159], v2 offset:1088
	;; [unrolled: 1-line block ×20, first 2 shown]
	s_waitcnt vmcnt(29) lgkmcnt(14)
	v_mul_f64 v[0:1], v[144:145], v[114:115]
	s_waitcnt vmcnt(28)
	v_mul_f64 v[88:89], v[156:157], v[118:119]
	v_fmac_f64_e32 v[0:1], v[146:147], v[112:113]
	s_waitcnt vmcnt(27)
	v_mul_f64 v[90:91], v[168:169], v[122:123]
	v_fmac_f64_e32 v[88:89], v[158:159], v[116:117]
	v_add_f64 v[0:1], v[0:1], 0
	s_waitcnt vmcnt(26)
	v_mul_f64 v[92:93], v[180:181], v[154:155]
	v_fmac_f64_e32 v[90:91], v[170:171], v[120:121]
	v_add_f64 v[0:1], v[0:1], v[88:89]
	;; [unrolled: 4-line block ×4, first 2 shown]
	s_waitcnt vmcnt(23) lgkmcnt(13)
	v_mul_f64 v[98:99], v[212:213], v[174:175]
	v_fmac_f64_e32 v[96:97], v[206:207], v[164:165]
	v_add_f64 v[0:1], v[0:1], v[94:95]
	s_waitcnt vmcnt(22) lgkmcnt(12)
	v_mul_f64 v[100:101], v[216:217], v[178:179]
	v_fmac_f64_e32 v[98:99], v[214:215], v[172:173]
	v_add_f64 v[0:1], v[0:1], v[96:97]
	;; [unrolled: 4-line block ×9, first 2 shown]
	v_fmac_f64_e32 v[126:127], v[82:83], v[234:235]
	v_add_f64 v[0:1], v[0:1], v[124:125]
	scratch_load_dwordx4 v[88:91], off, off offset:704
	s_waitcnt vmcnt(15) lgkmcnt(4)
	v_mul_f64 v[128:129], v[76:77], v[14:15]
	v_add_f64 v[0:1], v[0:1], v[126:127]
	ds_read_b128 v[124:127], v2 offset:1344
	v_fmac_f64_e32 v[128:129], v[78:79], v[12:13]
	v_add_f64 v[0:1], v[0:1], v[128:129]
	ds_read_b128 v[128:131], v2 offset:1360
	s_waitcnt vmcnt(14) lgkmcnt(5)
	v_mul_f64 v[92:93], v[72:73], v[18:19]
	v_fmac_f64_e32 v[92:93], v[74:75], v[16:17]
	v_add_f64 v[0:1], v[0:1], v[92:93]
	s_waitcnt vmcnt(13) lgkmcnt(1)
	v_mul_f64 v[96:97], v[124:125], v[22:23]
	scratch_load_dwordx4 v[92:95], off, off offset:720
	v_fmac_f64_e32 v[96:97], v[126:127], v[20:21]
	v_add_f64 v[0:1], v[0:1], v[96:97]
	s_waitcnt vmcnt(13) lgkmcnt(0)
	v_mul_f64 v[100:101], v[128:129], v[26:27]
	scratch_load_dwordx4 v[96:99], off, off offset:736
	v_fmac_f64_e32 v[100:101], v[130:131], v[24:25]
	v_add_f64 v[0:1], v[0:1], v[100:101]
	scratch_load_dwordx4 v[100:103], off, off offset:752
	s_waitcnt vmcnt(14)
	v_mul_f64 v[104:105], v[132:133], v[30:31]
	v_fmac_f64_e32 v[104:105], v[134:135], v[28:29]
	v_add_f64 v[0:1], v[0:1], v[104:105]
	s_waitcnt vmcnt(13)
	v_mul_f64 v[104:105], v[136:137], v[34:35]
	v_fmac_f64_e32 v[104:105], v[138:139], v[32:33]
	v_add_f64 v[0:1], v[0:1], v[104:105]
	scratch_load_dwordx4 v[104:107], off, off offset:768
	s_waitcnt vmcnt(13)
	v_mul_f64 v[108:109], v[140:141], v[38:39]
	v_fmac_f64_e32 v[108:109], v[142:143], v[36:37]
	v_add_f64 v[0:1], v[0:1], v[108:109]
	scratch_load_dwordx4 v[108:111], off, off offset:784
	v_mul_f64 v[114:115], v[146:147], v[114:115]
	v_fma_f64 v[240:241], v[144:145], v[112:113], -v[114:115]
	v_mul_f64 v[112:113], v[158:159], v[118:119]
	ds_read_b128 v[148:151], v2 offset:1424
	ds_read_b128 v[144:147], v2 offset:1440
	v_fma_f64 v[246:247], v[156:157], v[116:117], -v[112:113]
	scratch_load_dwordx4 v[116:119], off, off offset:800
	scratch_load_dwordx4 v[112:115], off, off offset:816
	v_mul_f64 v[122:123], v[170:171], v[122:123]
	v_fma_f64 v[248:249], v[168:169], v[120:121], -v[122:123]
	scratch_load_dwordx4 v[120:123], off, off offset:832
	s_waitcnt vmcnt(16) lgkmcnt(1)
	v_mul_f64 v[156:157], v[148:149], v[42:43]
	v_fmac_f64_e32 v[156:157], v[150:151], v[40:41]
	v_mul_f64 v[154:155], v[182:183], v[154:155]
	v_add_f64 v[0:1], v[0:1], v[156:157]
	v_fma_f64 v[254:255], v[180:181], v[152:153], -v[154:155]
	ds_read_b128 v[152:155], v2 offset:1456
	s_waitcnt vmcnt(15) lgkmcnt(1)
	v_mul_f64 v[156:157], v[144:145], v[46:47]
	v_fmac_f64_e32 v[156:157], v[146:147], v[44:45]
	v_add_f64 v[0:1], v[0:1], v[156:157]
	ds_read_b128 v[156:159], v2 offset:1472
	v_mul_f64 v[162:163], v[194:195], v[162:163]
	v_fma_f64 v[232:233], v[192:193], v[160:161], -v[162:163]
	ds_read_b128 v[160:163], v2 offset:1488
	s_waitcnt vmcnt(14) lgkmcnt(2)
	v_mul_f64 v[168:169], v[152:153], v[50:51]
	v_fmac_f64_e32 v[168:169], v[154:155], v[48:49]
	v_add_f64 v[0:1], v[0:1], v[168:169]
	s_waitcnt vmcnt(13) lgkmcnt(1)
	v_mul_f64 v[168:169], v[156:157], v[54:55]
	v_fmac_f64_e32 v[168:169], v[158:159], v[52:53]
	v_mul_f64 v[166:167], v[206:207], v[166:167]
	v_add_f64 v[0:1], v[0:1], v[168:169]
	v_fma_f64 v[238:239], v[204:205], v[164:165], -v[166:167]
	ds_read_b128 v[164:167], v2 offset:1504
	s_waitcnt vmcnt(12) lgkmcnt(1)
	v_mul_f64 v[168:169], v[160:161], v[58:59]
	v_fmac_f64_e32 v[168:169], v[162:163], v[56:57]
	v_add_f64 v[0:1], v[0:1], v[168:169]
	ds_read_b128 v[168:171], v2 offset:1520
	v_accvgpr_write_b32 a113, v7
	v_accvgpr_write_b32 a112, v6
	;; [unrolled: 1-line block ×4, first 2 shown]
	s_waitcnt vmcnt(11) lgkmcnt(1)
	v_mul_f64 v[6:7], v[164:165], v[62:63]
	v_mul_f64 v[174:175], v[214:215], v[174:175]
	v_fmac_f64_e32 v[6:7], v[166:167], v[60:61]
	v_fma_f64 v[8:9], v[212:213], v[172:173], -v[174:175]
	ds_read_b128 v[172:175], v2 offset:1536
	v_add_f64 v[0:1], v[0:1], v[6:7]
	s_waitcnt vmcnt(10) lgkmcnt(1)
	v_mul_f64 v[6:7], v[168:169], v[66:67]
	v_fmac_f64_e32 v[6:7], v[170:171], v[64:65]
	v_add_f64 v[0:1], v[0:1], v[6:7]
	v_mul_f64 v[6:7], v[218:219], v[178:179]
	v_fma_f64 v[4:5], v[216:217], v[176:177], -v[6:7]
	ds_read_b128 v[176:179], v2 offset:1552
	ds_read_b128 v[180:183], v2 offset:1568
	s_waitcnt vmcnt(9) lgkmcnt(2)
	v_mul_f64 v[6:7], v[172:173], v[70:71]
	v_fmac_f64_e32 v[6:7], v[174:175], v[68:69]
	v_add_f64 v[0:1], v[0:1], v[6:7]
	s_waitcnt vmcnt(8) lgkmcnt(1)
	v_mul_f64 v[6:7], v[176:177], v[90:91]
	v_fmac_f64_e32 v[6:7], v[178:179], v[88:89]
	v_add_f64 v[0:1], v[0:1], v[6:7]
	v_mul_f64 v[6:7], v[222:223], v[186:187]
	v_fma_f64 v[10:11], v[220:221], v[184:185], -v[6:7]
	ds_read_b128 v[184:187], v2 offset:1584
	v_mul_f64 v[6:7], v[226:227], v[190:191]
	v_fma_f64 v[6:7], v[224:225], v[188:189], -v[6:7]
	ds_read_b128 v[188:191], v2 offset:1600
	s_waitcnt vmcnt(7) lgkmcnt(2)
	v_mul_f64 v[192:193], v[180:181], v[94:95]
	v_fmac_f64_e32 v[192:193], v[182:183], v[92:93]
	v_add_f64 v[0:1], v[0:1], v[192:193]
	s_waitcnt vmcnt(6) lgkmcnt(1)
	v_mul_f64 v[192:193], v[184:185], v[98:99]
	v_fmac_f64_e32 v[192:193], v[186:187], v[96:97]
	v_add_f64 v[0:1], v[0:1], v[192:193]
	s_waitcnt vmcnt(5) lgkmcnt(0)
	v_mul_f64 v[204:205], v[188:189], v[102:103]
	ds_read_b128 v[192:195], v2 offset:1616
	v_fmac_f64_e32 v[204:205], v[190:191], v[100:101]
	v_add_f64 v[204:205], v[0:1], v[204:205]
	v_mul_f64 v[0:1], v[230:231], v[198:199]
	v_fma_f64 v[0:1], v[228:229], v[196:197], -v[0:1]
	ds_read_b128 v[196:199], v2 offset:1632
	v_mul_f64 v[202:203], v[244:245], v[202:203]
	s_waitcnt vmcnt(4) lgkmcnt(1)
	v_mul_f64 v[206:207], v[192:193], v[106:107]
	v_fma_f64 v[242:243], v[242:243], v[200:201], -v[202:203]
	ds_read_b128 v[200:203], v2 offset:1648
	v_fmac_f64_e32 v[206:207], v[194:195], v[104:105]
	v_add_f64 v[212:213], v[204:205], v[206:207]
	ds_read_b128 v[204:207], v2 offset:1664
	s_waitcnt vmcnt(3) lgkmcnt(2)
	v_mul_f64 v[214:215], v[196:197], v[110:111]
	v_mul_f64 v[210:211], v[252:253], v[210:211]
	v_fmac_f64_e32 v[214:215], v[198:199], v[108:109]
	v_fma_f64 v[250:251], v[250:251], v[208:209], -v[210:211]
	ds_read_b128 v[208:211], v2 offset:1680
	ds_read_b128 v[216:219], v2 offset:1696
	v_add_f64 v[212:213], v[212:213], v[214:215]
	s_waitcnt vmcnt(2) lgkmcnt(3)
	v_mul_f64 v[214:215], v[200:201], v[118:119]
	v_fmac_f64_e32 v[214:215], v[202:203], v[116:117]
	v_add_f64 v[212:213], v[212:213], v[214:215]
	s_waitcnt vmcnt(1) lgkmcnt(2)
	v_mul_f64 v[214:215], v[204:205], v[114:115]
	v_fmac_f64_e32 v[214:215], v[206:207], v[112:113]
	;; [unrolled: 4-line block ×3, first 2 shown]
	v_add_f64 v[220:221], v[212:213], v[214:215]
	scratch_load_dwordx4 v[212:215], off, off offset:848
	ds_read_b128 v[224:227], v2 offset:1712
	s_waitcnt vmcnt(0) lgkmcnt(1)
	v_mul_f64 v[222:223], v[216:217], v[214:215]
	v_fmac_f64_e32 v[222:223], v[218:219], v[212:213]
	v_add_f64 v[228:229], v[220:221], v[222:223]
	scratch_load_dwordx4 v[220:223], off, off offset:864
	s_waitcnt vmcnt(0) lgkmcnt(0)
	v_mul_f64 v[230:231], v[224:225], v[222:223]
	v_fmac_f64_e32 v[230:231], v[226:227], v[220:221]
	v_add_f64 v[244:245], v[228:229], v[230:231]
	v_add_f64 v[228:229], v[240:241], 0
	v_add_f64 v[228:229], v[228:229], v[246:247]
	v_add_f64 v[228:229], v[228:229], v[248:249]
	v_add_f64 v[228:229], v[228:229], v[254:255]
	v_add_f64 v[228:229], v[228:229], v[232:233]
	v_add_f64 v[228:229], v[228:229], v[238:239]
	v_add_f64 v[8:9], v[228:229], v[8:9]
	scratch_load_dwordx4 v[228:231], off, off offset:208
	v_add_f64 v[4:5], v[8:9], v[4:5]
	v_add_f64 v[252:253], v[4:5], v[10:11]
	;; [unrolled: 1-line block ×3, first 2 shown]
	v_accvgpr_read_b32 v6, a110
	v_add_f64 v[0:1], v[4:5], v[0:1]
	v_accvgpr_read_b32 v8, a112
	v_accvgpr_read_b32 v9, a113
	v_add_f64 v[0:1], v[0:1], v[242:243]
	v_accvgpr_read_b32 v7, a111
	v_mul_f64 v[4:5], v[86:87], v[8:9]
	v_add_f64 v[0:1], v[0:1], v[250:251]
	v_fma_f64 v[4:5], v[84:85], v[6:7], -v[4:5]
	v_add_f64 v[0:1], v[0:1], v[4:5]
	v_mul_f64 v[4:5], v[82:83], v[236:237]
	v_fma_f64 v[4:5], v[80:81], v[234:235], -v[4:5]
	v_add_f64 v[0:1], v[0:1], v[4:5]
	v_mul_f64 v[4:5], v[78:79], v[14:15]
	;; [unrolled: 3-line block ×27, first 2 shown]
	v_fma_f64 v[4:5], v[224:225], v[220:221], -v[4:5]
	v_add_f64 v[0:1], v[0:1], v[4:5]
	s_waitcnt vmcnt(0)
	v_add_f64 v[4:5], v[228:229], -v[0:1]
	v_accvgpr_read_b32 v0, a108
	v_add_f64 v[6:7], v[230:231], -v[244:245]
	v_cmp_lt_u32_e32 vcc, 11, v0
	scratch_store_dwordx4 off, v[4:7], off offset:208
	s_and_saveexec_b64 s[0:1], vcc
	s_cbranch_execz .LBB117_315
; %bb.314:
	scratch_load_dwordx4 v[6:9], off, s59
	v_mov_b32_e32 v3, v2
	v_mov_b32_e32 v4, v2
	;; [unrolled: 1-line block ×3, first 2 shown]
	v_accvgpr_read_b32 v0, a109
	scratch_store_dwordx4 off, v[2:5], off offset:192
	s_waitcnt vmcnt(1)
	ds_write_b128 v0, v[6:9]
.LBB117_315:
	s_or_b64 exec, exec, s[0:1]
	s_waitcnt lgkmcnt(0)
	; wave barrier
	scratch_load_dwordx4 v[88:91], off, off offset:208
	scratch_load_dwordx4 v[92:95], off, off offset:224
	scratch_load_dwordx4 v[96:99], off, off offset:240
	scratch_load_dwordx4 v[100:103], off, off offset:256
	scratch_load_dwordx4 v[104:107], off, off offset:272
	scratch_load_dwordx4 v[108:111], off, off offset:288
	scratch_load_dwordx4 v[112:115], off, off offset:304
	scratch_load_dwordx4 v[116:119], off, off offset:320
	scratch_load_dwordx4 v[120:123], off, off offset:336
	scratch_load_dwordx4 v[124:127], off, off offset:352
	scratch_load_dwordx4 v[128:131], off, off offset:368
	scratch_load_dwordx4 v[132:135], off, off offset:384
	scratch_load_dwordx4 v[136:139], off, off offset:400
	scratch_load_dwordx4 v[4:7], off, off offset:416
	scratch_load_dwordx4 v[8:11], off, off offset:432
	scratch_load_dwordx4 v[12:15], off, off offset:448
	scratch_load_dwordx4 v[16:19], off, off offset:464
	ds_read_b128 v[212:215], v2 offset:1056
	ds_read_b128 v[204:207], v2 offset:1072
	;; [unrolled: 1-line block ×3, first 2 shown]
	scratch_load_dwordx4 v[20:23], off, off offset:480
	ds_read_b128 v[216:219], v2 offset:1104
	ds_read_b128 v[208:211], v2 offset:1120
	ds_read_b128 v[200:203], v2 offset:1136
	ds_read_b128 v[184:187], v2 offset:1152
	ds_read_b128 v[156:159], v2 offset:1168
	scratch_load_dwordx4 v[24:27], off, off offset:496
	ds_read_b128 v[180:183], v2 offset:1184
	ds_read_b128 v[160:163], v2 offset:1200
	;; [unrolled: 1-line block ×3, first 2 shown]
	scratch_load_dwordx4 v[28:31], off, off offset:512
	ds_read_b128 v[172:175], v2 offset:1232
	ds_read_b128 v[148:151], v2 offset:1248
	;; [unrolled: 1-line block ×5, first 2 shown]
	scratch_load_dwordx4 v[36:39], off, off offset:528
	ds_read_b128 v[48:51], v2 offset:1312
	scratch_load_dwordx4 v[52:55], off, off offset:544
	scratch_load_dwordx4 v[56:59], off, off offset:560
	;; [unrolled: 1-line block ×9, first 2 shown]
	ds_read_b128 v[140:143], v2 offset:1328
	ds_read_b128 v[232:235], v2 offset:1392
	ds_read_b128 v[228:231], v2 offset:1376
	s_waitcnt vmcnt(29) lgkmcnt(14)
	v_mul_f64 v[0:1], v[212:213], v[90:91]
	s_waitcnt vmcnt(28)
	v_mul_f64 v[152:153], v[204:205], v[94:95]
	v_fmac_f64_e32 v[0:1], v[214:215], v[88:89]
	s_waitcnt vmcnt(27)
	v_mul_f64 v[154:155], v[196:197], v[98:99]
	v_fmac_f64_e32 v[152:153], v[206:207], v[92:93]
	v_add_f64 v[0:1], v[0:1], 0
	s_waitcnt vmcnt(26)
	v_mul_f64 v[164:165], v[216:217], v[102:103]
	v_fmac_f64_e32 v[154:155], v[198:199], v[96:97]
	v_add_f64 v[0:1], v[0:1], v[152:153]
	;; [unrolled: 4-line block ×4, first 2 shown]
	s_waitcnt vmcnt(23) lgkmcnt(13)
	v_mul_f64 v[170:171], v[184:185], v[114:115]
	v_fmac_f64_e32 v[168:169], v[202:203], v[108:109]
	v_add_f64 v[0:1], v[0:1], v[166:167]
	s_waitcnt vmcnt(22) lgkmcnt(12)
	v_mul_f64 v[176:177], v[156:157], v[118:119]
	v_fmac_f64_e32 v[170:171], v[186:187], v[112:113]
	v_add_f64 v[0:1], v[0:1], v[168:169]
	;; [unrolled: 4-line block ×10, first 2 shown]
	v_fmac_f64_e32 v[224:225], v[34:35], v[12:13]
	v_add_f64 v[0:1], v[0:1], v[222:223]
	ds_read_b128 v[220:223], v2 offset:1344
	v_add_f64 v[0:1], v[0:1], v[224:225]
	ds_read_b128 v[224:227], v2 offset:1360
	s_waitcnt vmcnt(13) lgkmcnt(5)
	v_mul_f64 v[164:165], v[48:49], v[18:19]
	scratch_load_dwordx4 v[152:155], off, off offset:688
	v_fmac_f64_e32 v[164:165], v[50:51], v[16:17]
	s_waitcnt vmcnt(13) lgkmcnt(4)
	v_mul_f64 v[168:169], v[140:141], v[22:23]
	v_add_f64 v[0:1], v[0:1], v[164:165]
	v_fmac_f64_e32 v[168:169], v[142:143], v[20:21]
	scratch_load_dwordx4 v[164:167], off, off offset:704
	v_add_f64 v[0:1], v[0:1], v[168:169]
	s_waitcnt vmcnt(13) lgkmcnt(1)
	v_mul_f64 v[176:177], v[220:221], v[26:27]
	scratch_load_dwordx4 v[168:171], off, off offset:720
	v_fmac_f64_e32 v[176:177], v[222:223], v[24:25]
	s_waitcnt vmcnt(13) lgkmcnt(0)
	v_mul_f64 v[188:189], v[224:225], v[30:31]
	v_add_f64 v[0:1], v[0:1], v[176:177]
	scratch_load_dwordx4 v[176:179], off, off offset:736
	v_fmac_f64_e32 v[188:189], v[226:227], v[28:29]
	v_add_f64 v[0:1], v[0:1], v[188:189]
	s_waitcnt vmcnt(13)
	v_mul_f64 v[188:189], v[228:229], v[38:39]
	v_fmac_f64_e32 v[188:189], v[230:231], v[36:37]
	v_add_f64 v[0:1], v[0:1], v[188:189]
	scratch_load_dwordx4 v[188:191], off, off offset:752
	s_waitcnt vmcnt(13)
	v_mul_f64 v[192:193], v[232:233], v[54:55]
	v_fmac_f64_e32 v[192:193], v[234:235], v[52:53]
	v_mul_f64 v[90:91], v[214:215], v[90:91]
	v_add_f64 v[0:1], v[0:1], v[192:193]
	scratch_load_dwordx4 v[192:195], off, off offset:768
	v_fma_f64 v[240:241], v[212:213], v[88:89], -v[90:91]
	v_mul_f64 v[88:89], v[206:207], v[94:95]
	ds_read_b128 v[236:239], v2 offset:1408
	ds_read_b128 v[212:215], v2 offset:1424
	v_fma_f64 v[242:243], v[204:205], v[92:93], -v[88:89]
	scratch_load_dwordx4 v[92:95], off, off offset:784
	scratch_load_dwordx4 v[88:91], off, off offset:800
	v_mul_f64 v[98:99], v[198:199], v[98:99]
	v_fma_f64 v[244:245], v[196:197], v[96:97], -v[98:99]
	scratch_load_dwordx4 v[96:99], off, off offset:816
	s_waitcnt vmcnt(16) lgkmcnt(1)
	v_mul_f64 v[204:205], v[236:237], v[58:59]
	v_mul_f64 v[102:103], v[218:219], v[102:103]
	v_fmac_f64_e32 v[204:205], v[238:239], v[56:57]
	v_fma_f64 v[216:217], v[216:217], v[100:101], -v[102:103]
	ds_read_b128 v[100:103], v2 offset:1440
	s_waitcnt vmcnt(15) lgkmcnt(1)
	v_mul_f64 v[196:197], v[212:213], v[62:63]
	v_add_f64 v[0:1], v[0:1], v[204:205]
	v_fmac_f64_e32 v[196:197], v[214:215], v[60:61]
	v_add_f64 v[0:1], v[0:1], v[196:197]
	ds_read_b128 v[196:199], v2 offset:1456
	v_mul_f64 v[106:107], v[210:211], v[106:107]
	v_fma_f64 v[218:219], v[208:209], v[104:105], -v[106:107]
	ds_read_b128 v[104:107], v2 offset:1472
	s_waitcnt vmcnt(14) lgkmcnt(2)
	v_mul_f64 v[204:205], v[100:101], v[66:67]
	v_fmac_f64_e32 v[204:205], v[102:103], v[64:65]
	v_add_f64 v[0:1], v[0:1], v[204:205]
	s_waitcnt vmcnt(13) lgkmcnt(1)
	v_mul_f64 v[204:205], v[196:197], v[70:71]
	v_mul_f64 v[110:111], v[202:203], v[110:111]
	v_fmac_f64_e32 v[204:205], v[198:199], v[68:69]
	v_fma_f64 v[246:247], v[200:201], v[108:109], -v[110:111]
	ds_read_b128 v[108:111], v2 offset:1488
	s_waitcnt vmcnt(12) lgkmcnt(1)
	v_mul_f64 v[200:201], v[104:105], v[74:75]
	v_add_f64 v[0:1], v[0:1], v[204:205]
	v_fmac_f64_e32 v[200:201], v[106:107], v[72:73]
	v_add_f64 v[0:1], v[0:1], v[200:201]
	ds_read_b128 v[200:203], v2 offset:1504
	v_mul_f64 v[114:115], v[186:187], v[114:115]
	v_fma_f64 v[248:249], v[184:185], v[112:113], -v[114:115]
	ds_read_b128 v[112:115], v2 offset:1520
	s_waitcnt vmcnt(11) lgkmcnt(2)
	v_mul_f64 v[184:185], v[108:109], v[78:79]
	v_fmac_f64_e32 v[184:185], v[110:111], v[76:77]
	v_add_f64 v[0:1], v[0:1], v[184:185]
	s_waitcnt vmcnt(10) lgkmcnt(1)
	v_mul_f64 v[184:185], v[200:201], v[82:83]
	v_mul_f64 v[118:119], v[158:159], v[118:119]
	v_fmac_f64_e32 v[184:185], v[202:203], v[80:81]
	v_fma_f64 v[254:255], v[156:157], v[116:117], -v[118:119]
	s_waitcnt vmcnt(9) lgkmcnt(0)
	v_mul_f64 v[156:157], v[112:113], v[86:87]
	v_add_f64 v[0:1], v[0:1], v[184:185]
	ds_read_b128 v[116:119], v2 offset:1536
	v_fmac_f64_e32 v[156:157], v[114:115], v[84:85]
	v_add_f64 v[0:1], v[0:1], v[156:157]
	ds_read_b128 v[156:159], v2 offset:1552
	v_mul_f64 v[122:123], v[182:183], v[122:123]
	v_fma_f64 v[250:251], v[180:181], v[120:121], -v[122:123]
	ds_read_b128 v[120:123], v2 offset:1568
	v_accvgpr_write_b32 a113, v7
	v_mul_f64 v[126:127], v[162:163], v[126:127]
	v_accvgpr_write_b32 a112, v6
	v_accvgpr_write_b32 a111, v5
	;; [unrolled: 1-line block ×3, first 2 shown]
	v_fma_f64 v[4:5], v[160:161], v[124:125], -v[126:127]
	ds_read_b128 v[124:127], v2 offset:1584
	s_waitcnt vmcnt(8) lgkmcnt(3)
	v_mul_f64 v[184:185], v[116:117], v[154:155]
	v_fmac_f64_e32 v[184:185], v[118:119], v[152:153]
	s_waitcnt vmcnt(7) lgkmcnt(2)
	v_mul_f64 v[180:181], v[156:157], v[166:167]
	v_add_f64 v[0:1], v[0:1], v[184:185]
	v_fmac_f64_e32 v[180:181], v[158:159], v[164:165]
	s_waitcnt vmcnt(6) lgkmcnt(1)
	v_mul_f64 v[6:7], v[120:121], v[170:171]
	ds_read_b128 v[160:163], v2 offset:1600
	v_add_f64 v[0:1], v[0:1], v[180:181]
	v_fmac_f64_e32 v[6:7], v[122:123], v[168:169]
	v_add_f64 v[0:1], v[0:1], v[6:7]
	s_waitcnt vmcnt(5) lgkmcnt(1)
	v_mul_f64 v[6:7], v[124:125], v[178:179]
	v_fmac_f64_e32 v[6:7], v[126:127], v[176:177]
	v_add_f64 v[0:1], v[0:1], v[6:7]
	v_mul_f64 v[6:7], v[146:147], v[130:131]
	v_fma_f64 v[6:7], v[144:145], v[128:129], -v[6:7]
	ds_read_b128 v[128:131], v2 offset:1616
	s_waitcnt vmcnt(4) lgkmcnt(1)
	v_mul_f64 v[144:145], v[160:161], v[190:191]
	v_fmac_f64_e32 v[144:145], v[162:163], v[188:189]
	v_add_f64 v[180:181], v[0:1], v[144:145]
	v_mul_f64 v[0:1], v[174:175], v[134:135]
	v_fma_f64 v[0:1], v[172:173], v[132:133], -v[0:1]
	ds_read_b128 v[132:135], v2 offset:1632
	ds_read_b128 v[144:147], v2 offset:1648
	v_mul_f64 v[138:139], v[150:151], v[138:139]
	v_fma_f64 v[252:253], v[148:149], v[136:137], -v[138:139]
	ds_read_b128 v[136:139], v2 offset:1664
	s_waitcnt vmcnt(3) lgkmcnt(3)
	v_mul_f64 v[172:173], v[128:129], v[194:195]
	v_fmac_f64_e32 v[172:173], v[130:131], v[192:193]
	s_waitcnt vmcnt(2) lgkmcnt(2)
	v_mul_f64 v[148:149], v[132:133], v[94:95]
	v_add_f64 v[172:173], v[180:181], v[172:173]
	v_fmac_f64_e32 v[148:149], v[134:135], v[92:93]
	s_waitcnt vmcnt(1) lgkmcnt(1)
	v_mul_f64 v[150:151], v[144:145], v[90:91]
	v_add_f64 v[148:149], v[172:173], v[148:149]
	v_fmac_f64_e32 v[150:151], v[146:147], v[88:89]
	v_add_f64 v[148:149], v[148:149], v[150:151]
	ds_read_b128 v[172:175], v2 offset:1680
	scratch_load_dwordx4 v[208:211], off, off offset:864
	s_waitcnt vmcnt(1) lgkmcnt(1)
	v_mul_f64 v[150:151], v[136:137], v[98:99]
	v_fmac_f64_e32 v[150:151], v[138:139], v[96:97]
	v_add_f64 v[180:181], v[148:149], v[150:151]
	scratch_load_dwordx4 v[148:151], off, off offset:832
	ds_read_b128 v[184:187], v2 offset:1696
	v_accvgpr_write_b32 a115, v1
	v_accvgpr_write_b32 a114, v0
	s_waitcnt vmcnt(0) lgkmcnt(1)
	v_mul_f64 v[182:183], v[172:173], v[150:151]
	v_fmac_f64_e32 v[182:183], v[174:175], v[148:149]
	v_add_f64 v[204:205], v[180:181], v[182:183]
	scratch_load_dwordx4 v[180:183], off, off offset:848
	s_waitcnt vmcnt(0) lgkmcnt(0)
	v_mul_f64 v[206:207], v[184:185], v[182:183]
	v_fmac_f64_e32 v[206:207], v[186:187], v[180:181]
	v_add_f64 v[0:1], v[204:205], v[206:207]
	ds_read_b128 v[204:207], v2 offset:1712
	s_waitcnt lgkmcnt(0)
	v_mul_f64 v[2:3], v[204:205], v[210:211]
	v_fmac_f64_e32 v[2:3], v[206:207], v[208:209]
	v_add_f64 v[2:3], v[0:1], v[2:3]
	v_add_f64 v[0:1], v[240:241], 0
	;; [unrolled: 1-line block ×6, first 2 shown]
	scratch_load_dwordx4 v[216:219], off, off offset:192
	v_add_f64 v[0:1], v[0:1], v[246:247]
	v_add_f64 v[0:1], v[0:1], v[248:249]
	;; [unrolled: 1-line block ×6, first 2 shown]
	v_accvgpr_read_b32 v0, a114
	v_accvgpr_read_b32 v243, a113
	;; [unrolled: 1-line block ×4, first 2 shown]
	v_add_f64 v[0:1], v[254:255], v[0:1]
	v_accvgpr_read_b32 v241, a111
	v_accvgpr_read_b32 v240, a110
	v_mul_f64 v[4:5], v[46:47], v[242:243]
	v_add_f64 v[0:1], v[0:1], v[252:253]
	v_fma_f64 v[4:5], v[44:45], v[240:241], -v[4:5]
	v_add_f64 v[0:1], v[0:1], v[4:5]
	v_mul_f64 v[4:5], v[42:43], v[10:11]
	v_fma_f64 v[4:5], v[40:41], v[8:9], -v[4:5]
	v_add_f64 v[0:1], v[0:1], v[4:5]
	v_mul_f64 v[4:5], v[34:35], v[14:15]
	v_fma_f64 v[4:5], v[32:33], v[12:13], -v[4:5]
	v_add_f64 v[0:1], v[0:1], v[4:5]
	v_mul_f64 v[4:5], v[50:51], v[18:19]
	v_fma_f64 v[4:5], v[48:49], v[16:17], -v[4:5]
	v_add_f64 v[0:1], v[0:1], v[4:5]
	v_mul_f64 v[4:5], v[142:143], v[22:23]
	v_fma_f64 v[4:5], v[140:141], v[20:21], -v[4:5]
	v_add_f64 v[0:1], v[0:1], v[4:5]
	v_mul_f64 v[4:5], v[222:223], v[26:27]
	v_fma_f64 v[4:5], v[220:221], v[24:25], -v[4:5]
	v_add_f64 v[0:1], v[0:1], v[4:5]
	v_mul_f64 v[4:5], v[226:227], v[30:31]
	v_fma_f64 v[4:5], v[224:225], v[28:29], -v[4:5]
	v_add_f64 v[0:1], v[0:1], v[4:5]
	v_mul_f64 v[4:5], v[230:231], v[38:39]
	v_fma_f64 v[4:5], v[228:229], v[36:37], -v[4:5]
	v_add_f64 v[0:1], v[0:1], v[4:5]
	v_mul_f64 v[4:5], v[234:235], v[54:55]
	v_fma_f64 v[4:5], v[232:233], v[52:53], -v[4:5]
	v_add_f64 v[0:1], v[0:1], v[4:5]
	v_mul_f64 v[4:5], v[238:239], v[58:59]
	v_fma_f64 v[4:5], v[236:237], v[56:57], -v[4:5]
	v_add_f64 v[0:1], v[0:1], v[4:5]
	v_mul_f64 v[4:5], v[214:215], v[62:63]
	v_fma_f64 v[4:5], v[212:213], v[60:61], -v[4:5]
	v_add_f64 v[0:1], v[0:1], v[4:5]
	v_mul_f64 v[4:5], v[102:103], v[66:67]
	v_fma_f64 v[4:5], v[100:101], v[64:65], -v[4:5]
	v_add_f64 v[0:1], v[0:1], v[4:5]
	v_mul_f64 v[4:5], v[198:199], v[70:71]
	v_fma_f64 v[4:5], v[196:197], v[68:69], -v[4:5]
	v_add_f64 v[0:1], v[0:1], v[4:5]
	v_mul_f64 v[4:5], v[106:107], v[74:75]
	v_fma_f64 v[4:5], v[104:105], v[72:73], -v[4:5]
	v_add_f64 v[0:1], v[0:1], v[4:5]
	v_mul_f64 v[4:5], v[110:111], v[78:79]
	v_fma_f64 v[4:5], v[108:109], v[76:77], -v[4:5]
	v_add_f64 v[0:1], v[0:1], v[4:5]
	v_mul_f64 v[4:5], v[202:203], v[82:83]
	v_fma_f64 v[4:5], v[200:201], v[80:81], -v[4:5]
	v_add_f64 v[0:1], v[0:1], v[4:5]
	v_mul_f64 v[4:5], v[114:115], v[86:87]
	v_fma_f64 v[4:5], v[112:113], v[84:85], -v[4:5]
	v_add_f64 v[0:1], v[0:1], v[4:5]
	v_mul_f64 v[4:5], v[118:119], v[154:155]
	v_fma_f64 v[4:5], v[116:117], v[152:153], -v[4:5]
	v_add_f64 v[0:1], v[0:1], v[4:5]
	v_mul_f64 v[4:5], v[158:159], v[166:167]
	v_fma_f64 v[4:5], v[156:157], v[164:165], -v[4:5]
	v_add_f64 v[0:1], v[0:1], v[4:5]
	v_mul_f64 v[4:5], v[122:123], v[170:171]
	v_fma_f64 v[4:5], v[120:121], v[168:169], -v[4:5]
	v_add_f64 v[0:1], v[0:1], v[4:5]
	v_mul_f64 v[4:5], v[126:127], v[178:179]
	v_fma_f64 v[4:5], v[124:125], v[176:177], -v[4:5]
	v_add_f64 v[0:1], v[0:1], v[4:5]
	v_mul_f64 v[4:5], v[162:163], v[190:191]
	v_fma_f64 v[4:5], v[160:161], v[188:189], -v[4:5]
	v_add_f64 v[0:1], v[0:1], v[4:5]
	v_mul_f64 v[4:5], v[130:131], v[194:195]
	v_fma_f64 v[4:5], v[128:129], v[192:193], -v[4:5]
	v_add_f64 v[0:1], v[0:1], v[4:5]
	v_mul_f64 v[4:5], v[134:135], v[94:95]
	v_fma_f64 v[4:5], v[132:133], v[92:93], -v[4:5]
	v_add_f64 v[0:1], v[0:1], v[4:5]
	v_mul_f64 v[4:5], v[146:147], v[90:91]
	v_fma_f64 v[4:5], v[144:145], v[88:89], -v[4:5]
	v_add_f64 v[0:1], v[0:1], v[4:5]
	v_mul_f64 v[4:5], v[138:139], v[98:99]
	v_fma_f64 v[4:5], v[136:137], v[96:97], -v[4:5]
	v_add_f64 v[0:1], v[0:1], v[4:5]
	v_mul_f64 v[4:5], v[174:175], v[150:151]
	v_fma_f64 v[4:5], v[172:173], v[148:149], -v[4:5]
	v_add_f64 v[0:1], v[0:1], v[4:5]
	v_mul_f64 v[4:5], v[186:187], v[182:183]
	v_fma_f64 v[4:5], v[184:185], v[180:181], -v[4:5]
	v_add_f64 v[0:1], v[0:1], v[4:5]
	v_mul_f64 v[4:5], v[206:207], v[210:211]
	v_fma_f64 v[4:5], v[204:205], v[208:209], -v[4:5]
	v_add_f64 v[0:1], v[0:1], v[4:5]
	s_waitcnt vmcnt(0)
	v_add_f64 v[4:5], v[216:217], -v[0:1]
	v_accvgpr_read_b32 v0, a108
	v_add_f64 v[6:7], v[218:219], -v[2:3]
	v_cmp_lt_u32_e32 vcc, 10, v0
	scratch_store_dwordx4 off, v[4:7], off offset:192
	s_and_saveexec_b64 s[0:1], vcc
	s_cbranch_execz .LBB117_317
; %bb.316:
	scratch_load_dwordx4 v[2:5], off, s60
	v_mov_b32_e32 v6, 0
	v_mov_b32_e32 v7, v6
	;; [unrolled: 1-line block ×4, first 2 shown]
	v_accvgpr_read_b32 v0, a109
	scratch_store_dwordx4 off, v[6:9], off offset:176
	s_waitcnt vmcnt(1)
	ds_write_b128 v0, v[2:5]
.LBB117_317:
	s_or_b64 exec, exec, s[0:1]
	s_waitcnt lgkmcnt(0)
	; wave barrier
	scratch_load_dwordx4 v[96:99], off, off offset:192
	scratch_load_dwordx4 v[100:103], off, off offset:208
	;; [unrolled: 1-line block ×30, first 2 shown]
	v_mov_b32_e32 v2, 0
	ds_read_b128 v[136:139], v2 offset:1040
	ds_read_b128 v[144:147], v2 offset:1056
	;; [unrolled: 1-line block ×20, first 2 shown]
	s_waitcnt vmcnt(29) lgkmcnt(14)
	v_mul_f64 v[0:1], v[136:137], v[98:99]
	s_waitcnt vmcnt(28)
	v_mul_f64 v[72:73], v[144:145], v[102:103]
	v_fmac_f64_e32 v[0:1], v[138:139], v[96:97]
	s_waitcnt vmcnt(27)
	v_mul_f64 v[74:75], v[148:149], v[106:107]
	v_fmac_f64_e32 v[72:73], v[146:147], v[100:101]
	v_add_f64 v[0:1], v[0:1], 0
	s_waitcnt vmcnt(26)
	v_mul_f64 v[76:77], v[164:165], v[110:111]
	v_fmac_f64_e32 v[74:75], v[150:151], v[104:105]
	v_add_f64 v[0:1], v[0:1], v[72:73]
	;; [unrolled: 4-line block ×4, first 2 shown]
	s_waitcnt vmcnt(23) lgkmcnt(13)
	v_mul_f64 v[82:83], v[200:201], v[158:159]
	v_fmac_f64_e32 v[80:81], v[190:191], v[152:153]
	v_add_f64 v[0:1], v[0:1], v[78:79]
	s_waitcnt vmcnt(22) lgkmcnt(12)
	v_mul_f64 v[84:85], v[208:209], v[162:163]
	v_fmac_f64_e32 v[82:83], v[202:203], v[156:157]
	v_add_f64 v[0:1], v[0:1], v[80:81]
	;; [unrolled: 4-line block ×9, first 2 shown]
	s_waitcnt vmcnt(14) lgkmcnt(4)
	v_mul_f64 v[120:121], v[68:69], v[6:7]
	v_fmac_f64_e32 v[118:119], v[252:253], v[204:205]
	v_accvgpr_write_b32 a113, v7
	v_add_f64 v[0:1], v[0:1], v[116:117]
	v_fmac_f64_e32 v[120:121], v[70:71], v[4:5]
	v_accvgpr_write_b32 a112, v6
	v_accvgpr_write_b32 a111, v5
	;; [unrolled: 1-line block ×3, first 2 shown]
	v_add_f64 v[0:1], v[0:1], v[118:119]
	ds_read_b128 v[116:119], v2 offset:1312
	s_waitcnt vmcnt(13)
	v_mov_b64_e32 v[4:5], v[8:9]
	v_mov_b64_e32 v[6:7], v[10:11]
	s_waitcnt lgkmcnt(4)
	v_mul_f64 v[76:77], v[64:65], v[6:7]
	scratch_load_dwordx4 v[72:75], off, off offset:672
	v_add_f64 v[0:1], v[0:1], v[120:121]
	v_fmac_f64_e32 v[76:77], v[66:67], v[4:5]
	v_add_f64 v[0:1], v[0:1], v[76:77]
	scratch_load_dwordx4 v[76:79], off, off offset:688
	ds_read_b128 v[120:123], v2 offset:1328
	s_waitcnt vmcnt(14) lgkmcnt(1)
	v_mul_f64 v[80:81], v[116:117], v[236:237]
	v_fmac_f64_e32 v[80:81], v[118:119], v[234:235]
	v_add_f64 v[0:1], v[0:1], v[80:81]
	scratch_load_dwordx4 v[80:83], off, off offset:704
	s_waitcnt vmcnt(14) lgkmcnt(0)
	v_mul_f64 v[84:85], v[120:121], v[18:19]
	v_fmac_f64_e32 v[84:85], v[122:123], v[16:17]
	s_waitcnt vmcnt(13)
	v_mul_f64 v[88:89], v[124:125], v[22:23]
	v_add_f64 v[0:1], v[0:1], v[84:85]
	v_fmac_f64_e32 v[88:89], v[126:127], v[20:21]
	scratch_load_dwordx4 v[84:87], off, off offset:720
	v_add_f64 v[0:1], v[0:1], v[88:89]
	s_waitcnt vmcnt(13)
	v_mul_f64 v[88:89], v[128:129], v[26:27]
	v_fmac_f64_e32 v[88:89], v[130:131], v[24:25]
	v_add_f64 v[0:1], v[0:1], v[88:89]
	scratch_load_dwordx4 v[88:91], off, off offset:736
	s_waitcnt vmcnt(13)
	v_mul_f64 v[92:93], v[132:133], v[30:31]
	v_fmac_f64_e32 v[92:93], v[134:135], v[28:29]
	v_add_f64 v[0:1], v[0:1], v[92:93]
	scratch_load_dwordx4 v[92:95], off, off offset:752
	v_mul_f64 v[98:99], v[138:139], v[98:99]
	v_fma_f64 v[240:241], v[136:137], v[96:97], -v[98:99]
	v_mul_f64 v[96:97], v[146:147], v[102:103]
	ds_read_b128 v[140:143], v2 offset:1392
	ds_read_b128 v[136:139], v2 offset:1408
	v_fma_f64 v[246:247], v[144:145], v[100:101], -v[96:97]
	scratch_load_dwordx4 v[100:103], off, off offset:768
	scratch_load_dwordx4 v[96:99], off, off offset:784
	s_waitcnt vmcnt(15) lgkmcnt(1)
	v_mul_f64 v[144:145], v[140:141], v[34:35]
	v_fmac_f64_e32 v[144:145], v[142:143], v[32:33]
	v_mul_f64 v[106:107], v[150:151], v[106:107]
	v_add_f64 v[0:1], v[0:1], v[144:145]
	s_waitcnt vmcnt(14) lgkmcnt(0)
	v_mul_f64 v[144:145], v[136:137], v[38:39]
	v_fma_f64 v[248:249], v[148:149], v[104:105], -v[106:107]
	v_mul_f64 v[104:105], v[166:167], v[110:111]
	v_fmac_f64_e32 v[144:145], v[138:139], v[36:37]
	v_fma_f64 v[254:255], v[164:165], v[108:109], -v[104:105]
	scratch_load_dwordx4 v[104:107], off, off offset:800
	v_add_f64 v[0:1], v[0:1], v[144:145]
	ds_read_b128 v[144:147], v2 offset:1424
	ds_read_b128 v[148:151], v2 offset:1440
	v_mul_f64 v[108:109], v[178:179], v[114:115]
	v_fma_f64 v[232:233], v[176:177], v[112:113], -v[108:109]
	scratch_load_dwordx4 v[108:111], off, off offset:816
	s_waitcnt vmcnt(15) lgkmcnt(1)
	v_mul_f64 v[112:113], v[144:145], v[42:43]
	v_fmac_f64_e32 v[112:113], v[146:147], v[40:41]
	v_add_f64 v[0:1], v[0:1], v[112:113]
	v_mul_f64 v[112:113], v[190:191], v[154:155]
	v_fma_f64 v[238:239], v[188:189], v[152:153], -v[112:113]
	scratch_load_dwordx4 v[112:115], off, off offset:832
	ds_read_b128 v[152:155], v2 offset:1456
	s_waitcnt vmcnt(15) lgkmcnt(1)
	v_mul_f64 v[164:165], v[148:149], v[46:47]
	v_mul_f64 v[158:159], v[202:203], v[158:159]
	v_fmac_f64_e32 v[164:165], v[150:151], v[44:45]
	v_fma_f64 v[12:13], v[200:201], v[156:157], -v[158:159]
	ds_read_b128 v[156:159], v2 offset:1472
	s_waitcnt vmcnt(14) lgkmcnt(1)
	v_mul_f64 v[6:7], v[152:153], v[50:51]
	v_add_f64 v[0:1], v[0:1], v[164:165]
	v_fmac_f64_e32 v[6:7], v[154:155], v[48:49]
	v_accvgpr_write_b32 a117, v11
	v_add_f64 v[0:1], v[0:1], v[6:7]
	v_mul_f64 v[6:7], v[210:211], v[162:163]
	v_accvgpr_write_b32 a116, v10
	v_accvgpr_write_b32 a115, v9
	;; [unrolled: 1-line block ×3, first 2 shown]
	v_fma_f64 v[8:9], v[208:209], v[160:161], -v[6:7]
	ds_read_b128 v[160:163], v2 offset:1488
	ds_read_b128 v[164:167], v2 offset:1504
	s_waitcnt vmcnt(13) lgkmcnt(2)
	v_mul_f64 v[6:7], v[156:157], v[54:55]
	v_fmac_f64_e32 v[6:7], v[158:159], v[52:53]
	v_add_f64 v[0:1], v[0:1], v[6:7]
	s_waitcnt vmcnt(12) lgkmcnt(1)
	v_mul_f64 v[6:7], v[160:161], v[62:63]
	v_fmac_f64_e32 v[6:7], v[162:163], v[60:61]
	v_add_f64 v[0:1], v[0:1], v[6:7]
	v_mul_f64 v[6:7], v[214:215], v[170:171]
	v_fma_f64 v[10:11], v[212:213], v[168:169], -v[6:7]
	s_waitcnt vmcnt(11) lgkmcnt(0)
	v_mul_f64 v[6:7], v[164:165], v[58:59]
	v_fmac_f64_e32 v[6:7], v[166:167], v[56:57]
	ds_read_b128 v[168:171], v2 offset:1520
	v_add_f64 v[0:1], v[0:1], v[6:7]
	v_mul_f64 v[6:7], v[218:219], v[174:175]
	v_fma_f64 v[4:5], v[216:217], v[172:173], -v[6:7]
	ds_read_b128 v[172:175], v2 offset:1536
	s_waitcnt vmcnt(10) lgkmcnt(1)
	v_mul_f64 v[6:7], v[168:169], v[74:75]
	ds_read_b128 v[176:179], v2 offset:1552
	v_fmac_f64_e32 v[6:7], v[170:171], v[72:73]
	v_add_f64 v[0:1], v[0:1], v[6:7]
	s_waitcnt vmcnt(9) lgkmcnt(1)
	v_mul_f64 v[6:7], v[172:173], v[78:79]
	v_fmac_f64_e32 v[6:7], v[174:175], v[76:77]
	v_add_f64 v[0:1], v[0:1], v[6:7]
	v_mul_f64 v[6:7], v[222:223], v[182:183]
	v_fma_f64 v[14:15], v[220:221], v[180:181], -v[6:7]
	ds_read_b128 v[180:183], v2 offset:1568
	s_waitcnt vmcnt(8) lgkmcnt(1)
	v_mul_f64 v[6:7], v[176:177], v[82:83]
	v_fmac_f64_e32 v[6:7], v[178:179], v[80:81]
	v_add_f64 v[0:1], v[0:1], v[6:7]
	v_mul_f64 v[6:7], v[226:227], v[186:187]
	v_fma_f64 v[6:7], v[224:225], v[184:185], -v[6:7]
	ds_read_b128 v[184:187], v2 offset:1584
	s_waitcnt vmcnt(7) lgkmcnt(1)
	v_mul_f64 v[188:189], v[180:181], v[86:87]
	v_fmac_f64_e32 v[188:189], v[182:183], v[84:85]
	v_add_f64 v[0:1], v[0:1], v[188:189]
	ds_read_b128 v[188:191], v2 offset:1600
	s_waitcnt vmcnt(6) lgkmcnt(1)
	v_mul_f64 v[200:201], v[184:185], v[90:91]
	v_fmac_f64_e32 v[200:201], v[186:187], v[88:89]
	v_add_f64 v[200:201], v[0:1], v[200:201]
	v_mul_f64 v[0:1], v[230:231], v[194:195]
	v_fma_f64 v[0:1], v[228:229], v[192:193], -v[0:1]
	ds_read_b128 v[192:195], v2 offset:1616
	s_waitcnt vmcnt(5) lgkmcnt(1)
	v_mul_f64 v[202:203], v[188:189], v[94:95]
	v_fmac_f64_e32 v[202:203], v[190:191], v[92:93]
	v_mul_f64 v[198:199], v[244:245], v[198:199]
	v_fma_f64 v[242:243], v[242:243], v[196:197], -v[198:199]
	ds_read_b128 v[196:199], v2 offset:1632
	v_add_f64 v[200:201], v[200:201], v[202:203]
	s_waitcnt vmcnt(4) lgkmcnt(1)
	v_mul_f64 v[202:203], v[192:193], v[102:103]
	v_fmac_f64_e32 v[202:203], v[194:195], v[100:101]
	v_add_f64 v[208:209], v[200:201], v[202:203]
	ds_read_b128 v[200:203], v2 offset:1648
	v_mul_f64 v[206:207], v[252:253], v[206:207]
	v_fma_f64 v[250:251], v[250:251], v[204:205], -v[206:207]
	ds_read_b128 v[204:207], v2 offset:1664
	s_waitcnt vmcnt(3) lgkmcnt(2)
	v_mul_f64 v[210:211], v[196:197], v[98:99]
	v_fmac_f64_e32 v[210:211], v[198:199], v[96:97]
	v_add_f64 v[208:209], v[208:209], v[210:211]
	s_waitcnt vmcnt(2) lgkmcnt(1)
	v_mul_f64 v[210:211], v[200:201], v[106:107]
	v_fmac_f64_e32 v[210:211], v[202:203], v[104:105]
	v_add_f64 v[208:209], v[208:209], v[210:211]
	;; [unrolled: 4-line block ×3, first 2 shown]
	ds_read_b128 v[208:211], v2 offset:1680
	ds_read_b128 v[216:219], v2 offset:1696
	ds_read_b128 v[224:227], v2 offset:1712
	s_waitcnt vmcnt(0) lgkmcnt(2)
	v_mul_f64 v[214:215], v[208:209], v[114:115]
	v_fmac_f64_e32 v[214:215], v[210:211], v[112:113]
	v_add_f64 v[220:221], v[212:213], v[214:215]
	scratch_load_dwordx4 v[212:215], off, off offset:848
	s_waitcnt vmcnt(0) lgkmcnt(1)
	v_mul_f64 v[222:223], v[216:217], v[214:215]
	v_fmac_f64_e32 v[222:223], v[218:219], v[212:213]
	v_add_f64 v[228:229], v[220:221], v[222:223]
	scratch_load_dwordx4 v[220:223], off, off offset:864
	s_waitcnt vmcnt(0) lgkmcnt(0)
	v_mul_f64 v[230:231], v[224:225], v[222:223]
	v_fmac_f64_e32 v[230:231], v[226:227], v[220:221]
	v_add_f64 v[244:245], v[228:229], v[230:231]
	v_add_f64 v[228:229], v[240:241], 0
	;; [unrolled: 1-line block ×8, first 2 shown]
	scratch_load_dwordx4 v[228:231], off, off offset:176
	v_add_f64 v[8:9], v[12:13], v[8:9]
	v_add_f64 v[8:9], v[8:9], v[10:11]
	v_add_f64 v[4:5], v[8:9], v[4:5]
	v_add_f64 v[252:253], v[4:5], v[14:15]
	v_add_f64 v[4:5], v[252:253], v[6:7]
	v_accvgpr_read_b32 v6, a110
	v_accvgpr_read_b32 v8, a112
	;; [unrolled: 1-line block ×3, first 2 shown]
	v_add_f64 v[0:1], v[4:5], v[0:1]
	v_accvgpr_read_b32 v7, a111
	v_mul_f64 v[4:5], v[70:71], v[8:9]
	v_add_f64 v[0:1], v[0:1], v[242:243]
	v_fma_f64 v[4:5], v[68:69], v[6:7], -v[4:5]
	v_accvgpr_read_b32 v6, a114
	v_add_f64 v[0:1], v[0:1], v[250:251]
	v_accvgpr_read_b32 v8, a116
	v_accvgpr_read_b32 v9, a117
	v_add_f64 v[0:1], v[0:1], v[4:5]
	v_accvgpr_read_b32 v7, a115
	v_mul_f64 v[4:5], v[66:67], v[8:9]
	v_fma_f64 v[4:5], v[64:65], v[6:7], -v[4:5]
	v_add_f64 v[0:1], v[0:1], v[4:5]
	v_mul_f64 v[4:5], v[118:119], v[236:237]
	v_fma_f64 v[4:5], v[116:117], v[234:235], -v[4:5]
	v_add_f64 v[0:1], v[0:1], v[4:5]
	;; [unrolled: 3-line block ×27, first 2 shown]
	s_waitcnt vmcnt(0)
	v_add_f64 v[4:5], v[228:229], -v[0:1]
	v_accvgpr_read_b32 v0, a108
	v_add_f64 v[6:7], v[230:231], -v[244:245]
	v_cmp_lt_u32_e32 vcc, 9, v0
	scratch_store_dwordx4 off, v[4:7], off offset:176
	s_and_saveexec_b64 s[0:1], vcc
	s_cbranch_execz .LBB117_319
; %bb.318:
	scratch_load_dwordx4 v[6:9], off, s61
	v_mov_b32_e32 v3, v2
	v_mov_b32_e32 v4, v2
	;; [unrolled: 1-line block ×3, first 2 shown]
	v_accvgpr_read_b32 v0, a109
	scratch_store_dwordx4 off, v[2:5], off offset:160
	s_waitcnt vmcnt(1)
	ds_write_b128 v0, v[6:9]
.LBB117_319:
	s_or_b64 exec, exec, s[0:1]
	s_waitcnt lgkmcnt(0)
	; wave barrier
	scratch_load_dwordx4 v[72:75], off, off offset:176
	scratch_load_dwordx4 v[76:79], off, off offset:192
	;; [unrolled: 1-line block ×17, first 2 shown]
	ds_read_b128 v[176:179], v2 offset:1024
	ds_read_b128 v[192:195], v2 offset:1040
	;; [unrolled: 1-line block ×3, first 2 shown]
	scratch_load_dwordx4 v[20:23], off, off offset:448
	ds_read_b128 v[236:239], v2 offset:1072
	ds_read_b128 v[232:235], v2 offset:1088
	ds_read_b128 v[228:231], v2 offset:1104
	ds_read_b128 v[220:223], v2 offset:1120
	ds_read_b128 v[208:211], v2 offset:1136
	scratch_load_dwordx4 v[168:171], off, off offset:464
	ds_read_b128 v[224:227], v2 offset:1152
	ds_read_b128 v[212:215], v2 offset:1168
	;; [unrolled: 1-line block ×3, first 2 shown]
	scratch_load_dwordx4 v[12:15], off, off offset:480
	ds_read_b128 v[216:219], v2 offset:1200
	ds_read_b128 v[204:207], v2 offset:1216
	;; [unrolled: 1-line block ×5, first 2 shown]
	scratch_load_dwordx4 v[28:31], off, off offset:496
	ds_read_b128 v[32:35], v2 offset:1280
	scratch_load_dwordx4 v[36:39], off, off offset:512
	scratch_load_dwordx4 v[40:43], off, off offset:528
	scratch_load_dwordx4 v[44:47], off, off offset:544
	scratch_load_dwordx4 v[48:51], off, off offset:560
	scratch_load_dwordx4 v[52:55], off, off offset:576
	scratch_load_dwordx4 v[56:59], off, off offset:592
	scratch_load_dwordx4 v[60:63], off, off offset:608
	scratch_load_dwordx4 v[68:71], off, off offset:624
	scratch_load_dwordx4 v[64:67], off, off offset:640
	ds_read_b128 v[132:135], v2 offset:1296
	s_waitcnt lgkmcnt(2)
	v_accvgpr_write_b32 a117, v19
	v_accvgpr_write_b32 a116, v18
	;; [unrolled: 1-line block ×4, first 2 shown]
	ds_read_b128 v[172:175], v2 offset:1360
	s_waitcnt vmcnt(29)
	v_mul_f64 v[0:1], v[176:177], v[74:75]
	s_waitcnt vmcnt(28)
	v_mul_f64 v[136:137], v[192:193], v[78:79]
	v_fmac_f64_e32 v[0:1], v[178:179], v[72:73]
	s_waitcnt vmcnt(27)
	v_mul_f64 v[138:139], v[188:189], v[82:83]
	v_fmac_f64_e32 v[136:137], v[194:195], v[76:77]
	v_add_f64 v[0:1], v[0:1], 0
	s_waitcnt vmcnt(26)
	v_mul_f64 v[140:141], v[236:237], v[86:87]
	v_fmac_f64_e32 v[138:139], v[190:191], v[80:81]
	v_add_f64 v[0:1], v[0:1], v[136:137]
	;; [unrolled: 4-line block ×14, first 2 shown]
	v_fmac_f64_e32 v[164:165], v[18:19], v[4:5]
	v_add_f64 v[0:1], v[0:1], v[162:163]
	s_waitcnt vmcnt(13) lgkmcnt(2)
	v_mul_f64 v[140:141], v[32:33], v[26:27]
	scratch_load_dwordx4 v[136:139], off, off offset:656
	v_add_f64 v[0:1], v[0:1], v[164:165]
	v_fmac_f64_e32 v[140:141], v[34:35], v[24:25]
	v_add_f64 v[0:1], v[0:1], v[140:141]
	ds_read_b128 v[160:163], v2 offset:1312
	scratch_load_dwordx4 v[140:143], off, off offset:672
	ds_read_b128 v[164:167], v2 offset:1328
	s_waitcnt vmcnt(13)
	v_mov_b64_e32 v[16:17], v[168:169]
	v_mov_b64_e32 v[18:19], v[170:171]
	ds_read_b128 v[168:171], v2 offset:1344
	s_waitcnt lgkmcnt(4)
	v_mul_f64 v[144:145], v[132:133], v[22:23]
	v_fmac_f64_e32 v[144:145], v[134:135], v[20:21]
	s_waitcnt lgkmcnt(2)
	v_mul_f64 v[148:149], v[160:161], v[18:19]
	v_add_f64 v[0:1], v[0:1], v[144:145]
	v_fmac_f64_e32 v[148:149], v[162:163], v[16:17]
	s_waitcnt vmcnt(12) lgkmcnt(1)
	v_mul_f64 v[152:153], v[164:165], v[14:15]
	scratch_load_dwordx4 v[144:147], off, off offset:688
	v_add_f64 v[0:1], v[0:1], v[148:149]
	v_fmac_f64_e32 v[152:153], v[166:167], v[12:13]
	scratch_load_dwordx4 v[148:151], off, off offset:704
	v_add_f64 v[0:1], v[0:1], v[152:153]
	s_waitcnt vmcnt(13) lgkmcnt(0)
	v_mul_f64 v[152:153], v[168:169], v[30:31]
	v_fmac_f64_e32 v[152:153], v[170:171], v[28:29]
	v_add_f64 v[0:1], v[0:1], v[152:153]
	scratch_load_dwordx4 v[152:155], off, off offset:720
	s_waitcnt vmcnt(13)
	v_mul_f64 v[156:157], v[172:173], v[38:39]
	v_fmac_f64_e32 v[156:157], v[174:175], v[36:37]
	v_mul_f64 v[74:75], v[178:179], v[74:75]
	v_add_f64 v[0:1], v[0:1], v[156:157]
	scratch_load_dwordx4 v[156:159], off, off offset:736
	v_fma_f64 v[240:241], v[176:177], v[72:73], -v[74:75]
	v_mul_f64 v[72:73], v[194:195], v[78:79]
	ds_read_b128 v[180:183], v2 offset:1376
	ds_read_b128 v[176:179], v2 offset:1392
	v_fma_f64 v[242:243], v[192:193], v[76:77], -v[72:73]
	scratch_load_dwordx4 v[76:79], off, off offset:752
	scratch_load_dwordx4 v[72:75], off, off offset:768
	v_mul_f64 v[82:83], v[190:191], v[82:83]
	v_fma_f64 v[244:245], v[188:189], v[80:81], -v[82:83]
	v_mul_f64 v[80:81], v[238:239], v[86:87]
	v_fma_f64 v[236:237], v[236:237], v[84:85], -v[80:81]
	scratch_load_dwordx4 v[80:83], off, off offset:784
	ds_read_b128 v[188:191], v2 offset:1408
	v_mul_f64 v[84:85], v[234:235], v[90:91]
	s_waitcnt vmcnt(16) lgkmcnt(2)
	v_mul_f64 v[192:193], v[180:181], v[42:43]
	v_fma_f64 v[238:239], v[232:233], v[88:89], -v[84:85]
	scratch_load_dwordx4 v[84:87], off, off offset:800
	v_fmac_f64_e32 v[192:193], v[182:183], v[40:41]
	v_add_f64 v[0:1], v[0:1], v[192:193]
	s_waitcnt vmcnt(16) lgkmcnt(1)
	v_mul_f64 v[192:193], v[176:177], v[46:47]
	v_fmac_f64_e32 v[192:193], v[178:179], v[44:45]
	v_add_f64 v[0:1], v[0:1], v[192:193]
	ds_read_b128 v[192:195], v2 offset:1424
	s_waitcnt vmcnt(15) lgkmcnt(1)
	v_mul_f64 v[88:89], v[188:189], v[50:51]
	v_fmac_f64_e32 v[88:89], v[190:191], v[48:49]
	v_add_f64 v[0:1], v[0:1], v[88:89]
	v_mul_f64 v[88:89], v[230:231], v[94:95]
	v_fma_f64 v[246:247], v[228:229], v[92:93], -v[88:89]
	scratch_load_dwordx4 v[88:91], off, off offset:816
	scratch_load_dwordx4 v[232:235], off, off offset:864
	ds_read_b128 v[92:95], v2 offset:1440
	v_mul_f64 v[98:99], v[222:223], v[98:99]
	v_fma_f64 v[248:249], v[220:221], v[96:97], -v[98:99]
	ds_read_b128 v[96:99], v2 offset:1456
	v_mul_f64 v[102:103], v[210:211], v[102:103]
	s_waitcnt vmcnt(16) lgkmcnt(2)
	v_mul_f64 v[228:229], v[192:193], v[54:55]
	v_fma_f64 v[254:255], v[208:209], v[100:101], -v[102:103]
	ds_read_b128 v[100:103], v2 offset:1472
	ds_read_b128 v[208:211], v2 offset:1488
	v_fmac_f64_e32 v[228:229], v[194:195], v[52:53]
	s_waitcnt vmcnt(15) lgkmcnt(3)
	v_mul_f64 v[220:221], v[92:93], v[58:59]
	v_add_f64 v[0:1], v[0:1], v[228:229]
	v_fmac_f64_e32 v[220:221], v[94:95], v[56:57]
	v_mul_f64 v[106:107], v[226:227], v[106:107]
	v_add_f64 v[0:1], v[0:1], v[220:221]
	s_waitcnt vmcnt(14) lgkmcnt(2)
	v_mul_f64 v[220:221], v[96:97], v[62:63]
	v_fma_f64 v[250:251], v[224:225], v[104:105], -v[106:107]
	ds_read_b128 v[104:107], v2 offset:1504
	v_fmac_f64_e32 v[220:221], v[98:99], v[60:61]
	v_mul_f64 v[110:111], v[214:215], v[110:111]
	v_add_f64 v[0:1], v[0:1], v[220:221]
	s_waitcnt vmcnt(13) lgkmcnt(2)
	v_mul_f64 v[220:221], v[100:101], v[70:71]
	v_fma_f64 v[8:9], v[212:213], v[108:109], -v[110:111]
	ds_read_b128 v[108:111], v2 offset:1520
	v_fmac_f64_e32 v[220:221], v[102:103], v[68:69]
	v_accvgpr_write_b32 a113, v7
	v_add_f64 v[0:1], v[0:1], v[220:221]
	s_waitcnt vmcnt(12) lgkmcnt(2)
	v_mul_f64 v[220:221], v[208:209], v[66:67]
	v_accvgpr_write_b32 a112, v6
	v_accvgpr_write_b32 a111, v5
	;; [unrolled: 1-line block ×3, first 2 shown]
	v_fmac_f64_e32 v[220:221], v[210:211], v[64:65]
	s_waitcnt vmcnt(11) lgkmcnt(1)
	v_mul_f64 v[6:7], v[104:105], v[138:139]
	v_add_f64 v[0:1], v[0:1], v[220:221]
	v_fmac_f64_e32 v[6:7], v[106:107], v[136:137]
	v_add_f64 v[0:1], v[0:1], v[6:7]
	s_waitcnt vmcnt(10) lgkmcnt(0)
	v_mul_f64 v[6:7], v[108:109], v[142:143]
	v_fmac_f64_e32 v[6:7], v[110:111], v[140:141]
	ds_read_b128 v[212:215], v2 offset:1536
	v_add_f64 v[0:1], v[0:1], v[6:7]
	v_mul_f64 v[6:7], v[202:203], v[114:115]
	v_fma_f64 v[6:7], v[200:201], v[112:113], -v[6:7]
	ds_read_b128 v[112:115], v2 offset:1552
	v_mul_f64 v[118:119], v[218:219], v[118:119]
	v_fma_f64 v[4:5], v[216:217], v[116:117], -v[118:119]
	ds_read_b128 v[116:119], v2 offset:1568
	s_waitcnt vmcnt(9) lgkmcnt(2)
	v_mul_f64 v[200:201], v[212:213], v[146:147]
	v_fmac_f64_e32 v[200:201], v[214:215], v[144:145]
	s_waitcnt vmcnt(8) lgkmcnt(1)
	v_mul_f64 v[10:11], v[112:113], v[150:151]
	v_add_f64 v[0:1], v[0:1], v[200:201]
	v_fmac_f64_e32 v[10:11], v[114:115], v[148:149]
	v_add_f64 v[0:1], v[0:1], v[10:11]
	ds_read_b128 v[200:203], v2 offset:1584
	s_waitcnt vmcnt(7) lgkmcnt(1)
	v_mul_f64 v[10:11], v[116:117], v[154:155]
	v_fmac_f64_e32 v[10:11], v[118:119], v[152:153]
	v_add_f64 v[10:11], v[0:1], v[10:11]
	v_mul_f64 v[0:1], v[206:207], v[122:123]
	v_fma_f64 v[0:1], v[204:205], v[120:121], -v[0:1]
	ds_read_b128 v[120:123], v2 offset:1600
	v_mul_f64 v[126:127], v[198:199], v[126:127]
	v_fma_f64 v[124:125], v[196:197], v[124:125], -v[126:127]
	s_waitcnt vmcnt(6) lgkmcnt(1)
	v_mul_f64 v[204:205], v[200:201], v[158:159]
	v_accvgpr_write_b32 a118, v124
	v_fmac_f64_e32 v[204:205], v[202:203], v[156:157]
	v_accvgpr_write_b32 a119, v125
	ds_read_b128 v[124:127], v2 offset:1616
	s_waitcnt vmcnt(5) lgkmcnt(1)
	v_mul_f64 v[196:197], v[120:121], v[78:79]
	v_add_f64 v[10:11], v[10:11], v[204:205]
	v_fmac_f64_e32 v[196:197], v[122:123], v[76:77]
	v_add_f64 v[10:11], v[10:11], v[196:197]
	ds_read_b128 v[196:199], v2 offset:1632
	v_mul_f64 v[130:131], v[186:187], v[130:131]
	v_fma_f64 v[252:253], v[184:185], v[128:129], -v[130:131]
	ds_read_b128 v[128:131], v2 offset:1648
	s_waitcnt vmcnt(4) lgkmcnt(2)
	v_mul_f64 v[184:185], v[124:125], v[74:75]
	v_fmac_f64_e32 v[184:185], v[126:127], v[72:73]
	v_add_f64 v[10:11], v[10:11], v[184:185]
	s_waitcnt vmcnt(3) lgkmcnt(1)
	v_mul_f64 v[184:185], v[196:197], v[82:83]
	v_fmac_f64_e32 v[184:185], v[198:199], v[80:81]
	v_add_f64 v[10:11], v[10:11], v[184:185]
	;; [unrolled: 4-line block ×3, first 2 shown]
	ds_read_b128 v[184:187], v2 offset:1664
	ds_read_b128 v[216:219], v2 offset:1680
	;; [unrolled: 1-line block ×3, first 2 shown]
	s_waitcnt vmcnt(1) lgkmcnt(2)
	v_mul_f64 v[204:205], v[184:185], v[90:91]
	v_fmac_f64_e32 v[204:205], v[186:187], v[88:89]
	v_add_f64 v[10:11], v[10:11], v[204:205]
	scratch_load_dwordx4 v[204:207], off, off offset:832
	s_waitcnt vmcnt(0) lgkmcnt(1)
	v_mul_f64 v[220:221], v[216:217], v[206:207]
	v_fmac_f64_e32 v[220:221], v[218:219], v[204:205]
	v_add_f64 v[10:11], v[10:11], v[220:221]
	scratch_load_dwordx4 v[220:223], off, off offset:848
	s_waitcnt vmcnt(0) lgkmcnt(0)
	v_mul_f64 v[228:229], v[224:225], v[222:223]
	v_fmac_f64_e32 v[228:229], v[226:227], v[220:221]
	v_add_f64 v[10:11], v[10:11], v[228:229]
	ds_read_b128 v[228:231], v2 offset:1712
	s_waitcnt lgkmcnt(0)
	v_mul_f64 v[2:3], v[228:229], v[234:235]
	v_fmac_f64_e32 v[2:3], v[230:231], v[232:233]
	v_add_f64 v[2:3], v[10:11], v[2:3]
	v_add_f64 v[10:11], v[240:241], 0
	;; [unrolled: 1-line block ×6, first 2 shown]
	scratch_load_dwordx4 v[236:239], off, off offset:160
	v_add_f64 v[10:11], v[10:11], v[246:247]
	v_add_f64 v[10:11], v[10:11], v[248:249]
	;; [unrolled: 1-line block ×8, first 2 shown]
	v_accvgpr_read_b32 v0, a118
	v_accvgpr_read_b32 v6, a110
	;; [unrolled: 1-line block ×7, first 2 shown]
	v_add_f64 v[0:1], v[254:255], v[0:1]
	v_accvgpr_read_b32 v7, a111
	v_accvgpr_read_b32 v241, a115
	;; [unrolled: 1-line block ×3, first 2 shown]
	v_mul_f64 v[4:5], v[242:243], v[8:9]
	v_add_f64 v[0:1], v[0:1], v[252:253]
	v_fma_f64 v[4:5], v[240:241], v[6:7], -v[4:5]
	v_add_f64 v[0:1], v[0:1], v[4:5]
	v_mul_f64 v[4:5], v[34:35], v[26:27]
	v_fma_f64 v[4:5], v[32:33], v[24:25], -v[4:5]
	v_add_f64 v[0:1], v[0:1], v[4:5]
	v_mul_f64 v[4:5], v[134:135], v[22:23]
	;; [unrolled: 3-line block ×28, first 2 shown]
	v_fma_f64 v[4:5], v[228:229], v[232:233], -v[4:5]
	v_add_f64 v[0:1], v[0:1], v[4:5]
	s_waitcnt vmcnt(0)
	v_add_f64 v[4:5], v[236:237], -v[0:1]
	v_accvgpr_read_b32 v0, a108
	v_add_f64 v[6:7], v[238:239], -v[2:3]
	v_cmp_lt_u32_e32 vcc, 8, v0
	scratch_store_dwordx4 off, v[4:7], off offset:160
	s_and_saveexec_b64 s[0:1], vcc
	s_cbranch_execz .LBB117_321
; %bb.320:
	scratch_load_dwordx4 v[2:5], off, s62
	v_mov_b32_e32 v6, 0
	v_mov_b32_e32 v7, v6
	;; [unrolled: 1-line block ×4, first 2 shown]
	v_accvgpr_read_b32 v0, a109
	scratch_store_dwordx4 off, v[6:9], off offset:144
	s_waitcnt vmcnt(1)
	ds_write_b128 v0, v[2:5]
.LBB117_321:
	s_or_b64 exec, exec, s[0:1]
	s_waitcnt lgkmcnt(0)
	; wave barrier
	scratch_load_dwordx4 v[80:83], off, off offset:160
	scratch_load_dwordx4 v[84:87], off, off offset:176
	;; [unrolled: 1-line block ×29, first 2 shown]
	v_mov_b32_e32 v2, 0
	ds_read_b128 v[132:135], v2 offset:1008
	ds_read_b128 v[136:139], v2 offset:1024
	;; [unrolled: 1-line block ×22, first 2 shown]
	s_waitcnt vmcnt(28) lgkmcnt(14)
	v_mul_f64 v[0:1], v[132:133], v[82:83]
	s_waitcnt vmcnt(27)
	v_mul_f64 v[56:57], v[136:137], v[86:87]
	v_fmac_f64_e32 v[0:1], v[134:135], v[80:81]
	s_waitcnt vmcnt(26)
	v_mul_f64 v[58:59], v[140:141], v[90:91]
	v_fmac_f64_e32 v[56:57], v[138:139], v[84:85]
	v_add_f64 v[0:1], v[0:1], 0
	s_waitcnt vmcnt(25)
	v_mul_f64 v[60:61], v[148:149], v[94:95]
	v_fmac_f64_e32 v[58:59], v[142:143], v[88:89]
	v_add_f64 v[0:1], v[0:1], v[56:57]
	;; [unrolled: 4-line block ×6, first 2 shown]
	s_waitcnt vmcnt(20) lgkmcnt(13)
	v_mul_f64 v[70:71], v[204:205], v[154:155]
	v_fmac_f64_e32 v[68:69], v[198:199], v[144:145]
	v_add_f64 v[0:1], v[0:1], v[66:67]
	s_waitcnt vmcnt(19) lgkmcnt(12)
	v_mul_f64 v[72:73], v[208:209], v[158:159]
	v_fmac_f64_e32 v[70:71], v[206:207], v[152:153]
	v_add_f64 v[0:1], v[0:1], v[68:69]
	;; [unrolled: 4-line block ×8, first 2 shown]
	v_fmac_f64_e32 v[112:113], v[244:245], v[192:193]
	v_add_f64 v[0:1], v[0:1], v[110:111]
	s_waitcnt vmcnt(12) lgkmcnt(5)
	v_mul_f64 v[60:61], v[250:251], v[202:203]
	scratch_load_dwordx4 v[56:59], off, off offset:624
	ds_read_b128 v[108:111], v2 offset:1296
	v_add_f64 v[0:1], v[0:1], v[112:113]
	v_fmac_f64_e32 v[60:61], v[252:253], v[200:201]
	v_add_f64 v[0:1], v[0:1], v[60:61]
	s_waitcnt vmcnt(12) lgkmcnt(5)
	v_mul_f64 v[64:65], v[52:53], v[6:7]
	scratch_load_dwordx4 v[60:63], off, off offset:640
	v_accvgpr_write_b32 a113, v7
	v_fmac_f64_e32 v[64:65], v[54:55], v[4:5]
	v_accvgpr_write_b32 a112, v6
	v_accvgpr_write_b32 a111, v5
	;; [unrolled: 1-line block ×3, first 2 shown]
	ds_read_b128 v[112:115], v2 offset:1312
	s_waitcnt vmcnt(12)
	v_mov_b64_e32 v[4:5], v[8:9]
	v_mov_b64_e32 v[6:7], v[10:11]
	s_waitcnt lgkmcnt(1)
	v_mul_f64 v[68:69], v[108:109], v[6:7]
	v_fmac_f64_e32 v[68:69], v[110:111], v[4:5]
	s_waitcnt vmcnt(11)
	v_mov_b64_e32 v[4:5], v[12:13]
	v_add_f64 v[0:1], v[0:1], v[64:65]
	v_mov_b64_e32 v[6:7], v[14:15]
	scratch_load_dwordx4 v[64:67], off, off offset:656
	v_add_f64 v[0:1], v[0:1], v[68:69]
	s_waitcnt lgkmcnt(0)
	v_mul_f64 v[68:69], v[112:113], v[6:7]
	v_fmac_f64_e32 v[68:69], v[114:115], v[4:5]
	v_add_f64 v[0:1], v[0:1], v[68:69]
	scratch_load_dwordx4 v[68:71], off, off offset:672
	s_waitcnt vmcnt(12)
	v_mul_f64 v[76:77], v[116:117], v[236:237]
	scratch_load_dwordx4 v[72:75], off, off offset:688
	v_fmac_f64_e32 v[76:77], v[118:119], v[234:235]
	v_add_f64 v[0:1], v[0:1], v[76:77]
	s_waitcnt vmcnt(12)
	v_mul_f64 v[76:77], v[120:121], v[22:23]
	v_fmac_f64_e32 v[76:77], v[122:123], v[20:21]
	v_add_f64 v[0:1], v[0:1], v[76:77]
	scratch_load_dwordx4 v[76:79], off, off offset:704
	v_mul_f64 v[82:83], v[134:135], v[82:83]
	v_fma_f64 v[240:241], v[132:133], v[80:81], -v[82:83]
	scratch_load_dwordx4 v[80:83], off, off offset:720
	v_mul_f64 v[86:87], v[138:139], v[86:87]
	v_fma_f64 v[246:247], v[136:137], v[84:85], -v[86:87]
	scratch_load_dwordx4 v[84:87], off, off offset:736
	v_mul_f64 v[90:91], v[142:143], v[90:91]
	s_waitcnt vmcnt(14)
	v_mul_f64 v[132:133], v[124:125], v[26:27]
	v_fma_f64 v[248:249], v[140:141], v[88:89], -v[90:91]
	scratch_load_dwordx4 v[88:91], off, off offset:752
	v_fmac_f64_e32 v[132:133], v[126:127], v[24:25]
	s_waitcnt vmcnt(14)
	v_mul_f64 v[136:137], v[128:129], v[30:31]
	v_mul_f64 v[94:95], v[150:151], v[94:95]
	v_add_f64 v[0:1], v[0:1], v[132:133]
	v_fmac_f64_e32 v[136:137], v[130:131], v[28:29]
	v_fma_f64 v[254:255], v[148:149], v[92:93], -v[94:95]
	v_mul_f64 v[92:93], v[162:163], v[98:99]
	ds_read_b128 v[132:135], v2 offset:1392
	v_add_f64 v[0:1], v[0:1], v[136:137]
	ds_read_b128 v[136:139], v2 offset:1408
	v_fma_f64 v[232:233], v[160:161], v[96:97], -v[92:93]
	scratch_load_dwordx4 v[96:99], off, off offset:768
	scratch_load_dwordx4 v[92:95], off, off offset:784
	v_mul_f64 v[102:103], v[174:175], v[102:103]
	v_fma_f64 v[238:239], v[172:173], v[100:101], -v[102:103]
	scratch_load_dwordx4 v[100:103], off, off offset:800
	v_mul_f64 v[106:107], v[186:187], v[106:107]
	v_fma_f64 v[16:17], v[184:185], v[104:105], -v[106:107]
	scratch_load_dwordx4 v[104:107], off, off offset:816
	s_waitcnt vmcnt(17) lgkmcnt(1)
	v_mul_f64 v[140:141], v[132:133], v[34:35]
	v_fmac_f64_e32 v[140:141], v[134:135], v[32:33]
	v_add_f64 v[0:1], v[0:1], v[140:141]
	ds_read_b128 v[140:143], v2 offset:1424
	v_accvgpr_write_b32 a121, v15
	v_mul_f64 v[6:7], v[198:199], v[146:147]
	v_accvgpr_write_b32 a120, v14
	v_accvgpr_write_b32 a119, v13
	;; [unrolled: 1-line block ×3, first 2 shown]
	v_fma_f64 v[12:13], v[196:197], v[144:145], -v[6:7]
	ds_read_b128 v[144:147], v2 offset:1440
	s_waitcnt vmcnt(16) lgkmcnt(2)
	v_mul_f64 v[148:149], v[136:137], v[38:39]
	v_fmac_f64_e32 v[148:149], v[138:139], v[36:37]
	v_add_f64 v[0:1], v[0:1], v[148:149]
	s_waitcnt vmcnt(15) lgkmcnt(1)
	v_mul_f64 v[6:7], v[140:141], v[42:43]
	ds_read_b128 v[148:151], v2 offset:1456
	v_fmac_f64_e32 v[6:7], v[142:143], v[40:41]
	v_add_f64 v[0:1], v[0:1], v[6:7]
	s_waitcnt vmcnt(14) lgkmcnt(1)
	v_mul_f64 v[6:7], v[144:145], v[46:47]
	v_fmac_f64_e32 v[6:7], v[146:147], v[44:45]
	v_accvgpr_write_b32 a117, v11
	v_add_f64 v[0:1], v[0:1], v[6:7]
	v_mul_f64 v[6:7], v[206:207], v[154:155]
	v_accvgpr_write_b32 a116, v10
	v_accvgpr_write_b32 a115, v9
	;; [unrolled: 1-line block ×3, first 2 shown]
	v_fma_f64 v[10:11], v[204:205], v[152:153], -v[6:7]
	ds_read_b128 v[152:155], v2 offset:1472
	s_waitcnt vmcnt(13) lgkmcnt(1)
	v_mul_f64 v[6:7], v[148:149], v[50:51]
	v_fmac_f64_e32 v[6:7], v[150:151], v[48:49]
	v_add_f64 v[0:1], v[0:1], v[6:7]
	v_mul_f64 v[6:7], v[210:211], v[158:159]
	v_fma_f64 v[8:9], v[208:209], v[156:157], -v[6:7]
	ds_read_b128 v[156:159], v2 offset:1488
	ds_read_b128 v[160:163], v2 offset:1504
	s_waitcnt vmcnt(12) lgkmcnt(2)
	v_mul_f64 v[6:7], v[152:153], v[58:59]
	v_fmac_f64_e32 v[6:7], v[154:155], v[56:57]
	v_add_f64 v[0:1], v[0:1], v[6:7]
	s_waitcnt vmcnt(11) lgkmcnt(1)
	v_mul_f64 v[6:7], v[156:157], v[62:63]
	v_fmac_f64_e32 v[6:7], v[158:159], v[60:61]
	v_add_f64 v[0:1], v[0:1], v[6:7]
	v_mul_f64 v[6:7], v[214:215], v[166:167]
	v_fma_f64 v[14:15], v[212:213], v[164:165], -v[6:7]
	ds_read_b128 v[164:167], v2 offset:1520
	v_mul_f64 v[170:171], v[218:219], v[170:171]
	v_fma_f64 v[4:5], v[216:217], v[168:169], -v[170:171]
	ds_read_b128 v[168:171], v2 offset:1536
	s_waitcnt vmcnt(10) lgkmcnt(2)
	v_mul_f64 v[6:7], v[160:161], v[66:67]
	v_fmac_f64_e32 v[6:7], v[162:163], v[64:65]
	v_add_f64 v[0:1], v[0:1], v[6:7]
	s_waitcnt vmcnt(9) lgkmcnt(1)
	v_mul_f64 v[6:7], v[164:165], v[70:71]
	ds_read_b128 v[172:175], v2 offset:1552
	v_fmac_f64_e32 v[6:7], v[166:167], v[68:69]
	v_add_f64 v[0:1], v[0:1], v[6:7]
	s_waitcnt vmcnt(8) lgkmcnt(1)
	v_mul_f64 v[6:7], v[168:169], v[74:75]
	v_fmac_f64_e32 v[6:7], v[170:171], v[72:73]
	v_add_f64 v[0:1], v[0:1], v[6:7]
	v_mul_f64 v[6:7], v[222:223], v[178:179]
	v_fma_f64 v[18:19], v[220:221], v[176:177], -v[6:7]
	ds_read_b128 v[176:179], v2 offset:1568
	s_waitcnt vmcnt(7) lgkmcnt(1)
	v_mul_f64 v[6:7], v[172:173], v[78:79]
	v_fmac_f64_e32 v[6:7], v[174:175], v[76:77]
	v_add_f64 v[0:1], v[0:1], v[6:7]
	v_mul_f64 v[6:7], v[226:227], v[182:183]
	v_fma_f64 v[6:7], v[224:225], v[180:181], -v[6:7]
	ds_read_b128 v[180:183], v2 offset:1584
	s_waitcnt vmcnt(6) lgkmcnt(1)
	v_mul_f64 v[184:185], v[176:177], v[82:83]
	v_fmac_f64_e32 v[184:185], v[178:179], v[80:81]
	v_add_f64 v[0:1], v[0:1], v[184:185]
	ds_read_b128 v[184:187], v2 offset:1600
	s_waitcnt vmcnt(5) lgkmcnt(1)
	v_mul_f64 v[196:197], v[180:181], v[86:87]
	v_fmac_f64_e32 v[196:197], v[182:183], v[84:85]
	v_add_f64 v[196:197], v[0:1], v[196:197]
	v_mul_f64 v[0:1], v[230:231], v[190:191]
	v_fma_f64 v[0:1], v[228:229], v[188:189], -v[0:1]
	ds_read_b128 v[188:191], v2 offset:1616
	s_waitcnt vmcnt(4) lgkmcnt(1)
	v_mul_f64 v[198:199], v[184:185], v[90:91]
	v_fmac_f64_e32 v[198:199], v[186:187], v[88:89]
	v_mul_f64 v[194:195], v[244:245], v[194:195]
	v_fma_f64 v[242:243], v[242:243], v[192:193], -v[194:195]
	ds_read_b128 v[192:195], v2 offset:1632
	v_add_f64 v[196:197], v[196:197], v[198:199]
	s_waitcnt vmcnt(3) lgkmcnt(1)
	v_mul_f64 v[198:199], v[188:189], v[98:99]
	v_fmac_f64_e32 v[198:199], v[190:191], v[96:97]
	v_add_f64 v[204:205], v[196:197], v[198:199]
	ds_read_b128 v[196:199], v2 offset:1648
	v_mul_f64 v[202:203], v[252:253], v[202:203]
	v_fma_f64 v[250:251], v[250:251], v[200:201], -v[202:203]
	ds_read_b128 v[200:203], v2 offset:1664
	s_waitcnt vmcnt(2) lgkmcnt(2)
	v_mul_f64 v[206:207], v[192:193], v[94:95]
	v_fmac_f64_e32 v[206:207], v[194:195], v[92:93]
	v_add_f64 v[204:205], v[204:205], v[206:207]
	s_waitcnt vmcnt(1) lgkmcnt(1)
	v_mul_f64 v[206:207], v[196:197], v[102:103]
	v_fmac_f64_e32 v[206:207], v[198:199], v[100:101]
	v_add_f64 v[204:205], v[204:205], v[206:207]
	;; [unrolled: 4-line block ×3, first 2 shown]
	scratch_load_dwordx4 v[204:207], off, off offset:832
	ds_read_b128 v[208:211], v2 offset:1680
	ds_read_b128 v[216:219], v2 offset:1696
	;; [unrolled: 1-line block ×3, first 2 shown]
	s_waitcnt vmcnt(0) lgkmcnt(2)
	v_mul_f64 v[214:215], v[208:209], v[206:207]
	v_fmac_f64_e32 v[214:215], v[210:211], v[204:205]
	v_add_f64 v[220:221], v[212:213], v[214:215]
	scratch_load_dwordx4 v[212:215], off, off offset:848
	s_waitcnt vmcnt(0) lgkmcnt(1)
	v_mul_f64 v[222:223], v[216:217], v[214:215]
	v_fmac_f64_e32 v[222:223], v[218:219], v[212:213]
	v_add_f64 v[228:229], v[220:221], v[222:223]
	scratch_load_dwordx4 v[220:223], off, off offset:864
	s_waitcnt vmcnt(0) lgkmcnt(0)
	v_mul_f64 v[230:231], v[224:225], v[222:223]
	v_fmac_f64_e32 v[230:231], v[226:227], v[220:221]
	v_add_f64 v[244:245], v[228:229], v[230:231]
	v_add_f64 v[228:229], v[240:241], 0
	;; [unrolled: 1-line block ×8, first 2 shown]
	scratch_load_dwordx4 v[228:231], off, off offset:144
	v_add_f64 v[12:13], v[16:17], v[12:13]
	v_add_f64 v[10:11], v[12:13], v[10:11]
	;; [unrolled: 1-line block ×7, first 2 shown]
	v_accvgpr_read_b32 v6, a110
	v_accvgpr_read_b32 v8, a112
	;; [unrolled: 1-line block ×3, first 2 shown]
	v_add_f64 v[0:1], v[4:5], v[0:1]
	v_accvgpr_read_b32 v7, a111
	v_mul_f64 v[4:5], v[54:55], v[8:9]
	v_add_f64 v[0:1], v[0:1], v[242:243]
	v_fma_f64 v[4:5], v[52:53], v[6:7], -v[4:5]
	v_accvgpr_read_b32 v6, a114
	v_add_f64 v[0:1], v[0:1], v[250:251]
	v_accvgpr_read_b32 v8, a116
	v_accvgpr_read_b32 v9, a117
	v_add_f64 v[0:1], v[0:1], v[4:5]
	v_accvgpr_read_b32 v7, a115
	v_mul_f64 v[4:5], v[110:111], v[8:9]
	v_fma_f64 v[4:5], v[108:109], v[6:7], -v[4:5]
	v_accvgpr_read_b32 v6, a118
	v_accvgpr_read_b32 v8, a120
	v_accvgpr_read_b32 v9, a121
	v_add_f64 v[0:1], v[0:1], v[4:5]
	v_accvgpr_read_b32 v7, a119
	v_mul_f64 v[4:5], v[114:115], v[8:9]
	v_fma_f64 v[4:5], v[112:113], v[6:7], -v[4:5]
	v_add_f64 v[0:1], v[0:1], v[4:5]
	v_mul_f64 v[4:5], v[118:119], v[236:237]
	v_fma_f64 v[4:5], v[116:117], v[234:235], -v[4:5]
	v_add_f64 v[0:1], v[0:1], v[4:5]
	;; [unrolled: 3-line block ×26, first 2 shown]
	s_waitcnt vmcnt(0)
	v_add_f64 v[4:5], v[228:229], -v[0:1]
	v_accvgpr_read_b32 v0, a108
	v_add_f64 v[6:7], v[230:231], -v[244:245]
	v_cmp_lt_u32_e32 vcc, 7, v0
	scratch_store_dwordx4 off, v[4:7], off offset:144
	s_and_saveexec_b64 s[0:1], vcc
	s_cbranch_execz .LBB117_323
; %bb.322:
	scratch_load_dwordx4 v[6:9], off, s63
	v_mov_b32_e32 v3, v2
	v_mov_b32_e32 v4, v2
	;; [unrolled: 1-line block ×3, first 2 shown]
	v_accvgpr_read_b32 v0, a109
	scratch_store_dwordx4 off, v[2:5], off offset:128
	s_waitcnt vmcnt(1)
	ds_write_b128 v0, v[6:9]
.LBB117_323:
	s_or_b64 exec, exec, s[0:1]
	s_waitcnt lgkmcnt(0)
	; wave barrier
	scratch_load_dwordx4 v[80:83], off, off offset:144
	scratch_load_dwordx4 v[84:87], off, off offset:160
	;; [unrolled: 1-line block ×17, first 2 shown]
	ds_read_b128 v[136:139], v2 offset:992
	ds_read_b128 v[132:135], v2 offset:1008
	scratch_load_dwordx4 v[4:7], off, off offset:416
	ds_read_b128 v[236:239], v2 offset:1024
	ds_read_b128 v[228:231], v2 offset:1040
	;; [unrolled: 1-line block ×5, first 2 shown]
	scratch_load_dwordx4 v[8:11], off, off offset:432
	ds_read_b128 v[232:235], v2 offset:1104
	ds_read_b128 v[216:219], v2 offset:1120
	;; [unrolled: 1-line block ×3, first 2 shown]
	scratch_load_dwordx4 v[12:15], off, off offset:448
	ds_read_b128 v[220:223], v2 offset:1152
	ds_read_b128 v[172:175], v2 offset:1168
	;; [unrolled: 1-line block ×5, first 2 shown]
	scratch_load_dwordx4 v[16:19], off, off offset:464
	ds_read_b128 v[208:211], v2 offset:1232
	ds_read_b128 v[204:207], v2 offset:1248
	;; [unrolled: 1-line block ×3, first 2 shown]
	scratch_load_dwordx4 v[24:27], off, off offset:480
	scratch_load_dwordx4 v[28:31], off, off offset:496
	scratch_load_dwordx4 v[32:35], off, off offset:512
	scratch_load_dwordx4 v[36:39], off, off offset:528
	scratch_load_dwordx4 v[40:43], off, off offset:544
	scratch_load_dwordx4 v[44:47], off, off offset:560
	scratch_load_dwordx4 v[48:51], off, off offset:576
	scratch_load_dwordx4 v[52:55], off, off offset:592
	ds_read_b128 v[116:119], v2 offset:1312
	ds_read_b128 v[120:123], v2 offset:1328
	ds_read_b128 v[124:127], v2 offset:1344
	ds_read_b128 v[128:131], v2 offset:1360
	s_waitcnt vmcnt(28) lgkmcnt(14)
	v_mul_f64 v[0:1], v[136:137], v[82:83]
	s_waitcnt vmcnt(27)
	v_mul_f64 v[56:57], v[132:133], v[86:87]
	v_fmac_f64_e32 v[0:1], v[138:139], v[80:81]
	s_waitcnt vmcnt(26)
	v_mul_f64 v[58:59], v[236:237], v[90:91]
	v_fmac_f64_e32 v[56:57], v[134:135], v[84:85]
	v_add_f64 v[0:1], v[0:1], 0
	s_waitcnt vmcnt(25)
	v_mul_f64 v[60:61], v[228:229], v[94:95]
	v_fmac_f64_e32 v[58:59], v[238:239], v[88:89]
	v_add_f64 v[0:1], v[0:1], v[56:57]
	;; [unrolled: 4-line block ×6, first 2 shown]
	s_waitcnt vmcnt(20) lgkmcnt(13)
	v_mul_f64 v[70:71], v[216:217], v[154:155]
	v_fmac_f64_e32 v[68:69], v[234:235], v[144:145]
	v_add_f64 v[0:1], v[0:1], v[66:67]
	s_waitcnt vmcnt(19) lgkmcnt(12)
	v_mul_f64 v[72:73], v[160:161], v[158:159]
	v_fmac_f64_e32 v[70:71], v[218:219], v[152:153]
	v_add_f64 v[0:1], v[0:1], v[68:69]
	;; [unrolled: 4-line block ×7, first 2 shown]
	v_fmac_f64_e32 v[110:111], v[198:199], v[188:189]
	v_add_f64 v[0:1], v[0:1], v[108:109]
	s_waitcnt vmcnt(13) lgkmcnt(6)
	v_mul_f64 v[112:113], v[208:209], v[194:195]
	v_add_f64 v[0:1], v[0:1], v[110:111]
	scratch_load_dwordx4 v[56:59], off, off offset:608
	scratch_load_dwordx4 v[60:63], off, off offset:624
	ds_read_b128 v[108:111], v2 offset:1280
	s_waitcnt vmcnt(14) lgkmcnt(6)
	v_mul_f64 v[114:115], v[204:205], v[202:203]
	v_fmac_f64_e32 v[112:113], v[210:211], v[192:193]
	v_add_f64 v[0:1], v[0:1], v[112:113]
	v_fmac_f64_e32 v[114:115], v[206:207], v[200:201]
	s_waitcnt vmcnt(13) lgkmcnt(5)
	v_mul_f64 v[64:65], v[20:21], v[6:7]
	v_accvgpr_write_b32 a113, v7
	v_add_f64 v[0:1], v[0:1], v[114:115]
	v_fmac_f64_e32 v[64:65], v[22:23], v[4:5]
	v_accvgpr_write_b32 a112, v6
	v_accvgpr_write_b32 a111, v5
	;; [unrolled: 1-line block ×3, first 2 shown]
	ds_read_b128 v[112:115], v2 offset:1296
	s_waitcnt vmcnt(12)
	v_mov_b64_e32 v[4:5], v[8:9]
	v_mov_b64_e32 v[6:7], v[10:11]
	s_waitcnt lgkmcnt(1)
	v_mul_f64 v[68:69], v[108:109], v[6:7]
	v_fmac_f64_e32 v[68:69], v[110:111], v[4:5]
	s_waitcnt vmcnt(11)
	v_mov_b64_e32 v[4:5], v[12:13]
	v_add_f64 v[0:1], v[0:1], v[64:65]
	v_mov_b64_e32 v[6:7], v[14:15]
	v_add_f64 v[0:1], v[0:1], v[68:69]
	s_waitcnt lgkmcnt(0)
	v_mul_f64 v[68:69], v[112:113], v[6:7]
	scratch_load_dwordx4 v[64:67], off, off offset:640
	v_fmac_f64_e32 v[68:69], v[114:115], v[4:5]
	v_add_f64 v[0:1], v[0:1], v[68:69]
	scratch_load_dwordx4 v[68:71], off, off offset:656
	scratch_load_dwordx4 v[72:75], off, off offset:672
	s_waitcnt vmcnt(13)
	v_mul_f64 v[76:77], v[116:117], v[18:19]
	v_fmac_f64_e32 v[76:77], v[118:119], v[16:17]
	v_add_f64 v[0:1], v[0:1], v[76:77]
	s_waitcnt vmcnt(12)
	v_mul_f64 v[76:77], v[120:121], v[26:27]
	v_fmac_f64_e32 v[76:77], v[122:123], v[24:25]
	v_add_f64 v[0:1], v[0:1], v[76:77]
	scratch_load_dwordx4 v[76:79], off, off offset:688
	v_mul_f64 v[82:83], v[138:139], v[82:83]
	v_fma_f64 v[240:241], v[136:137], v[80:81], -v[82:83]
	scratch_load_dwordx4 v[80:83], off, off offset:704
	v_mul_f64 v[86:87], v[134:135], v[86:87]
	v_fma_f64 v[242:243], v[132:133], v[84:85], -v[86:87]
	scratch_load_dwordx4 v[84:87], off, off offset:720
	s_waitcnt vmcnt(14)
	v_mul_f64 v[136:137], v[124:125], v[30:31]
	v_mul_f64 v[90:91], v[238:239], v[90:91]
	v_fmac_f64_e32 v[136:137], v[126:127], v[28:29]
	v_fma_f64 v[236:237], v[236:237], v[88:89], -v[90:91]
	scratch_load_dwordx4 v[88:91], off, off offset:736
	v_add_f64 v[0:1], v[0:1], v[136:137]
	s_waitcnt vmcnt(14)
	v_mul_f64 v[136:137], v[128:129], v[34:35]
	v_mul_f64 v[94:95], v[230:231], v[94:95]
	v_fmac_f64_e32 v[136:137], v[130:131], v[32:33]
	v_fma_f64 v[238:239], v[228:229], v[92:93], -v[94:95]
	v_mul_f64 v[92:93], v[226:227], v[98:99]
	ds_read_b128 v[132:135], v2 offset:1376
	v_add_f64 v[0:1], v[0:1], v[136:137]
	ds_read_b128 v[136:139], v2 offset:1392
	v_fma_f64 v[244:245], v[224:225], v[96:97], -v[92:93]
	scratch_load_dwordx4 v[96:99], off, off offset:752
	scratch_load_dwordx4 v[92:95], off, off offset:768
	v_mul_f64 v[102:103], v[150:151], v[102:103]
	v_fma_f64 v[246:247], v[148:149], v[100:101], -v[102:103]
	scratch_load_dwordx4 v[100:103], off, off offset:784
	v_mul_f64 v[106:107], v[142:143], v[106:107]
	v_fma_f64 v[248:249], v[140:141], v[104:105], -v[106:107]
	v_mul_f64 v[104:105], v[234:235], v[146:147]
	v_fma_f64 v[254:255], v[232:233], v[144:145], -v[104:105]
	scratch_load_dwordx4 v[104:107], off, off offset:800
	ds_read_b128 v[140:143], v2 offset:1408
	ds_read_b128 v[144:147], v2 offset:1424
	s_waitcnt vmcnt(17) lgkmcnt(3)
	v_mul_f64 v[228:229], v[132:133], v[38:39]
	v_fmac_f64_e32 v[228:229], v[134:135], v[36:37]
	s_waitcnt vmcnt(16) lgkmcnt(2)
	v_mul_f64 v[224:225], v[136:137], v[42:43]
	v_add_f64 v[0:1], v[0:1], v[228:229]
	v_fmac_f64_e32 v[224:225], v[138:139], v[40:41]
	s_waitcnt vmcnt(15) lgkmcnt(1)
	v_mul_f64 v[148:149], v[140:141], v[46:47]
	v_add_f64 v[0:1], v[0:1], v[224:225]
	v_fmac_f64_e32 v[148:149], v[142:143], v[44:45]
	v_add_f64 v[0:1], v[0:1], v[148:149]
	ds_read_b128 v[148:151], v2 offset:1440
	v_mul_f64 v[154:155], v[218:219], v[154:155]
	v_fma_f64 v[250:251], v[216:217], v[152:153], -v[154:155]
	ds_read_b128 v[152:155], v2 offset:1456
	v_accvgpr_write_b32 a121, v15
	v_mul_f64 v[158:159], v[162:163], v[158:159]
	v_accvgpr_write_b32 a120, v14
	v_accvgpr_write_b32 a119, v13
	;; [unrolled: 1-line block ×3, first 2 shown]
	v_fma_f64 v[12:13], v[160:161], v[156:157], -v[158:159]
	ds_read_b128 v[156:159], v2 offset:1472
	ds_read_b128 v[160:163], v2 offset:1488
	s_waitcnt vmcnt(14) lgkmcnt(4)
	v_mul_f64 v[224:225], v[144:145], v[50:51]
	v_fmac_f64_e32 v[224:225], v[146:147], v[48:49]
	s_waitcnt vmcnt(13) lgkmcnt(3)
	v_mul_f64 v[216:217], v[148:149], v[54:55]
	v_add_f64 v[0:1], v[0:1], v[224:225]
	v_fmac_f64_e32 v[216:217], v[150:151], v[52:53]
	s_waitcnt vmcnt(12) lgkmcnt(2)
	v_mul_f64 v[6:7], v[152:153], v[58:59]
	v_add_f64 v[0:1], v[0:1], v[216:217]
	v_fmac_f64_e32 v[6:7], v[154:155], v[56:57]
	v_add_f64 v[0:1], v[0:1], v[6:7]
	s_waitcnt vmcnt(11) lgkmcnt(1)
	v_mul_f64 v[6:7], v[156:157], v[62:63]
	v_fmac_f64_e32 v[6:7], v[158:159], v[60:61]
	v_accvgpr_write_b32 a117, v11
	v_add_f64 v[0:1], v[0:1], v[6:7]
	v_mul_f64 v[6:7], v[222:223], v[166:167]
	v_accvgpr_write_b32 a116, v10
	v_accvgpr_write_b32 a115, v9
	;; [unrolled: 1-line block ×3, first 2 shown]
	v_fma_f64 v[8:9], v[220:221], v[164:165], -v[6:7]
	ds_read_b128 v[164:167], v2 offset:1504
	v_mul_f64 v[170:171], v[174:175], v[170:171]
	v_fma_f64 v[6:7], v[172:173], v[168:169], -v[170:171]
	ds_read_b128 v[168:171], v2 offset:1520
	s_waitcnt vmcnt(10) lgkmcnt(2)
	v_mul_f64 v[216:217], v[160:161], v[66:67]
	v_fmac_f64_e32 v[216:217], v[162:163], v[64:65]
	s_waitcnt vmcnt(9) lgkmcnt(1)
	v_mul_f64 v[10:11], v[164:165], v[70:71]
	v_add_f64 v[0:1], v[0:1], v[216:217]
	v_fmac_f64_e32 v[10:11], v[166:167], v[68:69]
	v_add_f64 v[0:1], v[0:1], v[10:11]
	s_waitcnt vmcnt(8) lgkmcnt(0)
	v_mul_f64 v[10:11], v[168:169], v[74:75]
	v_fmac_f64_e32 v[10:11], v[170:171], v[72:73]
	ds_read_b128 v[172:175], v2 offset:1536
	v_add_f64 v[0:1], v[0:1], v[10:11]
	v_mul_f64 v[10:11], v[214:215], v[178:179]
	v_fma_f64 v[10:11], v[212:213], v[176:177], -v[10:11]
	ds_read_b128 v[176:179], v2 offset:1552
	v_mul_f64 v[182:183], v[186:187], v[182:183]
	v_fma_f64 v[4:5], v[184:185], v[180:181], -v[182:183]
	ds_read_b128 v[180:183], v2 offset:1568
	ds_read_b128 v[184:187], v2 offset:1584
	s_waitcnt vmcnt(7) lgkmcnt(3)
	v_mul_f64 v[212:213], v[172:173], v[78:79]
	v_fmac_f64_e32 v[212:213], v[174:175], v[76:77]
	s_waitcnt vmcnt(6) lgkmcnt(2)
	v_mul_f64 v[14:15], v[176:177], v[82:83]
	v_add_f64 v[0:1], v[0:1], v[212:213]
	v_fmac_f64_e32 v[14:15], v[178:179], v[80:81]
	v_add_f64 v[0:1], v[0:1], v[14:15]
	s_waitcnt vmcnt(5) lgkmcnt(1)
	v_mul_f64 v[14:15], v[180:181], v[86:87]
	v_fmac_f64_e32 v[14:15], v[182:183], v[84:85]
	v_add_f64 v[14:15], v[0:1], v[14:15]
	v_mul_f64 v[0:1], v[198:199], v[190:191]
	v_fma_f64 v[0:1], v[196:197], v[188:189], -v[0:1]
	ds_read_b128 v[188:191], v2 offset:1600
	v_mul_f64 v[194:195], v[210:211], v[194:195]
	s_waitcnt vmcnt(4) lgkmcnt(1)
	v_mul_f64 v[196:197], v[184:185], v[90:91]
	v_fma_f64 v[192:193], v[208:209], v[192:193], -v[194:195]
	v_fmac_f64_e32 v[196:197], v[186:187], v[88:89]
	v_accvgpr_write_b32 a122, v192
	v_accvgpr_write_b32 a123, v193
	ds_read_b128 v[192:195], v2 offset:1616
	v_add_f64 v[14:15], v[14:15], v[196:197]
	s_waitcnt vmcnt(3) lgkmcnt(1)
	v_mul_f64 v[196:197], v[188:189], v[98:99]
	v_fmac_f64_e32 v[196:197], v[190:191], v[96:97]
	v_add_f64 v[14:15], v[14:15], v[196:197]
	ds_read_b128 v[196:199], v2 offset:1632
	v_mul_f64 v[202:203], v[206:207], v[202:203]
	v_fma_f64 v[252:253], v[204:205], v[200:201], -v[202:203]
	ds_read_b128 v[200:203], v2 offset:1648
	s_waitcnt vmcnt(2) lgkmcnt(2)
	v_mul_f64 v[204:205], v[192:193], v[94:95]
	v_fmac_f64_e32 v[204:205], v[194:195], v[92:93]
	v_add_f64 v[14:15], v[14:15], v[204:205]
	s_waitcnt vmcnt(1) lgkmcnt(1)
	v_mul_f64 v[204:205], v[196:197], v[102:103]
	v_fmac_f64_e32 v[204:205], v[198:199], v[100:101]
	v_add_f64 v[14:15], v[14:15], v[204:205]
	s_waitcnt vmcnt(0) lgkmcnt(0)
	v_mul_f64 v[204:205], v[200:201], v[106:107]
	v_fmac_f64_e32 v[204:205], v[202:203], v[104:105]
	v_add_f64 v[14:15], v[14:15], v[204:205]
	scratch_load_dwordx4 v[204:207], off, off offset:816
	scratch_load_dwordx4 v[232:235], off, off offset:864
	ds_read_b128 v[208:211], v2 offset:1664
	ds_read_b128 v[216:219], v2 offset:1680
	ds_read_b128 v[224:227], v2 offset:1696
	s_waitcnt vmcnt(1) lgkmcnt(2)
	v_mul_f64 v[212:213], v[208:209], v[206:207]
	v_fmac_f64_e32 v[212:213], v[210:211], v[204:205]
	v_add_f64 v[14:15], v[14:15], v[212:213]
	scratch_load_dwordx4 v[212:215], off, off offset:832
	s_waitcnt vmcnt(0) lgkmcnt(1)
	v_mul_f64 v[220:221], v[216:217], v[214:215]
	v_fmac_f64_e32 v[220:221], v[218:219], v[212:213]
	v_add_f64 v[14:15], v[14:15], v[220:221]
	scratch_load_dwordx4 v[220:223], off, off offset:848
	s_waitcnt vmcnt(0) lgkmcnt(0)
	v_mul_f64 v[228:229], v[224:225], v[222:223]
	v_fmac_f64_e32 v[228:229], v[226:227], v[220:221]
	v_add_f64 v[14:15], v[14:15], v[228:229]
	ds_read_b128 v[228:231], v2 offset:1712
	s_waitcnt lgkmcnt(0)
	v_mul_f64 v[2:3], v[228:229], v[234:235]
	v_fmac_f64_e32 v[2:3], v[230:231], v[232:233]
	v_add_f64 v[2:3], v[14:15], v[2:3]
	v_add_f64 v[14:15], v[240:241], 0
	v_add_f64 v[14:15], v[14:15], v[242:243]
	v_add_f64 v[14:15], v[14:15], v[236:237]
	v_add_f64 v[14:15], v[14:15], v[238:239]
	scratch_load_dwordx4 v[236:239], off, off offset:128
	v_add_f64 v[14:15], v[14:15], v[244:245]
	v_add_f64 v[14:15], v[14:15], v[246:247]
	;; [unrolled: 1-line block ×10, first 2 shown]
	v_accvgpr_read_b32 v6, a110
	v_add_f64 v[254:255], v[4:5], v[0:1]
	v_accvgpr_read_b32 v0, a122
	v_accvgpr_read_b32 v8, a112
	;; [unrolled: 1-line block ×5, first 2 shown]
	v_mul_f64 v[4:5], v[22:23], v[8:9]
	v_add_f64 v[0:1], v[254:255], v[0:1]
	v_fma_f64 v[4:5], v[20:21], v[6:7], -v[4:5]
	v_accvgpr_read_b32 v6, a114
	v_add_f64 v[0:1], v[0:1], v[252:253]
	v_accvgpr_read_b32 v8, a116
	v_accvgpr_read_b32 v9, a117
	v_add_f64 v[0:1], v[0:1], v[4:5]
	v_accvgpr_read_b32 v7, a115
	v_mul_f64 v[4:5], v[110:111], v[8:9]
	v_fma_f64 v[4:5], v[108:109], v[6:7], -v[4:5]
	v_accvgpr_read_b32 v6, a118
	v_accvgpr_read_b32 v8, a120
	;; [unrolled: 1-line block ×3, first 2 shown]
	v_add_f64 v[0:1], v[0:1], v[4:5]
	v_accvgpr_read_b32 v7, a119
	v_mul_f64 v[4:5], v[114:115], v[8:9]
	v_fma_f64 v[4:5], v[112:113], v[6:7], -v[4:5]
	v_add_f64 v[0:1], v[0:1], v[4:5]
	v_mul_f64 v[4:5], v[118:119], v[18:19]
	v_fma_f64 v[4:5], v[116:117], v[16:17], -v[4:5]
	v_add_f64 v[0:1], v[0:1], v[4:5]
	;; [unrolled: 3-line block ×27, first 2 shown]
	s_waitcnt vmcnt(0)
	v_add_f64 v[4:5], v[236:237], -v[0:1]
	v_accvgpr_read_b32 v0, a108
	v_add_f64 v[6:7], v[238:239], -v[2:3]
	v_cmp_lt_u32_e32 vcc, 6, v0
	scratch_store_dwordx4 off, v[4:7], off offset:128
	s_and_saveexec_b64 s[0:1], vcc
	s_cbranch_execz .LBB117_325
; %bb.324:
	scratch_load_dwordx4 v[2:5], off, s64
	v_mov_b32_e32 v6, 0
	v_mov_b32_e32 v7, v6
	;; [unrolled: 1-line block ×4, first 2 shown]
	v_accvgpr_read_b32 v0, a109
	scratch_store_dwordx4 off, v[6:9], off offset:112
	s_waitcnt vmcnt(1)
	ds_write_b128 v0, v[2:5]
.LBB117_325:
	s_or_b64 exec, exec, s[0:1]
	s_waitcnt lgkmcnt(0)
	; wave barrier
	scratch_load_dwordx4 v[68:71], off, off offset:128
	scratch_load_dwordx4 v[72:75], off, off offset:144
	;; [unrolled: 1-line block ×28, first 2 shown]
	v_mov_b32_e32 v2, 0
	ds_read_b128 v[124:127], v2 offset:976
	ds_read_b128 v[128:131], v2 offset:992
	;; [unrolled: 1-line block ×23, first 2 shown]
	s_waitcnt vmcnt(27) lgkmcnt(14)
	v_mul_f64 v[0:1], v[124:125], v[70:71]
	s_waitcnt vmcnt(26)
	v_mul_f64 v[40:41], v[128:129], v[74:75]
	v_fmac_f64_e32 v[0:1], v[126:127], v[68:69]
	s_waitcnt vmcnt(25)
	v_mul_f64 v[42:43], v[132:133], v[78:79]
	v_fmac_f64_e32 v[40:41], v[130:131], v[72:73]
	v_add_f64 v[0:1], v[0:1], 0
	s_waitcnt vmcnt(24)
	v_mul_f64 v[44:45], v[136:137], v[82:83]
	v_fmac_f64_e32 v[42:43], v[134:135], v[76:77]
	v_add_f64 v[0:1], v[0:1], v[40:41]
	;; [unrolled: 4-line block ×7, first 2 shown]
	s_waitcnt vmcnt(18) lgkmcnt(13)
	v_mul_f64 v[56:57], v[200:201], v[146:147]
	v_fmac_f64_e32 v[54:55], v[194:195], v[112:113]
	v_add_f64 v[0:1], v[0:1], v[52:53]
	s_waitcnt vmcnt(17) lgkmcnt(12)
	v_mul_f64 v[58:59], v[204:205], v[150:151]
	v_fmac_f64_e32 v[56:57], v[202:203], v[144:145]
	v_add_f64 v[0:1], v[0:1], v[54:55]
	;; [unrolled: 4-line block ×7, first 2 shown]
	scratch_load_dwordx4 v[40:43], off, off offset:576
	scratch_load_dwordx4 v[44:47], off, off offset:592
	s_waitcnt vmcnt(13) lgkmcnt(6)
	v_mul_f64 v[102:103], v[228:229], v[186:187]
	v_fmac_f64_e32 v[100:101], v[226:227], v[176:177]
	v_add_f64 v[0:1], v[0:1], v[66:67]
	v_add_f64 v[0:1], v[0:1], v[100:101]
	v_fmac_f64_e32 v[102:103], v[230:231], v[184:185]
	v_add_f64 v[0:1], v[0:1], v[102:103]
	ds_read_b128 v[100:103], v2 offset:1280
	s_waitcnt vmcnt(12) lgkmcnt(6)
	v_mul_f64 v[48:49], v[242:243], v[190:191]
	v_fmac_f64_e32 v[48:49], v[244:245], v[188:189]
	v_add_f64 v[0:1], v[0:1], v[48:49]
	s_waitcnt vmcnt(11) lgkmcnt(5)
	v_mul_f64 v[48:49], v[250:251], v[198:199]
	v_fmac_f64_e32 v[48:49], v[252:253], v[196:197]
	v_add_f64 v[0:1], v[0:1], v[48:49]
	scratch_load_dwordx4 v[48:51], off, off offset:608
	scratch_load_dwordx4 v[52:55], off, off offset:624
	s_waitcnt vmcnt(12) lgkmcnt(0)
	v_mul_f64 v[56:57], v[100:101], v[6:7]
	v_accvgpr_write_b32 a113, v7
	v_fmac_f64_e32 v[56:57], v[102:103], v[4:5]
	v_accvgpr_write_b32 a112, v6
	v_accvgpr_write_b32 a111, v5
	;; [unrolled: 1-line block ×3, first 2 shown]
	s_waitcnt vmcnt(11)
	v_mov_b64_e32 v[4:5], v[8:9]
	v_mov_b64_e32 v[6:7], v[10:11]
	v_add_f64 v[0:1], v[0:1], v[56:57]
	v_mul_f64 v[56:57], v[104:105], v[6:7]
	v_fmac_f64_e32 v[56:57], v[106:107], v[4:5]
	v_add_f64 v[0:1], v[0:1], v[56:57]
	scratch_load_dwordx4 v[56:59], off, off offset:640
	s_waitcnt vmcnt(11)
	v_mov_b64_e32 v[4:5], v[12:13]
	v_mov_b64_e32 v[6:7], v[14:15]
	v_mul_f64 v[60:61], v[108:109], v[6:7]
	v_fmac_f64_e32 v[60:61], v[110:111], v[4:5]
	s_waitcnt vmcnt(10)
	v_mov_b64_e32 v[4:5], v[16:17]
	v_mov_b64_e32 v[6:7], v[18:19]
	v_add_f64 v[0:1], v[0:1], v[60:61]
	scratch_load_dwordx4 v[60:63], off, off offset:656
	v_mul_f64 v[64:65], v[116:117], v[6:7]
	v_fmac_f64_e32 v[64:65], v[118:119], v[4:5]
	v_add_f64 v[0:1], v[0:1], v[64:65]
	scratch_load_dwordx4 v[64:67], off, off offset:672
	v_mul_f64 v[70:71], v[126:127], v[70:71]
	v_fma_f64 v[240:241], v[124:125], v[68:69], -v[70:71]
	s_waitcnt vmcnt(11)
	v_mul_f64 v[124:125], v[120:121], v[236:237]
	scratch_load_dwordx4 v[68:71], off, off offset:688
	v_fmac_f64_e32 v[124:125], v[122:123], v[234:235]
	v_mul_f64 v[74:75], v[130:131], v[74:75]
	v_mul_f64 v[78:79], v[134:135], v[78:79]
	v_add_f64 v[0:1], v[0:1], v[124:125]
	v_fma_f64 v[246:247], v[128:129], v[72:73], -v[74:75]
	ds_read_b128 v[124:127], v2 offset:1360
	ds_read_b128 v[128:131], v2 offset:1376
	scratch_load_dwordx4 v[72:75], off, off offset:704
	v_fma_f64 v[248:249], v[132:133], v[76:77], -v[78:79]
	v_mul_f64 v[76:77], v[138:139], v[82:83]
	v_fma_f64 v[254:255], v[136:137], v[80:81], -v[76:77]
	scratch_load_dwordx4 v[76:79], off, off offset:720
	s_waitcnt vmcnt(13) lgkmcnt(1)
	v_mul_f64 v[132:133], v[124:125], v[26:27]
	v_fmac_f64_e32 v[132:133], v[126:127], v[24:25]
	v_add_f64 v[0:1], v[0:1], v[132:133]
	s_waitcnt vmcnt(12) lgkmcnt(0)
	v_mul_f64 v[132:133], v[128:129], v[30:31]
	scratch_load_dwordx4 v[80:83], off, off offset:736
	v_fmac_f64_e32 v[132:133], v[130:131], v[28:29]
	v_mul_f64 v[86:87], v[142:143], v[86:87]
	v_add_f64 v[0:1], v[0:1], v[132:133]
	v_fma_f64 v[232:233], v[140:141], v[84:85], -v[86:87]
	ds_read_b128 v[132:135], v2 offset:1392
	v_mul_f64 v[84:85], v[158:159], v[90:91]
	v_fma_f64 v[238:239], v[156:157], v[88:89], -v[84:85]
	scratch_load_dwordx4 v[88:91], off, off offset:752
	scratch_load_dwordx4 v[84:87], off, off offset:768
	v_accvgpr_write_b32 a125, v19
	s_waitcnt vmcnt(14) lgkmcnt(0)
	v_mul_f64 v[6:7], v[132:133], v[34:35]
	v_fmac_f64_e32 v[6:7], v[134:135], v[32:33]
	v_mul_f64 v[94:95], v[170:171], v[94:95]
	v_add_f64 v[0:1], v[0:1], v[6:7]
	v_mul_f64 v[6:7], v[182:183], v[98:99]
	v_accvgpr_write_b32 a124, v18
	v_accvgpr_write_b32 a123, v17
	;; [unrolled: 1-line block ×3, first 2 shown]
	v_fma_f64 v[20:21], v[168:169], v[92:93], -v[94:95]
	ds_read_b128 v[136:139], v2 offset:1408
	v_fma_f64 v[16:17], v[180:181], v[96:97], -v[6:7]
	scratch_load_dwordx4 v[96:99], off, off offset:784
	scratch_load_dwordx4 v[92:95], off, off offset:800
	v_accvgpr_write_b32 a121, v15
	v_mul_f64 v[6:7], v[194:195], v[114:115]
	v_accvgpr_write_b32 a120, v14
	v_accvgpr_write_b32 a119, v13
	;; [unrolled: 1-line block ×3, first 2 shown]
	v_fma_f64 v[12:13], v[192:193], v[112:113], -v[6:7]
	scratch_load_dwordx4 v[112:115], off, off offset:816
	ds_read_b128 v[140:143], v2 offset:1424
	s_waitcnt vmcnt(16) lgkmcnt(1)
	v_mul_f64 v[6:7], v[136:137], v[38:39]
	v_fmac_f64_e32 v[6:7], v[138:139], v[36:37]
	v_accvgpr_write_b32 a117, v11
	v_add_f64 v[0:1], v[0:1], v[6:7]
	v_mul_f64 v[6:7], v[202:203], v[146:147]
	v_accvgpr_write_b32 a116, v10
	v_accvgpr_write_b32 a115, v9
	;; [unrolled: 1-line block ×3, first 2 shown]
	v_fma_f64 v[10:11], v[200:201], v[144:145], -v[6:7]
	ds_read_b128 v[144:147], v2 offset:1440
	s_waitcnt vmcnt(15) lgkmcnt(1)
	v_mul_f64 v[6:7], v[140:141], v[42:43]
	v_fmac_f64_e32 v[6:7], v[142:143], v[40:41]
	v_add_f64 v[0:1], v[0:1], v[6:7]
	v_mul_f64 v[6:7], v[206:207], v[150:151]
	v_fma_f64 v[14:15], v[204:205], v[148:149], -v[6:7]
	ds_read_b128 v[148:151], v2 offset:1456
	v_mul_f64 v[154:155], v[210:211], v[154:155]
	v_fma_f64 v[8:9], v[208:209], v[152:153], -v[154:155]
	ds_read_b128 v[152:155], v2 offset:1472
	s_waitcnt vmcnt(14) lgkmcnt(2)
	v_mul_f64 v[6:7], v[144:145], v[46:47]
	v_fmac_f64_e32 v[6:7], v[146:147], v[44:45]
	v_add_f64 v[0:1], v[0:1], v[6:7]
	s_waitcnt vmcnt(13) lgkmcnt(1)
	v_mul_f64 v[6:7], v[148:149], v[50:51]
	ds_read_b128 v[156:159], v2 offset:1488
	v_fmac_f64_e32 v[6:7], v[150:151], v[48:49]
	v_add_f64 v[0:1], v[0:1], v[6:7]
	s_waitcnt vmcnt(12) lgkmcnt(1)
	v_mul_f64 v[6:7], v[152:153], v[54:55]
	v_fmac_f64_e32 v[6:7], v[154:155], v[52:53]
	v_add_f64 v[0:1], v[0:1], v[6:7]
	v_mul_f64 v[6:7], v[214:215], v[162:163]
	v_fma_f64 v[18:19], v[212:213], v[160:161], -v[6:7]
	ds_read_b128 v[160:163], v2 offset:1504
	s_waitcnt vmcnt(11) lgkmcnt(1)
	v_mul_f64 v[6:7], v[156:157], v[58:59]
	v_fmac_f64_e32 v[6:7], v[158:159], v[56:57]
	v_add_f64 v[0:1], v[0:1], v[6:7]
	v_mul_f64 v[6:7], v[218:219], v[166:167]
	v_fma_f64 v[4:5], v[216:217], v[164:165], -v[6:7]
	ds_read_b128 v[164:167], v2 offset:1520
	ds_read_b128 v[168:171], v2 offset:1536
	s_waitcnt vmcnt(10) lgkmcnt(2)
	v_mul_f64 v[6:7], v[160:161], v[62:63]
	v_fmac_f64_e32 v[6:7], v[162:163], v[60:61]
	v_add_f64 v[0:1], v[0:1], v[6:7]
	s_waitcnt vmcnt(9) lgkmcnt(1)
	v_mul_f64 v[6:7], v[164:165], v[66:67]
	v_fmac_f64_e32 v[6:7], v[166:167], v[64:65]
	v_add_f64 v[0:1], v[0:1], v[6:7]
	v_mul_f64 v[6:7], v[222:223], v[174:175]
	v_fma_f64 v[22:23], v[220:221], v[172:173], -v[6:7]
	ds_read_b128 v[172:175], v2 offset:1552
	v_mul_f64 v[6:7], v[226:227], v[178:179]
	v_fma_f64 v[6:7], v[224:225], v[176:177], -v[6:7]
	ds_read_b128 v[176:179], v2 offset:1568
	s_waitcnt vmcnt(8) lgkmcnt(2)
	v_mul_f64 v[180:181], v[168:169], v[70:71]
	v_fmac_f64_e32 v[180:181], v[170:171], v[68:69]
	v_add_f64 v[0:1], v[0:1], v[180:181]
	s_waitcnt vmcnt(7) lgkmcnt(1)
	v_mul_f64 v[180:181], v[172:173], v[74:75]
	v_fmac_f64_e32 v[180:181], v[174:175], v[72:73]
	s_waitcnt vmcnt(6) lgkmcnt(0)
	v_mul_f64 v[192:193], v[176:177], v[78:79]
	v_add_f64 v[0:1], v[0:1], v[180:181]
	v_fmac_f64_e32 v[192:193], v[178:179], v[76:77]
	ds_read_b128 v[180:183], v2 offset:1584
	v_add_f64 v[192:193], v[0:1], v[192:193]
	v_mul_f64 v[0:1], v[230:231], v[186:187]
	v_fma_f64 v[0:1], v[228:229], v[184:185], -v[0:1]
	ds_read_b128 v[184:187], v2 offset:1600
	s_waitcnt vmcnt(5) lgkmcnt(1)
	v_mul_f64 v[194:195], v[180:181], v[82:83]
	v_fmac_f64_e32 v[194:195], v[182:183], v[80:81]
	v_mul_f64 v[190:191], v[244:245], v[190:191]
	v_add_f64 v[192:193], v[192:193], v[194:195]
	v_fma_f64 v[242:243], v[242:243], v[188:189], -v[190:191]
	ds_read_b128 v[188:191], v2 offset:1616
	s_waitcnt vmcnt(4) lgkmcnt(1)
	v_mul_f64 v[194:195], v[184:185], v[90:91]
	v_fmac_f64_e32 v[194:195], v[186:187], v[88:89]
	v_add_f64 v[200:201], v[192:193], v[194:195]
	ds_read_b128 v[192:195], v2 offset:1632
	v_mul_f64 v[198:199], v[252:253], v[198:199]
	v_fma_f64 v[250:251], v[250:251], v[196:197], -v[198:199]
	ds_read_b128 v[196:199], v2 offset:1648
	ds_read_b128 v[208:211], v2 offset:1680
	s_waitcnt vmcnt(3) lgkmcnt(3)
	v_mul_f64 v[202:203], v[188:189], v[86:87]
	v_fmac_f64_e32 v[202:203], v[190:191], v[84:85]
	v_add_f64 v[200:201], v[200:201], v[202:203]
	s_waitcnt vmcnt(2) lgkmcnt(2)
	v_mul_f64 v[202:203], v[192:193], v[98:99]
	v_fmac_f64_e32 v[202:203], v[194:195], v[96:97]
	v_add_f64 v[200:201], v[200:201], v[202:203]
	;; [unrolled: 4-line block ×3, first 2 shown]
	ds_read_b128 v[200:203], v2 offset:1664
	ds_read_b128 v[216:219], v2 offset:1696
	;; [unrolled: 1-line block ×3, first 2 shown]
	s_waitcnt vmcnt(0) lgkmcnt(2)
	v_mul_f64 v[206:207], v[200:201], v[114:115]
	v_fmac_f64_e32 v[206:207], v[202:203], v[112:113]
	v_add_f64 v[212:213], v[204:205], v[206:207]
	scratch_load_dwordx4 v[204:207], off, off offset:832
	s_waitcnt vmcnt(0)
	v_mul_f64 v[214:215], v[208:209], v[206:207]
	v_fmac_f64_e32 v[214:215], v[210:211], v[204:205]
	v_add_f64 v[220:221], v[212:213], v[214:215]
	scratch_load_dwordx4 v[212:215], off, off offset:848
	s_waitcnt vmcnt(0) lgkmcnt(1)
	v_mul_f64 v[222:223], v[216:217], v[214:215]
	v_fmac_f64_e32 v[222:223], v[218:219], v[212:213]
	v_add_f64 v[228:229], v[220:221], v[222:223]
	scratch_load_dwordx4 v[220:223], off, off offset:864
	s_waitcnt vmcnt(0) lgkmcnt(0)
	v_mul_f64 v[230:231], v[224:225], v[222:223]
	v_fmac_f64_e32 v[230:231], v[226:227], v[220:221]
	v_add_f64 v[244:245], v[228:229], v[230:231]
	v_add_f64 v[228:229], v[240:241], 0
	;; [unrolled: 1-line block ×8, first 2 shown]
	scratch_load_dwordx4 v[228:231], off, off offset:112
	v_add_f64 v[16:17], v[20:21], v[16:17]
	v_add_f64 v[12:13], v[16:17], v[12:13]
	;; [unrolled: 1-line block ×9, first 2 shown]
	v_accvgpr_read_b32 v6, a110
	v_accvgpr_read_b32 v8, a112
	v_accvgpr_read_b32 v9, a113
	v_add_f64 v[0:1], v[4:5], v[0:1]
	v_accvgpr_read_b32 v7, a111
	v_mul_f64 v[4:5], v[102:103], v[8:9]
	v_add_f64 v[0:1], v[0:1], v[242:243]
	v_fma_f64 v[4:5], v[100:101], v[6:7], -v[4:5]
	v_accvgpr_read_b32 v6, a114
	v_add_f64 v[0:1], v[0:1], v[250:251]
	v_accvgpr_read_b32 v8, a116
	v_accvgpr_read_b32 v9, a117
	v_add_f64 v[0:1], v[0:1], v[4:5]
	v_accvgpr_read_b32 v7, a115
	v_mul_f64 v[4:5], v[106:107], v[8:9]
	v_fma_f64 v[4:5], v[104:105], v[6:7], -v[4:5]
	v_accvgpr_read_b32 v6, a118
	v_accvgpr_read_b32 v8, a120
	;; [unrolled: 1-line block ×3, first 2 shown]
	v_add_f64 v[0:1], v[0:1], v[4:5]
	v_accvgpr_read_b32 v7, a119
	v_mul_f64 v[4:5], v[110:111], v[8:9]
	v_fma_f64 v[4:5], v[108:109], v[6:7], -v[4:5]
	v_accvgpr_read_b32 v6, a122
	v_accvgpr_read_b32 v8, a124
	;; [unrolled: 1-line block ×3, first 2 shown]
	v_add_f64 v[0:1], v[0:1], v[4:5]
	v_accvgpr_read_b32 v7, a123
	v_mul_f64 v[4:5], v[118:119], v[8:9]
	v_fma_f64 v[4:5], v[116:117], v[6:7], -v[4:5]
	v_add_f64 v[0:1], v[0:1], v[4:5]
	v_mul_f64 v[4:5], v[122:123], v[236:237]
	v_fma_f64 v[4:5], v[120:121], v[234:235], -v[4:5]
	v_add_f64 v[0:1], v[0:1], v[4:5]
	;; [unrolled: 3-line block ×25, first 2 shown]
	s_waitcnt vmcnt(0)
	v_add_f64 v[4:5], v[228:229], -v[0:1]
	v_accvgpr_read_b32 v0, a108
	v_add_f64 v[6:7], v[230:231], -v[244:245]
	v_cmp_lt_u32_e32 vcc, 5, v0
	scratch_store_dwordx4 off, v[4:7], off offset:112
	s_and_saveexec_b64 s[0:1], vcc
	s_cbranch_execz .LBB117_327
; %bb.326:
	scratch_load_dwordx4 v[6:9], off, s65
	v_mov_b32_e32 v3, v2
	v_mov_b32_e32 v4, v2
	;; [unrolled: 1-line block ×3, first 2 shown]
	v_accvgpr_read_b32 v0, a109
	scratch_store_dwordx4 off, v[2:5], off offset:96
	s_waitcnt vmcnt(1)
	ds_write_b128 v0, v[6:9]
.LBB117_327:
	s_or_b64 exec, exec, s[0:1]
	s_waitcnt lgkmcnt(0)
	; wave barrier
	scratch_load_dwordx4 v[40:43], off, off offset:112
	scratch_load_dwordx4 v[44:47], off, off offset:128
	;; [unrolled: 1-line block ×18, first 2 shown]
	ds_read_b128 v[164:167], v2 offset:960
	ds_read_b128 v[232:235], v2 offset:976
	ds_read_b128 v[168:171], v2 offset:992
	ds_read_b128 v[220:223], v2 offset:1008
	ds_read_b128 v[172:175], v2 offset:1024
	ds_read_b128 v[176:179], v2 offset:1040
	scratch_load_dwordx4 v[140:143], off, off offset:400
	ds_read_b128 v[224:227], v2 offset:1056
	ds_read_b128 v[212:215], v2 offset:1072
	;; [unrolled: 1-line block ×3, first 2 shown]
	scratch_load_dwordx4 v[4:7], off, off offset:416
	ds_read_b128 v[228:231], v2 offset:1104
	ds_read_b128 v[216:219], v2 offset:1120
	;; [unrolled: 1-line block ×5, first 2 shown]
	scratch_load_dwordx4 v[8:11], off, off offset:432
	ds_read_b128 v[208:211], v2 offset:1184
	ds_read_b128 v[196:199], v2 offset:1200
	;; [unrolled: 1-line block ×3, first 2 shown]
	scratch_load_dwordx4 v[12:15], off, off offset:448
	ds_read_b128 v[200:203], v2 offset:1232
	scratch_load_dwordx4 v[16:19], off, off offset:464
	scratch_load_dwordx4 v[20:23], off, off offset:480
	;; [unrolled: 1-line block ×7, first 2 shown]
	ds_read_b128 v[236:239], v2 offset:1248
	ds_read_b128 v[156:159], v2 offset:1312
	;; [unrolled: 1-line block ×4, first 2 shown]
	s_waitcnt vmcnt(28) lgkmcnt(14)
	v_mul_f64 v[0:1], v[164:165], v[42:43]
	s_waitcnt vmcnt(27)
	v_mul_f64 v[108:109], v[232:233], v[46:47]
	v_fmac_f64_e32 v[0:1], v[166:167], v[40:41]
	s_waitcnt vmcnt(26)
	v_mul_f64 v[110:111], v[168:169], v[50:51]
	v_fmac_f64_e32 v[108:109], v[234:235], v[44:45]
	v_add_f64 v[0:1], v[0:1], 0
	s_waitcnt vmcnt(25)
	v_mul_f64 v[116:117], v[220:221], v[54:55]
	v_fmac_f64_e32 v[110:111], v[170:171], v[48:49]
	v_add_f64 v[0:1], v[0:1], v[108:109]
	;; [unrolled: 4-line block ×6, first 2 shown]
	s_waitcnt vmcnt(20) lgkmcnt(13)
	v_mul_f64 v[126:127], v[180:181], v[78:79]
	v_fmac_f64_e32 v[124:125], v[214:215], v[68:69]
	v_add_f64 v[0:1], v[0:1], v[122:123]
	s_waitcnt vmcnt(19) lgkmcnt(12)
	v_mul_f64 v[128:129], v[228:229], v[82:83]
	v_fmac_f64_e32 v[126:127], v[182:183], v[76:77]
	v_add_f64 v[0:1], v[0:1], v[124:125]
	;; [unrolled: 4-line block ×9, first 2 shown]
	v_add_f64 v[0:1], v[0:1], v[148:149]
	v_fmac_f64_e32 v[150:151], v[186:187], v[112:113]
	s_waitcnt vmcnt(11) lgkmcnt(4)
	v_mul_f64 v[116:117], v[200:201], v[138:139]
	v_add_f64 v[0:1], v[0:1], v[150:151]
	v_fmac_f64_e32 v[116:117], v[202:203], v[136:137]
	v_add_f64 v[0:1], v[0:1], v[116:117]
	ds_read_b128 v[144:147], v2 offset:1264
	s_waitcnt vmcnt(10) lgkmcnt(4)
	v_mul_f64 v[116:117], v[236:237], v[142:143]
	scratch_load_dwordx4 v[108:111], off, off offset:576
	v_fmac_f64_e32 v[116:117], v[238:239], v[140:141]
	v_add_f64 v[0:1], v[0:1], v[116:117]
	scratch_load_dwordx4 v[116:119], off, off offset:592
	ds_read_b128 v[148:151], v2 offset:1280
	scratch_load_dwordx4 v[120:123], off, off offset:608
	s_waitcnt vmcnt(12) lgkmcnt(1)
	v_mul_f64 v[124:125], v[144:145], v[6:7]
	v_fmac_f64_e32 v[124:125], v[146:147], v[4:5]
	v_add_f64 v[0:1], v[0:1], v[124:125]
	s_waitcnt vmcnt(11) lgkmcnt(0)
	v_mul_f64 v[124:125], v[148:149], v[10:11]
	v_fmac_f64_e32 v[124:125], v[150:151], v[8:9]
	s_waitcnt vmcnt(10)
	v_mul_f64 v[128:129], v[152:153], v[14:15]
	v_add_f64 v[0:1], v[0:1], v[124:125]
	scratch_load_dwordx4 v[124:127], off, off offset:624
	v_fmac_f64_e32 v[128:129], v[154:155], v[12:13]
	v_add_f64 v[0:1], v[0:1], v[128:129]
	scratch_load_dwordx4 v[128:131], off, off offset:640
	s_waitcnt vmcnt(11)
	v_mul_f64 v[132:133], v[156:157], v[18:19]
	v_fmac_f64_e32 v[132:133], v[158:159], v[16:17]
	v_add_f64 v[0:1], v[0:1], v[132:133]
	scratch_load_dwordx4 v[132:135], off, off offset:656
	v_mul_f64 v[42:43], v[166:167], v[42:43]
	v_fma_f64 v[240:241], v[164:165], v[40:41], -v[42:43]
	scratch_load_dwordx4 v[40:43], off, off offset:672
	v_mul_f64 v[46:47], v[234:235], v[46:47]
	v_fma_f64 v[242:243], v[232:233], v[44:45], -v[46:47]
	;; [unrolled: 3-line block ×3, first 2 shown]
	v_mul_f64 v[48:49], v[222:223], v[54:55]
	v_fma_f64 v[246:247], v[220:221], v[52:53], -v[48:49]
	scratch_load_dwordx4 v[48:51], off, off offset:704
	scratch_load_dwordx4 v[52:55], off, off offset:720
	s_waitcnt vmcnt(15)
	v_mul_f64 v[164:165], v[160:161], v[22:23]
	v_fmac_f64_e32 v[164:165], v[162:163], v[20:21]
	v_add_f64 v[0:1], v[0:1], v[164:165]
	ds_read_b128 v[164:167], v2 offset:1344
	ds_read_b128 v[168:171], v2 offset:1360
	v_mul_f64 v[58:59], v[174:175], v[58:59]
	v_fma_f64 v[248:249], v[172:173], v[56:57], -v[58:59]
	ds_read_b128 v[172:175], v2 offset:1376
	v_mul_f64 v[56:57], v[178:179], v[62:63]
	v_fma_f64 v[254:255], v[176:177], v[60:61], -v[56:57]
	scratch_load_dwordx4 v[60:63], off, off offset:736
	scratch_load_dwordx4 v[56:59], off, off offset:752
	s_waitcnt vmcnt(16) lgkmcnt(2)
	v_mul_f64 v[232:233], v[164:165], v[34:35]
	v_fmac_f64_e32 v[232:233], v[166:167], v[32:33]
	s_waitcnt vmcnt(15) lgkmcnt(1)
	v_mul_f64 v[220:221], v[168:169], v[38:39]
	v_mul_f64 v[66:67], v[226:227], v[66:67]
	v_add_f64 v[0:1], v[0:1], v[232:233]
	v_fmac_f64_e32 v[220:221], v[170:171], v[36:37]
	v_fma_f64 v[250:251], v[224:225], v[64:65], -v[66:67]
	s_waitcnt vmcnt(14) lgkmcnt(0)
	v_mul_f64 v[64:65], v[172:173], v[30:31]
	v_add_f64 v[0:1], v[0:1], v[220:221]
	v_fmac_f64_e32 v[64:65], v[174:175], v[28:29]
	v_accvgpr_write_b32 a137, v23
	v_add_f64 v[0:1], v[0:1], v[64:65]
	v_mul_f64 v[64:65], v[214:215], v[70:71]
	v_accvgpr_write_b32 a136, v22
	v_accvgpr_write_b32 a135, v21
	;; [unrolled: 1-line block ×3, first 2 shown]
	ds_read_b128 v[176:179], v2 offset:1392
	v_fma_f64 v[20:21], v[212:213], v[68:69], -v[64:65]
	scratch_load_dwordx4 v[68:71], off, off offset:768
	scratch_load_dwordx4 v[64:67], off, off offset:784
	v_accvgpr_write_b32 a121, v7
	v_accvgpr_write_b32 a120, v6
	;; [unrolled: 1-line block ×5, first 2 shown]
	v_mul_f64 v[6:7], v[182:183], v[78:79]
	v_accvgpr_write_b32 a132, v18
	v_accvgpr_write_b32 a131, v17
	;; [unrolled: 1-line block ×3, first 2 shown]
	v_fma_f64 v[16:17], v[180:181], v[76:77], -v[6:7]
	s_waitcnt vmcnt(15) lgkmcnt(0)
	v_mul_f64 v[76:77], v[176:177], v[26:27]
	v_fmac_f64_e32 v[76:77], v[178:179], v[24:25]
	v_accvgpr_write_b32 a129, v15
	v_add_f64 v[0:1], v[0:1], v[76:77]
	v_mul_f64 v[76:77], v[230:231], v[82:83]
	v_accvgpr_write_b32 a128, v14
	v_accvgpr_write_b32 a127, v13
	;; [unrolled: 1-line block ×3, first 2 shown]
	v_fma_f64 v[12:13], v[228:229], v[80:81], -v[76:77]
	scratch_load_dwordx4 v[76:79], off, off offset:800
	scratch_load_dwordx4 v[232:235], off, off offset:864
	ds_read_b128 v[180:183], v2 offset:1408
	ds_read_b128 v[80:83], v2 offset:1424
	v_accvgpr_write_b32 a125, v11
	v_accvgpr_write_b32 a124, v10
	;; [unrolled: 1-line block ×4, first 2 shown]
	s_waitcnt vmcnt(16) lgkmcnt(1)
	v_mul_f64 v[10:11], v[180:181], v[74:75]
	v_fmac_f64_e32 v[10:11], v[182:183], v[72:73]
	v_add_f64 v[0:1], v[0:1], v[10:11]
	v_mul_f64 v[10:11], v[218:219], v[86:87]
	v_fma_f64 v[10:11], v[216:217], v[84:85], -v[10:11]
	ds_read_b128 v[84:87], v2 offset:1440
	v_mul_f64 v[90:91], v[190:191], v[90:91]
	v_fma_f64 v[8:9], v[188:189], v[88:89], -v[90:91]
	ds_read_b128 v[88:91], v2 offset:1456
	s_waitcnt vmcnt(15) lgkmcnt(2)
	v_mul_f64 v[212:213], v[80:81], v[110:111]
	v_fmac_f64_e32 v[212:213], v[82:83], v[108:109]
	s_waitcnt vmcnt(14) lgkmcnt(1)
	v_mul_f64 v[14:15], v[84:85], v[118:119]
	v_add_f64 v[0:1], v[0:1], v[212:213]
	v_fmac_f64_e32 v[14:15], v[86:87], v[116:117]
	v_add_f64 v[0:1], v[0:1], v[14:15]
	s_waitcnt vmcnt(13) lgkmcnt(0)
	v_mul_f64 v[14:15], v[88:89], v[122:123]
	v_fmac_f64_e32 v[14:15], v[90:91], v[120:121]
	ds_read_b128 v[188:191], v2 offset:1472
	v_add_f64 v[0:1], v[0:1], v[14:15]
	v_mul_f64 v[14:15], v[206:207], v[94:95]
	v_fma_f64 v[14:15], v[204:205], v[92:93], -v[14:15]
	ds_read_b128 v[92:95], v2 offset:1488
	v_mul_f64 v[98:99], v[194:195], v[98:99]
	v_fma_f64 v[6:7], v[192:193], v[96:97], -v[98:99]
	ds_read_b128 v[96:99], v2 offset:1504
	ds_read_b128 v[192:195], v2 offset:1520
	s_waitcnt vmcnt(12) lgkmcnt(3)
	v_mul_f64 v[204:205], v[188:189], v[126:127]
	v_fmac_f64_e32 v[204:205], v[190:191], v[124:125]
	s_waitcnt vmcnt(11) lgkmcnt(2)
	v_mul_f64 v[18:19], v[92:93], v[130:131]
	v_add_f64 v[0:1], v[0:1], v[204:205]
	v_fmac_f64_e32 v[18:19], v[94:95], v[128:129]
	v_add_f64 v[0:1], v[0:1], v[18:19]
	s_waitcnt vmcnt(10) lgkmcnt(1)
	v_mul_f64 v[18:19], v[96:97], v[134:135]
	v_fmac_f64_e32 v[18:19], v[98:99], v[132:133]
	v_add_f64 v[0:1], v[0:1], v[18:19]
	v_mul_f64 v[18:19], v[210:211], v[102:103]
	v_fma_f64 v[18:19], v[208:209], v[100:101], -v[18:19]
	ds_read_b128 v[100:103], v2 offset:1536
	v_mul_f64 v[106:107], v[198:199], v[106:107]
	v_fma_f64 v[4:5], v[196:197], v[104:105], -v[106:107]
	ds_read_b128 v[104:107], v2 offset:1552
	s_waitcnt vmcnt(9) lgkmcnt(2)
	v_mul_f64 v[204:205], v[192:193], v[42:43]
	v_fmac_f64_e32 v[204:205], v[194:195], v[40:41]
	s_waitcnt vmcnt(8) lgkmcnt(1)
	v_mul_f64 v[22:23], v[100:101], v[46:47]
	v_add_f64 v[0:1], v[0:1], v[204:205]
	v_fmac_f64_e32 v[22:23], v[102:103], v[44:45]
	v_add_f64 v[0:1], v[0:1], v[22:23]
	s_waitcnt vmcnt(7) lgkmcnt(0)
	v_mul_f64 v[22:23], v[104:105], v[50:51]
	ds_read_b128 v[196:199], v2 offset:1568
	v_fmac_f64_e32 v[22:23], v[106:107], v[48:49]
	v_add_f64 v[0:1], v[0:1], v[22:23]
	v_mul_f64 v[22:23], v[186:187], v[114:115]
	v_fma_f64 v[22:23], v[184:185], v[112:113], -v[22:23]
	ds_read_b128 v[112:115], v2 offset:1584
	s_waitcnt vmcnt(6) lgkmcnt(1)
	v_mul_f64 v[184:185], v[196:197], v[54:55]
	v_fmac_f64_e32 v[184:185], v[198:199], v[52:53]
	v_add_f64 v[184:185], v[0:1], v[184:185]
	v_mul_f64 v[0:1], v[202:203], v[138:139]
	v_fma_f64 v[0:1], v[200:201], v[136:137], -v[0:1]
	ds_read_b128 v[136:139], v2 offset:1600
	s_waitcnt vmcnt(5) lgkmcnt(1)
	v_mul_f64 v[186:187], v[112:113], v[62:63]
	v_fmac_f64_e32 v[186:187], v[114:115], v[60:61]
	v_add_f64 v[200:201], v[184:185], v[186:187]
	ds_read_b128 v[184:187], v2 offset:1616
	v_mul_f64 v[142:143], v[238:239], v[142:143]
	v_fma_f64 v[252:253], v[236:237], v[140:141], -v[142:143]
	ds_read_b128 v[140:143], v2 offset:1632
	ds_read_b128 v[208:211], v2 offset:1664
	s_waitcnt vmcnt(4) lgkmcnt(3)
	v_mul_f64 v[202:203], v[136:137], v[58:59]
	v_fmac_f64_e32 v[202:203], v[138:139], v[56:57]
	v_add_f64 v[200:201], v[200:201], v[202:203]
	s_waitcnt vmcnt(3) lgkmcnt(2)
	v_mul_f64 v[202:203], v[184:185], v[70:71]
	v_fmac_f64_e32 v[202:203], v[186:187], v[68:69]
	v_add_f64 v[200:201], v[200:201], v[202:203]
	;; [unrolled: 4-line block ×3, first 2 shown]
	ds_read_b128 v[200:203], v2 offset:1648
	ds_read_b128 v[216:219], v2 offset:1680
	;; [unrolled: 1-line block ×3, first 2 shown]
	s_waitcnt vmcnt(1) lgkmcnt(2)
	v_mul_f64 v[206:207], v[200:201], v[78:79]
	v_fmac_f64_e32 v[206:207], v[202:203], v[76:77]
	v_add_f64 v[212:213], v[204:205], v[206:207]
	scratch_load_dwordx4 v[204:207], off, off offset:816
	s_waitcnt vmcnt(0)
	v_mul_f64 v[214:215], v[208:209], v[206:207]
	v_fmac_f64_e32 v[214:215], v[210:211], v[204:205]
	v_add_f64 v[220:221], v[212:213], v[214:215]
	scratch_load_dwordx4 v[212:215], off, off offset:832
	s_waitcnt vmcnt(0) lgkmcnt(1)
	v_mul_f64 v[222:223], v[216:217], v[214:215]
	v_fmac_f64_e32 v[222:223], v[218:219], v[212:213]
	v_add_f64 v[228:229], v[220:221], v[222:223]
	scratch_load_dwordx4 v[220:223], off, off offset:848
	s_waitcnt vmcnt(0) lgkmcnt(0)
	v_mul_f64 v[230:231], v[224:225], v[222:223]
	v_fmac_f64_e32 v[230:231], v[226:227], v[220:221]
	v_add_f64 v[236:237], v[228:229], v[230:231]
	ds_read_b128 v[228:231], v2 offset:1712
	s_waitcnt lgkmcnt(0)
	v_mul_f64 v[2:3], v[228:229], v[234:235]
	v_fmac_f64_e32 v[2:3], v[230:231], v[232:233]
	v_add_f64 v[2:3], v[236:237], v[2:3]
	v_add_f64 v[236:237], v[240:241], 0
	;; [unrolled: 1-line block ×9, first 2 shown]
	scratch_load_dwordx4 v[236:239], off, off offset:96
	v_add_f64 v[16:17], v[20:21], v[16:17]
	v_add_f64 v[12:13], v[16:17], v[12:13]
	;; [unrolled: 1-line block ×8, first 2 shown]
	v_accvgpr_read_b32 v6, a118
	v_accvgpr_read_b32 v8, a120
	;; [unrolled: 1-line block ×3, first 2 shown]
	v_add_f64 v[254:255], v[4:5], v[22:23]
	v_accvgpr_read_b32 v7, a119
	v_mul_f64 v[4:5], v[146:147], v[8:9]
	v_add_f64 v[0:1], v[254:255], v[0:1]
	v_fma_f64 v[4:5], v[144:145], v[6:7], -v[4:5]
	v_accvgpr_read_b32 v6, a122
	v_add_f64 v[0:1], v[0:1], v[252:253]
	v_accvgpr_read_b32 v8, a124
	v_accvgpr_read_b32 v9, a125
	v_add_f64 v[0:1], v[0:1], v[4:5]
	v_accvgpr_read_b32 v7, a123
	v_mul_f64 v[4:5], v[150:151], v[8:9]
	v_fma_f64 v[4:5], v[148:149], v[6:7], -v[4:5]
	v_accvgpr_read_b32 v6, a126
	v_accvgpr_read_b32 v8, a128
	v_accvgpr_read_b32 v9, a129
	v_add_f64 v[0:1], v[0:1], v[4:5]
	v_accvgpr_read_b32 v7, a127
	v_mul_f64 v[4:5], v[154:155], v[8:9]
	v_fma_f64 v[4:5], v[152:153], v[6:7], -v[4:5]
	v_accvgpr_read_b32 v6, a130
	;; [unrolled: 7-line block ×3, first 2 shown]
	v_accvgpr_read_b32 v8, a136
	v_accvgpr_read_b32 v9, a137
	v_add_f64 v[0:1], v[0:1], v[4:5]
	v_accvgpr_read_b32 v7, a135
	v_mul_f64 v[4:5], v[162:163], v[8:9]
	v_fma_f64 v[4:5], v[160:161], v[6:7], -v[4:5]
	v_add_f64 v[0:1], v[0:1], v[4:5]
	v_mul_f64 v[4:5], v[166:167], v[34:35]
	v_fma_f64 v[4:5], v[164:165], v[32:33], -v[4:5]
	v_add_f64 v[0:1], v[0:1], v[4:5]
	;; [unrolled: 3-line block ×25, first 2 shown]
	s_waitcnt vmcnt(0)
	v_add_f64 v[4:5], v[236:237], -v[0:1]
	v_accvgpr_read_b32 v0, a108
	v_add_f64 v[6:7], v[238:239], -v[2:3]
	v_cmp_lt_u32_e32 vcc, 4, v0
	scratch_store_dwordx4 off, v[4:7], off offset:96
	s_and_saveexec_b64 s[0:1], vcc
	s_cbranch_execz .LBB117_329
; %bb.328:
	scratch_load_dwordx4 v[2:5], off, s66
	v_mov_b32_e32 v6, 0
	v_mov_b32_e32 v7, v6
	;; [unrolled: 1-line block ×4, first 2 shown]
	v_accvgpr_read_b32 v0, a109
	scratch_store_dwordx4 off, v[6:9], off offset:80
	s_waitcnt vmcnt(1)
	ds_write_b128 v0, v[2:5]
.LBB117_329:
	s_or_b64 exec, exec, s[0:1]
	s_waitcnt lgkmcnt(0)
	; wave barrier
	scratch_load_dwordx4 v[56:59], off, off offset:96
	scratch_load_dwordx4 v[60:63], off, off offset:112
	;; [unrolled: 1-line block ×28, first 2 shown]
	v_mov_b32_e32 v2, 0
	ds_read_b128 v[116:119], v2 offset:944
	ds_read_b128 v[120:123], v2 offset:960
	;; [unrolled: 1-line block ×22, first 2 shown]
	s_waitcnt vmcnt(27) lgkmcnt(14)
	v_mul_f64 v[0:1], v[116:117], v[58:59]
	s_waitcnt vmcnt(26)
	v_mul_f64 v[32:33], v[120:121], v[62:63]
	v_fmac_f64_e32 v[0:1], v[118:119], v[56:57]
	s_waitcnt vmcnt(25)
	v_mul_f64 v[34:35], v[124:125], v[66:67]
	v_fmac_f64_e32 v[32:33], v[122:123], v[60:61]
	v_add_f64 v[0:1], v[0:1], 0
	v_fmac_f64_e32 v[34:35], v[126:127], v[64:65]
	v_add_f64 v[0:1], v[0:1], v[32:33]
	v_add_f64 v[0:1], v[0:1], v[34:35]
	scratch_load_dwordx4 v[32:35], off, off offset:544
	s_waitcnt vmcnt(25)
	v_mul_f64 v[36:37], v[128:129], v[70:71]
	s_waitcnt vmcnt(24)
	v_mul_f64 v[38:39], v[132:133], v[74:75]
	v_fmac_f64_e32 v[36:37], v[130:131], v[68:69]
	s_waitcnt vmcnt(23)
	v_mul_f64 v[40:41], v[140:141], v[78:79]
	v_fmac_f64_e32 v[38:39], v[134:135], v[72:73]
	v_add_f64 v[0:1], v[0:1], v[36:37]
	s_waitcnt vmcnt(22)
	v_mul_f64 v[42:43], v[152:153], v[82:83]
	v_fmac_f64_e32 v[40:41], v[142:143], v[76:77]
	v_add_f64 v[0:1], v[0:1], v[38:39]
	;; [unrolled: 4-line block ×3, first 2 shown]
	s_waitcnt vmcnt(20) lgkmcnt(13)
	v_mul_f64 v[46:47], v[176:177], v[94:95]
	v_fmac_f64_e32 v[44:45], v[166:167], v[84:85]
	v_add_f64 v[0:1], v[0:1], v[42:43]
	s_waitcnt vmcnt(19) lgkmcnt(12)
	v_mul_f64 v[48:49], v[188:189], v[98:99]
	v_fmac_f64_e32 v[46:47], v[178:179], v[92:93]
	v_add_f64 v[0:1], v[0:1], v[44:45]
	;; [unrolled: 4-line block ×9, first 2 shown]
	v_add_f64 v[0:1], v[0:1], v[104:105]
	v_fmac_f64_e32 v[106:107], v[222:223], v[168:169]
	s_waitcnt vmcnt(11) lgkmcnt(4)
	v_mul_f64 v[40:41], v[224:225], v[174:175]
	v_add_f64 v[0:1], v[0:1], v[106:107]
	v_fmac_f64_e32 v[40:41], v[226:227], v[172:173]
	scratch_load_dwordx4 v[36:39], off, off offset:560
	v_add_f64 v[0:1], v[0:1], v[40:41]
	s_waitcnt vmcnt(11) lgkmcnt(3)
	v_mul_f64 v[40:41], v[228:229], v[182:183]
	v_fmac_f64_e32 v[40:41], v[230:231], v[180:181]
	s_waitcnt vmcnt(10) lgkmcnt(2)
	v_mul_f64 v[44:45], v[242:243], v[186:187]
	v_add_f64 v[0:1], v[0:1], v[40:41]
	v_fmac_f64_e32 v[44:45], v[244:245], v[184:185]
	scratch_load_dwordx4 v[40:43], off, off offset:576
	ds_read_b128 v[88:91], v2 offset:1280
	v_add_f64 v[0:1], v[0:1], v[44:45]
	s_waitcnt vmcnt(10) lgkmcnt(2)
	v_mul_f64 v[44:45], v[250:251], v[194:195]
	v_fmac_f64_e32 v[44:45], v[252:253], v[192:193]
	v_add_f64 v[0:1], v[0:1], v[44:45]
	scratch_load_dwordx4 v[44:47], off, off offset:592
	ds_read_b128 v[104:107], v2 offset:1296
	s_waitcnt vmcnt(10) lgkmcnt(1)
	v_mul_f64 v[48:49], v[88:89], v[6:7]
	v_accvgpr_write_b32 a113, v7
	v_fmac_f64_e32 v[48:49], v[90:91], v[4:5]
	v_accvgpr_write_b32 a112, v6
	v_accvgpr_write_b32 a111, v5
	;; [unrolled: 1-line block ×3, first 2 shown]
	s_waitcnt vmcnt(9)
	v_mov_b64_e32 v[4:5], v[8:9]
	v_add_f64 v[0:1], v[0:1], v[48:49]
	scratch_load_dwordx4 v[48:51], off, off offset:608
	v_mov_b64_e32 v[6:7], v[10:11]
	s_waitcnt lgkmcnt(0)
	v_mul_f64 v[52:53], v[104:105], v[6:7]
	v_fmac_f64_e32 v[52:53], v[106:107], v[4:5]
	v_add_f64 v[0:1], v[0:1], v[52:53]
	scratch_load_dwordx4 v[52:55], off, off offset:624
	v_mul_f64 v[58:59], v[118:119], v[58:59]
	v_fma_f64 v[240:241], v[116:117], v[56:57], -v[58:59]
	scratch_load_dwordx4 v[56:59], off, off offset:640
	s_waitcnt vmcnt(11)
	v_mov_b64_e32 v[4:5], v[12:13]
	v_mov_b64_e32 v[6:7], v[14:15]
	v_mul_f64 v[112:113], v[108:109], v[6:7]
	v_fmac_f64_e32 v[112:113], v[110:111], v[4:5]
	v_mul_f64 v[62:63], v[122:123], v[62:63]
	v_add_f64 v[0:1], v[0:1], v[112:113]
	ds_read_b128 v[112:115], v2 offset:1328
	ds_read_b128 v[116:119], v2 offset:1344
	v_fma_f64 v[246:247], v[120:121], v[60:61], -v[62:63]
	scratch_load_dwordx4 v[60:63], off, off offset:656
	v_mul_f64 v[66:67], v[126:127], v[66:67]
	v_fma_f64 v[248:249], v[124:125], v[64:65], -v[66:67]
	scratch_load_dwordx4 v[64:67], off, off offset:672
	s_waitcnt vmcnt(12)
	v_mov_b64_e32 v[4:5], v[16:17]
	v_mov_b64_e32 v[6:7], v[18:19]
	s_waitcnt lgkmcnt(1)
	v_mul_f64 v[120:121], v[112:113], v[6:7]
	v_fmac_f64_e32 v[120:121], v[114:115], v[4:5]
	s_waitcnt vmcnt(11)
	v_mov_b64_e32 v[4:5], v[20:21]
	v_mov_b64_e32 v[6:7], v[22:23]
	v_mul_f64 v[70:71], v[130:131], v[70:71]
	v_add_f64 v[0:1], v[0:1], v[120:121]
	s_waitcnt lgkmcnt(0)
	v_mul_f64 v[120:121], v[116:117], v[6:7]
	v_fma_f64 v[254:255], v[128:129], v[68:69], -v[70:71]
	scratch_load_dwordx4 v[68:71], off, off offset:688
	v_fmac_f64_e32 v[120:121], v[118:119], v[4:5]
	v_mul_f64 v[74:75], v[134:135], v[74:75]
	v_add_f64 v[0:1], v[0:1], v[120:121]
	ds_read_b128 v[120:123], v2 offset:1360
	ds_read_b128 v[124:127], v2 offset:1376
	v_fma_f64 v[232:233], v[132:133], v[72:73], -v[74:75]
	scratch_load_dwordx4 v[72:75], off, off offset:704
	v_mul_f64 v[78:79], v[142:143], v[78:79]
	v_fma_f64 v[238:239], v[140:141], v[76:77], -v[78:79]
	scratch_load_dwordx4 v[76:79], off, off offset:720
	s_waitcnt vmcnt(13) lgkmcnt(1)
	v_mul_f64 v[128:129], v[120:121], v[236:237]
	v_fmac_f64_e32 v[128:129], v[122:123], v[234:235]
	v_mul_f64 v[82:83], v[154:155], v[82:83]
	s_waitcnt vmcnt(12) lgkmcnt(0)
	v_mul_f64 v[6:7], v[124:125], v[30:31]
	v_add_f64 v[0:1], v[0:1], v[128:129]
	v_fma_f64 v[24:25], v[152:153], v[80:81], -v[82:83]
	v_fmac_f64_e32 v[6:7], v[126:127], v[28:29]
	scratch_load_dwordx4 v[80:83], off, off offset:736
	v_accvgpr_write_b32 a129, v23
	v_add_f64 v[0:1], v[0:1], v[6:7]
	v_mul_f64 v[6:7], v[166:167], v[86:87]
	v_accvgpr_write_b32 a128, v22
	v_accvgpr_write_b32 a127, v21
	v_accvgpr_write_b32 a126, v20
	v_fma_f64 v[20:21], v[164:165], v[84:85], -v[6:7]
	scratch_load_dwordx4 v[84:87], off, off offset:752
	ds_read_b128 v[132:135], v2 offset:1392
	ds_read_b128 v[128:131], v2 offset:1408
	v_accvgpr_write_b32 a125, v19
	v_mul_f64 v[6:7], v[178:179], v[94:95]
	v_accvgpr_write_b32 a121, v15
	v_accvgpr_write_b32 a124, v18
	;; [unrolled: 1-line block ×4, first 2 shown]
	v_fma_f64 v[16:17], v[176:177], v[92:93], -v[6:7]
	v_mul_f64 v[6:7], v[190:191], v[98:99]
	v_accvgpr_write_b32 a120, v14
	v_accvgpr_write_b32 a119, v13
	;; [unrolled: 1-line block ×3, first 2 shown]
	v_fma_f64 v[12:13], v[188:189], v[96:97], -v[6:7]
	scratch_load_dwordx4 v[96:99], off, off offset:768
	scratch_load_dwordx4 v[92:95], off, off offset:784
	s_waitcnt vmcnt(15) lgkmcnt(1)
	v_mul_f64 v[6:7], v[132:133], v[34:35]
	v_fmac_f64_e32 v[6:7], v[134:135], v[32:33]
	v_add_f64 v[0:1], v[0:1], v[6:7]
	v_mul_f64 v[6:7], v[198:199], v[102:103]
	v_fma_f64 v[14:15], v[196:197], v[100:101], -v[6:7]
	scratch_load_dwordx4 v[100:103], off, off offset:800
	v_accvgpr_write_b32 a117, v11
	v_mul_f64 v[6:7], v[202:203], v[138:139]
	v_accvgpr_write_b32 a116, v10
	v_accvgpr_write_b32 a115, v9
	;; [unrolled: 1-line block ×3, first 2 shown]
	v_fma_f64 v[10:11], v[200:201], v[136:137], -v[6:7]
	ds_read_b128 v[136:139], v2 offset:1424
	ds_read_b128 v[140:143], v2 offset:1440
	s_waitcnt vmcnt(15) lgkmcnt(2)
	v_mul_f64 v[6:7], v[128:129], v[38:39]
	v_fmac_f64_e32 v[6:7], v[130:131], v[36:37]
	v_add_f64 v[0:1], v[0:1], v[6:7]
	s_waitcnt vmcnt(14) lgkmcnt(1)
	v_mul_f64 v[6:7], v[136:137], v[42:43]
	v_fmac_f64_e32 v[6:7], v[138:139], v[40:41]
	v_add_f64 v[0:1], v[0:1], v[6:7]
	v_mul_f64 v[6:7], v[206:207], v[146:147]
	v_fma_f64 v[18:19], v[204:205], v[144:145], -v[6:7]
	ds_read_b128 v[144:147], v2 offset:1456
	s_waitcnt vmcnt(13) lgkmcnt(1)
	v_mul_f64 v[6:7], v[140:141], v[46:47]
	v_fmac_f64_e32 v[6:7], v[142:143], v[44:45]
	v_add_f64 v[0:1], v[0:1], v[6:7]
	v_mul_f64 v[6:7], v[210:211], v[150:151]
	v_fma_f64 v[8:9], v[208:209], v[148:149], -v[6:7]
	ds_read_b128 v[148:151], v2 offset:1472
	s_waitcnt vmcnt(12) lgkmcnt(1)
	v_mul_f64 v[6:7], v[144:145], v[50:51]
	ds_read_b128 v[152:155], v2 offset:1488
	v_fmac_f64_e32 v[6:7], v[146:147], v[48:49]
	v_add_f64 v[0:1], v[0:1], v[6:7]
	v_mul_f64 v[6:7], v[214:215], v[158:159]
	v_fma_f64 v[22:23], v[212:213], v[156:157], -v[6:7]
	s_waitcnt vmcnt(11) lgkmcnt(1)
	v_mul_f64 v[6:7], v[148:149], v[54:55]
	v_fmac_f64_e32 v[6:7], v[150:151], v[52:53]
	ds_read_b128 v[156:159], v2 offset:1504
	v_add_f64 v[0:1], v[0:1], v[6:7]
	s_waitcnt vmcnt(10) lgkmcnt(1)
	v_mul_f64 v[6:7], v[152:153], v[58:59]
	v_fmac_f64_e32 v[6:7], v[154:155], v[56:57]
	v_add_f64 v[0:1], v[0:1], v[6:7]
	v_mul_f64 v[6:7], v[218:219], v[162:163]
	v_fma_f64 v[4:5], v[216:217], v[160:161], -v[6:7]
	ds_read_b128 v[160:163], v2 offset:1520
	ds_read_b128 v[164:167], v2 offset:1536
	s_waitcnt vmcnt(9) lgkmcnt(2)
	v_mul_f64 v[6:7], v[156:157], v[62:63]
	v_fmac_f64_e32 v[6:7], v[158:159], v[60:61]
	v_add_f64 v[0:1], v[0:1], v[6:7]
	s_waitcnt vmcnt(8) lgkmcnt(1)
	v_mul_f64 v[6:7], v[160:161], v[66:67]
	v_fmac_f64_e32 v[6:7], v[162:163], v[64:65]
	v_add_f64 v[0:1], v[0:1], v[6:7]
	v_mul_f64 v[6:7], v[222:223], v[170:171]
	v_fma_f64 v[26:27], v[220:221], v[168:169], -v[6:7]
	ds_read_b128 v[168:171], v2 offset:1552
	v_mul_f64 v[6:7], v[226:227], v[174:175]
	v_fma_f64 v[6:7], v[224:225], v[172:173], -v[6:7]
	ds_read_b128 v[172:175], v2 offset:1568
	s_waitcnt vmcnt(7) lgkmcnt(2)
	v_mul_f64 v[176:177], v[164:165], v[70:71]
	v_fmac_f64_e32 v[176:177], v[166:167], v[68:69]
	v_add_f64 v[0:1], v[0:1], v[176:177]
	s_waitcnt vmcnt(6) lgkmcnt(1)
	v_mul_f64 v[176:177], v[168:169], v[74:75]
	v_fmac_f64_e32 v[176:177], v[170:171], v[72:73]
	v_add_f64 v[0:1], v[0:1], v[176:177]
	s_waitcnt vmcnt(5) lgkmcnt(0)
	v_mul_f64 v[188:189], v[172:173], v[78:79]
	ds_read_b128 v[176:179], v2 offset:1584
	v_fmac_f64_e32 v[188:189], v[174:175], v[76:77]
	v_add_f64 v[188:189], v[0:1], v[188:189]
	v_mul_f64 v[0:1], v[230:231], v[182:183]
	v_fma_f64 v[0:1], v[228:229], v[180:181], -v[0:1]
	ds_read_b128 v[180:183], v2 offset:1600
	v_mul_f64 v[186:187], v[244:245], v[186:187]
	s_waitcnt vmcnt(4) lgkmcnt(1)
	v_mul_f64 v[190:191], v[176:177], v[82:83]
	v_fma_f64 v[242:243], v[242:243], v[184:185], -v[186:187]
	ds_read_b128 v[184:187], v2 offset:1616
	v_fmac_f64_e32 v[190:191], v[178:179], v[80:81]
	v_add_f64 v[196:197], v[188:189], v[190:191]
	ds_read_b128 v[188:191], v2 offset:1632
	s_waitcnt vmcnt(3) lgkmcnt(2)
	v_mul_f64 v[198:199], v[180:181], v[86:87]
	v_mul_f64 v[194:195], v[252:253], v[194:195]
	v_fmac_f64_e32 v[198:199], v[182:183], v[84:85]
	v_fma_f64 v[250:251], v[250:251], v[192:193], -v[194:195]
	ds_read_b128 v[192:195], v2 offset:1648
	ds_read_b128 v[200:203], v2 offset:1664
	v_add_f64 v[196:197], v[196:197], v[198:199]
	s_waitcnt vmcnt(2) lgkmcnt(3)
	v_mul_f64 v[198:199], v[184:185], v[98:99]
	v_fmac_f64_e32 v[198:199], v[186:187], v[96:97]
	v_add_f64 v[196:197], v[196:197], v[198:199]
	s_waitcnt vmcnt(1) lgkmcnt(2)
	v_mul_f64 v[198:199], v[188:189], v[94:95]
	v_fmac_f64_e32 v[198:199], v[190:191], v[92:93]
	;; [unrolled: 4-line block ×3, first 2 shown]
	v_add_f64 v[204:205], v[196:197], v[198:199]
	scratch_load_dwordx4 v[196:199], off, off offset:816
	ds_read_b128 v[208:211], v2 offset:1680
	ds_read_b128 v[216:219], v2 offset:1696
	;; [unrolled: 1-line block ×3, first 2 shown]
	s_waitcnt vmcnt(0) lgkmcnt(3)
	v_mul_f64 v[206:207], v[200:201], v[198:199]
	v_fmac_f64_e32 v[206:207], v[202:203], v[196:197]
	v_add_f64 v[212:213], v[204:205], v[206:207]
	scratch_load_dwordx4 v[204:207], off, off offset:832
	s_waitcnt vmcnt(0) lgkmcnt(2)
	v_mul_f64 v[214:215], v[208:209], v[206:207]
	v_fmac_f64_e32 v[214:215], v[210:211], v[204:205]
	v_add_f64 v[220:221], v[212:213], v[214:215]
	scratch_load_dwordx4 v[212:215], off, off offset:848
	;; [unrolled: 5-line block ×3, first 2 shown]
	s_waitcnt vmcnt(0) lgkmcnt(0)
	v_mul_f64 v[230:231], v[224:225], v[222:223]
	v_fmac_f64_e32 v[230:231], v[226:227], v[220:221]
	v_add_f64 v[244:245], v[228:229], v[230:231]
	v_add_f64 v[228:229], v[240:241], 0
	;; [unrolled: 1-line block ×8, first 2 shown]
	scratch_load_dwordx4 v[228:231], off, off offset:80
	v_add_f64 v[20:21], v[24:25], v[20:21]
	v_add_f64 v[16:17], v[20:21], v[16:17]
	;; [unrolled: 1-line block ×11, first 2 shown]
	v_accvgpr_read_b32 v6, a110
	v_accvgpr_read_b32 v8, a112
	;; [unrolled: 1-line block ×3, first 2 shown]
	v_add_f64 v[0:1], v[4:5], v[0:1]
	v_accvgpr_read_b32 v7, a111
	v_mul_f64 v[4:5], v[90:91], v[8:9]
	v_add_f64 v[0:1], v[0:1], v[242:243]
	v_fma_f64 v[4:5], v[88:89], v[6:7], -v[4:5]
	v_accvgpr_read_b32 v6, a114
	v_add_f64 v[0:1], v[0:1], v[250:251]
	v_accvgpr_read_b32 v8, a116
	v_accvgpr_read_b32 v9, a117
	v_add_f64 v[0:1], v[0:1], v[4:5]
	v_accvgpr_read_b32 v7, a115
	v_mul_f64 v[4:5], v[106:107], v[8:9]
	v_fma_f64 v[4:5], v[104:105], v[6:7], -v[4:5]
	v_accvgpr_read_b32 v6, a118
	v_accvgpr_read_b32 v8, a120
	v_accvgpr_read_b32 v9, a121
	v_add_f64 v[0:1], v[0:1], v[4:5]
	v_accvgpr_read_b32 v7, a119
	v_mul_f64 v[4:5], v[110:111], v[8:9]
	v_fma_f64 v[4:5], v[108:109], v[6:7], -v[4:5]
	v_accvgpr_read_b32 v6, a122
	;; [unrolled: 7-line block ×3, first 2 shown]
	v_accvgpr_read_b32 v8, a128
	v_accvgpr_read_b32 v9, a129
	v_add_f64 v[0:1], v[0:1], v[4:5]
	v_accvgpr_read_b32 v7, a127
	v_mul_f64 v[4:5], v[118:119], v[8:9]
	v_fma_f64 v[4:5], v[116:117], v[6:7], -v[4:5]
	v_add_f64 v[0:1], v[0:1], v[4:5]
	v_mul_f64 v[4:5], v[122:123], v[236:237]
	v_fma_f64 v[4:5], v[120:121], v[234:235], -v[4:5]
	v_add_f64 v[0:1], v[0:1], v[4:5]
	;; [unrolled: 3-line block ×24, first 2 shown]
	s_waitcnt vmcnt(0)
	v_add_f64 v[4:5], v[228:229], -v[0:1]
	v_accvgpr_read_b32 v0, a108
	v_add_f64 v[6:7], v[230:231], -v[244:245]
	v_cmp_lt_u32_e32 vcc, 3, v0
	scratch_store_dwordx4 off, v[4:7], off offset:80
	s_and_saveexec_b64 s[0:1], vcc
	s_cbranch_execz .LBB117_331
; %bb.330:
	scratch_load_dwordx4 v[6:9], off, s67
	v_mov_b32_e32 v3, v2
	v_mov_b32_e32 v4, v2
	;; [unrolled: 1-line block ×3, first 2 shown]
	v_accvgpr_read_b32 v0, a109
	scratch_store_dwordx4 off, v[2:5], off offset:64
	s_waitcnt vmcnt(1)
	ds_write_b128 v0, v[6:9]
.LBB117_331:
	s_or_b64 exec, exec, s[0:1]
	s_waitcnt lgkmcnt(0)
	; wave barrier
	scratch_load_dwordx4 v[56:59], off, off offset:80
	scratch_load_dwordx4 v[60:63], off, off offset:96
	scratch_load_dwordx4 v[64:67], off, off offset:112
	scratch_load_dwordx4 v[68:71], off, off offset:128
	scratch_load_dwordx4 v[72:75], off, off offset:144
	scratch_load_dwordx4 v[76:79], off, off offset:160
	scratch_load_dwordx4 v[80:83], off, off offset:176
	scratch_load_dwordx4 v[84:87], off, off offset:192
	scratch_load_dwordx4 v[92:95], off, off offset:208
	scratch_load_dwordx4 v[96:99], off, off offset:224
	scratch_load_dwordx4 v[100:103], off, off offset:240
	scratch_load_dwordx4 v[136:139], off, off offset:256
	scratch_load_dwordx4 v[144:147], off, off offset:272
	scratch_load_dwordx4 v[148:151], off, off offset:288
	scratch_load_dwordx4 v[156:159], off, off offset:304
	scratch_load_dwordx4 v[160:163], off, off offset:320
	scratch_load_dwordx4 v[168:171], off, off offset:336
	scratch_load_dwordx4 v[172:175], off, off offset:352
	ds_read_b128 v[116:119], v2 offset:928
	ds_read_b128 v[220:223], v2 offset:944
	;; [unrolled: 1-line block ×6, first 2 shown]
	scratch_load_dwordx4 v[180:183], off, off offset:368
	ds_read_b128 v[204:207], v2 offset:1024
	ds_read_b128 v[132:135], v2 offset:1040
	scratch_load_dwordx4 v[184:187], off, off offset:384
	ds_read_b128 v[224:227], v2 offset:1056
	ds_read_b128 v[216:219], v2 offset:1072
	;; [unrolled: 1-line block ×5, first 2 shown]
	scratch_load_dwordx4 v[192:195], off, off offset:400
	ds_read_b128 v[200:203], v2 offset:1136
	ds_read_b128 v[164:167], v2 offset:1152
	scratch_load_dwordx4 v[4:7], off, off offset:416
	ds_read_b128 v[212:215], v2 offset:1168
	ds_read_b128 v[188:191], v2 offset:1184
	;; [unrolled: 1-line block ×3, first 2 shown]
	scratch_load_dwordx4 v[8:11], off, off offset:432
	scratch_load_dwordx4 v[12:15], off, off offset:448
	;; [unrolled: 1-line block ×6, first 2 shown]
	ds_read_b128 v[228:231], v2 offset:1216
	ds_read_b128 v[232:235], v2 offset:1232
	;; [unrolled: 1-line block ×4, first 2 shown]
	s_waitcnt vmcnt(27) lgkmcnt(14)
	v_mul_f64 v[0:1], v[116:117], v[58:59]
	s_waitcnt vmcnt(26)
	v_mul_f64 v[32:33], v[220:221], v[62:63]
	v_fmac_f64_e32 v[0:1], v[118:119], v[56:57]
	s_waitcnt vmcnt(25)
	v_mul_f64 v[34:35], v[208:209], v[66:67]
	v_fmac_f64_e32 v[32:33], v[222:223], v[60:61]
	v_add_f64 v[0:1], v[0:1], 0
	v_fmac_f64_e32 v[34:35], v[210:211], v[64:65]
	v_add_f64 v[0:1], v[0:1], v[32:33]
	v_add_f64 v[0:1], v[0:1], v[34:35]
	scratch_load_dwordx4 v[32:35], off, off offset:528
	s_waitcnt vmcnt(25)
	v_mul_f64 v[36:37], v[120:121], v[70:71]
	s_waitcnt vmcnt(24)
	v_mul_f64 v[38:39], v[128:129], v[74:75]
	v_fmac_f64_e32 v[36:37], v[122:123], v[68:69]
	s_waitcnt vmcnt(23)
	v_mul_f64 v[40:41], v[124:125], v[78:79]
	v_fmac_f64_e32 v[38:39], v[130:131], v[72:73]
	v_add_f64 v[0:1], v[0:1], v[36:37]
	s_waitcnt vmcnt(22)
	v_mul_f64 v[42:43], v[204:205], v[82:83]
	v_fmac_f64_e32 v[40:41], v[126:127], v[76:77]
	v_add_f64 v[0:1], v[0:1], v[38:39]
	;; [unrolled: 4-line block ×3, first 2 shown]
	s_waitcnt vmcnt(20) lgkmcnt(13)
	v_mul_f64 v[46:47], v[224:225], v[94:95]
	v_fmac_f64_e32 v[44:45], v[134:135], v[84:85]
	v_add_f64 v[0:1], v[0:1], v[42:43]
	s_waitcnt vmcnt(19) lgkmcnt(12)
	v_mul_f64 v[48:49], v[216:217], v[98:99]
	v_fmac_f64_e32 v[46:47], v[226:227], v[92:93]
	v_add_f64 v[0:1], v[0:1], v[44:45]
	;; [unrolled: 4-line block ×9, first 2 shown]
	v_fmac_f64_e32 v[106:107], v[190:191], v[168:169]
	v_add_f64 v[0:1], v[0:1], v[104:105]
	s_waitcnt vmcnt(11) lgkmcnt(4)
	v_mul_f64 v[40:41], v[176:177], v[174:175]
	v_add_f64 v[0:1], v[0:1], v[106:107]
	v_fmac_f64_e32 v[40:41], v[178:179], v[172:173]
	scratch_load_dwordx4 v[36:39], off, off offset:544
	v_add_f64 v[0:1], v[0:1], v[40:41]
	s_waitcnt vmcnt(11) lgkmcnt(3)
	v_mul_f64 v[40:41], v[228:229], v[182:183]
	v_fmac_f64_e32 v[40:41], v[230:231], v[180:181]
	v_add_f64 v[0:1], v[0:1], v[40:41]
	scratch_load_dwordx4 v[40:43], off, off offset:560
	ds_read_b128 v[88:91], v2 offset:1264
	s_waitcnt vmcnt(11) lgkmcnt(3)
	v_mul_f64 v[44:45], v[232:233], v[186:187]
	v_fmac_f64_e32 v[44:45], v[234:235], v[184:185]
	v_add_f64 v[0:1], v[0:1], v[44:45]
	s_waitcnt vmcnt(10) lgkmcnt(2)
	v_mul_f64 v[44:45], v[236:237], v[194:195]
	v_fmac_f64_e32 v[44:45], v[238:239], v[192:193]
	s_waitcnt vmcnt(9) lgkmcnt(0)
	v_mul_f64 v[48:49], v[88:89], v[6:7]
	ds_read_b128 v[104:107], v2 offset:1280
	v_add_f64 v[0:1], v[0:1], v[44:45]
	scratch_load_dwordx4 v[44:47], off, off offset:576
	v_fmac_f64_e32 v[48:49], v[90:91], v[4:5]
	v_accvgpr_write_b32 a113, v7
	v_add_f64 v[0:1], v[0:1], v[48:49]
	scratch_load_dwordx4 v[48:51], off, off offset:592
	v_accvgpr_write_b32 a112, v6
	v_accvgpr_write_b32 a111, v5
	;; [unrolled: 1-line block ×3, first 2 shown]
	s_waitcnt vmcnt(10)
	v_mov_b64_e32 v[4:5], v[8:9]
	v_mov_b64_e32 v[6:7], v[10:11]
	s_waitcnt lgkmcnt(0)
	v_mul_f64 v[52:53], v[104:105], v[6:7]
	v_fmac_f64_e32 v[52:53], v[106:107], v[4:5]
	v_add_f64 v[0:1], v[0:1], v[52:53]
	scratch_load_dwordx4 v[52:55], off, off offset:608
	v_mul_f64 v[58:59], v[118:119], v[58:59]
	v_fma_f64 v[240:241], v[116:117], v[56:57], -v[58:59]
	scratch_load_dwordx4 v[56:59], off, off offset:624
	v_mul_f64 v[62:63], v[222:223], v[62:63]
	v_fma_f64 v[242:243], v[220:221], v[60:61], -v[62:63]
	scratch_load_dwordx4 v[60:63], off, off offset:640
	s_waitcnt vmcnt(12)
	v_mov_b64_e32 v[4:5], v[12:13]
	v_mul_f64 v[66:67], v[210:211], v[66:67]
	v_mov_b64_e32 v[6:7], v[14:15]
	v_fma_f64 v[244:245], v[208:209], v[64:65], -v[66:67]
	scratch_load_dwordx4 v[64:67], off, off offset:656
	v_mul_f64 v[112:113], v[108:109], v[6:7]
	v_fmac_f64_e32 v[112:113], v[110:111], v[4:5]
	v_add_f64 v[0:1], v[0:1], v[112:113]
	ds_read_b128 v[112:115], v2 offset:1312
	ds_read_b128 v[116:119], v2 offset:1328
	s_waitcnt vmcnt(12)
	v_mov_b64_e32 v[4:5], v[16:17]
	v_mul_f64 v[70:71], v[122:123], v[70:71]
	v_mov_b64_e32 v[6:7], v[18:19]
	v_fma_f64 v[246:247], v[120:121], v[68:69], -v[70:71]
	scratch_load_dwordx4 v[68:71], off, off offset:672
	v_mul_f64 v[74:75], v[130:131], v[74:75]
	s_waitcnt lgkmcnt(1)
	v_mul_f64 v[220:221], v[112:113], v[6:7]
	v_fma_f64 v[248:249], v[128:129], v[72:73], -v[74:75]
	scratch_load_dwordx4 v[72:75], off, off offset:688
	v_fmac_f64_e32 v[220:221], v[114:115], v[4:5]
	s_waitcnt vmcnt(13)
	v_mov_b64_e32 v[4:5], v[20:21]
	ds_read_b128 v[120:123], v2 offset:1344
	v_mul_f64 v[78:79], v[126:127], v[78:79]
	v_mov_b64_e32 v[6:7], v[22:23]
	v_fma_f64 v[254:255], v[124:125], v[76:77], -v[78:79]
	scratch_load_dwordx4 v[76:79], off, off offset:704
	s_waitcnt lgkmcnt(1)
	v_mul_f64 v[208:209], v[116:117], v[6:7]
	ds_read_b128 v[124:127], v2 offset:1360
	v_fmac_f64_e32 v[208:209], v[118:119], v[4:5]
	s_waitcnt vmcnt(13)
	v_mov_b64_e32 v[4:5], v[24:25]
	v_mul_f64 v[82:83], v[206:207], v[82:83]
	v_mov_b64_e32 v[6:7], v[26:27]
	v_fma_f64 v[250:251], v[204:205], v[80:81], -v[82:83]
	scratch_load_dwordx4 v[80:83], off, off offset:720
	v_add_f64 v[0:1], v[0:1], v[220:221]
	s_waitcnt lgkmcnt(1)
	v_mul_f64 v[128:129], v[120:121], v[6:7]
	v_add_f64 v[0:1], v[0:1], v[208:209]
	v_fmac_f64_e32 v[128:129], v[122:123], v[4:5]
	v_add_f64 v[0:1], v[0:1], v[128:129]
	s_waitcnt vmcnt(13) lgkmcnt(0)
	v_mul_f64 v[128:129], v[124:125], v[30:31]
	v_accvgpr_write_b32 a133, v27
	v_fmac_f64_e32 v[128:129], v[126:127], v[28:29]
	v_mul_f64 v[86:87], v[134:135], v[86:87]
	v_accvgpr_write_b32 a132, v26
	v_accvgpr_write_b32 a131, v25
	;; [unrolled: 1-line block ×3, first 2 shown]
	v_add_f64 v[0:1], v[0:1], v[128:129]
	v_fma_f64 v[24:25], v[132:133], v[84:85], -v[86:87]
	scratch_load_dwordx4 v[84:87], off, off offset:736
	ds_read_b128 v[132:135], v2 offset:1376
	ds_read_b128 v[128:131], v2 offset:1392
	v_accvgpr_write_b32 a129, v23
	v_mul_f64 v[6:7], v[226:227], v[94:95]
	v_accvgpr_write_b32 a125, v19
	v_accvgpr_write_b32 a128, v22
	;; [unrolled: 1-line block ×4, first 2 shown]
	v_fma_f64 v[20:21], v[224:225], v[92:93], -v[6:7]
	v_mul_f64 v[92:93], v[218:219], v[98:99]
	v_accvgpr_write_b32 a117, v11
	v_accvgpr_write_b32 a124, v18
	;; [unrolled: 1-line block ×4, first 2 shown]
	v_fma_f64 v[16:17], v[216:217], v[96:97], -v[92:93]
	scratch_load_dwordx4 v[96:99], off, off offset:752
	scratch_load_dwordx4 v[92:95], off, off offset:768
	v_accvgpr_write_b32 a116, v10
	v_accvgpr_write_b32 a115, v9
	;; [unrolled: 1-line block ×3, first 2 shown]
	s_waitcnt vmcnt(15) lgkmcnt(1)
	v_mul_f64 v[10:11], v[132:133], v[34:35]
	v_fmac_f64_e32 v[10:11], v[134:135], v[32:33]
	v_accvgpr_write_b32 a121, v15
	v_add_f64 v[0:1], v[0:1], v[10:11]
	v_mul_f64 v[10:11], v[198:199], v[102:103]
	v_accvgpr_write_b32 a120, v14
	v_accvgpr_write_b32 a119, v13
	;; [unrolled: 1-line block ×3, first 2 shown]
	v_fma_f64 v[12:13], v[196:197], v[100:101], -v[10:11]
	scratch_load_dwordx4 v[100:103], off, off offset:784
	v_mul_f64 v[138:139], v[142:143], v[138:139]
	v_fma_f64 v[10:11], v[140:141], v[136:137], -v[138:139]
	ds_read_b128 v[136:139], v2 offset:1408
	ds_read_b128 v[140:143], v2 offset:1424
	s_waitcnt vmcnt(15) lgkmcnt(2)
	v_mul_f64 v[14:15], v[128:129], v[38:39]
	v_fmac_f64_e32 v[14:15], v[130:131], v[36:37]
	v_add_f64 v[0:1], v[0:1], v[14:15]
	s_waitcnt vmcnt(14) lgkmcnt(1)
	v_mul_f64 v[14:15], v[136:137], v[42:43]
	v_fmac_f64_e32 v[14:15], v[138:139], v[40:41]
	v_add_f64 v[0:1], v[0:1], v[14:15]
	v_mul_f64 v[14:15], v[154:155], v[146:147]
	v_fma_f64 v[14:15], v[152:153], v[144:145], -v[14:15]
	ds_read_b128 v[144:147], v2 offset:1440
	s_waitcnt vmcnt(13) lgkmcnt(1)
	v_mul_f64 v[152:153], v[140:141], v[46:47]
	v_mul_f64 v[150:151], v[202:203], v[150:151]
	v_fmac_f64_e32 v[152:153], v[142:143], v[44:45]
	v_fma_f64 v[8:9], v[200:201], v[148:149], -v[150:151]
	ds_read_b128 v[148:151], v2 offset:1456
	s_waitcnt vmcnt(12) lgkmcnt(1)
	v_mul_f64 v[18:19], v[144:145], v[50:51]
	v_add_f64 v[0:1], v[0:1], v[152:153]
	v_fmac_f64_e32 v[18:19], v[146:147], v[48:49]
	v_add_f64 v[0:1], v[0:1], v[18:19]
	ds_read_b128 v[152:155], v2 offset:1472
	v_mul_f64 v[18:19], v[166:167], v[158:159]
	v_fma_f64 v[18:19], v[164:165], v[156:157], -v[18:19]
	ds_read_b128 v[156:159], v2 offset:1488
	v_mul_f64 v[162:163], v[214:215], v[162:163]
	s_waitcnt vmcnt(11) lgkmcnt(2)
	v_mul_f64 v[164:165], v[148:149], v[54:55]
	v_fma_f64 v[6:7], v[212:213], v[160:161], -v[162:163]
	ds_read_b128 v[160:163], v2 offset:1504
	v_fmac_f64_e32 v[164:165], v[150:151], v[52:53]
	v_add_f64 v[0:1], v[0:1], v[164:165]
	s_waitcnt vmcnt(10) lgkmcnt(2)
	v_mul_f64 v[164:165], v[152:153], v[58:59]
	v_fmac_f64_e32 v[164:165], v[154:155], v[56:57]
	s_waitcnt vmcnt(9) lgkmcnt(1)
	v_mul_f64 v[22:23], v[156:157], v[62:63]
	v_add_f64 v[0:1], v[0:1], v[164:165]
	v_fmac_f64_e32 v[22:23], v[158:159], v[60:61]
	v_add_f64 v[0:1], v[0:1], v[22:23]
	ds_read_b128 v[164:167], v2 offset:1520
	s_waitcnt vmcnt(8) lgkmcnt(1)
	v_mul_f64 v[22:23], v[160:161], v[66:67]
	v_fmac_f64_e32 v[22:23], v[162:163], v[64:65]
	v_add_f64 v[0:1], v[0:1], v[22:23]
	v_mul_f64 v[22:23], v[190:191], v[170:171]
	v_fma_f64 v[22:23], v[188:189], v[168:169], -v[22:23]
	ds_read_b128 v[168:171], v2 offset:1536
	v_mul_f64 v[174:175], v[178:179], v[174:175]
	v_fma_f64 v[4:5], v[176:177], v[172:173], -v[174:175]
	ds_read_b128 v[172:175], v2 offset:1552
	s_waitcnt vmcnt(7) lgkmcnt(2)
	v_mul_f64 v[188:189], v[164:165], v[70:71]
	v_fmac_f64_e32 v[188:189], v[166:167], v[68:69]
	s_waitcnt vmcnt(6) lgkmcnt(1)
	v_mul_f64 v[26:27], v[168:169], v[74:75]
	ds_read_b128 v[176:179], v2 offset:1568
	v_add_f64 v[0:1], v[0:1], v[188:189]
	v_fmac_f64_e32 v[26:27], v[170:171], v[72:73]
	v_add_f64 v[0:1], v[0:1], v[26:27]
	s_waitcnt vmcnt(5) lgkmcnt(1)
	v_mul_f64 v[26:27], v[172:173], v[78:79]
	v_fmac_f64_e32 v[26:27], v[174:175], v[76:77]
	v_add_f64 v[0:1], v[0:1], v[26:27]
	v_mul_f64 v[26:27], v[230:231], v[182:183]
	v_fma_f64 v[26:27], v[228:229], v[180:181], -v[26:27]
	ds_read_b128 v[180:183], v2 offset:1584
	s_waitcnt vmcnt(4) lgkmcnt(1)
	v_mul_f64 v[188:189], v[176:177], v[82:83]
	v_fmac_f64_e32 v[188:189], v[178:179], v[80:81]
	v_add_f64 v[196:197], v[0:1], v[188:189]
	v_mul_f64 v[0:1], v[234:235], v[186:187]
	v_fma_f64 v[0:1], v[232:233], v[184:185], -v[0:1]
	ds_read_b128 v[184:187], v2 offset:1600
	ds_read_b128 v[188:191], v2 offset:1616
	s_waitcnt vmcnt(3) lgkmcnt(2)
	v_mul_f64 v[198:199], v[180:181], v[86:87]
	v_mul_f64 v[194:195], v[238:239], v[194:195]
	v_fmac_f64_e32 v[198:199], v[182:183], v[84:85]
	v_fma_f64 v[252:253], v[236:237], v[192:193], -v[194:195]
	ds_read_b128 v[192:195], v2 offset:1632
	ds_read_b128 v[200:203], v2 offset:1648
	v_add_f64 v[196:197], v[196:197], v[198:199]
	s_waitcnt vmcnt(2) lgkmcnt(3)
	v_mul_f64 v[198:199], v[184:185], v[98:99]
	v_fmac_f64_e32 v[198:199], v[186:187], v[96:97]
	v_add_f64 v[196:197], v[196:197], v[198:199]
	s_waitcnt vmcnt(1) lgkmcnt(2)
	v_mul_f64 v[198:199], v[188:189], v[94:95]
	v_fmac_f64_e32 v[198:199], v[190:191], v[92:93]
	v_add_f64 v[196:197], v[196:197], v[198:199]
	scratch_load_dwordx4 v[232:235], off, off offset:864
	s_waitcnt vmcnt(1) lgkmcnt(1)
	v_mul_f64 v[198:199], v[192:193], v[102:103]
	v_fmac_f64_e32 v[198:199], v[194:195], v[100:101]
	v_add_f64 v[204:205], v[196:197], v[198:199]
	scratch_load_dwordx4 v[196:199], off, off offset:800
	ds_read_b128 v[208:211], v2 offset:1664
	ds_read_b128 v[216:219], v2 offset:1680
	;; [unrolled: 1-line block ×3, first 2 shown]
	s_waitcnt vmcnt(0) lgkmcnt(3)
	v_mul_f64 v[206:207], v[200:201], v[198:199]
	v_fmac_f64_e32 v[206:207], v[202:203], v[196:197]
	v_add_f64 v[212:213], v[204:205], v[206:207]
	scratch_load_dwordx4 v[204:207], off, off offset:816
	s_waitcnt vmcnt(0) lgkmcnt(2)
	v_mul_f64 v[214:215], v[208:209], v[206:207]
	v_fmac_f64_e32 v[214:215], v[210:211], v[204:205]
	v_add_f64 v[220:221], v[212:213], v[214:215]
	scratch_load_dwordx4 v[212:215], off, off offset:832
	;; [unrolled: 5-line block ×3, first 2 shown]
	s_waitcnt vmcnt(0) lgkmcnt(0)
	v_mul_f64 v[230:231], v[224:225], v[222:223]
	v_fmac_f64_e32 v[230:231], v[226:227], v[220:221]
	v_add_f64 v[236:237], v[228:229], v[230:231]
	ds_read_b128 v[228:231], v2 offset:1712
	s_waitcnt lgkmcnt(0)
	v_mul_f64 v[2:3], v[228:229], v[234:235]
	v_fmac_f64_e32 v[2:3], v[230:231], v[232:233]
	v_add_f64 v[2:3], v[236:237], v[2:3]
	v_add_f64 v[236:237], v[240:241], 0
	;; [unrolled: 1-line block ×9, first 2 shown]
	scratch_load_dwordx4 v[236:239], off, off offset:64
	v_add_f64 v[20:21], v[24:25], v[20:21]
	v_add_f64 v[16:17], v[20:21], v[16:17]
	;; [unrolled: 1-line block ×10, first 2 shown]
	v_accvgpr_read_b32 v6, a110
	v_accvgpr_read_b32 v8, a112
	;; [unrolled: 1-line block ×3, first 2 shown]
	v_add_f64 v[254:255], v[4:5], v[26:27]
	v_accvgpr_read_b32 v7, a111
	v_mul_f64 v[4:5], v[90:91], v[8:9]
	v_add_f64 v[0:1], v[254:255], v[0:1]
	v_fma_f64 v[4:5], v[88:89], v[6:7], -v[4:5]
	v_accvgpr_read_b32 v6, a114
	v_add_f64 v[0:1], v[0:1], v[252:253]
	v_accvgpr_read_b32 v8, a116
	v_accvgpr_read_b32 v9, a117
	v_add_f64 v[0:1], v[0:1], v[4:5]
	v_accvgpr_read_b32 v7, a115
	v_mul_f64 v[4:5], v[106:107], v[8:9]
	v_fma_f64 v[4:5], v[104:105], v[6:7], -v[4:5]
	v_accvgpr_read_b32 v6, a118
	v_accvgpr_read_b32 v8, a120
	v_accvgpr_read_b32 v9, a121
	v_add_f64 v[0:1], v[0:1], v[4:5]
	v_accvgpr_read_b32 v7, a119
	v_mul_f64 v[4:5], v[110:111], v[8:9]
	v_fma_f64 v[4:5], v[108:109], v[6:7], -v[4:5]
	v_accvgpr_read_b32 v6, a122
	;; [unrolled: 7-line block ×4, first 2 shown]
	v_accvgpr_read_b32 v8, a132
	v_accvgpr_read_b32 v9, a133
	v_add_f64 v[0:1], v[0:1], v[4:5]
	v_accvgpr_read_b32 v7, a131
	v_mul_f64 v[4:5], v[122:123], v[8:9]
	v_fma_f64 v[4:5], v[120:121], v[6:7], -v[4:5]
	v_add_f64 v[0:1], v[0:1], v[4:5]
	v_mul_f64 v[4:5], v[126:127], v[30:31]
	v_fma_f64 v[4:5], v[124:125], v[28:29], -v[4:5]
	v_add_f64 v[0:1], v[0:1], v[4:5]
	;; [unrolled: 3-line block ×24, first 2 shown]
	s_waitcnt vmcnt(0)
	v_add_f64 v[4:5], v[236:237], -v[0:1]
	v_accvgpr_read_b32 v0, a108
	v_add_f64 v[6:7], v[238:239], -v[2:3]
	v_cmp_lt_u32_e32 vcc, 2, v0
	scratch_store_dwordx4 off, v[4:7], off offset:64
	s_and_saveexec_b64 s[0:1], vcc
	s_cbranch_execz .LBB117_333
; %bb.332:
	scratch_load_dwordx4 v[2:5], off, s68
	v_mov_b32_e32 v6, 0
	v_mov_b32_e32 v7, v6
	;; [unrolled: 1-line block ×4, first 2 shown]
	v_accvgpr_read_b32 v0, a109
	scratch_store_dwordx4 off, v[6:9], off offset:48
	s_waitcnt vmcnt(1)
	ds_write_b128 v0, v[2:5]
.LBB117_333:
	s_or_b64 exec, exec, s[0:1]
	s_waitcnt lgkmcnt(0)
	; wave barrier
	scratch_load_dwordx4 v[48:51], off, off offset:64
	scratch_load_dwordx4 v[52:55], off, off offset:80
	scratch_load_dwordx4 v[56:59], off, off offset:96
	scratch_load_dwordx4 v[60:63], off, off offset:112
	scratch_load_dwordx4 v[64:67], off, off offset:128
	scratch_load_dwordx4 v[68:71], off, off offset:144
	scratch_load_dwordx4 v[72:75], off, off offset:160
	scratch_load_dwordx4 v[76:79], off, off offset:176
	scratch_load_dwordx4 v[80:83], off, off offset:192
	scratch_load_dwordx4 v[84:87], off, off offset:208
	scratch_load_dwordx4 v[92:95], off, off offset:224
	scratch_load_dwordx4 v[100:103], off, off offset:240
	scratch_load_dwordx4 v[108:111], off, off offset:256
	scratch_load_dwordx4 v[136:139], off, off offset:272
	scratch_load_dwordx4 v[140:143], off, off offset:288
	scratch_load_dwordx4 v[144:147], off, off offset:304
	scratch_load_dwordx4 v[152:155], off, off offset:320
	scratch_load_dwordx4 v[156:159], off, off offset:336
	scratch_load_dwordx4 v[164:167], off, off offset:352
	scratch_load_dwordx4 v[168:171], off, off offset:368
	scratch_load_dwordx4 v[176:179], off, off offset:384
	scratch_load_dwordx4 v[180:183], off, off offset:400
	scratch_load_dwordx4 v[188:191], off, off offset:416
	scratch_load_dwordx4 v[4:7], off, off offset:432
	scratch_load_dwordx4 v[8:11], off, off offset:448
	scratch_load_dwordx4 v[12:15], off, off offset:464
	scratch_load_dwordx4 v[16:19], off, off offset:480
	scratch_load_dwordx4 v[20:23], off, off offset:496
	v_mov_b32_e32 v2, 0
	ds_read_b128 v[104:107], v2 offset:912
	ds_read_b128 v[112:115], v2 offset:928
	;; [unrolled: 1-line block ×18, first 2 shown]
	scratch_load_dwordx4 a[110:113], off, off offset:512
	scratch_load_dwordx4 v[234:237], off, off offset:528
	ds_read_b128 v[220:223], v2 offset:1200
	ds_read_b128 v[224:227], v2 offset:1216
	;; [unrolled: 1-line block ×5, first 2 shown]
	s_waitcnt vmcnt(29) lgkmcnt(14)
	v_mul_f64 v[0:1], v[104:105], v[50:51]
	s_waitcnt vmcnt(28)
	v_mul_f64 v[24:25], v[112:113], v[54:55]
	v_fmac_f64_e32 v[0:1], v[106:107], v[48:49]
	s_waitcnt vmcnt(27)
	v_mul_f64 v[26:27], v[116:117], v[58:59]
	v_fmac_f64_e32 v[24:25], v[114:115], v[52:53]
	v_add_f64 v[0:1], v[0:1], 0
	s_waitcnt vmcnt(26)
	v_mul_f64 v[28:29], v[120:121], v[62:63]
	v_fmac_f64_e32 v[26:27], v[118:119], v[56:57]
	v_add_f64 v[0:1], v[0:1], v[24:25]
	;; [unrolled: 4-line block ×7, first 2 shown]
	s_waitcnt vmcnt(20) lgkmcnt(13)
	v_mul_f64 v[40:41], v[172:173], v[86:87]
	v_fmac_f64_e32 v[38:39], v[162:163], v[80:81]
	v_add_f64 v[0:1], v[0:1], v[36:37]
	s_waitcnt vmcnt(19) lgkmcnt(12)
	v_mul_f64 v[42:43], v[184:185], v[94:95]
	v_fmac_f64_e32 v[40:41], v[174:175], v[84:85]
	v_add_f64 v[0:1], v[0:1], v[38:39]
	;; [unrolled: 4-line block ×8, first 2 shown]
	v_add_f64 v[0:1], v[0:1], v[96:97]
	v_fmac_f64_e32 v[98:99], v[214:215], v[152:153]
	s_waitcnt vmcnt(12) lgkmcnt(5)
	v_mul_f64 v[32:33], v[216:217], v[158:159]
	v_add_f64 v[0:1], v[0:1], v[98:99]
	v_fmac_f64_e32 v[32:33], v[218:219], v[156:157]
	v_add_f64 v[0:1], v[0:1], v[32:33]
	s_waitcnt vmcnt(11) lgkmcnt(4)
	v_mul_f64 v[32:33], v[220:221], v[166:167]
	v_fmac_f64_e32 v[32:33], v[222:223], v[164:165]
	v_add_f64 v[0:1], v[0:1], v[32:33]
	scratch_load_dwordx4 v[32:35], off, off offset:544
	s_waitcnt vmcnt(11) lgkmcnt(3)
	v_mul_f64 v[36:37], v[224:225], v[170:171]
	v_fmac_f64_e32 v[36:37], v[226:227], v[168:169]
	v_add_f64 v[0:1], v[0:1], v[36:37]
	s_waitcnt vmcnt(10) lgkmcnt(2)
	v_mul_f64 v[36:37], v[228:229], v[178:179]
	v_fmac_f64_e32 v[36:37], v[230:231], v[176:177]
	v_add_f64 v[0:1], v[0:1], v[36:37]
	scratch_load_dwordx4 v[36:39], off, off offset:560
	s_waitcnt vmcnt(10) lgkmcnt(1)
	v_mul_f64 v[40:41], v[242:243], v[182:183]
	v_fmac_f64_e32 v[40:41], v[244:245], v[180:181]
	v_add_f64 v[0:1], v[0:1], v[40:41]
	scratch_load_dwordx4 v[40:43], off, off offset:576
	ds_read_b128 v[88:91], v2 offset:1280
	s_waitcnt vmcnt(10) lgkmcnt(1)
	v_mul_f64 v[44:45], v[250:251], v[190:191]
	v_fmac_f64_e32 v[44:45], v[252:253], v[188:189]
	v_add_f64 v[0:1], v[0:1], v[44:45]
	scratch_load_dwordx4 v[44:47], off, off offset:592
	v_mul_f64 v[50:51], v[106:107], v[50:51]
	v_fma_f64 v[240:241], v[104:105], v[48:49], -v[50:51]
	scratch_load_dwordx4 v[48:51], off, off offset:608
	v_mul_f64 v[54:55], v[114:115], v[54:55]
	v_fma_f64 v[246:247], v[112:113], v[52:53], -v[54:55]
	scratch_load_dwordx4 v[52:55], off, off offset:624
	s_waitcnt vmcnt(12) lgkmcnt(0)
	v_mul_f64 v[96:97], v[88:89], v[6:7]
	v_fmac_f64_e32 v[96:97], v[90:91], v[4:5]
	v_mul_f64 v[58:59], v[118:119], v[58:59]
	v_add_f64 v[0:1], v[0:1], v[96:97]
	ds_read_b128 v[96:99], v2 offset:1296
	ds_read_b128 v[104:107], v2 offset:1312
	v_fma_f64 v[248:249], v[116:117], v[56:57], -v[58:59]
	scratch_load_dwordx4 v[56:59], off, off offset:640
	v_mul_f64 v[62:63], v[122:123], v[62:63]
	v_accvgpr_write_b32 a117, v7
	v_fma_f64 v[254:255], v[120:121], v[60:61], -v[62:63]
	scratch_load_dwordx4 v[60:63], off, off offset:656
	v_accvgpr_write_b32 a116, v6
	v_accvgpr_write_b32 a115, v5
	;; [unrolled: 1-line block ×3, first 2 shown]
	s_waitcnt vmcnt(13)
	v_mov_b64_e32 v[4:5], v[8:9]
	v_mov_b64_e32 v[6:7], v[10:11]
	v_mul_f64 v[66:67], v[126:127], v[66:67]
	s_waitcnt lgkmcnt(1)
	v_mul_f64 v[112:113], v[96:97], v[6:7]
	v_fma_f64 v[232:233], v[124:125], v[64:65], -v[66:67]
	scratch_load_dwordx4 v[64:67], off, off offset:672
	v_fmac_f64_e32 v[112:113], v[98:99], v[4:5]
	s_waitcnt vmcnt(13)
	v_mov_b64_e32 v[4:5], v[12:13]
	v_mov_b64_e32 v[6:7], v[14:15]
	v_add_f64 v[0:1], v[0:1], v[112:113]
	s_waitcnt lgkmcnt(0)
	v_mul_f64 v[112:113], v[104:105], v[6:7]
	v_fmac_f64_e32 v[112:113], v[106:107], v[4:5]
	v_add_f64 v[0:1], v[0:1], v[112:113]
	ds_read_b128 v[112:115], v2 offset:1328
	ds_read_b128 v[116:119], v2 offset:1344
	v_mul_f64 v[70:71], v[130:131], v[70:71]
	v_fma_f64 v[238:239], v[128:129], v[68:69], -v[70:71]
	scratch_load_dwordx4 v[68:71], off, off offset:688
	v_mul_f64 v[74:75], v[134:135], v[74:75]
	v_accvgpr_write_b32 a121, v11
	s_waitcnt vmcnt(13)
	v_mov_b64_e32 v[4:5], v[16:17]
	v_fma_f64 v[28:29], v[132:133], v[72:73], -v[74:75]
	scratch_load_dwordx4 v[72:75], off, off offset:704
	v_accvgpr_write_b32 a120, v10
	v_accvgpr_write_b32 a119, v9
	;; [unrolled: 1-line block ×3, first 2 shown]
	v_mov_b64_e32 v[6:7], v[18:19]
	s_waitcnt vmcnt(13)
	v_mov_b64_e32 v[8:9], v[20:21]
	s_waitcnt lgkmcnt(1)
	v_mul_f64 v[120:121], v[112:113], v[6:7]
	v_mov_b64_e32 v[10:11], v[22:23]
	v_fmac_f64_e32 v[120:121], v[114:115], v[4:5]
	s_waitcnt lgkmcnt(0)
	v_mul_f64 v[6:7], v[116:117], v[10:11]
	v_add_f64 v[0:1], v[0:1], v[120:121]
	v_fmac_f64_e32 v[6:7], v[118:119], v[8:9]
	v_add_f64 v[0:1], v[0:1], v[6:7]
	v_mul_f64 v[6:7], v[150:151], v[78:79]
	v_accvgpr_write_b32 a133, v23
	v_fma_f64 v[24:25], v[148:149], v[76:77], -v[6:7]
	scratch_load_dwordx4 v[76:79], off, off offset:720
	v_mul_f64 v[6:7], v[162:163], v[82:83]
	ds_read_b128 v[124:127], v2 offset:1360
	ds_read_b128 v[120:123], v2 offset:1376
	v_accvgpr_write_b32 a129, v19
	v_accvgpr_write_b32 a132, v22
	;; [unrolled: 1-line block ×4, first 2 shown]
	v_fma_f64 v[20:21], v[160:161], v[80:81], -v[6:7]
	v_mul_f64 v[6:7], v[174:175], v[86:87]
	v_accvgpr_write_b32 a128, v18
	v_accvgpr_write_b32 a127, v17
	;; [unrolled: 1-line block ×3, first 2 shown]
	v_fma_f64 v[16:17], v[172:173], v[84:85], -v[6:7]
	scratch_load_dwordx4 v[84:87], off, off offset:736
	scratch_load_dwordx4 v[80:83], off, off offset:752
	s_waitcnt vmcnt(15)
	v_accvgpr_read_b32 v8, a110
	v_accvgpr_read_b32 v10, a112
	v_accvgpr_read_b32 v11, a113
	v_accvgpr_read_b32 v9, a111
	s_waitcnt lgkmcnt(1)
	v_mul_f64 v[6:7], v[124:125], v[10:11]
	v_fmac_f64_e32 v[6:7], v[126:127], v[8:9]
	v_add_f64 v[0:1], v[0:1], v[6:7]
	s_waitcnt vmcnt(14) lgkmcnt(0)
	v_mul_f64 v[6:7], v[120:121], v[236:237]
	v_fmac_f64_e32 v[6:7], v[122:123], v[234:235]
	v_accvgpr_write_b32 a125, v15
	v_add_f64 v[0:1], v[0:1], v[6:7]
	v_mul_f64 v[6:7], v[186:187], v[94:95]
	v_accvgpr_write_b32 a124, v14
	v_accvgpr_write_b32 a123, v13
	;; [unrolled: 1-line block ×3, first 2 shown]
	v_fma_f64 v[14:15], v[184:185], v[92:93], -v[6:7]
	scratch_load_dwordx4 v[92:95], off, off offset:768
	v_mul_f64 v[6:7], v[194:195], v[102:103]
	v_fma_f64 v[12:13], v[192:193], v[100:101], -v[6:7]
	scratch_load_dwordx4 v[100:103], off, off offset:784
	v_mul_f64 v[6:7], v[198:199], v[110:111]
	v_fma_f64 v[18:19], v[196:197], v[108:109], -v[6:7]
	scratch_load_dwordx4 v[108:111], off, off offset:800
	ds_read_b128 v[128:131], v2 offset:1392
	ds_read_b128 v[132:135], v2 offset:1408
	;; [unrolled: 1-line block ×4, first 2 shown]
	v_mul_f64 v[182:183], v[244:245], v[182:183]
	s_waitcnt vmcnt(16) lgkmcnt(3)
	v_mul_f64 v[6:7], v[128:129], v[34:35]
	v_fmac_f64_e32 v[6:7], v[130:131], v[32:33]
	v_add_f64 v[0:1], v[0:1], v[6:7]
	v_mul_f64 v[6:7], v[202:203], v[138:139]
	v_fma_f64 v[10:11], v[200:201], v[136:137], -v[6:7]
	ds_read_b128 v[136:139], v2 offset:1424
	s_waitcnt vmcnt(15) lgkmcnt(3)
	v_mul_f64 v[6:7], v[132:133], v[38:39]
	v_fmac_f64_e32 v[6:7], v[134:135], v[36:37]
	v_add_f64 v[0:1], v[0:1], v[6:7]
	v_mul_f64 v[6:7], v[206:207], v[142:143]
	v_fma_f64 v[22:23], v[204:205], v[140:141], -v[6:7]
	ds_read_b128 v[140:143], v2 offset:1440
	;; [unrolled: 7-line block ×3, first 2 shown]
	s_waitcnt vmcnt(13) lgkmcnt(1)
	v_mul_f64 v[6:7], v[140:141], v[46:47]
	v_fmac_f64_e32 v[6:7], v[142:143], v[44:45]
	v_add_f64 v[0:1], v[0:1], v[6:7]
	v_fma_f64 v[242:243], v[242:243], v[180:181], -v[182:183]
	s_waitcnt vmcnt(12) lgkmcnt(0)
	v_mul_f64 v[6:7], v[144:145], v[50:51]
	v_fmac_f64_e32 v[6:7], v[146:147], v[48:49]
	v_add_f64 v[0:1], v[0:1], v[6:7]
	v_mul_f64 v[6:7], v[214:215], v[154:155]
	v_fma_f64 v[26:27], v[212:213], v[152:153], -v[6:7]
	s_waitcnt vmcnt(11)
	v_mul_f64 v[6:7], v[148:149], v[54:55]
	v_fmac_f64_e32 v[6:7], v[150:151], v[52:53]
	ds_read_b128 v[152:155], v2 offset:1488
	v_add_f64 v[0:1], v[0:1], v[6:7]
	v_mul_f64 v[6:7], v[218:219], v[158:159]
	v_fma_f64 v[4:5], v[216:217], v[156:157], -v[6:7]
	ds_read_b128 v[156:159], v2 offset:1504
	s_waitcnt vmcnt(10) lgkmcnt(1)
	v_mul_f64 v[6:7], v[152:153], v[58:59]
	v_fmac_f64_e32 v[6:7], v[154:155], v[56:57]
	v_add_f64 v[0:1], v[0:1], v[6:7]
	ds_read_b128 v[180:183], v2 offset:1600
	s_waitcnt vmcnt(9) lgkmcnt(1)
	v_mul_f64 v[6:7], v[156:157], v[62:63]
	v_fmac_f64_e32 v[6:7], v[158:159], v[60:61]
	v_add_f64 v[0:1], v[0:1], v[6:7]
	v_mul_f64 v[6:7], v[222:223], v[166:167]
	v_fma_f64 v[30:31], v[220:221], v[164:165], -v[6:7]
	ds_read_b128 v[164:167], v2 offset:1536
	s_waitcnt vmcnt(8)
	v_mul_f64 v[6:7], v[160:161], v[66:67]
	v_fmac_f64_e32 v[6:7], v[162:163], v[64:65]
	v_add_f64 v[0:1], v[0:1], v[6:7]
	v_mul_f64 v[6:7], v[226:227], v[170:171]
	v_fma_f64 v[6:7], v[224:225], v[168:169], -v[6:7]
	ds_read_b128 v[168:171], v2 offset:1552
	s_waitcnt vmcnt(7) lgkmcnt(1)
	v_mul_f64 v[172:173], v[164:165], v[70:71]
	v_fmac_f64_e32 v[172:173], v[166:167], v[68:69]
	v_add_f64 v[0:1], v[0:1], v[172:173]
	ds_read_b128 v[172:175], v2 offset:1568
	s_waitcnt vmcnt(6) lgkmcnt(1)
	v_mul_f64 v[184:185], v[168:169], v[74:75]
	v_fmac_f64_e32 v[184:185], v[170:171], v[72:73]
	v_add_f64 v[184:185], v[0:1], v[184:185]
	v_mul_f64 v[0:1], v[230:231], v[178:179]
	v_fma_f64 v[0:1], v[228:229], v[176:177], -v[0:1]
	ds_read_b128 v[176:179], v2 offset:1584
	s_waitcnt vmcnt(5) lgkmcnt(1)
	v_mul_f64 v[186:187], v[172:173], v[78:79]
	v_fmac_f64_e32 v[186:187], v[174:175], v[76:77]
	v_add_f64 v[184:185], v[184:185], v[186:187]
	v_mul_f64 v[190:191], v[252:253], v[190:191]
	s_waitcnt vmcnt(4) lgkmcnt(0)
	v_mul_f64 v[186:187], v[176:177], v[86:87]
	v_fmac_f64_e32 v[186:187], v[178:179], v[84:85]
	v_add_f64 v[192:193], v[184:185], v[186:187]
	ds_read_b128 v[184:187], v2 offset:1616
	v_fma_f64 v[250:251], v[250:251], v[188:189], -v[190:191]
	ds_read_b128 v[188:191], v2 offset:1632
	s_waitcnt vmcnt(3)
	v_mul_f64 v[194:195], v[180:181], v[82:83]
	v_fmac_f64_e32 v[194:195], v[182:183], v[80:81]
	v_add_f64 v[192:193], v[192:193], v[194:195]
	s_waitcnt vmcnt(2) lgkmcnt(1)
	v_mul_f64 v[194:195], v[184:185], v[94:95]
	v_fmac_f64_e32 v[194:195], v[186:187], v[92:93]
	v_add_f64 v[192:193], v[192:193], v[194:195]
	s_waitcnt vmcnt(1) lgkmcnt(0)
	v_mul_f64 v[194:195], v[188:189], v[102:103]
	v_fmac_f64_e32 v[194:195], v[190:191], v[100:101]
	v_add_f64 v[196:197], v[192:193], v[194:195]
	ds_read_b128 v[192:195], v2 offset:1648
	ds_read_b128 v[200:203], v2 offset:1664
	;; [unrolled: 1-line block ×5, first 2 shown]
	s_waitcnt vmcnt(0) lgkmcnt(4)
	v_mul_f64 v[198:199], v[192:193], v[110:111]
	v_fmac_f64_e32 v[198:199], v[194:195], v[108:109]
	v_add_f64 v[204:205], v[196:197], v[198:199]
	scratch_load_dwordx4 v[196:199], off, off offset:816
	s_waitcnt vmcnt(0) lgkmcnt(3)
	v_mul_f64 v[206:207], v[200:201], v[198:199]
	v_fmac_f64_e32 v[206:207], v[202:203], v[196:197]
	v_add_f64 v[212:213], v[204:205], v[206:207]
	scratch_load_dwordx4 v[204:207], off, off offset:832
	;; [unrolled: 5-line block ×4, first 2 shown]
	s_waitcnt vmcnt(0) lgkmcnt(0)
	v_mul_f64 v[230:231], v[224:225], v[222:223]
	v_fmac_f64_e32 v[230:231], v[226:227], v[220:221]
	v_add_f64 v[244:245], v[228:229], v[230:231]
	v_add_f64 v[228:229], v[240:241], 0
	;; [unrolled: 1-line block ×8, first 2 shown]
	scratch_load_dwordx4 v[228:231], off, off offset:48
	v_add_f64 v[24:25], v[28:29], v[24:25]
	v_add_f64 v[20:21], v[24:25], v[20:21]
	;; [unrolled: 1-line block ×13, first 2 shown]
	v_accvgpr_read_b32 v6, a114
	v_accvgpr_read_b32 v8, a116
	;; [unrolled: 1-line block ×3, first 2 shown]
	v_add_f64 v[0:1], v[4:5], v[0:1]
	v_accvgpr_read_b32 v7, a115
	v_mul_f64 v[4:5], v[90:91], v[8:9]
	v_add_f64 v[0:1], v[0:1], v[242:243]
	v_fma_f64 v[4:5], v[88:89], v[6:7], -v[4:5]
	v_accvgpr_read_b32 v6, a118
	v_add_f64 v[0:1], v[0:1], v[250:251]
	v_accvgpr_read_b32 v8, a120
	v_accvgpr_read_b32 v9, a121
	v_add_f64 v[0:1], v[0:1], v[4:5]
	v_accvgpr_read_b32 v7, a119
	v_mul_f64 v[4:5], v[98:99], v[8:9]
	v_fma_f64 v[4:5], v[96:97], v[6:7], -v[4:5]
	v_accvgpr_read_b32 v6, a122
	v_accvgpr_read_b32 v8, a124
	v_accvgpr_read_b32 v9, a125
	v_add_f64 v[0:1], v[0:1], v[4:5]
	v_accvgpr_read_b32 v7, a123
	v_mul_f64 v[4:5], v[106:107], v[8:9]
	v_fma_f64 v[4:5], v[104:105], v[6:7], -v[4:5]
	v_accvgpr_read_b32 v6, a126
	;; [unrolled: 7-line block ×4, first 2 shown]
	v_accvgpr_read_b32 v8, a112
	v_accvgpr_read_b32 v9, a113
	v_add_f64 v[0:1], v[0:1], v[4:5]
	v_accvgpr_read_b32 v7, a111
	v_mul_f64 v[4:5], v[126:127], v[8:9]
	v_fma_f64 v[4:5], v[124:125], v[6:7], -v[4:5]
	v_add_f64 v[0:1], v[0:1], v[4:5]
	v_mul_f64 v[4:5], v[122:123], v[236:237]
	v_fma_f64 v[4:5], v[120:121], v[234:235], -v[4:5]
	v_add_f64 v[0:1], v[0:1], v[4:5]
	v_mul_f64 v[4:5], v[130:131], v[34:35]
	v_fma_f64 v[4:5], v[128:129], v[32:33], -v[4:5]
	v_add_f64 v[0:1], v[0:1], v[4:5]
	v_mul_f64 v[4:5], v[134:135], v[38:39]
	v_fma_f64 v[4:5], v[132:133], v[36:37], -v[4:5]
	v_add_f64 v[0:1], v[0:1], v[4:5]
	v_mul_f64 v[4:5], v[138:139], v[42:43]
	v_fma_f64 v[4:5], v[136:137], v[40:41], -v[4:5]
	v_add_f64 v[0:1], v[0:1], v[4:5]
	v_mul_f64 v[4:5], v[142:143], v[46:47]
	v_fma_f64 v[4:5], v[140:141], v[44:45], -v[4:5]
	v_add_f64 v[0:1], v[0:1], v[4:5]
	v_mul_f64 v[4:5], v[146:147], v[50:51]
	v_fma_f64 v[4:5], v[144:145], v[48:49], -v[4:5]
	v_add_f64 v[0:1], v[0:1], v[4:5]
	v_mul_f64 v[4:5], v[150:151], v[54:55]
	v_fma_f64 v[4:5], v[148:149], v[52:53], -v[4:5]
	v_add_f64 v[0:1], v[0:1], v[4:5]
	v_mul_f64 v[4:5], v[154:155], v[58:59]
	v_fma_f64 v[4:5], v[152:153], v[56:57], -v[4:5]
	v_add_f64 v[0:1], v[0:1], v[4:5]
	v_mul_f64 v[4:5], v[158:159], v[62:63]
	v_fma_f64 v[4:5], v[156:157], v[60:61], -v[4:5]
	v_add_f64 v[0:1], v[0:1], v[4:5]
	v_mul_f64 v[4:5], v[162:163], v[66:67]
	v_fma_f64 v[4:5], v[160:161], v[64:65], -v[4:5]
	v_add_f64 v[0:1], v[0:1], v[4:5]
	v_mul_f64 v[4:5], v[166:167], v[70:71]
	v_fma_f64 v[4:5], v[164:165], v[68:69], -v[4:5]
	v_add_f64 v[0:1], v[0:1], v[4:5]
	v_mul_f64 v[4:5], v[170:171], v[74:75]
	v_fma_f64 v[4:5], v[168:169], v[72:73], -v[4:5]
	v_add_f64 v[0:1], v[0:1], v[4:5]
	v_mul_f64 v[4:5], v[174:175], v[78:79]
	v_fma_f64 v[4:5], v[172:173], v[76:77], -v[4:5]
	v_add_f64 v[0:1], v[0:1], v[4:5]
	v_mul_f64 v[4:5], v[178:179], v[86:87]
	v_fma_f64 v[4:5], v[176:177], v[84:85], -v[4:5]
	v_add_f64 v[0:1], v[0:1], v[4:5]
	v_mul_f64 v[4:5], v[182:183], v[82:83]
	v_fma_f64 v[4:5], v[180:181], v[80:81], -v[4:5]
	v_add_f64 v[0:1], v[0:1], v[4:5]
	v_mul_f64 v[4:5], v[186:187], v[94:95]
	v_fma_f64 v[4:5], v[184:185], v[92:93], -v[4:5]
	v_add_f64 v[0:1], v[0:1], v[4:5]
	v_mul_f64 v[4:5], v[190:191], v[102:103]
	v_fma_f64 v[4:5], v[188:189], v[100:101], -v[4:5]
	v_add_f64 v[0:1], v[0:1], v[4:5]
	v_mul_f64 v[4:5], v[194:195], v[110:111]
	v_fma_f64 v[4:5], v[192:193], v[108:109], -v[4:5]
	v_add_f64 v[0:1], v[0:1], v[4:5]
	v_mul_f64 v[4:5], v[202:203], v[198:199]
	v_fma_f64 v[4:5], v[200:201], v[196:197], -v[4:5]
	v_add_f64 v[0:1], v[0:1], v[4:5]
	v_mul_f64 v[4:5], v[210:211], v[206:207]
	v_fma_f64 v[4:5], v[208:209], v[204:205], -v[4:5]
	v_add_f64 v[0:1], v[0:1], v[4:5]
	v_mul_f64 v[4:5], v[218:219], v[214:215]
	v_fma_f64 v[4:5], v[216:217], v[212:213], -v[4:5]
	v_add_f64 v[0:1], v[0:1], v[4:5]
	v_mul_f64 v[4:5], v[226:227], v[222:223]
	v_fma_f64 v[4:5], v[224:225], v[220:221], -v[4:5]
	v_add_f64 v[0:1], v[0:1], v[4:5]
	s_waitcnt vmcnt(0)
	v_add_f64 v[4:5], v[228:229], -v[0:1]
	v_accvgpr_read_b32 v0, a108
	v_add_f64 v[6:7], v[230:231], -v[244:245]
	v_cmp_lt_u32_e32 vcc, 1, v0
	scratch_store_dwordx4 off, v[4:7], off offset:48
	s_and_saveexec_b64 s[0:1], vcc
	s_cbranch_execz .LBB117_335
; %bb.334:
	scratch_load_dwordx4 v[6:9], off, s69
	v_mov_b32_e32 v3, v2
	v_mov_b32_e32 v4, v2
	;; [unrolled: 1-line block ×3, first 2 shown]
	v_accvgpr_read_b32 v0, a109
	scratch_store_dwordx4 off, v[2:5], off offset:32
	s_waitcnt vmcnt(1)
	ds_write_b128 v0, v[6:9]
.LBB117_335:
	s_or_b64 exec, exec, s[0:1]
	s_waitcnt lgkmcnt(0)
	; wave barrier
	scratch_load_dwordx4 v[48:51], off, off offset:48
	scratch_load_dwordx4 v[52:55], off, off offset:64
	;; [unrolled: 1-line block ×18, first 2 shown]
	ds_read_b128 v[104:107], v2 offset:896
	ds_read_b128 v[208:211], v2 offset:912
	;; [unrolled: 1-line block ×6, first 2 shown]
	scratch_load_dwordx4 v[164:167], off, off offset:336
	ds_read_b128 v[192:195], v2 offset:992
	ds_read_b128 v[124:127], v2 offset:1008
	scratch_load_dwordx4 v[168:171], off, off offset:352
	ds_read_b128 v[212:215], v2 offset:1024
	ds_read_b128 v[204:207], v2 offset:1040
	;; [unrolled: 1-line block ×5, first 2 shown]
	scratch_load_dwordx4 v[176:179], off, off offset:368
	ds_read_b128 v[200:203], v2 offset:1104
	ds_read_b128 v[172:175], v2 offset:1120
	scratch_load_dwordx4 v[180:183], off, off offset:384
	ds_read_b128 v[216:219], v2 offset:1136
	ds_read_b128 v[184:187], v2 offset:1152
	;; [unrolled: 1-line block ×3, first 2 shown]
	scratch_load_dwordx4 v[188:191], off, off offset:400
	scratch_load_dwordx4 v[4:7], off, off offset:416
	scratch_load_dwordx4 v[8:11], off, off offset:432
	scratch_load_dwordx4 v[12:15], off, off offset:448
	scratch_load_dwordx4 v[16:19], off, off offset:464
	scratch_load_dwordx4 v[20:23], off, off offset:480
	scratch_load_dwordx4 a[110:113], off, off offset:496
	scratch_load_dwordx4 a[114:117], off, off offset:512
	ds_read_b128 v[220:223], v2 offset:1184
	ds_read_b128 v[224:227], v2 offset:1200
	;; [unrolled: 1-line block ×5, first 2 shown]
	s_waitcnt vmcnt(29) lgkmcnt(14)
	v_mul_f64 v[0:1], v[104:105], v[50:51]
	s_waitcnt vmcnt(28)
	v_mul_f64 v[24:25], v[208:209], v[54:55]
	v_fmac_f64_e32 v[0:1], v[106:107], v[48:49]
	s_waitcnt vmcnt(27)
	v_mul_f64 v[26:27], v[196:197], v[58:59]
	v_fmac_f64_e32 v[24:25], v[210:211], v[52:53]
	v_add_f64 v[0:1], v[0:1], 0
	s_waitcnt vmcnt(26)
	v_mul_f64 v[28:29], v[112:113], v[62:63]
	v_fmac_f64_e32 v[26:27], v[198:199], v[56:57]
	v_add_f64 v[0:1], v[0:1], v[24:25]
	;; [unrolled: 4-line block ×7, first 2 shown]
	s_waitcnt vmcnt(20) lgkmcnt(13)
	v_mul_f64 v[40:41], v[204:205], v[86:87]
	v_fmac_f64_e32 v[38:39], v[214:215], v[80:81]
	v_add_f64 v[0:1], v[0:1], v[36:37]
	s_waitcnt vmcnt(19) lgkmcnt(12)
	v_mul_f64 v[42:43], v[128:129], v[94:95]
	v_fmac_f64_e32 v[40:41], v[206:207], v[84:85]
	v_add_f64 v[0:1], v[0:1], v[38:39]
	;; [unrolled: 4-line block ×8, first 2 shown]
	v_fmac_f64_e32 v[98:99], v[186:187], v[152:153]
	v_add_f64 v[0:1], v[0:1], v[96:97]
	s_waitcnt vmcnt(12) lgkmcnt(5)
	v_mul_f64 v[32:33], v[160:161], v[158:159]
	v_add_f64 v[0:1], v[0:1], v[98:99]
	v_fmac_f64_e32 v[32:33], v[162:163], v[156:157]
	v_add_f64 v[0:1], v[0:1], v[32:33]
	s_waitcnt vmcnt(11) lgkmcnt(4)
	v_mul_f64 v[32:33], v[220:221], v[166:167]
	v_fmac_f64_e32 v[32:33], v[222:223], v[164:165]
	v_add_f64 v[0:1], v[0:1], v[32:33]
	scratch_load_dwordx4 v[32:35], off, off offset:528
	s_waitcnt vmcnt(11) lgkmcnt(3)
	v_mul_f64 v[36:37], v[224:225], v[170:171]
	v_fmac_f64_e32 v[36:37], v[226:227], v[168:169]
	v_add_f64 v[0:1], v[0:1], v[36:37]
	s_waitcnt vmcnt(10) lgkmcnt(2)
	v_mul_f64 v[36:37], v[228:229], v[178:179]
	v_fmac_f64_e32 v[36:37], v[230:231], v[176:177]
	v_add_f64 v[0:1], v[0:1], v[36:37]
	scratch_load_dwordx4 v[36:39], off, off offset:544
	s_waitcnt vmcnt(10) lgkmcnt(1)
	v_mul_f64 v[40:41], v[232:233], v[182:183]
	v_fmac_f64_e32 v[40:41], v[234:235], v[180:181]
	ds_read_b128 v[88:91], v2 offset:1264
	s_waitcnt vmcnt(9) lgkmcnt(1)
	v_mul_f64 v[44:45], v[236:237], v[190:191]
	v_add_f64 v[0:1], v[0:1], v[40:41]
	scratch_load_dwordx4 v[40:43], off, off offset:560
	v_fmac_f64_e32 v[44:45], v[238:239], v[188:189]
	v_add_f64 v[0:1], v[0:1], v[44:45]
	scratch_load_dwordx4 v[44:47], off, off offset:576
	v_mul_f64 v[50:51], v[106:107], v[50:51]
	v_fma_f64 v[240:241], v[104:105], v[48:49], -v[50:51]
	scratch_load_dwordx4 v[48:51], off, off offset:592
	s_waitcnt vmcnt(11) lgkmcnt(0)
	v_mul_f64 v[96:97], v[88:89], v[6:7]
	v_mul_f64 v[54:55], v[210:211], v[54:55]
	v_fmac_f64_e32 v[96:97], v[90:91], v[4:5]
	v_fma_f64 v[242:243], v[208:209], v[52:53], -v[54:55]
	scratch_load_dwordx4 v[52:55], off, off offset:608
	v_mul_f64 v[58:59], v[198:199], v[58:59]
	v_add_f64 v[0:1], v[0:1], v[96:97]
	ds_read_b128 v[96:99], v2 offset:1280
	ds_read_b128 v[104:107], v2 offset:1296
	v_fma_f64 v[244:245], v[196:197], v[56:57], -v[58:59]
	scratch_load_dwordx4 v[56:59], off, off offset:624
	v_mul_f64 v[62:63], v[114:115], v[62:63]
	v_accvgpr_write_b32 a121, v7
	v_fma_f64 v[246:247], v[112:113], v[60:61], -v[62:63]
	scratch_load_dwordx4 v[60:63], off, off offset:640
	v_accvgpr_write_b32 a120, v6
	v_accvgpr_write_b32 a119, v5
	;; [unrolled: 1-line block ×3, first 2 shown]
	s_waitcnt vmcnt(13)
	v_mov_b64_e32 v[4:5], v[8:9]
	v_mov_b64_e32 v[6:7], v[10:11]
	s_waitcnt lgkmcnt(1)
	v_mul_f64 v[208:209], v[96:97], v[6:7]
	v_fmac_f64_e32 v[208:209], v[98:99], v[4:5]
	s_waitcnt vmcnt(12)
	v_mov_b64_e32 v[4:5], v[12:13]
	ds_read_b128 v[112:115], v2 offset:1312
	v_mov_b64_e32 v[6:7], v[14:15]
	s_waitcnt lgkmcnt(1)
	v_mul_f64 v[196:197], v[104:105], v[6:7]
	v_mul_f64 v[66:67], v[122:123], v[66:67]
	;; [unrolled: 1-line block ×3, first 2 shown]
	v_fmac_f64_e32 v[196:197], v[106:107], v[4:5]
	v_fma_f64 v[248:249], v[120:121], v[64:65], -v[66:67]
	scratch_load_dwordx4 v[64:67], off, off offset:656
	v_fma_f64 v[254:255], v[116:117], v[68:69], -v[70:71]
	ds_read_b128 v[116:119], v2 offset:1328
	s_waitcnt vmcnt(12)
	v_mov_b64_e32 v[4:5], v[16:17]
	v_mov_b64_e32 v[6:7], v[18:19]
	scratch_load_dwordx4 v[68:71], off, off offset:672
	s_waitcnt lgkmcnt(1)
	v_mul_f64 v[120:121], v[112:113], v[6:7]
	v_mul_f64 v[74:75], v[194:195], v[74:75]
	v_add_f64 v[0:1], v[0:1], v[208:209]
	v_fmac_f64_e32 v[120:121], v[114:115], v[4:5]
	v_fma_f64 v[250:251], v[192:193], v[72:73], -v[74:75]
	s_waitcnt vmcnt(12)
	v_mov_b64_e32 v[4:5], v[20:21]
	scratch_load_dwordx4 v[72:75], off, off offset:688
	v_add_f64 v[0:1], v[0:1], v[196:197]
	v_mov_b64_e32 v[6:7], v[22:23]
	v_add_f64 v[0:1], v[0:1], v[120:121]
	s_waitcnt lgkmcnt(0)
	v_mul_f64 v[120:121], v[116:117], v[6:7]
	v_fmac_f64_e32 v[120:121], v[118:119], v[4:5]
	v_mul_f64 v[78:79], v[126:127], v[78:79]
	v_add_f64 v[0:1], v[0:1], v[120:121]
	v_fma_f64 v[28:29], v[124:125], v[76:77], -v[78:79]
	scratch_load_dwordx4 v[76:79], off, off offset:704
	ds_read_b128 v[124:127], v2 offset:1344
	ds_read_b128 v[120:123], v2 offset:1360
	v_mul_f64 v[6:7], v[214:215], v[82:83]
	v_fma_f64 v[24:25], v[212:213], v[80:81], -v[6:7]
	s_waitcnt vmcnt(13)
	v_accvgpr_read_b32 v4, a110
	v_accvgpr_write_b32 a125, v11
	v_accvgpr_write_b32 a137, v23
	v_mul_f64 v[80:81], v[206:207], v[86:87]
	v_accvgpr_read_b32 v6, a112
	v_accvgpr_read_b32 v7, a113
	v_accvgpr_write_b32 a124, v10
	v_accvgpr_write_b32 a123, v9
	;; [unrolled: 1-line block ×6, first 2 shown]
	v_fma_f64 v[20:21], v[204:205], v[84:85], -v[80:81]
	scratch_load_dwordx4 v[84:87], off, off offset:720
	v_accvgpr_read_b32 v5, a111
	s_waitcnt lgkmcnt(1)
	v_mul_f64 v[10:11], v[124:125], v[6:7]
	v_fmac_f64_e32 v[10:11], v[126:127], v[4:5]
	s_waitcnt vmcnt(13)
	v_accvgpr_read_b32 v4, a114
	v_accvgpr_read_b32 v6, a116
	;; [unrolled: 1-line block ×3, first 2 shown]
	v_add_f64 v[0:1], v[0:1], v[10:11]
	v_accvgpr_read_b32 v5, a115
	s_waitcnt lgkmcnt(0)
	v_mul_f64 v[10:11], v[120:121], v[6:7]
	v_fmac_f64_e32 v[10:11], v[122:123], v[4:5]
	v_accvgpr_write_b32 a133, v19
	scratch_load_dwordx4 v[80:83], off, off offset:736
	v_add_f64 v[0:1], v[0:1], v[10:11]
	v_mul_f64 v[10:11], v[130:131], v[94:95]
	v_accvgpr_write_b32 a129, v15
	v_accvgpr_write_b32 a132, v18
	;; [unrolled: 1-line block ×4, first 2 shown]
	v_fma_f64 v[16:17], v[128:129], v[92:93], -v[10:11]
	v_mul_f64 v[92:93], v[134:135], v[102:103]
	v_accvgpr_write_b32 a128, v14
	v_accvgpr_write_b32 a127, v13
	;; [unrolled: 1-line block ×3, first 2 shown]
	v_fma_f64 v[12:13], v[132:133], v[100:101], -v[92:93]
	scratch_load_dwordx4 v[92:95], off, off offset:752
	ds_read_b128 v[128:131], v2 offset:1376
	ds_read_b128 v[132:135], v2 offset:1392
	scratch_load_dwordx4 v[100:103], off, off offset:768
	v_mul_f64 v[14:15], v[150:151], v[110:111]
	v_fma_f64 v[14:15], v[148:149], v[108:109], -v[14:15]
	s_waitcnt vmcnt(15) lgkmcnt(1)
	v_mul_f64 v[108:109], v[128:129], v[34:35]
	v_fmac_f64_e32 v[108:109], v[130:131], v[32:33]
	v_add_f64 v[0:1], v[0:1], v[108:109]
	v_mul_f64 v[108:109], v[202:203], v[138:139]
	v_fma_f64 v[10:11], v[200:201], v[136:137], -v[108:109]
	scratch_load_dwordx4 v[108:111], off, off offset:784
	s_waitcnt vmcnt(15) lgkmcnt(0)
	v_mul_f64 v[18:19], v[132:133], v[38:39]
	v_fmac_f64_e32 v[18:19], v[134:135], v[36:37]
	ds_read_b128 v[136:139], v2 offset:1408
	v_add_f64 v[0:1], v[0:1], v[18:19]
	v_mul_f64 v[18:19], v[174:175], v[142:143]
	v_fma_f64 v[18:19], v[172:173], v[140:141], -v[18:19]
	ds_read_b128 v[140:143], v2 offset:1424
	v_mul_f64 v[146:147], v[218:219], v[146:147]
	v_fma_f64 v[8:9], v[216:217], v[144:145], -v[146:147]
	ds_read_b128 v[144:147], v2 offset:1440
	s_waitcnt vmcnt(14) lgkmcnt(2)
	v_mul_f64 v[148:149], v[136:137], v[42:43]
	v_fmac_f64_e32 v[148:149], v[138:139], v[40:41]
	s_waitcnt vmcnt(13) lgkmcnt(1)
	v_mul_f64 v[22:23], v[140:141], v[46:47]
	v_add_f64 v[0:1], v[0:1], v[148:149]
	v_fmac_f64_e32 v[22:23], v[142:143], v[44:45]
	ds_read_b128 v[148:151], v2 offset:1456
	v_add_f64 v[0:1], v[0:1], v[22:23]
	s_waitcnt vmcnt(12) lgkmcnt(1)
	v_mul_f64 v[22:23], v[144:145], v[50:51]
	v_fmac_f64_e32 v[22:23], v[146:147], v[48:49]
	v_add_f64 v[0:1], v[0:1], v[22:23]
	v_mul_f64 v[22:23], v[186:187], v[154:155]
	v_fma_f64 v[22:23], v[184:185], v[152:153], -v[22:23]
	ds_read_b128 v[152:155], v2 offset:1472
	v_mul_f64 v[158:159], v[162:163], v[158:159]
	v_fma_f64 v[6:7], v[160:161], v[156:157], -v[158:159]
	ds_read_b128 v[156:159], v2 offset:1488
	s_waitcnt vmcnt(11) lgkmcnt(2)
	v_mul_f64 v[172:173], v[148:149], v[54:55]
	v_fmac_f64_e32 v[172:173], v[150:151], v[52:53]
	s_waitcnt vmcnt(10) lgkmcnt(1)
	v_mul_f64 v[26:27], v[152:153], v[58:59]
	v_add_f64 v[0:1], v[0:1], v[172:173]
	v_fmac_f64_e32 v[26:27], v[154:155], v[56:57]
	v_add_f64 v[0:1], v[0:1], v[26:27]
	s_waitcnt vmcnt(9) lgkmcnt(0)
	v_mul_f64 v[26:27], v[156:157], v[62:63]
	v_fmac_f64_e32 v[26:27], v[158:159], v[60:61]
	ds_read_b128 v[160:163], v2 offset:1504
	v_add_f64 v[0:1], v[0:1], v[26:27]
	v_mul_f64 v[26:27], v[222:223], v[166:167]
	v_fma_f64 v[26:27], v[220:221], v[164:165], -v[26:27]
	ds_read_b128 v[164:167], v2 offset:1520
	v_mul_f64 v[170:171], v[226:227], v[170:171]
	v_fma_f64 v[4:5], v[224:225], v[168:169], -v[170:171]
	ds_read_b128 v[168:171], v2 offset:1536
	s_waitcnt vmcnt(8) lgkmcnt(2)
	v_mul_f64 v[172:173], v[160:161], v[66:67]
	v_fmac_f64_e32 v[172:173], v[162:163], v[64:65]
	s_waitcnt vmcnt(7) lgkmcnt(1)
	v_mul_f64 v[30:31], v[164:165], v[70:71]
	v_add_f64 v[0:1], v[0:1], v[172:173]
	v_fmac_f64_e32 v[30:31], v[166:167], v[68:69]
	v_add_f64 v[0:1], v[0:1], v[30:31]
	ds_read_b128 v[172:175], v2 offset:1552
	s_waitcnt vmcnt(6) lgkmcnt(1)
	v_mul_f64 v[30:31], v[168:169], v[74:75]
	v_fmac_f64_e32 v[30:31], v[170:171], v[72:73]
	v_add_f64 v[30:31], v[0:1], v[30:31]
	v_mul_f64 v[0:1], v[230:231], v[178:179]
	v_fma_f64 v[0:1], v[228:229], v[176:177], -v[0:1]
	ds_read_b128 v[176:179], v2 offset:1568
	v_mul_f64 v[182:183], v[234:235], v[182:183]
	s_waitcnt vmcnt(5) lgkmcnt(1)
	v_mul_f64 v[184:185], v[172:173], v[78:79]
	v_fma_f64 v[180:181], v[232:233], v[180:181], -v[182:183]
	v_fmac_f64_e32 v[184:185], v[174:175], v[76:77]
	v_accvgpr_write_b32 a138, v180
	v_mul_f64 v[190:191], v[238:239], v[190:191]
	v_accvgpr_write_b32 a139, v181
	ds_read_b128 v[180:183], v2 offset:1584
	v_add_f64 v[30:31], v[30:31], v[184:185]
	v_fma_f64 v[252:253], v[236:237], v[188:189], -v[190:191]
	scratch_load_dwordx4 v[236:239], off, off offset:32
	s_waitcnt vmcnt(5) lgkmcnt(1)
	v_mul_f64 v[184:185], v[176:177], v[86:87]
	v_fmac_f64_e32 v[184:185], v[178:179], v[84:85]
	v_add_f64 v[30:31], v[30:31], v[184:185]
	ds_read_b128 v[184:187], v2 offset:1600
	ds_read_b128 v[188:191], v2 offset:1616
	s_waitcnt vmcnt(4) lgkmcnt(2)
	v_mul_f64 v[192:193], v[180:181], v[82:83]
	v_fmac_f64_e32 v[192:193], v[182:183], v[80:81]
	v_add_f64 v[30:31], v[30:31], v[192:193]
	s_waitcnt vmcnt(3) lgkmcnt(1)
	v_mul_f64 v[192:193], v[184:185], v[94:95]
	v_fmac_f64_e32 v[192:193], v[186:187], v[92:93]
	v_add_f64 v[30:31], v[30:31], v[192:193]
	;; [unrolled: 4-line block ×3, first 2 shown]
	ds_read_b128 v[192:195], v2 offset:1632
	ds_read_b128 v[200:203], v2 offset:1648
	scratch_load_dwordx4 v[232:235], off, off offset:864
	ds_read_b128 v[208:211], v2 offset:1664
	ds_read_b128 v[216:219], v2 offset:1680
	s_waitcnt vmcnt(2) lgkmcnt(3)
	v_mul_f64 v[196:197], v[192:193], v[110:111]
	v_fmac_f64_e32 v[196:197], v[194:195], v[108:109]
	v_add_f64 v[30:31], v[30:31], v[196:197]
	scratch_load_dwordx4 v[196:199], off, off offset:800
	ds_read_b128 v[224:227], v2 offset:1696
	s_waitcnt vmcnt(0) lgkmcnt(3)
	v_mul_f64 v[204:205], v[200:201], v[198:199]
	v_fmac_f64_e32 v[204:205], v[202:203], v[196:197]
	v_add_f64 v[30:31], v[30:31], v[204:205]
	scratch_load_dwordx4 v[204:207], off, off offset:816
	s_waitcnt vmcnt(0) lgkmcnt(2)
	v_mul_f64 v[212:213], v[208:209], v[206:207]
	v_fmac_f64_e32 v[212:213], v[210:211], v[204:205]
	v_add_f64 v[30:31], v[30:31], v[212:213]
	scratch_load_dwordx4 v[212:215], off, off offset:832
	;; [unrolled: 5-line block ×3, first 2 shown]
	s_waitcnt vmcnt(0) lgkmcnt(0)
	v_mul_f64 v[228:229], v[224:225], v[222:223]
	v_fmac_f64_e32 v[228:229], v[226:227], v[220:221]
	v_add_f64 v[30:31], v[30:31], v[228:229]
	ds_read_b128 v[228:231], v2 offset:1712
	s_waitcnt lgkmcnt(0)
	v_mul_f64 v[2:3], v[228:229], v[234:235]
	v_fmac_f64_e32 v[2:3], v[230:231], v[232:233]
	v_add_f64 v[2:3], v[30:31], v[2:3]
	v_add_f64 v[30:31], v[240:241], 0
	;; [unrolled: 1-line block ×21, first 2 shown]
	v_accvgpr_read_b32 v6, a118
	v_add_f64 v[254:255], v[4:5], v[0:1]
	v_accvgpr_read_b32 v0, a138
	v_accvgpr_read_b32 v8, a120
	;; [unrolled: 1-line block ×5, first 2 shown]
	v_mul_f64 v[4:5], v[90:91], v[8:9]
	v_add_f64 v[0:1], v[254:255], v[0:1]
	v_fma_f64 v[4:5], v[88:89], v[6:7], -v[4:5]
	v_accvgpr_read_b32 v6, a122
	v_add_f64 v[0:1], v[0:1], v[252:253]
	v_accvgpr_read_b32 v8, a124
	v_accvgpr_read_b32 v9, a125
	v_add_f64 v[0:1], v[0:1], v[4:5]
	v_accvgpr_read_b32 v7, a123
	v_mul_f64 v[4:5], v[98:99], v[8:9]
	v_fma_f64 v[4:5], v[96:97], v[6:7], -v[4:5]
	v_accvgpr_read_b32 v6, a126
	v_accvgpr_read_b32 v8, a128
	v_accvgpr_read_b32 v9, a129
	v_add_f64 v[0:1], v[0:1], v[4:5]
	v_accvgpr_read_b32 v7, a127
	v_mul_f64 v[4:5], v[106:107], v[8:9]
	v_fma_f64 v[4:5], v[104:105], v[6:7], -v[4:5]
	v_accvgpr_read_b32 v6, a130
	;; [unrolled: 7-line block ×5, first 2 shown]
	v_accvgpr_read_b32 v8, a116
	v_accvgpr_read_b32 v9, a117
	v_add_f64 v[0:1], v[0:1], v[4:5]
	v_accvgpr_read_b32 v7, a115
	v_mul_f64 v[4:5], v[122:123], v[8:9]
	v_fma_f64 v[4:5], v[120:121], v[6:7], -v[4:5]
	v_add_f64 v[0:1], v[0:1], v[4:5]
	v_mul_f64 v[4:5], v[130:131], v[34:35]
	v_fma_f64 v[4:5], v[128:129], v[32:33], -v[4:5]
	v_add_f64 v[0:1], v[0:1], v[4:5]
	;; [unrolled: 3-line block ×23, first 2 shown]
	v_add_f64 v[4:5], v[236:237], -v[0:1]
	v_accvgpr_read_b32 v0, a108
	v_add_f64 v[6:7], v[238:239], -v[2:3]
	v_cmp_ne_u32_e32 vcc, 0, v0
	scratch_store_dwordx4 off, v[4:7], off offset:32
	s_and_saveexec_b64 s[0:1], vcc
	s_cbranch_execz .LBB117_337
; %bb.336:
	scratch_load_dwordx4 v[2:5], off, off offset:16
	v_mov_b32_e32 v6, 0
	v_mov_b32_e32 v7, v6
	v_mov_b32_e32 v8, v6
	v_mov_b32_e32 v9, v6
	v_accvgpr_read_b32 v0, a109
	scratch_store_dwordx4 off, v[6:9], off offset:16
	s_waitcnt vmcnt(1)
	ds_write_b128 v0, v[2:5]
.LBB117_337:
	s_or_b64 exec, exec, s[0:1]
	s_waitcnt lgkmcnt(0)
	; wave barrier
	scratch_load_dwordx4 v[0:3], off, off offset:32
	scratch_load_dwordx4 v[4:7], off, off offset:48
	;; [unrolled: 1-line block ×29, first 2 shown]
	v_mov_b32_e32 v240, 0
	ds_read_b128 v[104:107], v240 offset:880
	ds_read_b128 v[108:111], v240 offset:896
	;; [unrolled: 1-line block ×18, first 2 shown]
	scratch_load_dwordx4 a[116:119], off, off offset:496
	scratch_load_dwordx4 a[120:123], off, off offset:512
	ds_read_b128 v[224:227], v240 offset:1200
	ds_read_b128 v[228:231], v240 offset:1216
	scratch_load_dwordx4 a[124:127], off, off offset:528
	scratch_load_dwordx4 a[128:131], off, off offset:544
	ds_read_b128 v[232:235], v240 offset:1232
	ds_read_b128 v[242:245], v240 offset:1248
	s_and_b64 vcc, exec, s[10:11]
	ds_read_b128 v[220:223], v240 offset:1184
	s_waitcnt vmcnt(32) lgkmcnt(14)
	v_mul_f64 v[20:21], v[104:105], v[2:3]
	s_waitcnt vmcnt(31)
	v_mul_f64 v[22:23], v[108:109], v[6:7]
	v_fmac_f64_e32 v[20:21], v[106:107], v[0:1]
	s_waitcnt vmcnt(30)
	v_mul_f64 v[24:25], v[112:113], v[50:51]
	v_fmac_f64_e32 v[22:23], v[110:111], v[4:5]
	v_add_f64 v[20:21], v[20:21], 0
	s_waitcnt vmcnt(29)
	v_mul_f64 v[26:27], v[116:117], v[54:55]
	v_fmac_f64_e32 v[24:25], v[114:115], v[48:49]
	v_add_f64 v[20:21], v[20:21], v[22:23]
	;; [unrolled: 4-line block ×7, first 2 shown]
	s_waitcnt vmcnt(23) lgkmcnt(13)
	v_mul_f64 v[38:39], v[164:165], v[78:79]
	v_fmac_f64_e32 v[36:37], v[154:155], v[72:73]
	v_add_f64 v[20:21], v[20:21], v[34:35]
	s_waitcnt vmcnt(22) lgkmcnt(12)
	v_mul_f64 v[80:81], v[176:177], v[90:91]
	v_fmac_f64_e32 v[38:39], v[166:167], v[76:77]
	v_add_f64 v[20:21], v[20:21], v[36:37]
	;; [unrolled: 4-line block ×7, first 2 shown]
	v_fmac_f64_e32 v[218:219], v[206:207], v[136:137]
	v_add_f64 v[20:21], v[20:21], v[216:217]
	v_add_f64 v[24:25], v[20:21], v[218:219]
	ds_read_b128 v[216:219], v240 offset:1168
	s_waitcnt vmcnt(16) lgkmcnt(7)
	v_mul_f64 v[26:27], v[208:209], v[146:147]
	v_fmac_f64_e32 v[26:27], v[210:211], v[144:145]
	v_add_f64 v[24:25], v[24:25], v[26:27]
	s_waitcnt vmcnt(15) lgkmcnt(6)
	v_mul_f64 v[26:27], v[212:213], v[150:151]
	v_fmac_f64_e32 v[26:27], v[214:215], v[148:149]
	v_add_f64 v[24:25], v[24:25], v[26:27]
	s_waitcnt vmcnt(14) lgkmcnt(0)
	v_mul_f64 v[26:27], v[216:217], v[158:159]
	v_fmac_f64_e32 v[26:27], v[218:219], v[156:157]
	s_waitcnt vmcnt(13)
	v_mul_f64 v[30:31], v[220:221], v[162:163]
	v_add_f64 v[28:29], v[24:25], v[26:27]
	v_fmac_f64_e32 v[30:31], v[222:223], v[160:161]
	s_waitcnt vmcnt(12)
	v_mul_f64 v[34:35], v[224:225], v[170:171]
	v_add_f64 v[32:33], v[28:29], v[30:31]
	v_fmac_f64_e32 v[34:35], v[226:227], v[168:169]
	v_add_f64 v[32:33], v[32:33], v[34:35]
	s_waitcnt vmcnt(11)
	v_mul_f64 v[34:35], v[228:229], v[174:175]
	v_fmac_f64_e32 v[34:35], v[230:231], v[172:173]
	v_add_f64 v[32:33], v[32:33], v[34:35]
	s_waitcnt vmcnt(10)
	v_mul_f64 v[34:35], v[232:233], v[182:183]
	v_fmac_f64_e32 v[34:35], v[234:235], v[180:181]
	s_waitcnt vmcnt(9)
	v_mul_f64 v[38:39], v[242:243], v[186:187]
	v_add_f64 v[36:37], v[32:33], v[34:35]
	v_fmac_f64_e32 v[38:39], v[244:245], v[184:185]
	ds_read_b128 v[80:83], v240 offset:1264
	ds_read_b128 v[84:87], v240 offset:1280
	v_add_f64 v[236:237], v[36:37], v[38:39]
	scratch_load_dwordx4 v[36:39], off, off offset:560
	scratch_load_dwordx4 v[30:33], off, off offset:576
	v_mul_f64 v[42:43], v[106:107], v[2:3]
	v_fma_f64 v[24:25], v[104:105], v[0:1], -v[42:43]
	s_waitcnt vmcnt(10)
	v_mov_b64_e32 v[0:1], v[8:9]
	v_mov_b64_e32 v[2:3], v[10:11]
	s_waitcnt lgkmcnt(1)
	v_mul_f64 v[104:105], v[80:81], v[2:3]
	v_fmac_f64_e32 v[104:105], v[82:83], v[0:1]
	s_waitcnt vmcnt(9)
	v_mov_b64_e32 v[0:1], v[12:13]
	v_mov_b64_e32 v[2:3], v[14:15]
	scratch_load_dwordx4 v[26:29], off, off offset:592
	s_waitcnt lgkmcnt(0)
	v_mul_f64 v[106:107], v[84:85], v[2:3]
	v_mul_f64 v[50:51], v[114:115], v[50:51]
	v_add_f64 v[104:105], v[236:237], v[104:105]
	v_fmac_f64_e32 v[106:107], v[86:87], v[0:1]
	v_fma_f64 v[248:249], v[112:113], v[48:49], -v[50:51]
	scratch_load_dwordx4 v[48:51], off, off offset:608
	v_add_f64 v[236:237], v[104:105], v[106:107]
	ds_read_b128 v[104:107], v240 offset:1296
	v_mul_f64 v[54:55], v[118:119], v[54:55]
	v_fma_f64 v[252:253], v[116:117], v[52:53], -v[54:55]
	scratch_load_dwordx4 v[52:55], off, off offset:624
	s_waitcnt vmcnt(11)
	v_mov_b64_e32 v[0:1], v[16:17]
	v_mul_f64 v[46:47], v[110:111], v[6:7]
	v_mov_b64_e32 v[2:3], v[18:19]
	v_fma_f64 v[246:247], v[108:109], v[4:5], -v[46:47]
	ds_read_b128 v[108:111], v240 offset:1312
	s_waitcnt lgkmcnt(1)
	v_mul_f64 v[112:113], v[104:105], v[2:3]
	v_fmac_f64_e32 v[112:113], v[106:107], v[0:1]
	v_mul_f64 v[58:59], v[122:123], v[58:59]
	v_add_f64 v[112:113], v[236:237], v[112:113]
	v_fma_f64 v[236:237], v[120:121], v[56:57], -v[58:59]
	scratch_load_dwordx4 v[56:59], off, off offset:640
	v_mul_f64 v[62:63], v[126:127], v[62:63]
	v_fma_f64 v[250:251], v[124:125], v[60:61], -v[62:63]
	scratch_load_dwordx4 v[60:63], off, off offset:656
	s_waitcnt vmcnt(12)
	v_accvgpr_read_b32 v0, a108
	v_accvgpr_read_b32 v2, a110
	;; [unrolled: 1-line block ×3, first 2 shown]
	v_mul_f64 v[66:67], v[130:131], v[66:67]
	v_accvgpr_write_b32 a143, v19
	s_waitcnt lgkmcnt(0)
	v_mul_f64 v[114:115], v[108:109], v[2:3]
	v_fma_f64 v[20:21], v[128:129], v[64:65], -v[66:67]
	scratch_load_dwordx4 v[64:67], off, off offset:672
	v_mul_f64 v[2:3], v[142:143], v[70:71]
	v_accvgpr_write_b32 a139, v15
	v_accvgpr_write_b32 a142, v18
	;; [unrolled: 1-line block ×4, first 2 shown]
	v_fma_f64 v[16:17], v[140:141], v[68:69], -v[2:3]
	scratch_load_dwordx4 v[68:71], off, off offset:688
	v_mul_f64 v[74:75], v[154:155], v[74:75]
	v_accvgpr_write_b32 a138, v14
	v_accvgpr_write_b32 a137, v13
	;; [unrolled: 1-line block ×3, first 2 shown]
	v_fma_f64 v[12:13], v[152:153], v[72:73], -v[74:75]
	scratch_load_dwordx4 v[72:75], off, off offset:704
	v_mul_f64 v[78:79], v[166:167], v[78:79]
	v_fma_f64 v[238:239], v[164:165], v[76:77], -v[78:79]
	scratch_load_dwordx4 v[76:79], off, off offset:720
	v_accvgpr_write_b32 a135, v11
	v_mul_f64 v[90:91], v[178:179], v[90:91]
	v_accvgpr_write_b32 a134, v10
	v_accvgpr_write_b32 a133, v9
	;; [unrolled: 1-line block ×3, first 2 shown]
	v_fma_f64 v[8:9], v[176:177], v[88:89], -v[90:91]
	v_mul_f64 v[88:89], v[190:191], v[94:95]
	v_fma_f64 v[4:5], v[188:189], v[92:93], -v[88:89]
	scratch_load_dwordx4 v[88:91], off, off offset:736
	v_accvgpr_read_b32 v1, a109
	v_fmac_f64_e32 v[114:115], v[110:111], v[0:1]
	v_add_f64 v[120:121], v[112:113], v[114:115]
	ds_read_b128 v[112:115], v240 offset:1328
	ds_read_b128 v[116:119], v240 offset:1344
	s_waitcnt vmcnt(16)
	v_accvgpr_read_b32 v0, a112
	v_accvgpr_read_b32 v2, a114
	;; [unrolled: 1-line block ×4, first 2 shown]
	s_waitcnt lgkmcnt(1)
	v_mul_f64 v[122:123], v[112:113], v[2:3]
	v_fmac_f64_e32 v[122:123], v[114:115], v[0:1]
	s_waitcnt vmcnt(15)
	v_accvgpr_read_b32 v0, a116
	v_add_f64 v[124:125], v[120:121], v[122:123]
	v_accvgpr_read_b32 v2, a118
	v_accvgpr_read_b32 v3, a119
	ds_read_b128 v[120:123], v240 offset:1360
	v_accvgpr_read_b32 v1, a117
	s_waitcnt lgkmcnt(1)
	v_mul_f64 v[6:7], v[116:117], v[2:3]
	v_fmac_f64_e32 v[6:7], v[118:119], v[0:1]
	v_add_f64 v[6:7], v[124:125], v[6:7]
	ds_read_b128 v[124:127], v240 offset:1376
	s_waitcnt vmcnt(14)
	v_accvgpr_read_b32 v0, a120
	v_accvgpr_read_b32 v2, a122
	;; [unrolled: 1-line block ×4, first 2 shown]
	s_waitcnt lgkmcnt(1)
	v_mul_f64 v[10:11], v[120:121], v[2:3]
	v_fmac_f64_e32 v[10:11], v[122:123], v[0:1]
	s_waitcnt vmcnt(13)
	v_accvgpr_read_b32 v0, a124
	v_accvgpr_read_b32 v2, a126
	;; [unrolled: 1-line block ×3, first 2 shown]
	v_add_f64 v[6:7], v[6:7], v[10:11]
	v_accvgpr_read_b32 v1, a125
	s_waitcnt lgkmcnt(0)
	v_mul_f64 v[10:11], v[124:125], v[2:3]
	v_fmac_f64_e32 v[10:11], v[126:127], v[0:1]
	ds_read_b128 v[128:131], v240 offset:1392
	v_add_f64 v[6:7], v[6:7], v[10:11]
	v_mul_f64 v[10:11], v[202:203], v[134:135]
	v_fma_f64 v[10:11], v[200:201], v[132:133], -v[10:11]
	ds_read_b128 v[132:135], v240 offset:1408
	s_waitcnt vmcnt(12)
	v_accvgpr_read_b32 v40, a128
	v_accvgpr_read_b32 v42, a130
	;; [unrolled: 1-line block ×4, first 2 shown]
	s_waitcnt lgkmcnt(1)
	v_mul_f64 v[18:19], v[128:129], v[42:43]
	v_fmac_f64_e32 v[18:19], v[130:131], v[40:41]
	v_add_f64 v[6:7], v[6:7], v[18:19]
	v_mul_f64 v[18:19], v[206:207], v[138:139]
	s_waitcnt vmcnt(11) lgkmcnt(0)
	v_mul_f64 v[140:141], v[132:133], v[38:39]
	v_fma_f64 v[18:19], v[204:205], v[136:137], -v[18:19]
	ds_read_b128 v[136:139], v240 offset:1424
	v_fmac_f64_e32 v[140:141], v[134:135], v[36:37]
	v_add_f64 v[6:7], v[6:7], v[140:141]
	ds_read_b128 v[140:143], v240 offset:1440
	v_mul_f64 v[146:147], v[210:211], v[146:147]
	v_fma_f64 v[0:1], v[208:209], v[144:145], -v[146:147]
	ds_read_b128 v[144:147], v240 offset:1456
	v_mul_f64 v[150:151], v[214:215], v[150:151]
	s_waitcnt vmcnt(10) lgkmcnt(2)
	v_mul_f64 v[152:153], v[136:137], v[32:33]
	v_fma_f64 v[254:255], v[212:213], v[148:149], -v[150:151]
	ds_read_b128 v[148:151], v240 offset:1472
	v_fmac_f64_e32 v[152:153], v[138:139], v[30:31]
	s_waitcnt vmcnt(9) lgkmcnt(2)
	v_mul_f64 v[22:23], v[140:141], v[28:29]
	v_add_f64 v[6:7], v[6:7], v[152:153]
	v_fmac_f64_e32 v[22:23], v[142:143], v[26:27]
	v_add_f64 v[6:7], v[6:7], v[22:23]
	s_waitcnt vmcnt(8) lgkmcnt(1)
	v_mul_f64 v[22:23], v[144:145], v[50:51]
	v_fmac_f64_e32 v[22:23], v[146:147], v[48:49]
	v_add_f64 v[6:7], v[6:7], v[22:23]
	s_waitcnt vmcnt(7) lgkmcnt(0)
	v_mul_f64 v[22:23], v[148:149], v[54:55]
	v_fmac_f64_e32 v[22:23], v[150:151], v[52:53]
	ds_read_b128 v[152:155], v240 offset:1488
	v_add_f64 v[6:7], v[6:7], v[22:23]
	v_mul_f64 v[22:23], v[218:219], v[158:159]
	v_mul_f64 v[14:15], v[194:195], v[98:99]
	v_fma_f64 v[22:23], v[216:217], v[156:157], -v[22:23]
	ds_read_b128 v[156:159], v240 offset:1504
	v_fma_f64 v[14:15], v[192:193], v[96:97], -v[14:15]
	scratch_load_dwordx4 v[96:99], off, off offset:752
	scratch_load_dwordx4 v[92:95], off, off offset:768
	s_waitcnt vmcnt(8) lgkmcnt(1)
	v_mul_f64 v[42:43], v[152:153], v[58:59]
	v_mul_f64 v[102:103], v[198:199], v[102:103]
	v_fmac_f64_e32 v[42:43], v[154:155], v[56:57]
	v_fma_f64 v[2:3], v[196:197], v[100:101], -v[102:103]
	scratch_load_dwordx4 v[100:103], off, off offset:784
	v_add_f64 v[6:7], v[6:7], v[42:43]
	v_mul_f64 v[42:43], v[222:223], v[162:163]
	s_waitcnt vmcnt(8) lgkmcnt(0)
	v_mul_f64 v[164:165], v[156:157], v[62:63]
	v_fma_f64 v[42:43], v[220:221], v[160:161], -v[42:43]
	ds_read_b128 v[160:163], v240 offset:1520
	v_fmac_f64_e32 v[164:165], v[158:159], v[60:61]
	v_add_f64 v[6:7], v[6:7], v[164:165]
	ds_read_b128 v[164:167], v240 offset:1536
	v_mul_f64 v[170:171], v[226:227], v[170:171]
	scratch_load_dwordx4 v[192:195], off, off offset:800
	scratch_load_dwordx4 v[200:203], off, off offset:816
	v_add_f64 v[24:25], v[24:25], 0
	v_fma_f64 v[40:41], v[224:225], v[168:169], -v[170:171]
	ds_read_b128 v[168:171], v240 offset:1552
	v_add_f64 v[24:25], v[24:25], v[246:247]
	v_mul_f64 v[174:175], v[230:231], v[174:175]
	v_add_f64 v[24:25], v[24:25], v[248:249]
	v_fma_f64 v[44:45], v[228:229], v[172:173], -v[174:175]
	ds_read_b128 v[172:175], v240 offset:1568
	v_add_f64 v[24:25], v[24:25], v[252:253]
	s_waitcnt vmcnt(9) lgkmcnt(3)
	v_mul_f64 v[176:177], v[160:161], v[66:67]
	scratch_load_dwordx4 v[208:211], off, off offset:832
	scratch_load_dwordx4 v[216:219], off, off offset:848
	v_add_f64 v[24:25], v[24:25], v[236:237]
	v_fmac_f64_e32 v[176:177], v[162:163], v[64:65]
	s_waitcnt vmcnt(10) lgkmcnt(2)
	v_mul_f64 v[46:47], v[164:165], v[70:71]
	v_add_f64 v[24:25], v[24:25], v[250:251]
	v_add_f64 v[6:7], v[6:7], v[176:177]
	v_fmac_f64_e32 v[46:47], v[166:167], v[68:69]
	s_waitcnt vmcnt(9) lgkmcnt(1)
	v_mul_f64 v[34:35], v[168:169], v[74:75]
	v_add_f64 v[20:21], v[24:25], v[20:21]
	v_add_f64 v[6:7], v[6:7], v[46:47]
	v_fmac_f64_e32 v[34:35], v[170:171], v[72:73]
	v_add_f64 v[16:17], v[20:21], v[16:17]
	v_add_f64 v[6:7], v[6:7], v[34:35]
	s_waitcnt vmcnt(8) lgkmcnt(0)
	v_mul_f64 v[34:35], v[172:173], v[78:79]
	scratch_load_dwordx4 v[224:227], off, off offset:864
	v_add_f64 v[12:13], v[16:17], v[12:13]
	v_fmac_f64_e32 v[34:35], v[174:175], v[76:77]
	v_add_f64 v[12:13], v[12:13], v[238:239]
	v_add_f64 v[34:35], v[6:7], v[34:35]
	v_mul_f64 v[6:7], v[234:235], v[182:183]
	v_add_f64 v[8:9], v[12:13], v[8:9]
	v_fma_f64 v[6:7], v[232:233], v[180:181], -v[6:7]
	v_add_f64 v[4:5], v[8:9], v[4:5]
	scratch_load_dwordx4 v[232:235], off, off offset:16
	v_add_f64 v[4:5], v[4:5], v[14:15]
	v_add_f64 v[2:3], v[4:5], v[2:3]
	;; [unrolled: 1-line block ×5, first 2 shown]
	ds_read_b128 v[176:179], v240 offset:1584
	ds_read_b128 v[180:183], v240 offset:1600
	v_add_f64 v[0:1], v[0:1], v[254:255]
	v_add_f64 v[0:1], v[0:1], v[22:23]
	;; [unrolled: 1-line block ×5, first 2 shown]
	s_waitcnt vmcnt(9) lgkmcnt(1)
	v_mul_f64 v[46:47], v[176:177], v[90:91]
	v_add_f64 v[0:1], v[252:253], v[6:7]
	v_accvgpr_read_b32 v4, a132
	v_fmac_f64_e32 v[46:47], v[178:179], v[88:89]
	v_accvgpr_read_b32 v6, a134
	v_accvgpr_read_b32 v7, a135
	v_add_f64 v[34:35], v[34:35], v[46:47]
	v_mul_f64 v[46:47], v[244:245], v[186:187]
	v_accvgpr_read_b32 v5, a133
	v_mul_f64 v[2:3], v[82:83], v[6:7]
	v_fma_f64 v[244:245], v[242:243], v[184:185], -v[46:47]
	v_fma_f64 v[2:3], v[80:81], v[4:5], -v[2:3]
	v_accvgpr_read_b32 v4, a136
	v_add_f64 v[0:1], v[0:1], v[244:245]
	v_accvgpr_read_b32 v6, a138
	v_accvgpr_read_b32 v7, a139
	v_add_f64 v[0:1], v[0:1], v[2:3]
	v_accvgpr_read_b32 v5, a137
	v_mul_f64 v[2:3], v[86:87], v[6:7]
	v_fma_f64 v[2:3], v[84:85], v[4:5], -v[2:3]
	v_accvgpr_read_b32 v4, a140
	v_accvgpr_read_b32 v6, a142
	v_accvgpr_read_b32 v7, a143
	v_add_f64 v[0:1], v[0:1], v[2:3]
	v_accvgpr_read_b32 v5, a141
	v_mul_f64 v[2:3], v[106:107], v[6:7]
	v_fma_f64 v[2:3], v[104:105], v[4:5], -v[2:3]
	v_accvgpr_read_b32 v4, a108
	;; [unrolled: 7-line block ×7, first 2 shown]
	v_accvgpr_read_b32 v6, a130
	v_accvgpr_read_b32 v7, a131
	v_add_f64 v[0:1], v[0:1], v[2:3]
	v_accvgpr_read_b32 v5, a129
	v_mul_f64 v[2:3], v[130:131], v[6:7]
	v_fma_f64 v[2:3], v[128:129], v[4:5], -v[2:3]
	v_add_f64 v[0:1], v[0:1], v[2:3]
	v_mul_f64 v[2:3], v[134:135], v[38:39]
	v_fma_f64 v[2:3], v[132:133], v[36:37], -v[2:3]
	v_add_f64 v[0:1], v[0:1], v[2:3]
	;; [unrolled: 3-line block ×11, first 2 shown]
	v_mul_f64 v[2:3], v[174:175], v[78:79]
	ds_read_b128 v[184:187], v240 offset:1616
	ds_read_b128 v[188:191], v240 offset:1632
	v_fma_f64 v[2:3], v[172:173], v[76:77], -v[2:3]
	v_add_f64 v[0:1], v[0:1], v[2:3]
	v_mul_f64 v[2:3], v[178:179], v[90:91]
	v_fma_f64 v[2:3], v[176:177], v[88:89], -v[2:3]
	s_waitcnt vmcnt(8) lgkmcnt(2)
	v_mul_f64 v[46:47], v[180:181], v[98:99]
	v_add_f64 v[0:1], v[0:1], v[2:3]
	v_mul_f64 v[2:3], v[182:183], v[98:99]
	v_fmac_f64_e32 v[46:47], v[182:183], v[96:97]
	ds_read_b128 v[196:199], v240 offset:1648
	ds_read_b128 v[204:207], v240 offset:1664
	v_fma_f64 v[2:3], v[180:181], v[96:97], -v[2:3]
	v_add_f64 v[34:35], v[34:35], v[46:47]
	s_waitcnt vmcnt(7) lgkmcnt(3)
	v_mul_f64 v[46:47], v[184:185], v[94:95]
	v_add_f64 v[0:1], v[0:1], v[2:3]
	v_mul_f64 v[2:3], v[186:187], v[94:95]
	v_fmac_f64_e32 v[46:47], v[186:187], v[92:93]
	v_fma_f64 v[2:3], v[184:185], v[92:93], -v[2:3]
	v_add_f64 v[34:35], v[34:35], v[46:47]
	s_waitcnt vmcnt(6) lgkmcnt(2)
	v_mul_f64 v[46:47], v[188:189], v[102:103]
	v_add_f64 v[0:1], v[0:1], v[2:3]
	v_mul_f64 v[2:3], v[190:191], v[102:103]
	v_fmac_f64_e32 v[46:47], v[190:191], v[100:101]
	ds_read_b128 v[212:215], v240 offset:1680
	ds_read_b128 v[220:223], v240 offset:1696
	v_fma_f64 v[2:3], v[188:189], v[100:101], -v[2:3]
	v_add_f64 v[34:35], v[34:35], v[46:47]
	s_waitcnt vmcnt(5) lgkmcnt(3)
	v_mul_f64 v[46:47], v[196:197], v[194:195]
	v_add_f64 v[0:1], v[0:1], v[2:3]
	v_mul_f64 v[2:3], v[198:199], v[194:195]
	v_fmac_f64_e32 v[46:47], v[198:199], v[192:193]
	v_fma_f64 v[2:3], v[196:197], v[192:193], -v[2:3]
	v_add_f64 v[34:35], v[34:35], v[46:47]
	s_waitcnt vmcnt(4) lgkmcnt(2)
	v_mul_f64 v[46:47], v[204:205], v[202:203]
	v_add_f64 v[0:1], v[0:1], v[2:3]
	v_mul_f64 v[2:3], v[206:207], v[202:203]
	v_fmac_f64_e32 v[46:47], v[206:207], v[200:201]
	ds_read_b128 v[228:231], v240 offset:1712
	v_fma_f64 v[2:3], v[204:205], v[200:201], -v[2:3]
	v_add_f64 v[34:35], v[34:35], v[46:47]
	s_waitcnt vmcnt(3) lgkmcnt(2)
	v_mul_f64 v[46:47], v[212:213], v[210:211]
	v_add_f64 v[0:1], v[0:1], v[2:3]
	v_mul_f64 v[2:3], v[214:215], v[210:211]
	v_fmac_f64_e32 v[46:47], v[214:215], v[208:209]
	v_fma_f64 v[2:3], v[212:213], v[208:209], -v[2:3]
	v_add_f64 v[34:35], v[34:35], v[46:47]
	s_waitcnt vmcnt(2) lgkmcnt(1)
	v_mul_f64 v[46:47], v[220:221], v[218:219]
	v_add_f64 v[0:1], v[0:1], v[2:3]
	v_mul_f64 v[2:3], v[222:223], v[218:219]
	v_fmac_f64_e32 v[46:47], v[222:223], v[216:217]
	v_fma_f64 v[2:3], v[220:221], v[216:217], -v[2:3]
	v_add_f64 v[34:35], v[34:35], v[46:47]
	s_waitcnt vmcnt(1) lgkmcnt(0)
	v_mul_f64 v[46:47], v[228:229], v[226:227]
	v_add_f64 v[0:1], v[0:1], v[2:3]
	v_mul_f64 v[2:3], v[230:231], v[226:227]
	v_fmac_f64_e32 v[46:47], v[230:231], v[224:225]
	v_fma_f64 v[2:3], v[228:229], v[224:225], -v[2:3]
	v_add_f64 v[242:243], v[34:35], v[46:47]
	v_add_f64 v[0:1], v[0:1], v[2:3]
	s_waitcnt vmcnt(0)
	v_add_f64 v[0:1], v[232:233], -v[0:1]
	v_add_f64 v[2:3], v[234:235], -v[242:243]
	scratch_store_dwordx4 off, v[0:3], off offset:16
	s_cbranch_vccz .LBB117_444
; %bb.338:
	global_load_dword v0, v240, s[8:9] offset:208
	s_waitcnt vmcnt(0)
	v_readfirstlane_b32 s0, v0
	s_add_i32 s0, s0, -1
	s_cmp_lg_u32 s0, 52
	s_cbranch_scc0 .LBB117_340
; %bb.339:
	s_lshl_b32 s0, s0, 4
	s_add_i32 s0, s0, 16
	scratch_load_dwordx4 v[0:3], off, s0
	scratch_load_dwordx4 v[4:7], off, s17
	s_waitcnt vmcnt(1)
	scratch_store_dwordx4 off, v[0:3], s17
	s_waitcnt vmcnt(1)
	scratch_store_dwordx4 off, v[4:7], s0
.LBB117_340:
	v_mov_b32_e32 v0, 0
	global_load_dword v1, v0, s[8:9] offset:204
	s_waitcnt vmcnt(0)
	v_readfirstlane_b32 s0, v1
	s_add_i32 s0, s0, -1
	s_cmp_eq_u32 s0, 51
	s_cbranch_scc1 .LBB117_342
; %bb.341:
	s_lshl_b32 s0, s0, 4
	s_add_i32 s0, s0, 16
	scratch_load_dwordx4 v[2:5], off, s0
	scratch_load_dwordx4 v[6:9], off, s18
	s_waitcnt vmcnt(1)
	scratch_store_dwordx4 off, v[2:5], s18
	s_waitcnt vmcnt(1)
	scratch_store_dwordx4 off, v[6:9], s0
.LBB117_342:
	global_load_dword v0, v0, s[8:9] offset:200
	s_waitcnt vmcnt(0)
	v_readfirstlane_b32 s0, v0
	s_add_i32 s0, s0, -1
	s_cmp_eq_u32 s0, 50
	s_cbranch_scc1 .LBB117_344
; %bb.343:
	s_lshl_b32 s0, s0, 4
	s_add_i32 s0, s0, 16
	scratch_load_dwordx4 v[0:3], off, s0
	scratch_load_dwordx4 v[4:7], off, s19
	s_waitcnt vmcnt(1)
	scratch_store_dwordx4 off, v[0:3], s19
	s_waitcnt vmcnt(1)
	scratch_store_dwordx4 off, v[4:7], s0
.LBB117_344:
	v_mov_b32_e32 v0, 0
	global_load_dword v1, v0, s[8:9] offset:196
	s_waitcnt vmcnt(0)
	v_readfirstlane_b32 s0, v1
	s_add_i32 s0, s0, -1
	s_cmp_eq_u32 s0, 49
	s_cbranch_scc1 .LBB117_346
; %bb.345:
	s_lshl_b32 s0, s0, 4
	s_add_i32 s0, s0, 16
	scratch_load_dwordx4 v[2:5], off, s0
	scratch_load_dwordx4 v[6:9], off, s20
	s_waitcnt vmcnt(1)
	scratch_store_dwordx4 off, v[2:5], s20
	s_waitcnt vmcnt(1)
	scratch_store_dwordx4 off, v[6:9], s0
.LBB117_346:
	global_load_dword v0, v0, s[8:9] offset:192
	s_waitcnt vmcnt(0)
	v_readfirstlane_b32 s0, v0
	s_add_i32 s0, s0, -1
	s_cmp_eq_u32 s0, 48
	s_cbranch_scc1 .LBB117_348
; %bb.347:
	s_lshl_b32 s0, s0, 4
	s_add_i32 s0, s0, 16
	scratch_load_dwordx4 v[0:3], off, s0
	scratch_load_dwordx4 v[4:7], off, s21
	s_waitcnt vmcnt(1)
	scratch_store_dwordx4 off, v[0:3], s21
	s_waitcnt vmcnt(1)
	scratch_store_dwordx4 off, v[4:7], s0
.LBB117_348:
	;; [unrolled: 33-line block ×25, first 2 shown]
	v_mov_b32_e32 v0, 0
	global_load_dword v1, v0, s[8:9] offset:4
	s_waitcnt vmcnt(0)
	v_readfirstlane_b32 s0, v1
	s_add_i32 s0, s0, -1
	s_cmp_eq_u32 s0, 1
	s_cbranch_scc1 .LBB117_442
; %bb.441:
	s_lshl_b32 s0, s0, 4
	s_add_i32 s0, s0, 16
	scratch_load_dwordx4 v[2:5], off, s0
	scratch_load_dwordx4 v[6:9], off, s69
	s_waitcnt vmcnt(1)
	scratch_store_dwordx4 off, v[2:5], s69
	s_waitcnt vmcnt(1)
	scratch_store_dwordx4 off, v[6:9], s0
.LBB117_442:
	global_load_dword v0, v0, s[8:9]
	s_waitcnt vmcnt(0)
	v_readfirstlane_b32 s0, v0
	s_add_i32 s0, s0, -1
	s_cmp_eq_u32 s0, 0
	s_cbranch_scc1 .LBB117_444
; %bb.443:
	s_lshl_b32 s0, s0, 4
	s_add_i32 s0, s0, 16
	scratch_load_dwordx4 v[0:3], off, s0
	scratch_load_dwordx4 v[4:7], off, off offset:16
	s_waitcnt vmcnt(1)
	scratch_store_dwordx4 off, v[0:3], off offset:16
	s_waitcnt vmcnt(1)
	scratch_store_dwordx4 off, v[4:7], s0
.LBB117_444:
	scratch_load_dwordx4 v[0:3], off, off offset:16
	s_nop 0
	v_accvgpr_read_b32 v5, a1
	v_accvgpr_read_b32 v4, a0
	s_waitcnt vmcnt(0)
	flat_store_dwordx4 v[4:5], v[0:3]
	scratch_load_dwordx4 v[0:3], off, s69
	v_accvgpr_read_b32 v5, a3
	v_accvgpr_read_b32 v4, a2
	s_waitcnt vmcnt(0)
	flat_store_dwordx4 v[4:5], v[0:3]
	scratch_load_dwordx4 v[0:3], off, s68
	;; [unrolled: 5-line block ×53, first 2 shown]
	v_accvgpr_read_b32 v4, a106
	v_accvgpr_read_b32 v5, a107
	s_waitcnt vmcnt(0)
	flat_store_dwordx4 v[4:5], v[0:3]
	s_endpgm
	.section	.rodata,"a",@progbits
	.p2align	6, 0x0
	.amdhsa_kernel _ZN9rocsolver6v33100L18getri_kernel_smallILi54E19rocblas_complex_numIdEPKPS3_EEvT1_iilPiilS8_bb
		.amdhsa_group_segment_fixed_size 1736
		.amdhsa_private_segment_fixed_size 896
		.amdhsa_kernarg_size 60
		.amdhsa_user_sgpr_count 2
		.amdhsa_user_sgpr_dispatch_ptr 0
		.amdhsa_user_sgpr_queue_ptr 0
		.amdhsa_user_sgpr_kernarg_segment_ptr 1
		.amdhsa_user_sgpr_dispatch_id 0
		.amdhsa_user_sgpr_kernarg_preload_length 0
		.amdhsa_user_sgpr_kernarg_preload_offset 0
		.amdhsa_user_sgpr_private_segment_size 0
		.amdhsa_uses_dynamic_stack 0
		.amdhsa_enable_private_segment 1
		.amdhsa_system_sgpr_workgroup_id_x 1
		.amdhsa_system_sgpr_workgroup_id_y 0
		.amdhsa_system_sgpr_workgroup_id_z 0
		.amdhsa_system_sgpr_workgroup_info 0
		.amdhsa_system_vgpr_workitem_id 0
		.amdhsa_next_free_vgpr 400
		.amdhsa_next_free_sgpr 91
		.amdhsa_accum_offset 256
		.amdhsa_reserve_vcc 1
		.amdhsa_float_round_mode_32 0
		.amdhsa_float_round_mode_16_64 0
		.amdhsa_float_denorm_mode_32 3
		.amdhsa_float_denorm_mode_16_64 3
		.amdhsa_dx10_clamp 1
		.amdhsa_ieee_mode 1
		.amdhsa_fp16_overflow 0
		.amdhsa_tg_split 0
		.amdhsa_exception_fp_ieee_invalid_op 0
		.amdhsa_exception_fp_denorm_src 0
		.amdhsa_exception_fp_ieee_div_zero 0
		.amdhsa_exception_fp_ieee_overflow 0
		.amdhsa_exception_fp_ieee_underflow 0
		.amdhsa_exception_fp_ieee_inexact 0
		.amdhsa_exception_int_div_zero 0
	.end_amdhsa_kernel
	.section	.text._ZN9rocsolver6v33100L18getri_kernel_smallILi54E19rocblas_complex_numIdEPKPS3_EEvT1_iilPiilS8_bb,"axG",@progbits,_ZN9rocsolver6v33100L18getri_kernel_smallILi54E19rocblas_complex_numIdEPKPS3_EEvT1_iilPiilS8_bb,comdat
.Lfunc_end117:
	.size	_ZN9rocsolver6v33100L18getri_kernel_smallILi54E19rocblas_complex_numIdEPKPS3_EEvT1_iilPiilS8_bb, .Lfunc_end117-_ZN9rocsolver6v33100L18getri_kernel_smallILi54E19rocblas_complex_numIdEPKPS3_EEvT1_iilPiilS8_bb
                                        ; -- End function
	.set _ZN9rocsolver6v33100L18getri_kernel_smallILi54E19rocblas_complex_numIdEPKPS3_EEvT1_iilPiilS8_bb.num_vgpr, 256
	.set _ZN9rocsolver6v33100L18getri_kernel_smallILi54E19rocblas_complex_numIdEPKPS3_EEvT1_iilPiilS8_bb.num_agpr, 144
	.set _ZN9rocsolver6v33100L18getri_kernel_smallILi54E19rocblas_complex_numIdEPKPS3_EEvT1_iilPiilS8_bb.numbered_sgpr, 91
	.set _ZN9rocsolver6v33100L18getri_kernel_smallILi54E19rocblas_complex_numIdEPKPS3_EEvT1_iilPiilS8_bb.num_named_barrier, 0
	.set _ZN9rocsolver6v33100L18getri_kernel_smallILi54E19rocblas_complex_numIdEPKPS3_EEvT1_iilPiilS8_bb.private_seg_size, 896
	.set _ZN9rocsolver6v33100L18getri_kernel_smallILi54E19rocblas_complex_numIdEPKPS3_EEvT1_iilPiilS8_bb.uses_vcc, 1
	.set _ZN9rocsolver6v33100L18getri_kernel_smallILi54E19rocblas_complex_numIdEPKPS3_EEvT1_iilPiilS8_bb.uses_flat_scratch, 0
	.set _ZN9rocsolver6v33100L18getri_kernel_smallILi54E19rocblas_complex_numIdEPKPS3_EEvT1_iilPiilS8_bb.has_dyn_sized_stack, 0
	.set _ZN9rocsolver6v33100L18getri_kernel_smallILi54E19rocblas_complex_numIdEPKPS3_EEvT1_iilPiilS8_bb.has_recursion, 0
	.set _ZN9rocsolver6v33100L18getri_kernel_smallILi54E19rocblas_complex_numIdEPKPS3_EEvT1_iilPiilS8_bb.has_indirect_call, 0
	.section	.AMDGPU.csdata,"",@progbits
; Kernel info:
; codeLenInByte = 123112
; TotalNumSgprs: 97
; NumVgprs: 256
; NumAgprs: 144
; TotalNumVgprs: 400
; ScratchSize: 896
; MemoryBound: 0
; FloatMode: 240
; IeeeMode: 1
; LDSByteSize: 1736 bytes/workgroup (compile time only)
; SGPRBlocks: 12
; VGPRBlocks: 49
; NumSGPRsForWavesPerEU: 97
; NumVGPRsForWavesPerEU: 400
; AccumOffset: 256
; Occupancy: 1
; WaveLimiterHint : 1
; COMPUTE_PGM_RSRC2:SCRATCH_EN: 1
; COMPUTE_PGM_RSRC2:USER_SGPR: 2
; COMPUTE_PGM_RSRC2:TRAP_HANDLER: 0
; COMPUTE_PGM_RSRC2:TGID_X_EN: 1
; COMPUTE_PGM_RSRC2:TGID_Y_EN: 0
; COMPUTE_PGM_RSRC2:TGID_Z_EN: 0
; COMPUTE_PGM_RSRC2:TIDIG_COMP_CNT: 0
; COMPUTE_PGM_RSRC3_GFX90A:ACCUM_OFFSET: 63
; COMPUTE_PGM_RSRC3_GFX90A:TG_SPLIT: 0
	.section	.text._ZN9rocsolver6v33100L18getri_kernel_smallILi55E19rocblas_complex_numIdEPKPS3_EEvT1_iilPiilS8_bb,"axG",@progbits,_ZN9rocsolver6v33100L18getri_kernel_smallILi55E19rocblas_complex_numIdEPKPS3_EEvT1_iilPiilS8_bb,comdat
	.globl	_ZN9rocsolver6v33100L18getri_kernel_smallILi55E19rocblas_complex_numIdEPKPS3_EEvT1_iilPiilS8_bb ; -- Begin function _ZN9rocsolver6v33100L18getri_kernel_smallILi55E19rocblas_complex_numIdEPKPS3_EEvT1_iilPiilS8_bb
	.p2align	8
	.type	_ZN9rocsolver6v33100L18getri_kernel_smallILi55E19rocblas_complex_numIdEPKPS3_EEvT1_iilPiilS8_bb,@function
_ZN9rocsolver6v33100L18getri_kernel_smallILi55E19rocblas_complex_numIdEPKPS3_EEvT1_iilPiilS8_bb: ; @_ZN9rocsolver6v33100L18getri_kernel_smallILi55E19rocblas_complex_numIdEPKPS3_EEvT1_iilPiilS8_bb
; %bb.0:
	v_mov_b32_e32 v240, v0
	v_cmp_gt_u32_e32 vcc, 55, v240
	s_and_saveexec_b64 s[4:5], vcc
	s_cbranch_execz .LBB118_234
; %bb.1:
	s_load_dword s14, s[0:1], 0x38
	s_load_dwordx2 s[8:9], s[0:1], 0x0
	s_load_dwordx4 s[4:7], s[0:1], 0x28
	s_waitcnt lgkmcnt(0)
	s_bitcmp1_b32 s14, 8
	s_cselect_b64 s[10:11], -1, 0
	s_ashr_i32 s3, s2, 31
	s_lshl_b64 s[12:13], s[2:3], 3
	s_add_u32 s8, s8, s12
	s_addc_u32 s9, s9, s13
	s_load_dwordx2 s[12:13], s[8:9], 0x0
	s_bfe_u32 s8, s14, 0x10008
	s_cmp_eq_u32 s8, 0
                                        ; implicit-def: $sgpr8_sgpr9
	s_cbranch_scc1 .LBB118_3
; %bb.2:
	s_load_dword s8, s[0:1], 0x20
	s_load_dwordx2 s[14:15], s[0:1], 0x18
	s_mul_i32 s9, s4, s3
	s_mul_hi_u32 s16, s4, s2
	s_add_i32 s16, s16, s9
	s_mul_i32 s5, s5, s2
	s_add_i32 s5, s16, s5
	s_mul_i32 s4, s4, s2
	s_waitcnt lgkmcnt(0)
	s_ashr_i32 s9, s8, 31
	s_lshl_b64 s[4:5], s[4:5], 2
	s_add_u32 s14, s14, s4
	s_addc_u32 s15, s15, s5
	s_lshl_b64 s[4:5], s[8:9], 2
	s_add_u32 s8, s14, s4
	s_addc_u32 s9, s15, s5
.LBB118_3:
	s_load_dwordx2 s[4:5], s[0:1], 0x8
	s_load_dword s14, s[0:1], 0x38
	v_lshlrev_b32_e32 v14, 4, v240
	v_mov_b32_e32 v15, 0
	s_movk_i32 s15, 0x80
	s_waitcnt lgkmcnt(0)
	s_ashr_i32 s1, s4, 31
	s_mov_b32 s0, s4
	s_lshl_b64 s[0:1], s[0:1], 4
	s_add_u32 s0, s12, s0
	s_addc_u32 s1, s13, s1
	v_lshl_add_u64 v[0:1], s[0:1], 0, v[14:15]
	flat_load_dwordx4 v[2:5], v[0:1]
	s_mov_b32 s12, s5
	s_ashr_i32 s13, s5, 31
	v_accvgpr_write_b32 a0, v0
	v_accvgpr_write_b32 a1, v1
	v_lshl_add_u64 v[0:1], s[12:13], 4, v[0:1]
	s_add_i32 s4, s5, s5
	v_add_u32_e32 v6, s4, v240
	v_accvgpr_write_b32 a3, v1
	v_ashrrev_i32_e32 v7, 31, v6
	v_accvgpr_write_b32 a2, v0
	s_movk_i32 s4, 0x50
	s_movk_i32 s12, 0x60
	;; [unrolled: 1-line block ×46, first 2 shown]
	s_add_i32 s66, s4, 16
	s_add_i32 s65, s12, 16
	;; [unrolled: 1-line block ×23, first 2 shown]
	s_waitcnt vmcnt(0) lgkmcnt(0)
	scratch_store_dwordx4 off, v[2:5], off offset:16
	flat_load_dwordx4 v[2:5], v[0:1]
	v_lshl_add_u64 v[0:1], v[6:7], 4, s[0:1]
	v_add_u32_e32 v6, s5, v6
	v_accvgpr_write_b32 a5, v1
	v_ashrrev_i32_e32 v7, 31, v6
	v_accvgpr_write_b32 a4, v0
	s_add_i32 s43, s36, 16
	s_add_i32 s42, s37, 16
	;; [unrolled: 1-line block ×24, first 2 shown]
	s_mov_b32 s70, 32
	s_mov_b32 s69, 48
	;; [unrolled: 1-line block ×3, first 2 shown]
	s_movk_i32 s67, 0x50
	s_waitcnt vmcnt(0) lgkmcnt(0)
	scratch_store_dwordx4 off, v[2:5], off offset:32
	flat_load_dwordx4 v[2:5], v[0:1]
	v_lshl_add_u64 v[0:1], v[6:7], 4, s[0:1]
	v_add_u32_e32 v6, s5, v6
	v_accvgpr_write_b32 a7, v1
	v_ashrrev_i32_e32 v7, 31, v6
	v_accvgpr_write_b32 a6, v0
	s_waitcnt vmcnt(0) lgkmcnt(0)
	scratch_store_dwordx4 off, v[2:5], off offset:48
	flat_load_dwordx4 v[2:5], v[0:1]
	v_lshl_add_u64 v[0:1], v[6:7], 4, s[0:1]
	v_add_u32_e32 v6, s5, v6
	v_accvgpr_write_b32 a9, v1
	v_ashrrev_i32_e32 v7, 31, v6
	v_accvgpr_write_b32 a8, v0
	;; [unrolled: 8-line block ×51, first 2 shown]
	s_movk_i32 s5, 0x210
	s_add_i32 s38, s5, 16
	s_mov_b64 s[4:5], -1
	s_waitcnt vmcnt(0) lgkmcnt(0)
	scratch_store_dwordx4 off, v[2:5], off offset:848
	flat_load_dwordx4 v[2:5], v[0:1]
	v_lshl_add_u64 v[0:1], v[6:7], 4, s[0:1]
	s_movk_i32 s0, 0x1f0
	s_movk_i32 s1, 0x200
	v_accvgpr_write_b32 a109, v1
	s_add_i32 s40, s0, 16
	s_add_i32 s39, s1, 16
	v_accvgpr_write_b32 a108, v0
	s_bitcmp0_b32 s14, 0
	s_waitcnt vmcnt(0) lgkmcnt(0)
	scratch_store_dwordx4 off, v[2:5], off offset:864
	flat_load_dwordx4 v[2:5], v[0:1]
	s_waitcnt vmcnt(0) lgkmcnt(0)
	scratch_store_dwordx4 off, v[2:5], off offset:880
	s_cbranch_scc1 .LBB118_232
; %bb.4:
	v_cmp_eq_u32_e64 s[0:1], 0, v240
	s_and_saveexec_b64 s[4:5], s[0:1]
; %bb.5:
	v_mov_b32_e32 v0, 0
	ds_write_b32 v0, v0 offset:1760
; %bb.6:
	s_or_b64 exec, exec, s[4:5]
	s_waitcnt lgkmcnt(0)
	; wave barrier
	scratch_load_dwordx4 v[2:5], v14, off offset:16
	s_waitcnt vmcnt(0)
	v_cmp_eq_f64_e32 vcc, 0, v[2:3]
	v_cmp_eq_f64_e64 s[4:5], 0, v[4:5]
	s_and_b64 s[4:5], vcc, s[4:5]
	s_and_saveexec_b64 s[12:13], s[4:5]
	s_cbranch_execz .LBB118_10
; %bb.7:
	v_mov_b32_e32 v1, 0
	ds_read_b32 v0, v1 offset:1760
	v_add_u32_e32 v2, 1, v240
	s_waitcnt lgkmcnt(0)
	v_readfirstlane_b32 s4, v0
	s_cmp_eq_u32 s4, 0
	s_cselect_b64 s[14:15], -1, 0
	v_cmp_gt_i32_e32 vcc, s4, v2
	s_or_b64 s[14:15], s[14:15], vcc
	s_and_b64 exec, exec, s[14:15]
	s_cbranch_execz .LBB118_10
; %bb.8:
	s_mov_b64 s[14:15], 0
	v_mov_b32_e32 v3, s4
.LBB118_9:                              ; =>This Inner Loop Header: Depth=1
	ds_cmpst_rtn_b32 v3, v1, v3, v2 offset:1760
	s_waitcnt lgkmcnt(0)
	v_cmp_ne_u32_e32 vcc, 0, v3
	v_cmp_le_i32_e64 s[4:5], v3, v2
	s_and_b64 s[4:5], vcc, s[4:5]
	s_and_b64 s[4:5], exec, s[4:5]
	s_or_b64 s[14:15], s[4:5], s[14:15]
	s_andn2_b64 exec, exec, s[14:15]
	s_cbranch_execnz .LBB118_9
.LBB118_10:
	s_or_b64 exec, exec, s[12:13]
	v_mov_b32_e32 v2, 0
	; wave barrier
	ds_read_b32 v1, v2 offset:1760
	s_and_saveexec_b64 s[4:5], s[0:1]
	s_cbranch_execz .LBB118_12
; %bb.11:
	s_lshl_b64 s[12:13], s[2:3], 2
	s_add_u32 s12, s6, s12
	s_addc_u32 s13, s7, s13
	s_waitcnt lgkmcnt(0)
	global_store_dword v2, v1, s[12:13]
.LBB118_12:
	s_or_b64 exec, exec, s[4:5]
	s_waitcnt lgkmcnt(0)
	v_cmp_ne_u32_e32 vcc, 0, v1
	s_mov_b64 s[4:5], 0
	s_cbranch_vccnz .LBB118_232
; %bb.13:
	v_add_u32_e32 v15, 16, v14
	scratch_load_dwordx4 v[2:5], v15, off
                                        ; implicit-def: $vgpr6_vgpr7
                                        ; implicit-def: $vgpr10_vgpr11
	s_waitcnt vmcnt(0)
	v_cmp_ngt_f64_e64 s[4:5], |v[2:3]|, |v[4:5]|
	s_and_saveexec_b64 s[12:13], s[4:5]
	s_xor_b64 s[4:5], exec, s[12:13]
	s_cbranch_execz .LBB118_15
; %bb.14:
	v_div_scale_f64 v[6:7], s[12:13], v[4:5], v[4:5], v[2:3]
	v_rcp_f64_e32 v[8:9], v[6:7]
	v_div_scale_f64 v[10:11], vcc, v[2:3], v[4:5], v[2:3]
	v_fma_f64 v[12:13], -v[6:7], v[8:9], 1.0
	v_fmac_f64_e32 v[8:9], v[8:9], v[12:13]
	v_fma_f64 v[12:13], -v[6:7], v[8:9], 1.0
	v_fmac_f64_e32 v[8:9], v[8:9], v[12:13]
	v_mul_f64 v[12:13], v[10:11], v[8:9]
	v_fma_f64 v[6:7], -v[6:7], v[12:13], v[10:11]
	v_div_fmas_f64 v[6:7], v[6:7], v[8:9], v[12:13]
	v_div_fixup_f64 v[6:7], v[6:7], v[4:5], v[2:3]
	v_fmac_f64_e32 v[4:5], v[2:3], v[6:7]
	v_div_scale_f64 v[2:3], s[12:13], v[4:5], v[4:5], 1.0
	v_rcp_f64_e32 v[8:9], v[2:3]
	s_nop 0
	v_fma_f64 v[10:11], -v[2:3], v[8:9], 1.0
	v_fmac_f64_e32 v[8:9], v[8:9], v[10:11]
	v_fma_f64 v[10:11], -v[2:3], v[8:9], 1.0
	v_fmac_f64_e32 v[8:9], v[8:9], v[10:11]
	v_div_scale_f64 v[10:11], vcc, 1.0, v[4:5], 1.0
	v_mul_f64 v[12:13], v[10:11], v[8:9]
	v_fma_f64 v[2:3], -v[2:3], v[12:13], v[10:11]
	s_nop 1
	v_div_fmas_f64 v[2:3], v[2:3], v[8:9], v[12:13]
	v_div_fixup_f64 v[8:9], v[2:3], v[4:5], 1.0
	v_mul_f64 v[6:7], v[6:7], v[8:9]
	v_xor_b32_e32 v9, 0x80000000, v9
	v_xor_b32_e32 v11, 0x80000000, v7
	v_mov_b32_e32 v10, v6
                                        ; implicit-def: $vgpr2_vgpr3
.LBB118_15:
	s_andn2_saveexec_b64 s[4:5], s[4:5]
	s_cbranch_execz .LBB118_17
; %bb.16:
	v_div_scale_f64 v[6:7], s[12:13], v[2:3], v[2:3], v[4:5]
	v_rcp_f64_e32 v[8:9], v[6:7]
	v_div_scale_f64 v[10:11], vcc, v[4:5], v[2:3], v[4:5]
	v_fma_f64 v[12:13], -v[6:7], v[8:9], 1.0
	v_fmac_f64_e32 v[8:9], v[8:9], v[12:13]
	v_fma_f64 v[12:13], -v[6:7], v[8:9], 1.0
	v_fmac_f64_e32 v[8:9], v[8:9], v[12:13]
	v_mul_f64 v[12:13], v[10:11], v[8:9]
	v_fma_f64 v[6:7], -v[6:7], v[12:13], v[10:11]
	v_div_fmas_f64 v[6:7], v[6:7], v[8:9], v[12:13]
	v_div_fixup_f64 v[8:9], v[6:7], v[2:3], v[4:5]
	v_fmac_f64_e32 v[2:3], v[4:5], v[8:9]
	v_div_scale_f64 v[4:5], s[12:13], v[2:3], v[2:3], 1.0
	v_rcp_f64_e32 v[6:7], v[4:5]
	s_nop 0
	v_fma_f64 v[10:11], -v[4:5], v[6:7], 1.0
	v_fmac_f64_e32 v[6:7], v[6:7], v[10:11]
	v_fma_f64 v[10:11], -v[4:5], v[6:7], 1.0
	v_fmac_f64_e32 v[6:7], v[6:7], v[10:11]
	v_div_scale_f64 v[10:11], vcc, 1.0, v[2:3], 1.0
	v_mul_f64 v[12:13], v[10:11], v[6:7]
	v_fma_f64 v[4:5], -v[4:5], v[12:13], v[10:11]
	s_nop 1
	v_div_fmas_f64 v[4:5], v[4:5], v[6:7], v[12:13]
	v_div_fixup_f64 v[6:7], v[4:5], v[2:3], 1.0
	v_xor_b32_e32 v11, 0x80000000, v7
	v_mov_b32_e32 v10, v6
	v_mul_f64 v[8:9], v[8:9], -v[6:7]
.LBB118_17:
	s_or_b64 exec, exec, s[4:5]
	scratch_store_dwordx4 v15, v[6:9], off
	scratch_load_dwordx4 v[2:5], off, s70
	v_xor_b32_e32 v13, 0x80000000, v9
	v_mov_b32_e32 v12, v8
	v_add_u32_e32 v1, 0x370, v14
	ds_write_b128 v14, v[10:13]
	s_waitcnt vmcnt(0)
	ds_write_b128 v14, v[2:5] offset:880
	s_waitcnt lgkmcnt(0)
	; wave barrier
	s_and_saveexec_b64 s[4:5], s[0:1]
	s_cbranch_execz .LBB118_19
; %bb.18:
	scratch_load_dwordx4 v[6:9], v15, off
	ds_read_b128 v[2:5], v1
	v_mov_b32_e32 v0, 0
	s_waitcnt vmcnt(0) lgkmcnt(0)
	v_mul_f64 v[10:11], v[4:5], v[8:9]
	v_fma_f64 v[10:11], v[2:3], v[6:7], -v[10:11]
	v_mul_f64 v[2:3], v[2:3], v[8:9]
	v_fmac_f64_e32 v[2:3], v[4:5], v[6:7]
	v_add_f64 v[8:9], v[10:11], 0
	v_add_f64 v[10:11], v[2:3], 0
	ds_read_b128 v[2:5], v0 offset:16
	s_waitcnt lgkmcnt(0)
	v_mul_f64 v[6:7], v[10:11], v[4:5]
	v_fma_f64 v[6:7], v[8:9], v[2:3], -v[6:7]
	v_mul_f64 v[8:9], v[8:9], v[4:5]
	v_fmac_f64_e32 v[8:9], v[10:11], v[2:3]
	scratch_store_dwordx4 off, v[6:9], off offset:32
.LBB118_19:
	s_or_b64 exec, exec, s[4:5]
	; wave barrier
	scratch_load_dwordx4 v[2:5], off, s69
	v_cmp_gt_u32_e32 vcc, 2, v240
	s_waitcnt vmcnt(0)
	ds_write_b128 v1, v[2:5]
	s_waitcnt lgkmcnt(0)
	; wave barrier
	s_and_saveexec_b64 s[4:5], vcc
	s_cbranch_execz .LBB118_23
; %bb.20:
	scratch_load_dwordx4 v[2:5], v15, off
	ds_read_b128 v[6:9], v1
	s_waitcnt vmcnt(0) lgkmcnt(0)
	v_mul_f64 v[10:11], v[8:9], v[4:5]
	v_mul_f64 v[12:13], v[6:7], v[4:5]
	v_fma_f64 v[4:5], v[6:7], v[2:3], -v[10:11]
	v_fmac_f64_e32 v[12:13], v[8:9], v[2:3]
	v_add_f64 v[4:5], v[4:5], 0
	v_add_f64 v[2:3], v[12:13], 0
	s_and_saveexec_b64 s[12:13], s[0:1]
	s_cbranch_execz .LBB118_22
; %bb.21:
	scratch_load_dwordx4 v[10:13], off, off offset:32
	v_mov_b32_e32 v0, 0
	ds_read_b128 v[6:9], v0 offset:896
	s_waitcnt vmcnt(0) lgkmcnt(0)
	v_mul_f64 v[16:17], v[6:7], v[12:13]
	v_fmac_f64_e32 v[16:17], v[8:9], v[10:11]
	v_mul_f64 v[8:9], v[8:9], v[12:13]
	v_fma_f64 v[6:7], v[6:7], v[10:11], -v[8:9]
	v_add_f64 v[2:3], v[2:3], v[16:17]
	v_add_f64 v[4:5], v[4:5], v[6:7]
.LBB118_22:
	s_or_b64 exec, exec, s[12:13]
	v_mov_b32_e32 v0, 0
	ds_read_b128 v[6:9], v0 offset:32
	s_waitcnt lgkmcnt(0)
	v_mul_f64 v[12:13], v[2:3], v[8:9]
	v_mul_f64 v[10:11], v[4:5], v[8:9]
	v_fma_f64 v[8:9], v[4:5], v[6:7], -v[12:13]
	v_fmac_f64_e32 v[10:11], v[2:3], v[6:7]
	scratch_store_dwordx4 off, v[8:11], off offset:48
.LBB118_23:
	s_or_b64 exec, exec, s[4:5]
	; wave barrier
	scratch_load_dwordx4 v[2:5], off, s68
	v_cmp_gt_u32_e32 vcc, 3, v240
	v_add_u32_e32 v6, -1, v240
	s_waitcnt vmcnt(0)
	ds_write_b128 v1, v[2:5]
	s_waitcnt lgkmcnt(0)
	; wave barrier
	s_and_saveexec_b64 s[0:1], vcc
	s_cbranch_execz .LBB118_27
; %bb.24:
	v_add_u32_e32 v7, -1, v240
	v_add_u32_e32 v8, 0x370, v14
	v_add_u32_e32 v9, 16, v14
	v_mov_b64_e32 v[2:3], 0
	s_mov_b64 s[4:5], 0
	v_mov_b64_e32 v[4:5], 0
.LBB118_25:                             ; =>This Inner Loop Header: Depth=1
	scratch_load_dwordx4 v[10:13], v9, off
	ds_read_b128 v[16:19], v8
	v_add_u32_e32 v7, 1, v7
	v_cmp_lt_u32_e32 vcc, 1, v7
	v_add_u32_e32 v8, 16, v8
	v_add_u32_e32 v9, 16, v9
	s_or_b64 s[4:5], vcc, s[4:5]
	s_waitcnt vmcnt(0) lgkmcnt(0)
	v_mul_f64 v[20:21], v[18:19], v[12:13]
	v_mul_f64 v[12:13], v[16:17], v[12:13]
	v_fma_f64 v[16:17], v[16:17], v[10:11], -v[20:21]
	v_fmac_f64_e32 v[12:13], v[18:19], v[10:11]
	v_add_f64 v[4:5], v[4:5], v[16:17]
	v_add_f64 v[2:3], v[2:3], v[12:13]
	s_andn2_b64 exec, exec, s[4:5]
	s_cbranch_execnz .LBB118_25
; %bb.26:
	s_or_b64 exec, exec, s[4:5]
	v_mov_b32_e32 v0, 0
	ds_read_b128 v[8:11], v0 offset:48
	s_waitcnt lgkmcnt(0)
	v_mul_f64 v[16:17], v[2:3], v[10:11]
	v_mul_f64 v[12:13], v[4:5], v[10:11]
	v_fma_f64 v[10:11], v[4:5], v[8:9], -v[16:17]
	v_fmac_f64_e32 v[12:13], v[2:3], v[8:9]
	scratch_store_dwordx4 off, v[10:13], off offset:64
.LBB118_27:
	s_or_b64 exec, exec, s[0:1]
	; wave barrier
	scratch_load_dwordx4 v[2:5], off, s67
	v_cmp_gt_u32_e32 vcc, 4, v240
	s_waitcnt vmcnt(0)
	ds_write_b128 v1, v[2:5]
	s_waitcnt lgkmcnt(0)
	; wave barrier
	s_and_saveexec_b64 s[0:1], vcc
	s_cbranch_execz .LBB118_31
; %bb.28:
	v_add_u32_e32 v7, -1, v240
	v_add_u32_e32 v8, 0x370, v14
	v_add_u32_e32 v9, 16, v14
	v_mov_b64_e32 v[2:3], 0
	s_mov_b64 s[4:5], 0
	v_mov_b64_e32 v[4:5], 0
.LBB118_29:                             ; =>This Inner Loop Header: Depth=1
	scratch_load_dwordx4 v[10:13], v9, off
	ds_read_b128 v[16:19], v8
	v_add_u32_e32 v7, 1, v7
	v_cmp_lt_u32_e32 vcc, 2, v7
	v_add_u32_e32 v8, 16, v8
	v_add_u32_e32 v9, 16, v9
	s_or_b64 s[4:5], vcc, s[4:5]
	s_waitcnt vmcnt(0) lgkmcnt(0)
	v_mul_f64 v[20:21], v[18:19], v[12:13]
	v_mul_f64 v[12:13], v[16:17], v[12:13]
	v_fma_f64 v[16:17], v[16:17], v[10:11], -v[20:21]
	v_fmac_f64_e32 v[12:13], v[18:19], v[10:11]
	v_add_f64 v[4:5], v[4:5], v[16:17]
	v_add_f64 v[2:3], v[2:3], v[12:13]
	s_andn2_b64 exec, exec, s[4:5]
	s_cbranch_execnz .LBB118_29
; %bb.30:
	s_or_b64 exec, exec, s[4:5]
	v_mov_b32_e32 v0, 0
	ds_read_b128 v[8:11], v0 offset:64
	s_waitcnt lgkmcnt(0)
	v_mul_f64 v[16:17], v[2:3], v[10:11]
	v_mul_f64 v[12:13], v[4:5], v[10:11]
	v_fma_f64 v[10:11], v[4:5], v[8:9], -v[16:17]
	v_fmac_f64_e32 v[12:13], v[2:3], v[8:9]
	scratch_store_dwordx4 off, v[10:13], off offset:80
.LBB118_31:
	s_or_b64 exec, exec, s[0:1]
	; wave barrier
	scratch_load_dwordx4 v[2:5], off, s66
	v_cmp_gt_u32_e32 vcc, 5, v240
	;; [unrolled: 45-line block ×19, first 2 shown]
	s_waitcnt vmcnt(0)
	ds_write_b128 v1, v[2:5]
	s_waitcnt lgkmcnt(0)
	; wave barrier
	s_and_saveexec_b64 s[0:1], vcc
	s_cbranch_execz .LBB118_103
; %bb.100:
	v_add_u32_e32 v7, -1, v240
	v_add_u32_e32 v8, 0x370, v14
	v_add_u32_e32 v9, 16, v14
	v_mov_b64_e32 v[2:3], 0
	s_mov_b64 s[4:5], 0
	v_mov_b64_e32 v[4:5], 0
.LBB118_101:                            ; =>This Inner Loop Header: Depth=1
	scratch_load_dwordx4 v[10:13], v9, off
	ds_read_b128 v[16:19], v8
	v_add_u32_e32 v7, 1, v7
	v_cmp_lt_u32_e32 vcc, 20, v7
	v_add_u32_e32 v8, 16, v8
	v_add_u32_e32 v9, 16, v9
	s_or_b64 s[4:5], vcc, s[4:5]
	s_waitcnt vmcnt(0) lgkmcnt(0)
	v_mul_f64 v[20:21], v[18:19], v[12:13]
	v_mul_f64 v[12:13], v[16:17], v[12:13]
	v_fma_f64 v[16:17], v[16:17], v[10:11], -v[20:21]
	v_fmac_f64_e32 v[12:13], v[18:19], v[10:11]
	v_add_f64 v[4:5], v[4:5], v[16:17]
	v_add_f64 v[2:3], v[2:3], v[12:13]
	s_andn2_b64 exec, exec, s[4:5]
	s_cbranch_execnz .LBB118_101
; %bb.102:
	s_or_b64 exec, exec, s[4:5]
	v_mov_b32_e32 v0, 0
	ds_read_b128 v[8:11], v0 offset:352
	s_waitcnt lgkmcnt(0)
	v_mul_f64 v[16:17], v[2:3], v[10:11]
	v_mul_f64 v[12:13], v[4:5], v[10:11]
	v_fma_f64 v[10:11], v[4:5], v[8:9], -v[16:17]
	v_fmac_f64_e32 v[12:13], v[2:3], v[8:9]
	scratch_store_dwordx4 off, v[10:13], off offset:368
.LBB118_103:
	s_or_b64 exec, exec, s[0:1]
	; wave barrier
	scratch_load_dwordx4 v[2:5], off, s48
	v_cmp_gt_u32_e32 vcc, 23, v240
	s_waitcnt vmcnt(0)
	ds_write_b128 v1, v[2:5]
	s_waitcnt lgkmcnt(0)
	; wave barrier
	s_and_saveexec_b64 s[0:1], vcc
	s_cbranch_execz .LBB118_107
; %bb.104:
	v_add_u32_e32 v7, -1, v240
	v_add_u32_e32 v8, 0x370, v14
	v_add_u32_e32 v9, 16, v14
	v_mov_b64_e32 v[2:3], 0
	s_mov_b64 s[4:5], 0
	v_mov_b64_e32 v[4:5], 0
.LBB118_105:                            ; =>This Inner Loop Header: Depth=1
	scratch_load_dwordx4 v[10:13], v9, off
	ds_read_b128 v[16:19], v8
	v_add_u32_e32 v7, 1, v7
	v_cmp_lt_u32_e32 vcc, 21, v7
	v_add_u32_e32 v8, 16, v8
	v_add_u32_e32 v9, 16, v9
	s_or_b64 s[4:5], vcc, s[4:5]
	s_waitcnt vmcnt(0) lgkmcnt(0)
	v_mul_f64 v[20:21], v[18:19], v[12:13]
	v_mul_f64 v[12:13], v[16:17], v[12:13]
	v_fma_f64 v[16:17], v[16:17], v[10:11], -v[20:21]
	v_fmac_f64_e32 v[12:13], v[18:19], v[10:11]
	v_add_f64 v[4:5], v[4:5], v[16:17]
	v_add_f64 v[2:3], v[2:3], v[12:13]
	s_andn2_b64 exec, exec, s[4:5]
	s_cbranch_execnz .LBB118_105
; %bb.106:
	s_or_b64 exec, exec, s[4:5]
	v_mov_b32_e32 v0, 0
	ds_read_b128 v[8:11], v0 offset:368
	s_waitcnt lgkmcnt(0)
	v_mul_f64 v[16:17], v[2:3], v[10:11]
	v_mul_f64 v[12:13], v[4:5], v[10:11]
	v_fma_f64 v[10:11], v[4:5], v[8:9], -v[16:17]
	v_fmac_f64_e32 v[12:13], v[2:3], v[8:9]
	scratch_store_dwordx4 off, v[10:13], off offset:384
.LBB118_107:
	s_or_b64 exec, exec, s[0:1]
	; wave barrier
	scratch_load_dwordx4 v[2:5], off, s47
	v_cmp_gt_u32_e32 vcc, 24, v240
	;; [unrolled: 45-line block ×31, first 2 shown]
	s_waitcnt vmcnt(0)
	ds_write_b128 v1, v[2:5]
	s_waitcnt lgkmcnt(0)
	; wave barrier
	s_and_saveexec_b64 s[0:1], vcc
	s_cbranch_execz .LBB118_227
; %bb.224:
	v_add_u32_e32 v7, -1, v240
	v_add_u32_e32 v8, 0x370, v14
	v_add_u32_e32 v9, 16, v14
	v_mov_b64_e32 v[2:3], 0
	s_mov_b64 s[4:5], 0
	v_mov_b64_e32 v[4:5], 0
.LBB118_225:                            ; =>This Inner Loop Header: Depth=1
	scratch_load_dwordx4 v[10:13], v9, off
	ds_read_b128 v[16:19], v8
	v_add_u32_e32 v7, 1, v7
	v_cmp_lt_u32_e32 vcc, 51, v7
	v_add_u32_e32 v8, 16, v8
	v_add_u32_e32 v9, 16, v9
	s_or_b64 s[4:5], vcc, s[4:5]
	s_waitcnt vmcnt(0) lgkmcnt(0)
	v_mul_f64 v[20:21], v[18:19], v[12:13]
	v_mul_f64 v[12:13], v[16:17], v[12:13]
	v_fma_f64 v[16:17], v[16:17], v[10:11], -v[20:21]
	v_fmac_f64_e32 v[12:13], v[18:19], v[10:11]
	v_add_f64 v[4:5], v[4:5], v[16:17]
	v_add_f64 v[2:3], v[2:3], v[12:13]
	s_andn2_b64 exec, exec, s[4:5]
	s_cbranch_execnz .LBB118_225
; %bb.226:
	s_or_b64 exec, exec, s[4:5]
	v_mov_b32_e32 v0, 0
	ds_read_b128 v[8:11], v0 offset:848
	s_waitcnt lgkmcnt(0)
	v_mul_f64 v[16:17], v[2:3], v[10:11]
	v_mul_f64 v[12:13], v[4:5], v[10:11]
	v_fma_f64 v[10:11], v[4:5], v[8:9], -v[16:17]
	v_fmac_f64_e32 v[12:13], v[2:3], v[8:9]
	scratch_store_dwordx4 off, v[10:13], off offset:864
.LBB118_227:
	s_or_b64 exec, exec, s[0:1]
	; wave barrier
	scratch_load_dwordx4 v[2:5], off, s16
	v_cmp_ne_u32_e32 vcc, 54, v240
	s_waitcnt vmcnt(0)
	ds_write_b128 v1, v[2:5]
	s_waitcnt lgkmcnt(0)
	; wave barrier
	s_and_saveexec_b64 s[0:1], vcc
	s_cbranch_execz .LBB118_231
; %bb.228:
	v_add_u32_e32 v1, 0x370, v14
	v_add_u32_e32 v7, 16, v14
	v_mov_b64_e32 v[2:3], 0
	s_mov_b64 s[4:5], 0
	v_mov_b64_e32 v[4:5], 0
.LBB118_229:                            ; =>This Inner Loop Header: Depth=1
	scratch_load_dwordx4 v[8:11], v7, off
	ds_read_b128 v[12:15], v1
	v_add_u32_e32 v6, 1, v6
	v_cmp_lt_u32_e32 vcc, 52, v6
	v_add_u32_e32 v1, 16, v1
	v_add_u32_e32 v7, 16, v7
	s_or_b64 s[4:5], vcc, s[4:5]
	s_waitcnt vmcnt(0) lgkmcnt(0)
	v_mul_f64 v[16:17], v[14:15], v[10:11]
	v_mul_f64 v[10:11], v[12:13], v[10:11]
	v_fma_f64 v[12:13], v[12:13], v[8:9], -v[16:17]
	v_fmac_f64_e32 v[10:11], v[14:15], v[8:9]
	v_add_f64 v[4:5], v[4:5], v[12:13]
	v_add_f64 v[2:3], v[2:3], v[10:11]
	s_andn2_b64 exec, exec, s[4:5]
	s_cbranch_execnz .LBB118_229
; %bb.230:
	s_or_b64 exec, exec, s[4:5]
	v_mov_b32_e32 v0, 0
	ds_read_b128 v[6:9], v0 offset:864
	s_waitcnt lgkmcnt(0)
	v_mul_f64 v[12:13], v[2:3], v[8:9]
	v_mul_f64 v[10:11], v[4:5], v[8:9]
	v_fma_f64 v[8:9], v[4:5], v[6:7], -v[12:13]
	v_fmac_f64_e32 v[10:11], v[2:3], v[6:7]
	scratch_store_dwordx4 off, v[8:11], off offset:880
.LBB118_231:
	s_or_b64 exec, exec, s[0:1]
	s_mov_b64 s[4:5], -1
	; wave barrier
.LBB118_232:
	s_and_b64 vcc, exec, s[4:5]
	s_cbranch_vccz .LBB118_234
; %bb.233:
	s_lshl_b64 s[0:1], s[2:3], 2
	s_add_u32 s0, s6, s0
	s_addc_u32 s1, s7, s1
	v_mov_b32_e32 v0, 0
	global_load_dword v0, v0, s[0:1]
	s_waitcnt vmcnt(0)
	v_cmp_ne_u32_e32 vcc, 0, v0
	s_cbranch_vccz .LBB118_235
.LBB118_234:
	s_endpgm
.LBB118_235:
	v_mov_b32_e32 v0, 0x370
	v_lshl_add_u32 v0, v240, 4, v0
	v_accvgpr_write_b32 a111, v0
	v_cmp_eq_u32_e32 vcc, 54, v240
	s_and_saveexec_b64 s[0:1], vcc
	s_cbranch_execz .LBB118_237
; %bb.236:
	scratch_load_dwordx4 v[2:5], off, s17
	v_mov_b32_e32 v6, 0
	v_mov_b32_e32 v7, v6
	;; [unrolled: 1-line block ×4, first 2 shown]
	v_accvgpr_read_b32 v0, a111
	scratch_store_dwordx4 off, v[6:9], off offset:864
	s_waitcnt vmcnt(1)
	ds_write_b128 v0, v[2:5]
.LBB118_237:
	s_or_b64 exec, exec, s[0:1]
	s_waitcnt lgkmcnt(0)
	; wave barrier
	scratch_load_dwordx4 v[4:7], off, off offset:880
	scratch_load_dwordx4 v[8:11], off, off offset:864
	v_mov_b32_e32 v2, 0
	ds_read_b128 v[12:15], v2 offset:1744
	v_cmp_lt_u32_e32 vcc, 52, v240
	s_waitcnt vmcnt(1) lgkmcnt(0)
	v_mul_f64 v[16:17], v[12:13], v[6:7]
	v_mul_f64 v[6:7], v[14:15], v[6:7]
	v_fmac_f64_e32 v[16:17], v[14:15], v[4:5]
	v_fma_f64 v[4:5], v[12:13], v[4:5], -v[6:7]
	v_add_f64 v[6:7], v[16:17], 0
	v_add_f64 v[4:5], v[4:5], 0
	s_waitcnt vmcnt(0)
	v_add_f64 v[4:5], v[8:9], -v[4:5]
	v_add_f64 v[6:7], v[10:11], -v[6:7]
	scratch_store_dwordx4 off, v[4:7], off offset:864
	s_and_saveexec_b64 s[0:1], vcc
	s_cbranch_execz .LBB118_239
; %bb.238:
	scratch_load_dwordx4 v[6:9], off, s18
	v_mov_b32_e32 v3, v2
	v_mov_b32_e32 v4, v2
	;; [unrolled: 1-line block ×3, first 2 shown]
	v_accvgpr_read_b32 v0, a111
	scratch_store_dwordx4 off, v[2:5], off offset:848
	s_waitcnt vmcnt(1)
	ds_write_b128 v0, v[6:9]
.LBB118_239:
	s_or_b64 exec, exec, s[0:1]
	s_waitcnt lgkmcnt(0)
	; wave barrier
	scratch_load_dwordx4 v[4:7], off, off offset:864
	scratch_load_dwordx4 v[8:11], off, off offset:880
	scratch_load_dwordx4 v[12:15], off, off offset:848
	ds_read_b128 v[16:19], v2 offset:1728
	ds_read_b128 v[20:23], v2 offset:1744
	v_cmp_lt_u32_e32 vcc, 51, v240
	s_waitcnt vmcnt(2) lgkmcnt(1)
	v_mul_f64 v[2:3], v[16:17], v[6:7]
	v_mul_f64 v[6:7], v[18:19], v[6:7]
	s_waitcnt vmcnt(1) lgkmcnt(0)
	v_mul_f64 v[24:25], v[20:21], v[10:11]
	v_mul_f64 v[10:11], v[22:23], v[10:11]
	v_fmac_f64_e32 v[2:3], v[18:19], v[4:5]
	v_fma_f64 v[4:5], v[16:17], v[4:5], -v[6:7]
	v_fmac_f64_e32 v[24:25], v[22:23], v[8:9]
	v_fma_f64 v[6:7], v[20:21], v[8:9], -v[10:11]
	v_add_f64 v[2:3], v[2:3], 0
	v_add_f64 v[4:5], v[4:5], 0
	;; [unrolled: 1-line block ×4, first 2 shown]
	s_waitcnt vmcnt(0)
	v_add_f64 v[2:3], v[12:13], -v[2:3]
	v_add_f64 v[4:5], v[14:15], -v[8:9]
	scratch_store_dwordx4 off, v[2:5], off offset:848
	s_and_saveexec_b64 s[0:1], vcc
	s_cbranch_execz .LBB118_241
; %bb.240:
	scratch_load_dwordx4 v[2:5], off, s19
	v_mov_b32_e32 v6, 0
	v_mov_b32_e32 v7, v6
	;; [unrolled: 1-line block ×4, first 2 shown]
	v_accvgpr_read_b32 v0, a111
	scratch_store_dwordx4 off, v[6:9], off offset:832
	s_waitcnt vmcnt(1)
	ds_write_b128 v0, v[2:5]
.LBB118_241:
	s_or_b64 exec, exec, s[0:1]
	s_waitcnt lgkmcnt(0)
	; wave barrier
	scratch_load_dwordx4 v[4:7], off, off offset:848
	scratch_load_dwordx4 v[8:11], off, off offset:864
	scratch_load_dwordx4 v[12:15], off, off offset:880
	scratch_load_dwordx4 v[16:19], off, off offset:832
	v_mov_b32_e32 v2, 0
	ds_read_b128 v[20:23], v2 offset:1712
	ds_read_b128 v[24:27], v2 offset:1728
	;; [unrolled: 1-line block ×3, first 2 shown]
	v_cmp_lt_u32_e32 vcc, 50, v240
	s_waitcnt vmcnt(3) lgkmcnt(2)
	v_mul_f64 v[32:33], v[20:21], v[6:7]
	v_mul_f64 v[6:7], v[22:23], v[6:7]
	s_waitcnt vmcnt(2) lgkmcnt(1)
	v_mul_f64 v[34:35], v[24:25], v[10:11]
	v_mul_f64 v[10:11], v[26:27], v[10:11]
	v_fmac_f64_e32 v[32:33], v[22:23], v[4:5]
	v_fma_f64 v[4:5], v[20:21], v[4:5], -v[6:7]
	s_waitcnt vmcnt(1) lgkmcnt(0)
	v_mul_f64 v[36:37], v[28:29], v[14:15]
	v_mul_f64 v[14:15], v[30:31], v[14:15]
	v_fmac_f64_e32 v[34:35], v[26:27], v[8:9]
	v_fma_f64 v[6:7], v[24:25], v[8:9], -v[10:11]
	v_add_f64 v[10:11], v[32:33], 0
	v_add_f64 v[4:5], v[4:5], 0
	v_fmac_f64_e32 v[36:37], v[30:31], v[12:13]
	v_fma_f64 v[8:9], v[28:29], v[12:13], -v[14:15]
	v_add_f64 v[10:11], v[10:11], v[34:35]
	v_add_f64 v[4:5], v[4:5], v[6:7]
	;; [unrolled: 1-line block ×4, first 2 shown]
	s_waitcnt vmcnt(0)
	v_add_f64 v[4:5], v[16:17], -v[4:5]
	v_add_f64 v[6:7], v[18:19], -v[6:7]
	scratch_store_dwordx4 off, v[4:7], off offset:832
	s_and_saveexec_b64 s[0:1], vcc
	s_cbranch_execz .LBB118_243
; %bb.242:
	scratch_load_dwordx4 v[6:9], off, s20
	v_mov_b32_e32 v3, v2
	v_mov_b32_e32 v4, v2
	;; [unrolled: 1-line block ×3, first 2 shown]
	v_accvgpr_read_b32 v0, a111
	scratch_store_dwordx4 off, v[2:5], off offset:816
	s_waitcnt vmcnt(1)
	ds_write_b128 v0, v[6:9]
.LBB118_243:
	s_or_b64 exec, exec, s[0:1]
	s_waitcnt lgkmcnt(0)
	; wave barrier
	scratch_load_dwordx4 v[4:7], off, off offset:832
	scratch_load_dwordx4 v[8:11], off, off offset:848
	;; [unrolled: 1-line block ×5, first 2 shown]
	ds_read_b128 v[24:27], v2 offset:1696
	ds_read_b128 v[28:31], v2 offset:1712
	;; [unrolled: 1-line block ×4, first 2 shown]
	v_cmp_lt_u32_e32 vcc, 49, v240
	s_waitcnt vmcnt(4) lgkmcnt(3)
	v_mul_f64 v[2:3], v[24:25], v[6:7]
	v_mul_f64 v[6:7], v[26:27], v[6:7]
	s_waitcnt vmcnt(3) lgkmcnt(2)
	v_mul_f64 v[40:41], v[28:29], v[10:11]
	v_mul_f64 v[10:11], v[30:31], v[10:11]
	v_fmac_f64_e32 v[2:3], v[26:27], v[4:5]
	v_fma_f64 v[4:5], v[24:25], v[4:5], -v[6:7]
	s_waitcnt vmcnt(2) lgkmcnt(1)
	v_mul_f64 v[42:43], v[32:33], v[14:15]
	v_mul_f64 v[14:15], v[34:35], v[14:15]
	v_fmac_f64_e32 v[40:41], v[30:31], v[8:9]
	v_fma_f64 v[6:7], v[28:29], v[8:9], -v[10:11]
	v_add_f64 v[2:3], v[2:3], 0
	v_add_f64 v[4:5], v[4:5], 0
	s_waitcnt vmcnt(1) lgkmcnt(0)
	v_mul_f64 v[44:45], v[36:37], v[18:19]
	v_mul_f64 v[18:19], v[38:39], v[18:19]
	v_fmac_f64_e32 v[42:43], v[34:35], v[12:13]
	v_fma_f64 v[8:9], v[32:33], v[12:13], -v[14:15]
	v_add_f64 v[2:3], v[2:3], v[40:41]
	v_add_f64 v[4:5], v[4:5], v[6:7]
	v_fmac_f64_e32 v[44:45], v[38:39], v[16:17]
	v_fma_f64 v[10:11], v[36:37], v[16:17], -v[18:19]
	v_add_f64 v[2:3], v[2:3], v[42:43]
	v_add_f64 v[4:5], v[4:5], v[8:9]
	;; [unrolled: 1-line block ×4, first 2 shown]
	s_waitcnt vmcnt(0)
	v_add_f64 v[2:3], v[20:21], -v[2:3]
	v_add_f64 v[4:5], v[22:23], -v[6:7]
	scratch_store_dwordx4 off, v[2:5], off offset:816
	s_and_saveexec_b64 s[0:1], vcc
	s_cbranch_execz .LBB118_245
; %bb.244:
	scratch_load_dwordx4 v[2:5], off, s21
	v_mov_b32_e32 v6, 0
	v_mov_b32_e32 v7, v6
	;; [unrolled: 1-line block ×4, first 2 shown]
	v_accvgpr_read_b32 v0, a111
	scratch_store_dwordx4 off, v[6:9], off offset:800
	s_waitcnt vmcnt(1)
	ds_write_b128 v0, v[2:5]
.LBB118_245:
	s_or_b64 exec, exec, s[0:1]
	v_mov_b32_e32 v2, 0
	s_waitcnt lgkmcnt(0)
	; wave barrier
	ds_read_b128 v[4:7], v2 offset:1680
	ds_read_b128 v[8:11], v2 offset:1696
	;; [unrolled: 1-line block ×4, first 2 shown]
	scratch_load_dwordx4 v[20:23], off, off offset:816
	scratch_load_dwordx4 v[40:43], off, off offset:880
	v_cmp_lt_u32_e32 vcc, 48, v240
	s_waitcnt vmcnt(1) lgkmcnt(3)
	v_mul_f64 v[24:25], v[4:5], v[22:23]
	v_fmac_f64_e32 v[24:25], v[6:7], v[20:21]
	v_add_f64 v[28:29], v[24:25], 0
	scratch_load_dwordx4 v[24:27], off, off offset:832
	v_mul_f64 v[6:7], v[6:7], v[22:23]
	v_fma_f64 v[4:5], v[4:5], v[20:21], -v[6:7]
	v_add_f64 v[4:5], v[4:5], 0
	s_waitcnt vmcnt(0) lgkmcnt(2)
	v_mul_f64 v[30:31], v[8:9], v[26:27]
	v_fmac_f64_e32 v[30:31], v[10:11], v[24:25]
	v_add_f64 v[32:33], v[28:29], v[30:31]
	scratch_load_dwordx4 v[28:31], off, off offset:848
	v_mul_f64 v[6:7], v[10:11], v[26:27]
	v_fma_f64 v[6:7], v[8:9], v[24:25], -v[6:7]
	v_add_f64 v[4:5], v[4:5], v[6:7]
	;; [unrolled: 8-line block ×3, first 2 shown]
	s_waitcnt vmcnt(0) lgkmcnt(0)
	v_mul_f64 v[38:39], v[16:17], v[34:35]
	v_fmac_f64_e32 v[38:39], v[18:19], v[32:33]
	v_add_f64 v[44:45], v[36:37], v[38:39]
	ds_read_b128 v[36:39], v2 offset:1744
	v_mul_f64 v[6:7], v[18:19], v[34:35]
	v_fma_f64 v[6:7], v[16:17], v[32:33], -v[6:7]
	v_add_f64 v[4:5], v[4:5], v[6:7]
	s_waitcnt lgkmcnt(0)
	v_mul_f64 v[6:7], v[38:39], v[42:43]
	v_fma_f64 v[6:7], v[36:37], v[40:41], -v[6:7]
	v_add_f64 v[8:9], v[4:5], v[6:7]
	scratch_load_dwordx4 v[4:7], off, off offset:800
	v_mul_f64 v[46:47], v[36:37], v[42:43]
	v_fmac_f64_e32 v[46:47], v[38:39], v[40:41]
	v_add_f64 v[44:45], v[44:45], v[46:47]
	s_waitcnt vmcnt(0)
	v_add_f64 v[4:5], v[4:5], -v[8:9]
	v_add_f64 v[6:7], v[6:7], -v[44:45]
	scratch_store_dwordx4 off, v[4:7], off offset:800
	s_and_saveexec_b64 s[0:1], vcc
	s_cbranch_execz .LBB118_247
; %bb.246:
	scratch_load_dwordx4 v[6:9], off, s22
	v_mov_b32_e32 v3, v2
	v_mov_b32_e32 v4, v2
	;; [unrolled: 1-line block ×3, first 2 shown]
	v_accvgpr_read_b32 v0, a111
	scratch_store_dwordx4 off, v[2:5], off offset:784
	s_waitcnt vmcnt(1)
	ds_write_b128 v0, v[6:9]
.LBB118_247:
	s_or_b64 exec, exec, s[0:1]
	s_waitcnt lgkmcnt(0)
	; wave barrier
	ds_read_b128 v[4:7], v2 offset:1664
	ds_read_b128 v[8:11], v2 offset:1680
	;; [unrolled: 1-line block ×4, first 2 shown]
	scratch_load_dwordx4 v[20:23], off, off offset:800
	scratch_load_dwordx4 v[40:43], off, off offset:864
	v_cmp_lt_u32_e32 vcc, 47, v240
	scratch_load_dwordx4 v[48:51], off, off offset:880
	s_waitcnt vmcnt(2) lgkmcnt(3)
	v_mul_f64 v[24:25], v[4:5], v[22:23]
	v_fmac_f64_e32 v[24:25], v[6:7], v[20:21]
	v_add_f64 v[28:29], v[24:25], 0
	scratch_load_dwordx4 v[24:27], off, off offset:816
	s_waitcnt vmcnt(0) lgkmcnt(2)
	v_mul_f64 v[30:31], v[8:9], v[26:27]
	v_fmac_f64_e32 v[30:31], v[10:11], v[24:25]
	v_add_f64 v[32:33], v[28:29], v[30:31]
	;; [unrolled: 5-line block ×4, first 2 shown]
	ds_read_b128 v[36:39], v2 offset:1728
	s_waitcnt lgkmcnt(0)
	v_mul_f64 v[46:47], v[36:37], v[42:43]
	v_fmac_f64_e32 v[46:47], v[38:39], v[40:41]
	v_add_f64 v[52:53], v[44:45], v[46:47]
	ds_read_b128 v[44:47], v2 offset:1744
	s_waitcnt lgkmcnt(0)
	v_mul_f64 v[2:3], v[44:45], v[50:51]
	v_fmac_f64_e32 v[2:3], v[46:47], v[48:49]
	v_add_f64 v[52:53], v[52:53], v[2:3]
	v_mul_f64 v[2:3], v[6:7], v[22:23]
	v_fma_f64 v[2:3], v[4:5], v[20:21], -v[2:3]
	v_mul_f64 v[4:5], v[10:11], v[26:27]
	v_add_f64 v[2:3], v[2:3], 0
	v_fma_f64 v[4:5], v[8:9], v[24:25], -v[4:5]
	v_add_f64 v[2:3], v[2:3], v[4:5]
	v_mul_f64 v[4:5], v[14:15], v[30:31]
	v_fma_f64 v[4:5], v[12:13], v[28:29], -v[4:5]
	v_add_f64 v[2:3], v[2:3], v[4:5]
	v_mul_f64 v[4:5], v[18:19], v[34:35]
	;; [unrolled: 3-line block ×4, first 2 shown]
	v_fma_f64 v[4:5], v[44:45], v[48:49], -v[4:5]
	v_add_f64 v[6:7], v[2:3], v[4:5]
	scratch_load_dwordx4 v[2:5], off, off offset:784
	s_waitcnt vmcnt(0)
	v_add_f64 v[2:3], v[2:3], -v[6:7]
	v_add_f64 v[4:5], v[4:5], -v[52:53]
	scratch_store_dwordx4 off, v[2:5], off offset:784
	s_and_saveexec_b64 s[0:1], vcc
	s_cbranch_execz .LBB118_249
; %bb.248:
	scratch_load_dwordx4 v[2:5], off, s23
	v_mov_b32_e32 v6, 0
	v_mov_b32_e32 v7, v6
	;; [unrolled: 1-line block ×4, first 2 shown]
	v_accvgpr_read_b32 v0, a111
	scratch_store_dwordx4 off, v[6:9], off offset:768
	s_waitcnt vmcnt(1)
	ds_write_b128 v0, v[2:5]
.LBB118_249:
	s_or_b64 exec, exec, s[0:1]
	s_waitcnt lgkmcnt(0)
	; wave barrier
	scratch_load_dwordx4 v[4:7], off, off offset:784
	scratch_load_dwordx4 v[8:11], off, off offset:800
	;; [unrolled: 1-line block ×8, first 2 shown]
	v_mov_b32_e32 v2, 0
	ds_read_b128 v[36:39], v2 offset:1648
	ds_read_b128 v[40:43], v2 offset:1664
	;; [unrolled: 1-line block ×7, first 2 shown]
	v_cmp_lt_u32_e32 vcc, 46, v240
	s_waitcnt vmcnt(7) lgkmcnt(6)
	v_mul_f64 v[64:65], v[36:37], v[6:7]
	v_mul_f64 v[6:7], v[38:39], v[6:7]
	s_waitcnt vmcnt(6) lgkmcnt(5)
	v_mul_f64 v[66:67], v[40:41], v[10:11]
	s_waitcnt vmcnt(4) lgkmcnt(3)
	v_mul_f64 v[70:71], v[48:49], v[18:19]
	v_mul_f64 v[10:11], v[42:43], v[10:11]
	;; [unrolled: 1-line block ×3, first 2 shown]
	v_fmac_f64_e32 v[64:65], v[38:39], v[4:5]
	v_fma_f64 v[4:5], v[36:37], v[4:5], -v[6:7]
	v_mul_f64 v[68:69], v[44:45], v[14:15]
	v_mul_f64 v[14:15], v[46:47], v[14:15]
	v_fmac_f64_e32 v[66:67], v[42:43], v[8:9]
	v_fma_f64 v[6:7], v[40:41], v[8:9], -v[10:11]
	v_fma_f64 v[10:11], v[48:49], v[16:17], -v[18:19]
	v_add_f64 v[18:19], v[64:65], 0
	v_add_f64 v[4:5], v[4:5], 0
	v_fmac_f64_e32 v[68:69], v[46:47], v[12:13]
	v_fma_f64 v[8:9], v[44:45], v[12:13], -v[14:15]
	v_add_f64 v[18:19], v[18:19], v[66:67]
	v_add_f64 v[4:5], v[4:5], v[6:7]
	s_waitcnt vmcnt(3) lgkmcnt(2)
	v_mul_f64 v[72:73], v[52:53], v[22:23]
	v_mul_f64 v[22:23], v[54:55], v[22:23]
	v_fmac_f64_e32 v[70:71], v[50:51], v[16:17]
	v_add_f64 v[6:7], v[18:19], v[68:69]
	v_add_f64 v[4:5], v[4:5], v[8:9]
	s_waitcnt vmcnt(2) lgkmcnt(1)
	v_mul_f64 v[74:75], v[56:57], v[26:27]
	v_mul_f64 v[26:27], v[58:59], v[26:27]
	v_fmac_f64_e32 v[72:73], v[54:55], v[20:21]
	v_fma_f64 v[12:13], v[52:53], v[20:21], -v[22:23]
	v_add_f64 v[6:7], v[6:7], v[70:71]
	v_add_f64 v[4:5], v[4:5], v[10:11]
	s_waitcnt vmcnt(1) lgkmcnt(0)
	v_mul_f64 v[76:77], v[60:61], v[30:31]
	v_mul_f64 v[30:31], v[62:63], v[30:31]
	v_fmac_f64_e32 v[74:75], v[58:59], v[24:25]
	v_fma_f64 v[14:15], v[56:57], v[24:25], -v[26:27]
	v_add_f64 v[6:7], v[6:7], v[72:73]
	v_add_f64 v[4:5], v[4:5], v[12:13]
	v_fmac_f64_e32 v[76:77], v[62:63], v[28:29]
	v_fma_f64 v[16:17], v[60:61], v[28:29], -v[30:31]
	v_add_f64 v[6:7], v[6:7], v[74:75]
	v_add_f64 v[4:5], v[4:5], v[14:15]
	;; [unrolled: 1-line block ×4, first 2 shown]
	s_waitcnt vmcnt(0)
	v_add_f64 v[4:5], v[32:33], -v[4:5]
	v_add_f64 v[6:7], v[34:35], -v[6:7]
	scratch_store_dwordx4 off, v[4:7], off offset:768
	s_and_saveexec_b64 s[0:1], vcc
	s_cbranch_execz .LBB118_251
; %bb.250:
	scratch_load_dwordx4 v[6:9], off, s24
	v_mov_b32_e32 v3, v2
	v_mov_b32_e32 v4, v2
	;; [unrolled: 1-line block ×3, first 2 shown]
	v_accvgpr_read_b32 v0, a111
	scratch_store_dwordx4 off, v[2:5], off offset:752
	s_waitcnt vmcnt(1)
	ds_write_b128 v0, v[6:9]
.LBB118_251:
	s_or_b64 exec, exec, s[0:1]
	s_waitcnt lgkmcnt(0)
	; wave barrier
	scratch_load_dwordx4 v[4:7], off, off offset:768
	scratch_load_dwordx4 v[8:11], off, off offset:784
	;; [unrolled: 1-line block ×9, first 2 shown]
	ds_read_b128 v[40:43], v2 offset:1632
	ds_read_b128 v[44:47], v2 offset:1648
	;; [unrolled: 1-line block ×8, first 2 shown]
	v_cmp_lt_u32_e32 vcc, 45, v240
	s_waitcnt vmcnt(8) lgkmcnt(7)
	v_mul_f64 v[2:3], v[40:41], v[6:7]
	v_mul_f64 v[6:7], v[42:43], v[6:7]
	s_waitcnt vmcnt(7) lgkmcnt(6)
	v_mul_f64 v[72:73], v[44:45], v[10:11]
	v_mul_f64 v[10:11], v[46:47], v[10:11]
	v_fmac_f64_e32 v[2:3], v[42:43], v[4:5]
	v_fma_f64 v[4:5], v[40:41], v[4:5], -v[6:7]
	s_waitcnt vmcnt(6) lgkmcnt(5)
	v_mul_f64 v[74:75], v[48:49], v[14:15]
	v_mul_f64 v[14:15], v[50:51], v[14:15]
	v_fmac_f64_e32 v[72:73], v[46:47], v[8:9]
	v_fma_f64 v[6:7], v[44:45], v[8:9], -v[10:11]
	v_add_f64 v[2:3], v[2:3], 0
	v_add_f64 v[4:5], v[4:5], 0
	s_waitcnt vmcnt(5) lgkmcnt(4)
	v_mul_f64 v[76:77], v[52:53], v[18:19]
	v_mul_f64 v[18:19], v[54:55], v[18:19]
	v_fmac_f64_e32 v[74:75], v[50:51], v[12:13]
	v_fma_f64 v[8:9], v[48:49], v[12:13], -v[14:15]
	v_add_f64 v[2:3], v[2:3], v[72:73]
	v_add_f64 v[4:5], v[4:5], v[6:7]
	;; [unrolled: 7-line block ×6, first 2 shown]
	v_fmac_f64_e32 v[84:85], v[70:71], v[32:33]
	v_fma_f64 v[18:19], v[68:69], v[32:33], -v[34:35]
	v_add_f64 v[2:3], v[2:3], v[82:83]
	v_add_f64 v[4:5], v[4:5], v[16:17]
	;; [unrolled: 1-line block ×4, first 2 shown]
	s_waitcnt vmcnt(0)
	v_add_f64 v[2:3], v[36:37], -v[2:3]
	v_add_f64 v[4:5], v[38:39], -v[6:7]
	scratch_store_dwordx4 off, v[2:5], off offset:752
	s_and_saveexec_b64 s[0:1], vcc
	s_cbranch_execz .LBB118_253
; %bb.252:
	scratch_load_dwordx4 v[2:5], off, s25
	v_mov_b32_e32 v6, 0
	v_mov_b32_e32 v7, v6
	;; [unrolled: 1-line block ×4, first 2 shown]
	v_accvgpr_read_b32 v0, a111
	scratch_store_dwordx4 off, v[6:9], off offset:736
	s_waitcnt vmcnt(1)
	ds_write_b128 v0, v[2:5]
.LBB118_253:
	s_or_b64 exec, exec, s[0:1]
	s_waitcnt lgkmcnt(0)
	; wave barrier
	scratch_load_dwordx4 v[4:7], off, off offset:752
	scratch_load_dwordx4 v[8:11], off, off offset:768
	scratch_load_dwordx4 v[12:15], off, off offset:784
	scratch_load_dwordx4 v[16:19], off, off offset:800
	scratch_load_dwordx4 v[20:23], off, off offset:816
	scratch_load_dwordx4 v[24:27], off, off offset:832
	scratch_load_dwordx4 v[28:31], off, off offset:848
	scratch_load_dwordx4 v[32:35], off, off offset:864
	scratch_load_dwordx4 v[36:39], off, off offset:880
	scratch_load_dwordx4 v[40:43], off, off offset:736
	v_mov_b32_e32 v2, 0
	ds_read_b128 v[44:47], v2 offset:1616
	ds_read_b128 v[48:51], v2 offset:1632
	;; [unrolled: 1-line block ×9, first 2 shown]
	v_cmp_lt_u32_e32 vcc, 44, v240
	s_waitcnt vmcnt(9) lgkmcnt(8)
	v_mul_f64 v[80:81], v[44:45], v[6:7]
	v_mul_f64 v[6:7], v[46:47], v[6:7]
	s_waitcnt vmcnt(8) lgkmcnt(7)
	v_mul_f64 v[82:83], v[48:49], v[10:11]
	s_waitcnt vmcnt(7) lgkmcnt(6)
	;; [unrolled: 2-line block ×3, first 2 shown]
	v_mul_f64 v[88:89], v[60:61], v[22:23]
	v_mul_f64 v[10:11], v[50:51], v[10:11]
	v_mul_f64 v[14:15], v[54:55], v[14:15]
	v_mul_f64 v[22:23], v[62:63], v[22:23]
	v_fmac_f64_e32 v[80:81], v[46:47], v[4:5]
	v_fma_f64 v[4:5], v[44:45], v[4:5], -v[6:7]
	v_fmac_f64_e32 v[82:83], v[50:51], v[8:9]
	v_fmac_f64_e32 v[84:85], v[54:55], v[12:13]
	v_fma_f64 v[6:7], v[48:49], v[8:9], -v[10:11]
	v_fma_f64 v[8:9], v[52:53], v[12:13], -v[14:15]
	;; [unrolled: 1-line block ×3, first 2 shown]
	v_add_f64 v[22:23], v[80:81], 0
	v_add_f64 v[4:5], v[4:5], 0
	v_mul_f64 v[86:87], v[56:57], v[18:19]
	v_mul_f64 v[18:19], v[58:59], v[18:19]
	v_add_f64 v[22:23], v[22:23], v[82:83]
	v_add_f64 v[4:5], v[4:5], v[6:7]
	v_fmac_f64_e32 v[86:87], v[58:59], v[16:17]
	v_fma_f64 v[10:11], v[56:57], v[16:17], -v[18:19]
	v_add_f64 v[6:7], v[22:23], v[84:85]
	v_add_f64 v[4:5], v[4:5], v[8:9]
	s_waitcnt vmcnt(4) lgkmcnt(3)
	v_mul_f64 v[90:91], v[64:65], v[26:27]
	v_mul_f64 v[26:27], v[66:67], v[26:27]
	v_fmac_f64_e32 v[88:89], v[62:63], v[20:21]
	v_add_f64 v[6:7], v[6:7], v[86:87]
	v_add_f64 v[4:5], v[4:5], v[10:11]
	s_waitcnt vmcnt(3) lgkmcnt(2)
	v_mul_f64 v[92:93], v[68:69], v[30:31]
	v_mul_f64 v[30:31], v[70:71], v[30:31]
	v_fmac_f64_e32 v[90:91], v[66:67], v[24:25]
	v_fma_f64 v[14:15], v[64:65], v[24:25], -v[26:27]
	v_add_f64 v[6:7], v[6:7], v[88:89]
	v_add_f64 v[4:5], v[4:5], v[12:13]
	s_waitcnt vmcnt(2) lgkmcnt(1)
	v_mul_f64 v[94:95], v[72:73], v[34:35]
	v_mul_f64 v[34:35], v[74:75], v[34:35]
	v_fmac_f64_e32 v[92:93], v[70:71], v[28:29]
	v_fma_f64 v[16:17], v[68:69], v[28:29], -v[30:31]
	;; [unrolled: 7-line block ×3, first 2 shown]
	v_add_f64 v[6:7], v[6:7], v[92:93]
	v_add_f64 v[4:5], v[4:5], v[16:17]
	v_fmac_f64_e32 v[96:97], v[78:79], v[36:37]
	v_fma_f64 v[20:21], v[76:77], v[36:37], -v[38:39]
	v_add_f64 v[6:7], v[6:7], v[94:95]
	v_add_f64 v[4:5], v[4:5], v[18:19]
	;; [unrolled: 1-line block ×4, first 2 shown]
	s_waitcnt vmcnt(0)
	v_add_f64 v[4:5], v[40:41], -v[4:5]
	v_add_f64 v[6:7], v[42:43], -v[6:7]
	scratch_store_dwordx4 off, v[4:7], off offset:736
	s_and_saveexec_b64 s[0:1], vcc
	s_cbranch_execz .LBB118_255
; %bb.254:
	scratch_load_dwordx4 v[6:9], off, s26
	v_mov_b32_e32 v3, v2
	v_mov_b32_e32 v4, v2
	;; [unrolled: 1-line block ×3, first 2 shown]
	v_accvgpr_read_b32 v0, a111
	scratch_store_dwordx4 off, v[2:5], off offset:720
	s_waitcnt vmcnt(1)
	ds_write_b128 v0, v[6:9]
.LBB118_255:
	s_or_b64 exec, exec, s[0:1]
	s_waitcnt lgkmcnt(0)
	; wave barrier
	scratch_load_dwordx4 v[4:7], off, off offset:736
	scratch_load_dwordx4 v[8:11], off, off offset:752
	;; [unrolled: 1-line block ×11, first 2 shown]
	ds_read_b128 v[48:51], v2 offset:1600
	ds_read_b128 v[52:55], v2 offset:1616
	;; [unrolled: 1-line block ×10, first 2 shown]
	v_cmp_lt_u32_e32 vcc, 43, v240
	s_waitcnt vmcnt(10) lgkmcnt(9)
	v_mul_f64 v[2:3], v[48:49], v[6:7]
	v_mul_f64 v[6:7], v[50:51], v[6:7]
	s_waitcnt vmcnt(9) lgkmcnt(8)
	v_mul_f64 v[88:89], v[52:53], v[10:11]
	v_mul_f64 v[10:11], v[54:55], v[10:11]
	v_fmac_f64_e32 v[2:3], v[50:51], v[4:5]
	v_fma_f64 v[4:5], v[48:49], v[4:5], -v[6:7]
	s_waitcnt vmcnt(8) lgkmcnt(7)
	v_mul_f64 v[90:91], v[56:57], v[14:15]
	v_mul_f64 v[14:15], v[58:59], v[14:15]
	v_fmac_f64_e32 v[88:89], v[54:55], v[8:9]
	v_fma_f64 v[6:7], v[52:53], v[8:9], -v[10:11]
	v_add_f64 v[2:3], v[2:3], 0
	v_add_f64 v[4:5], v[4:5], 0
	s_waitcnt vmcnt(7) lgkmcnt(6)
	v_mul_f64 v[92:93], v[60:61], v[18:19]
	v_mul_f64 v[18:19], v[62:63], v[18:19]
	v_fmac_f64_e32 v[90:91], v[58:59], v[12:13]
	v_fma_f64 v[8:9], v[56:57], v[12:13], -v[14:15]
	v_add_f64 v[2:3], v[2:3], v[88:89]
	v_add_f64 v[4:5], v[4:5], v[6:7]
	;; [unrolled: 7-line block ×8, first 2 shown]
	v_fmac_f64_e32 v[104:105], v[86:87], v[40:41]
	v_fma_f64 v[22:23], v[84:85], v[40:41], -v[42:43]
	v_add_f64 v[2:3], v[2:3], v[102:103]
	v_add_f64 v[4:5], v[4:5], v[20:21]
	v_add_f64 v[6:7], v[2:3], v[104:105]
	v_add_f64 v[2:3], v[4:5], v[22:23]
	s_waitcnt vmcnt(0)
	v_add_f64 v[2:3], v[44:45], -v[2:3]
	v_add_f64 v[4:5], v[46:47], -v[6:7]
	scratch_store_dwordx4 off, v[2:5], off offset:720
	s_and_saveexec_b64 s[0:1], vcc
	s_cbranch_execz .LBB118_257
; %bb.256:
	scratch_load_dwordx4 v[2:5], off, s27
	v_mov_b32_e32 v6, 0
	v_mov_b32_e32 v7, v6
	;; [unrolled: 1-line block ×4, first 2 shown]
	v_accvgpr_read_b32 v0, a111
	scratch_store_dwordx4 off, v[6:9], off offset:704
	s_waitcnt vmcnt(1)
	ds_write_b128 v0, v[2:5]
.LBB118_257:
	s_or_b64 exec, exec, s[0:1]
	s_waitcnt lgkmcnt(0)
	; wave barrier
	scratch_load_dwordx4 v[4:7], off, off offset:720
	scratch_load_dwordx4 v[8:11], off, off offset:736
	;; [unrolled: 1-line block ×12, first 2 shown]
	v_mov_b32_e32 v2, 0
	ds_read_b128 v[52:55], v2 offset:1584
	ds_read_b128 v[56:59], v2 offset:1600
	;; [unrolled: 1-line block ×11, first 2 shown]
	v_cmp_lt_u32_e32 vcc, 42, v240
	s_waitcnt vmcnt(11) lgkmcnt(10)
	v_mul_f64 v[96:97], v[52:53], v[6:7]
	v_mul_f64 v[6:7], v[54:55], v[6:7]
	s_waitcnt vmcnt(10) lgkmcnt(9)
	v_mul_f64 v[98:99], v[56:57], v[10:11]
	s_waitcnt vmcnt(9) lgkmcnt(8)
	v_mul_f64 v[100:101], v[60:61], v[14:15]
	v_mul_f64 v[10:11], v[58:59], v[10:11]
	s_waitcnt vmcnt(6) lgkmcnt(5)
	v_mul_f64 v[106:107], v[72:73], v[26:27]
	v_mul_f64 v[14:15], v[62:63], v[14:15]
	;; [unrolled: 1-line block ×3, first 2 shown]
	v_fmac_f64_e32 v[96:97], v[54:55], v[4:5]
	v_fma_f64 v[4:5], v[52:53], v[4:5], -v[6:7]
	v_fmac_f64_e32 v[98:99], v[58:59], v[8:9]
	v_fma_f64 v[6:7], v[56:57], v[8:9], -v[10:11]
	v_fma_f64 v[8:9], v[60:61], v[12:13], -v[14:15]
	;; [unrolled: 1-line block ×3, first 2 shown]
	v_add_f64 v[26:27], v[96:97], 0
	v_add_f64 v[4:5], v[4:5], 0
	v_mul_f64 v[102:103], v[64:65], v[18:19]
	v_mul_f64 v[18:19], v[66:67], v[18:19]
	v_fmac_f64_e32 v[100:101], v[62:63], v[12:13]
	v_add_f64 v[26:27], v[26:27], v[98:99]
	v_add_f64 v[4:5], v[4:5], v[6:7]
	v_mul_f64 v[104:105], v[68:69], v[22:23]
	v_mul_f64 v[22:23], v[70:71], v[22:23]
	v_fmac_f64_e32 v[102:103], v[66:67], v[16:17]
	v_fma_f64 v[10:11], v[64:65], v[16:17], -v[18:19]
	v_add_f64 v[6:7], v[26:27], v[100:101]
	v_add_f64 v[4:5], v[4:5], v[8:9]
	v_fmac_f64_e32 v[104:105], v[70:71], v[20:21]
	v_fma_f64 v[12:13], v[68:69], v[20:21], -v[22:23]
	v_add_f64 v[6:7], v[6:7], v[102:103]
	v_add_f64 v[4:5], v[4:5], v[10:11]
	s_waitcnt vmcnt(5) lgkmcnt(4)
	v_mul_f64 v[108:109], v[76:77], v[30:31]
	v_mul_f64 v[30:31], v[78:79], v[30:31]
	v_fmac_f64_e32 v[106:107], v[74:75], v[24:25]
	v_add_f64 v[6:7], v[6:7], v[104:105]
	v_add_f64 v[4:5], v[4:5], v[12:13]
	s_waitcnt vmcnt(4) lgkmcnt(3)
	v_mul_f64 v[110:111], v[80:81], v[34:35]
	v_mul_f64 v[34:35], v[82:83], v[34:35]
	v_fmac_f64_e32 v[108:109], v[78:79], v[28:29]
	v_fma_f64 v[16:17], v[76:77], v[28:29], -v[30:31]
	v_add_f64 v[6:7], v[6:7], v[106:107]
	v_add_f64 v[4:5], v[4:5], v[14:15]
	s_waitcnt vmcnt(3) lgkmcnt(2)
	v_mul_f64 v[112:113], v[84:85], v[38:39]
	v_mul_f64 v[38:39], v[86:87], v[38:39]
	v_fmac_f64_e32 v[110:111], v[82:83], v[32:33]
	v_fma_f64 v[18:19], v[80:81], v[32:33], -v[34:35]
	v_add_f64 v[6:7], v[6:7], v[108:109]
	v_add_f64 v[4:5], v[4:5], v[16:17]
	s_waitcnt vmcnt(2) lgkmcnt(1)
	v_mul_f64 v[114:115], v[88:89], v[42:43]
	v_mul_f64 v[42:43], v[90:91], v[42:43]
	v_fmac_f64_e32 v[112:113], v[86:87], v[36:37]
	v_fma_f64 v[20:21], v[84:85], v[36:37], -v[38:39]
	v_add_f64 v[6:7], v[6:7], v[110:111]
	v_add_f64 v[4:5], v[4:5], v[18:19]
	s_waitcnt vmcnt(1) lgkmcnt(0)
	v_mul_f64 v[116:117], v[92:93], v[46:47]
	v_mul_f64 v[46:47], v[94:95], v[46:47]
	v_fmac_f64_e32 v[114:115], v[90:91], v[40:41]
	v_fma_f64 v[22:23], v[88:89], v[40:41], -v[42:43]
	v_add_f64 v[6:7], v[6:7], v[112:113]
	v_add_f64 v[4:5], v[4:5], v[20:21]
	v_fmac_f64_e32 v[116:117], v[94:95], v[44:45]
	v_fma_f64 v[24:25], v[92:93], v[44:45], -v[46:47]
	v_add_f64 v[6:7], v[6:7], v[114:115]
	v_add_f64 v[4:5], v[4:5], v[22:23]
	;; [unrolled: 1-line block ×4, first 2 shown]
	s_waitcnt vmcnt(0)
	v_add_f64 v[4:5], v[48:49], -v[4:5]
	v_add_f64 v[6:7], v[50:51], -v[6:7]
	scratch_store_dwordx4 off, v[4:7], off offset:704
	s_and_saveexec_b64 s[0:1], vcc
	s_cbranch_execz .LBB118_259
; %bb.258:
	scratch_load_dwordx4 v[6:9], off, s28
	v_mov_b32_e32 v3, v2
	v_mov_b32_e32 v4, v2
	;; [unrolled: 1-line block ×3, first 2 shown]
	v_accvgpr_read_b32 v0, a111
	scratch_store_dwordx4 off, v[2:5], off offset:688
	s_waitcnt vmcnt(1)
	ds_write_b128 v0, v[6:9]
.LBB118_259:
	s_or_b64 exec, exec, s[0:1]
	s_waitcnt lgkmcnt(0)
	; wave barrier
	scratch_load_dwordx4 v[4:7], off, off offset:704
	scratch_load_dwordx4 v[8:11], off, off offset:720
	;; [unrolled: 1-line block ×12, first 2 shown]
	ds_read_b128 v[52:55], v2 offset:1568
	ds_read_b128 v[56:59], v2 offset:1584
	ds_read_b128 v[60:63], v2 offset:1600
	ds_read_b128 v[64:67], v2 offset:1616
	scratch_load_dwordx4 v[68:71], off, off offset:688
	ds_read_b128 v[72:75], v2 offset:1632
	ds_read_b128 v[76:79], v2 offset:1648
	;; [unrolled: 1-line block ×8, first 2 shown]
	v_cmp_lt_u32_e32 vcc, 41, v240
	s_waitcnt vmcnt(12) lgkmcnt(11)
	v_mul_f64 v[2:3], v[52:53], v[6:7]
	s_waitcnt vmcnt(11) lgkmcnt(10)
	v_mul_f64 v[104:105], v[56:57], v[10:11]
	v_fmac_f64_e32 v[2:3], v[54:55], v[4:5]
	s_waitcnt vmcnt(10) lgkmcnt(9)
	v_mul_f64 v[106:107], v[60:61], v[14:15]
	v_mul_f64 v[6:7], v[54:55], v[6:7]
	v_fmac_f64_e32 v[104:105], v[58:59], v[8:9]
	v_add_f64 v[2:3], v[2:3], 0
	s_waitcnt vmcnt(9) lgkmcnt(8)
	v_mul_f64 v[108:109], v[64:65], v[18:19]
	v_mul_f64 v[10:11], v[58:59], v[10:11]
	v_fmac_f64_e32 v[106:107], v[62:63], v[12:13]
	v_fma_f64 v[4:5], v[52:53], v[4:5], -v[6:7]
	v_add_f64 v[2:3], v[2:3], v[104:105]
	s_waitcnt vmcnt(8) lgkmcnt(7)
	v_mul_f64 v[110:111], v[72:73], v[22:23]
	v_mul_f64 v[14:15], v[62:63], v[14:15]
	v_fmac_f64_e32 v[108:109], v[66:67], v[16:17]
	v_fma_f64 v[6:7], v[56:57], v[8:9], -v[10:11]
	v_add_f64 v[4:5], v[4:5], 0
	v_add_f64 v[2:3], v[2:3], v[106:107]
	s_waitcnt vmcnt(7) lgkmcnt(6)
	v_mul_f64 v[112:113], v[76:77], v[26:27]
	v_mul_f64 v[18:19], v[66:67], v[18:19]
	v_fmac_f64_e32 v[110:111], v[74:75], v[20:21]
	v_fma_f64 v[8:9], v[60:61], v[12:13], -v[14:15]
	v_add_f64 v[4:5], v[4:5], v[6:7]
	;; [unrolled: 7-line block ×8, first 2 shown]
	v_add_f64 v[2:3], v[2:3], v[120:121]
	v_mul_f64 v[46:47], v[98:99], v[46:47]
	v_fmac_f64_e32 v[124:125], v[102:103], v[48:49]
	v_fma_f64 v[22:23], v[92:93], v[40:41], -v[42:43]
	v_add_f64 v[4:5], v[4:5], v[20:21]
	v_add_f64 v[2:3], v[2:3], v[122:123]
	;; [unrolled: 1-line block ×4, first 2 shown]
	v_fma_f64 v[2:3], v[96:97], v[44:45], -v[46:47]
	v_add_f64 v[2:3], v[4:5], v[2:3]
	v_mul_f64 v[4:5], v[102:103], v[50:51]
	v_fma_f64 v[4:5], v[100:101], v[48:49], -v[4:5]
	v_add_f64 v[2:3], v[2:3], v[4:5]
	s_waitcnt vmcnt(0)
	v_add_f64 v[2:3], v[68:69], -v[2:3]
	v_add_f64 v[4:5], v[70:71], -v[6:7]
	scratch_store_dwordx4 off, v[2:5], off offset:688
	s_and_saveexec_b64 s[0:1], vcc
	s_cbranch_execz .LBB118_261
; %bb.260:
	scratch_load_dwordx4 v[2:5], off, s29
	v_mov_b32_e32 v6, 0
	v_mov_b32_e32 v7, v6
	;; [unrolled: 1-line block ×4, first 2 shown]
	v_accvgpr_read_b32 v0, a111
	scratch_store_dwordx4 off, v[6:9], off offset:672
	s_waitcnt vmcnt(1)
	ds_write_b128 v0, v[2:5]
.LBB118_261:
	s_or_b64 exec, exec, s[0:1]
	s_waitcnt lgkmcnt(0)
	; wave barrier
	scratch_load_dwordx4 v[4:7], off, off offset:688
	scratch_load_dwordx4 v[8:11], off, off offset:704
	;; [unrolled: 1-line block ×14, first 2 shown]
	v_mov_b32_e32 v2, 0
	ds_read_b128 v[60:63], v2 offset:1552
	ds_read_b128 v[64:67], v2 offset:1568
	;; [unrolled: 1-line block ×13, first 2 shown]
	v_cmp_lt_u32_e32 vcc, 40, v240
	s_waitcnt vmcnt(13) lgkmcnt(12)
	v_mul_f64 v[112:113], v[60:61], v[6:7]
	v_mul_f64 v[6:7], v[62:63], v[6:7]
	s_waitcnt vmcnt(12) lgkmcnt(11)
	v_mul_f64 v[114:115], v[64:65], v[10:11]
	v_mul_f64 v[10:11], v[66:67], v[10:11]
	v_fmac_f64_e32 v[112:113], v[62:63], v[4:5]
	v_fma_f64 v[4:5], v[60:61], v[4:5], -v[6:7]
	s_waitcnt vmcnt(11) lgkmcnt(10)
	v_mul_f64 v[116:117], v[68:69], v[14:15]
	v_mul_f64 v[14:15], v[70:71], v[14:15]
	v_fma_f64 v[6:7], v[64:65], v[8:9], -v[10:11]
	v_add_f64 v[4:5], v[4:5], 0
	s_waitcnt vmcnt(10) lgkmcnt(9)
	v_mul_f64 v[118:119], v[72:73], v[18:19]
	v_mul_f64 v[18:19], v[74:75], v[18:19]
	v_fmac_f64_e32 v[114:115], v[66:67], v[8:9]
	v_fma_f64 v[8:9], v[68:69], v[12:13], -v[14:15]
	v_add_f64 v[4:5], v[4:5], v[6:7]
	s_waitcnt vmcnt(9) lgkmcnt(8)
	v_mul_f64 v[120:121], v[76:77], v[22:23]
	v_mul_f64 v[22:23], v[78:79], v[22:23]
	v_fma_f64 v[10:11], v[72:73], v[16:17], -v[18:19]
	v_add_f64 v[4:5], v[4:5], v[8:9]
	s_waitcnt vmcnt(8) lgkmcnt(7)
	v_mul_f64 v[122:123], v[80:81], v[26:27]
	v_mul_f64 v[26:27], v[82:83], v[26:27]
	v_fmac_f64_e32 v[116:117], v[70:71], v[12:13]
	v_fma_f64 v[12:13], v[76:77], v[20:21], -v[22:23]
	v_add_f64 v[22:23], v[112:113], 0
	v_add_f64 v[4:5], v[4:5], v[10:11]
	s_waitcnt vmcnt(7) lgkmcnt(6)
	v_mul_f64 v[124:125], v[84:85], v[30:31]
	v_mul_f64 v[30:31], v[86:87], v[30:31]
	v_fma_f64 v[14:15], v[80:81], v[24:25], -v[26:27]
	v_add_f64 v[22:23], v[22:23], v[114:115]
	v_add_f64 v[4:5], v[4:5], v[12:13]
	s_waitcnt vmcnt(6) lgkmcnt(5)
	v_mul_f64 v[126:127], v[88:89], v[34:35]
	v_mul_f64 v[34:35], v[90:91], v[34:35]
	v_fmac_f64_e32 v[118:119], v[74:75], v[16:17]
	v_fma_f64 v[16:17], v[84:85], v[28:29], -v[30:31]
	v_add_f64 v[6:7], v[22:23], v[116:117]
	v_add_f64 v[4:5], v[4:5], v[14:15]
	s_waitcnt vmcnt(5) lgkmcnt(4)
	v_mul_f64 v[128:129], v[92:93], v[38:39]
	v_mul_f64 v[38:39], v[94:95], v[38:39]
	v_fmac_f64_e32 v[120:121], v[78:79], v[20:21]
	v_fma_f64 v[18:19], v[88:89], v[32:33], -v[34:35]
	v_add_f64 v[6:7], v[6:7], v[118:119]
	v_add_f64 v[4:5], v[4:5], v[16:17]
	v_fmac_f64_e32 v[122:123], v[82:83], v[24:25]
	v_fma_f64 v[20:21], v[92:93], v[36:37], -v[38:39]
	v_add_f64 v[6:7], v[6:7], v[120:121]
	v_add_f64 v[4:5], v[4:5], v[18:19]
	s_waitcnt vmcnt(4) lgkmcnt(3)
	v_mul_f64 v[8:9], v[98:99], v[42:43]
	v_fmac_f64_e32 v[124:125], v[86:87], v[28:29]
	v_add_f64 v[6:7], v[6:7], v[122:123]
	v_add_f64 v[4:5], v[4:5], v[20:21]
	v_fma_f64 v[8:9], v[96:97], v[40:41], -v[8:9]
	v_fmac_f64_e32 v[126:127], v[90:91], v[32:33]
	v_add_f64 v[6:7], v[6:7], v[124:125]
	v_add_f64 v[4:5], v[4:5], v[8:9]
	s_waitcnt vmcnt(3) lgkmcnt(2)
	v_mul_f64 v[8:9], v[102:103], v[46:47]
	v_mul_f64 v[130:131], v[96:97], v[42:43]
	v_fmac_f64_e32 v[128:129], v[94:95], v[36:37]
	v_add_f64 v[6:7], v[6:7], v[126:127]
	v_fma_f64 v[8:9], v[100:101], v[44:45], -v[8:9]
	v_mul_f64 v[132:133], v[100:101], v[46:47]
	v_fmac_f64_e32 v[130:131], v[98:99], v[40:41]
	v_add_f64 v[6:7], v[6:7], v[128:129]
	v_add_f64 v[4:5], v[4:5], v[8:9]
	s_waitcnt vmcnt(2) lgkmcnt(1)
	v_mul_f64 v[8:9], v[106:107], v[50:51]
	v_mul_f64 v[134:135], v[104:105], v[50:51]
	v_fmac_f64_e32 v[132:133], v[102:103], v[44:45]
	v_add_f64 v[6:7], v[6:7], v[130:131]
	v_fma_f64 v[8:9], v[104:105], v[48:49], -v[8:9]
	s_waitcnt vmcnt(1) lgkmcnt(0)
	v_mul_f64 v[136:137], v[108:109], v[54:55]
	v_fmac_f64_e32 v[134:135], v[106:107], v[48:49]
	v_add_f64 v[6:7], v[6:7], v[132:133]
	v_add_f64 v[4:5], v[4:5], v[8:9]
	v_mul_f64 v[8:9], v[110:111], v[54:55]
	v_fmac_f64_e32 v[136:137], v[110:111], v[52:53]
	v_add_f64 v[6:7], v[6:7], v[134:135]
	v_fma_f64 v[8:9], v[108:109], v[52:53], -v[8:9]
	v_add_f64 v[6:7], v[6:7], v[136:137]
	v_add_f64 v[4:5], v[4:5], v[8:9]
	s_waitcnt vmcnt(0)
	v_add_f64 v[4:5], v[56:57], -v[4:5]
	v_add_f64 v[6:7], v[58:59], -v[6:7]
	scratch_store_dwordx4 off, v[4:7], off offset:672
	s_and_saveexec_b64 s[0:1], vcc
	s_cbranch_execz .LBB118_263
; %bb.262:
	scratch_load_dwordx4 v[6:9], off, s30
	v_mov_b32_e32 v3, v2
	v_mov_b32_e32 v4, v2
	;; [unrolled: 1-line block ×3, first 2 shown]
	v_accvgpr_read_b32 v0, a111
	scratch_store_dwordx4 off, v[2:5], off offset:656
	s_waitcnt vmcnt(1)
	ds_write_b128 v0, v[6:9]
.LBB118_263:
	s_or_b64 exec, exec, s[0:1]
	s_waitcnt lgkmcnt(0)
	; wave barrier
	ds_read_b128 v[16:19], v2 offset:1536
	ds_read_b128 v[12:15], v2 offset:1552
	;; [unrolled: 1-line block ×4, first 2 shown]
	scratch_load_dwordx4 v[20:23], off, off offset:672
	scratch_load_dwordx4 v[42:45], off, off offset:736
	;; [unrolled: 1-line block ×8, first 2 shown]
	v_cmp_lt_u32_e32 vcc, 39, v240
	scratch_load_dwordx4 v[50:53], off, off offset:752
	scratch_load_dwordx4 v[58:61], off, off offset:768
	;; [unrolled: 1-line block ×3, first 2 shown]
	s_waitcnt vmcnt(10) lgkmcnt(3)
	v_mul_f64 v[24:25], v[16:17], v[22:23]
	v_fmac_f64_e32 v[24:25], v[18:19], v[20:21]
	v_add_f64 v[28:29], v[24:25], 0
	scratch_load_dwordx4 v[24:27], off, off offset:688
	s_waitcnt vmcnt(0) lgkmcnt(2)
	v_mul_f64 v[30:31], v[12:13], v[26:27]
	v_fmac_f64_e32 v[30:31], v[14:15], v[24:25]
	v_add_f64 v[32:33], v[28:29], v[30:31]
	scratch_load_dwordx4 v[28:31], off, off offset:704
	v_mul_f64 v[14:15], v[14:15], v[26:27]
	v_fma_f64 v[12:13], v[12:13], v[24:25], -v[14:15]
	s_waitcnt vmcnt(0) lgkmcnt(1)
	v_mul_f64 v[34:35], v[8:9], v[30:31]
	v_fmac_f64_e32 v[34:35], v[10:11], v[28:29]
	v_add_f64 v[36:37], v[32:33], v[34:35]
	scratch_load_dwordx4 v[32:35], off, off offset:720
	v_mul_f64 v[10:11], v[10:11], v[30:31]
	v_fma_f64 v[8:9], v[8:9], v[28:29], -v[10:11]
	s_waitcnt vmcnt(0) lgkmcnt(0)
	v_mul_f64 v[38:39], v[4:5], v[34:35]
	v_fmac_f64_e32 v[38:39], v[6:7], v[32:33]
	v_add_f64 v[40:41], v[36:37], v[38:39]
	ds_read_b128 v[36:39], v2 offset:1600
	v_mul_f64 v[6:7], v[6:7], v[34:35]
	v_fma_f64 v[4:5], v[4:5], v[32:33], -v[6:7]
	s_waitcnt lgkmcnt(0)
	v_mul_f64 v[46:47], v[36:37], v[44:45]
	v_fmac_f64_e32 v[46:47], v[38:39], v[42:43]
	v_add_f64 v[40:41], v[40:41], v[46:47]
	ds_read_b128 v[46:49], v2 offset:1616
	s_waitcnt lgkmcnt(0)
	v_mul_f64 v[54:55], v[46:47], v[52:53]
	v_fmac_f64_e32 v[54:55], v[48:49], v[50:51]
	v_add_f64 v[40:41], v[40:41], v[54:55]
	ds_read_b128 v[54:57], v2 offset:1632
	;; [unrolled: 5-line block ×9, first 2 shown]
	s_waitcnt lgkmcnt(0)
	v_mul_f64 v[2:3], v[110:111], v[116:117]
	v_fmac_f64_e32 v[2:3], v[112:113], v[114:115]
	v_add_f64 v[40:41], v[40:41], v[2:3]
	v_mul_f64 v[2:3], v[18:19], v[22:23]
	v_fma_f64 v[2:3], v[16:17], v[20:21], -v[2:3]
	v_add_f64 v[2:3], v[2:3], 0
	v_add_f64 v[2:3], v[2:3], v[12:13]
	v_add_f64 v[2:3], v[2:3], v[8:9]
	v_add_f64 v[2:3], v[2:3], v[4:5]
	v_mul_f64 v[4:5], v[38:39], v[44:45]
	v_fma_f64 v[4:5], v[36:37], v[42:43], -v[4:5]
	v_add_f64 v[2:3], v[2:3], v[4:5]
	v_mul_f64 v[4:5], v[48:49], v[52:53]
	v_fma_f64 v[4:5], v[46:47], v[50:51], -v[4:5]
	v_add_f64 v[2:3], v[2:3], v[4:5]
	;; [unrolled: 3-line block ×10, first 2 shown]
	scratch_load_dwordx4 v[2:5], off, off offset:656
	s_waitcnt vmcnt(0)
	v_add_f64 v[2:3], v[2:3], -v[6:7]
	v_add_f64 v[4:5], v[4:5], -v[40:41]
	scratch_store_dwordx4 off, v[2:5], off offset:656
	s_and_saveexec_b64 s[0:1], vcc
	s_cbranch_execz .LBB118_265
; %bb.264:
	scratch_load_dwordx4 v[2:5], off, s31
	v_mov_b32_e32 v6, 0
	v_mov_b32_e32 v7, v6
	;; [unrolled: 1-line block ×4, first 2 shown]
	v_accvgpr_read_b32 v0, a111
	scratch_store_dwordx4 off, v[6:9], off offset:640
	s_waitcnt vmcnt(1)
	ds_write_b128 v0, v[2:5]
.LBB118_265:
	s_or_b64 exec, exec, s[0:1]
	v_mov_b32_e32 v2, 0
	s_waitcnt lgkmcnt(0)
	; wave barrier
	ds_read_b128 v[16:19], v2 offset:1520
	ds_read_b128 v[12:15], v2 offset:1536
	;; [unrolled: 1-line block ×4, first 2 shown]
	scratch_load_dwordx4 v[20:23], off, off offset:656
	scratch_load_dwordx4 v[40:43], off, off offset:720
	;; [unrolled: 1-line block ×9, first 2 shown]
	v_cmp_lt_u32_e32 vcc, 38, v240
	scratch_load_dwordx4 v[50:53], off, off offset:736
	scratch_load_dwordx4 v[58:61], off, off offset:752
	;; [unrolled: 1-line block ×3, first 2 shown]
	s_waitcnt vmcnt(11) lgkmcnt(3)
	v_mul_f64 v[24:25], v[16:17], v[22:23]
	v_fmac_f64_e32 v[24:25], v[18:19], v[20:21]
	v_add_f64 v[28:29], v[24:25], 0
	scratch_load_dwordx4 v[24:27], off, off offset:672
	v_mul_f64 v[18:19], v[18:19], v[22:23]
	v_fma_f64 v[16:17], v[16:17], v[20:21], -v[18:19]
	v_add_f64 v[16:17], v[16:17], 0
	s_waitcnt vmcnt(0) lgkmcnt(2)
	v_mul_f64 v[30:31], v[12:13], v[26:27]
	v_fmac_f64_e32 v[30:31], v[14:15], v[24:25]
	v_add_f64 v[32:33], v[28:29], v[30:31]
	scratch_load_dwordx4 v[28:31], off, off offset:688
	v_mul_f64 v[14:15], v[14:15], v[26:27]
	v_fma_f64 v[12:13], v[12:13], v[24:25], -v[14:15]
	v_add_f64 v[12:13], v[16:17], v[12:13]
	;; [unrolled: 8-line block ×3, first 2 shown]
	s_waitcnt vmcnt(0) lgkmcnt(0)
	v_mul_f64 v[38:39], v[4:5], v[34:35]
	v_fmac_f64_e32 v[38:39], v[6:7], v[32:33]
	v_add_f64 v[44:45], v[36:37], v[38:39]
	ds_read_b128 v[36:39], v2 offset:1584
	v_mul_f64 v[6:7], v[6:7], v[34:35]
	v_fma_f64 v[4:5], v[4:5], v[32:33], -v[6:7]
	v_add_f64 v[4:5], v[8:9], v[4:5]
	s_waitcnt lgkmcnt(0)
	v_mul_f64 v[46:47], v[36:37], v[42:43]
	v_fmac_f64_e32 v[46:47], v[38:39], v[40:41]
	v_add_f64 v[48:49], v[44:45], v[46:47]
	ds_read_b128 v[44:47], v2 offset:1600
	v_mul_f64 v[6:7], v[38:39], v[42:43]
	v_fma_f64 v[6:7], v[36:37], v[40:41], -v[6:7]
	v_add_f64 v[4:5], v[4:5], v[6:7]
	s_waitcnt lgkmcnt(0)
	;; [unrolled: 8-line block ×11, first 2 shown]
	v_mul_f64 v[6:7], v[120:121], v[124:125]
	v_fma_f64 v[6:7], v[118:119], v[122:123], -v[6:7]
	v_add_f64 v[8:9], v[4:5], v[6:7]
	scratch_load_dwordx4 v[4:7], off, off offset:640
	v_mul_f64 v[126:127], v[118:119], v[124:125]
	v_fmac_f64_e32 v[126:127], v[120:121], v[122:123]
	v_add_f64 v[48:49], v[48:49], v[126:127]
	s_waitcnt vmcnt(0)
	v_add_f64 v[4:5], v[4:5], -v[8:9]
	v_add_f64 v[6:7], v[6:7], -v[48:49]
	scratch_store_dwordx4 off, v[4:7], off offset:640
	s_and_saveexec_b64 s[0:1], vcc
	s_cbranch_execz .LBB118_267
; %bb.266:
	scratch_load_dwordx4 v[6:9], off, s33
	v_mov_b32_e32 v3, v2
	v_mov_b32_e32 v4, v2
	;; [unrolled: 1-line block ×3, first 2 shown]
	v_accvgpr_read_b32 v0, a111
	scratch_store_dwordx4 off, v[2:5], off offset:624
	s_waitcnt vmcnt(1)
	ds_write_b128 v0, v[6:9]
.LBB118_267:
	s_or_b64 exec, exec, s[0:1]
	s_waitcnt lgkmcnt(0)
	; wave barrier
	ds_read_b128 v[16:19], v2 offset:1504
	ds_read_b128 v[12:15], v2 offset:1520
	;; [unrolled: 1-line block ×4, first 2 shown]
	scratch_load_dwordx4 v[20:23], off, off offset:640
	scratch_load_dwordx4 v[40:43], off, off offset:704
	;; [unrolled: 1-line block ×10, first 2 shown]
	v_cmp_lt_u32_e32 vcc, 37, v240
	scratch_load_dwordx4 v[48:51], off, off offset:720
	scratch_load_dwordx4 v[56:59], off, off offset:736
	;; [unrolled: 1-line block ×3, first 2 shown]
	s_waitcnt vmcnt(12) lgkmcnt(3)
	v_mul_f64 v[24:25], v[16:17], v[22:23]
	v_fmac_f64_e32 v[24:25], v[18:19], v[20:21]
	v_add_f64 v[28:29], v[24:25], 0
	scratch_load_dwordx4 v[24:27], off, off offset:656
	s_waitcnt vmcnt(0) lgkmcnt(2)
	v_mul_f64 v[30:31], v[12:13], v[26:27]
	v_fmac_f64_e32 v[30:31], v[14:15], v[24:25]
	v_add_f64 v[32:33], v[28:29], v[30:31]
	scratch_load_dwordx4 v[28:31], off, off offset:672
	v_mul_f64 v[14:15], v[14:15], v[26:27]
	v_fma_f64 v[12:13], v[12:13], v[24:25], -v[14:15]
	s_waitcnt vmcnt(0) lgkmcnt(1)
	v_mul_f64 v[34:35], v[8:9], v[30:31]
	v_fmac_f64_e32 v[34:35], v[10:11], v[28:29]
	v_add_f64 v[36:37], v[32:33], v[34:35]
	scratch_load_dwordx4 v[32:35], off, off offset:688
	v_mul_f64 v[10:11], v[10:11], v[30:31]
	v_fma_f64 v[8:9], v[8:9], v[28:29], -v[10:11]
	s_waitcnt vmcnt(0) lgkmcnt(0)
	v_mul_f64 v[38:39], v[4:5], v[34:35]
	v_fmac_f64_e32 v[38:39], v[6:7], v[32:33]
	v_add_f64 v[44:45], v[36:37], v[38:39]
	ds_read_b128 v[36:39], v2 offset:1568
	v_mul_f64 v[6:7], v[6:7], v[34:35]
	v_fma_f64 v[4:5], v[4:5], v[32:33], -v[6:7]
	s_waitcnt lgkmcnt(0)
	v_mul_f64 v[46:47], v[36:37], v[42:43]
	v_fmac_f64_e32 v[46:47], v[38:39], v[40:41]
	v_add_f64 v[52:53], v[44:45], v[46:47]
	ds_read_b128 v[44:47], v2 offset:1584
	s_waitcnt lgkmcnt(0)
	v_mul_f64 v[54:55], v[44:45], v[50:51]
	v_fmac_f64_e32 v[54:55], v[46:47], v[48:49]
	v_add_f64 v[60:61], v[52:53], v[54:55]
	ds_read_b128 v[52:55], v2 offset:1600
	;; [unrolled: 5-line block ×11, first 2 shown]
	s_waitcnt lgkmcnt(0)
	v_mul_f64 v[2:3], v[126:127], v[132:133]
	v_fmac_f64_e32 v[2:3], v[128:129], v[130:131]
	v_add_f64 v[64:65], v[64:65], v[2:3]
	v_mul_f64 v[2:3], v[18:19], v[22:23]
	v_fma_f64 v[2:3], v[16:17], v[20:21], -v[2:3]
	v_add_f64 v[2:3], v[2:3], 0
	v_add_f64 v[2:3], v[2:3], v[12:13]
	;; [unrolled: 1-line block ×4, first 2 shown]
	v_mul_f64 v[4:5], v[38:39], v[42:43]
	v_fma_f64 v[4:5], v[36:37], v[40:41], -v[4:5]
	v_add_f64 v[2:3], v[2:3], v[4:5]
	v_mul_f64 v[4:5], v[46:47], v[50:51]
	v_fma_f64 v[4:5], v[44:45], v[48:49], -v[4:5]
	v_add_f64 v[2:3], v[2:3], v[4:5]
	;; [unrolled: 3-line block ×12, first 2 shown]
	scratch_load_dwordx4 v[2:5], off, off offset:624
	s_waitcnt vmcnt(0)
	v_add_f64 v[2:3], v[2:3], -v[6:7]
	v_add_f64 v[4:5], v[4:5], -v[64:65]
	scratch_store_dwordx4 off, v[2:5], off offset:624
	s_and_saveexec_b64 s[0:1], vcc
	s_cbranch_execz .LBB118_269
; %bb.268:
	scratch_load_dwordx4 v[2:5], off, s34
	v_mov_b32_e32 v6, 0
	v_mov_b32_e32 v7, v6
	;; [unrolled: 1-line block ×4, first 2 shown]
	v_accvgpr_read_b32 v0, a111
	scratch_store_dwordx4 off, v[6:9], off offset:608
	s_waitcnt vmcnt(1)
	ds_write_b128 v0, v[2:5]
.LBB118_269:
	s_or_b64 exec, exec, s[0:1]
	v_mov_b32_e32 v2, 0
	s_waitcnt lgkmcnt(0)
	; wave barrier
	ds_read_b128 v[16:19], v2 offset:1488
	ds_read_b128 v[12:15], v2 offset:1504
	;; [unrolled: 1-line block ×4, first 2 shown]
	scratch_load_dwordx4 v[20:23], off, off offset:624
	scratch_load_dwordx4 v[40:43], off, off offset:688
	;; [unrolled: 1-line block ×11, first 2 shown]
	v_cmp_lt_u32_e32 vcc, 36, v240
	scratch_load_dwordx4 v[48:51], off, off offset:704
	scratch_load_dwordx4 v[56:59], off, off offset:720
	;; [unrolled: 1-line block ×3, first 2 shown]
	s_waitcnt vmcnt(13) lgkmcnt(3)
	v_mul_f64 v[24:25], v[16:17], v[22:23]
	v_fmac_f64_e32 v[24:25], v[18:19], v[20:21]
	v_add_f64 v[28:29], v[24:25], 0
	scratch_load_dwordx4 v[24:27], off, off offset:640
	v_mul_f64 v[18:19], v[18:19], v[22:23]
	v_fma_f64 v[16:17], v[16:17], v[20:21], -v[18:19]
	v_add_f64 v[16:17], v[16:17], 0
	s_waitcnt vmcnt(0) lgkmcnt(2)
	v_mul_f64 v[30:31], v[12:13], v[26:27]
	v_fmac_f64_e32 v[30:31], v[14:15], v[24:25]
	v_add_f64 v[32:33], v[28:29], v[30:31]
	scratch_load_dwordx4 v[28:31], off, off offset:656
	v_mul_f64 v[14:15], v[14:15], v[26:27]
	v_fma_f64 v[12:13], v[12:13], v[24:25], -v[14:15]
	v_add_f64 v[12:13], v[16:17], v[12:13]
	;; [unrolled: 8-line block ×3, first 2 shown]
	s_waitcnt vmcnt(0) lgkmcnt(0)
	v_mul_f64 v[38:39], v[4:5], v[34:35]
	v_fmac_f64_e32 v[38:39], v[6:7], v[32:33]
	v_add_f64 v[44:45], v[36:37], v[38:39]
	ds_read_b128 v[36:39], v2 offset:1552
	v_mul_f64 v[6:7], v[6:7], v[34:35]
	v_fma_f64 v[4:5], v[4:5], v[32:33], -v[6:7]
	v_add_f64 v[4:5], v[8:9], v[4:5]
	s_waitcnt lgkmcnt(0)
	v_mul_f64 v[46:47], v[36:37], v[42:43]
	v_fmac_f64_e32 v[46:47], v[38:39], v[40:41]
	v_add_f64 v[52:53], v[44:45], v[46:47]
	ds_read_b128 v[44:47], v2 offset:1568
	v_mul_f64 v[6:7], v[38:39], v[42:43]
	v_fma_f64 v[6:7], v[36:37], v[40:41], -v[6:7]
	v_add_f64 v[4:5], v[4:5], v[6:7]
	s_waitcnt lgkmcnt(0)
	;; [unrolled: 8-line block ×13, first 2 shown]
	v_mul_f64 v[6:7], v[136:137], v[140:141]
	v_fma_f64 v[6:7], v[134:135], v[138:139], -v[6:7]
	v_add_f64 v[8:9], v[4:5], v[6:7]
	scratch_load_dwordx4 v[4:7], off, off offset:608
	v_mul_f64 v[142:143], v[134:135], v[140:141]
	v_fmac_f64_e32 v[142:143], v[136:137], v[138:139]
	v_add_f64 v[72:73], v[72:73], v[142:143]
	s_waitcnt vmcnt(0)
	v_add_f64 v[4:5], v[4:5], -v[8:9]
	v_add_f64 v[6:7], v[6:7], -v[72:73]
	scratch_store_dwordx4 off, v[4:7], off offset:608
	s_and_saveexec_b64 s[0:1], vcc
	s_cbranch_execz .LBB118_271
; %bb.270:
	scratch_load_dwordx4 v[6:9], off, s35
	v_mov_b32_e32 v3, v2
	v_mov_b32_e32 v4, v2
	;; [unrolled: 1-line block ×3, first 2 shown]
	v_accvgpr_read_b32 v0, a111
	scratch_store_dwordx4 off, v[2:5], off offset:592
	s_waitcnt vmcnt(1)
	ds_write_b128 v0, v[6:9]
.LBB118_271:
	s_or_b64 exec, exec, s[0:1]
	s_waitcnt lgkmcnt(0)
	; wave barrier
	ds_read_b128 v[16:19], v2 offset:1472
	ds_read_b128 v[12:15], v2 offset:1488
	;; [unrolled: 1-line block ×4, first 2 shown]
	scratch_load_dwordx4 v[20:23], off, off offset:608
	scratch_load_dwordx4 v[40:43], off, off offset:672
	;; [unrolled: 1-line block ×12, first 2 shown]
	v_cmp_lt_u32_e32 vcc, 35, v240
	scratch_load_dwordx4 v[48:51], off, off offset:688
	scratch_load_dwordx4 v[56:59], off, off offset:704
	;; [unrolled: 1-line block ×3, first 2 shown]
	s_waitcnt vmcnt(14) lgkmcnt(3)
	v_mul_f64 v[24:25], v[16:17], v[22:23]
	v_fmac_f64_e32 v[24:25], v[18:19], v[20:21]
	v_add_f64 v[28:29], v[24:25], 0
	scratch_load_dwordx4 v[24:27], off, off offset:624
	s_waitcnt vmcnt(0) lgkmcnt(2)
	v_mul_f64 v[30:31], v[12:13], v[26:27]
	v_fmac_f64_e32 v[30:31], v[14:15], v[24:25]
	v_add_f64 v[32:33], v[28:29], v[30:31]
	scratch_load_dwordx4 v[28:31], off, off offset:640
	v_mul_f64 v[14:15], v[14:15], v[26:27]
	v_fma_f64 v[12:13], v[12:13], v[24:25], -v[14:15]
	s_waitcnt vmcnt(0) lgkmcnt(1)
	v_mul_f64 v[34:35], v[8:9], v[30:31]
	v_fmac_f64_e32 v[34:35], v[10:11], v[28:29]
	v_add_f64 v[36:37], v[32:33], v[34:35]
	scratch_load_dwordx4 v[32:35], off, off offset:656
	v_mul_f64 v[10:11], v[10:11], v[30:31]
	v_fma_f64 v[8:9], v[8:9], v[28:29], -v[10:11]
	s_waitcnt vmcnt(0) lgkmcnt(0)
	v_mul_f64 v[38:39], v[4:5], v[34:35]
	v_fmac_f64_e32 v[38:39], v[6:7], v[32:33]
	v_add_f64 v[44:45], v[36:37], v[38:39]
	ds_read_b128 v[36:39], v2 offset:1536
	v_mul_f64 v[6:7], v[6:7], v[34:35]
	v_fma_f64 v[4:5], v[4:5], v[32:33], -v[6:7]
	s_waitcnt lgkmcnt(0)
	v_mul_f64 v[46:47], v[36:37], v[42:43]
	v_fmac_f64_e32 v[46:47], v[38:39], v[40:41]
	v_add_f64 v[52:53], v[44:45], v[46:47]
	ds_read_b128 v[44:47], v2 offset:1552
	s_waitcnt lgkmcnt(0)
	v_mul_f64 v[54:55], v[44:45], v[50:51]
	v_fmac_f64_e32 v[54:55], v[46:47], v[48:49]
	v_add_f64 v[60:61], v[52:53], v[54:55]
	ds_read_b128 v[52:55], v2 offset:1568
	;; [unrolled: 5-line block ×13, first 2 shown]
	s_waitcnt lgkmcnt(0)
	v_mul_f64 v[2:3], v[142:143], v[148:149]
	v_fmac_f64_e32 v[2:3], v[144:145], v[146:147]
	v_add_f64 v[80:81], v[80:81], v[2:3]
	v_mul_f64 v[2:3], v[18:19], v[22:23]
	v_fma_f64 v[2:3], v[16:17], v[20:21], -v[2:3]
	v_add_f64 v[2:3], v[2:3], 0
	v_add_f64 v[2:3], v[2:3], v[12:13]
	;; [unrolled: 1-line block ×4, first 2 shown]
	v_mul_f64 v[4:5], v[38:39], v[42:43]
	v_fma_f64 v[4:5], v[36:37], v[40:41], -v[4:5]
	v_add_f64 v[2:3], v[2:3], v[4:5]
	v_mul_f64 v[4:5], v[46:47], v[50:51]
	v_fma_f64 v[4:5], v[44:45], v[48:49], -v[4:5]
	v_add_f64 v[2:3], v[2:3], v[4:5]
	;; [unrolled: 3-line block ×14, first 2 shown]
	scratch_load_dwordx4 v[2:5], off, off offset:592
	s_waitcnt vmcnt(0)
	v_add_f64 v[2:3], v[2:3], -v[6:7]
	v_add_f64 v[4:5], v[4:5], -v[80:81]
	scratch_store_dwordx4 off, v[2:5], off offset:592
	s_and_saveexec_b64 s[0:1], vcc
	s_cbranch_execz .LBB118_273
; %bb.272:
	scratch_load_dwordx4 v[2:5], off, s36
	v_mov_b32_e32 v6, 0
	v_mov_b32_e32 v7, v6
	;; [unrolled: 1-line block ×4, first 2 shown]
	v_accvgpr_read_b32 v0, a111
	scratch_store_dwordx4 off, v[6:9], off offset:576
	s_waitcnt vmcnt(1)
	ds_write_b128 v0, v[2:5]
.LBB118_273:
	s_or_b64 exec, exec, s[0:1]
	v_mov_b32_e32 v2, 0
	s_waitcnt lgkmcnt(0)
	; wave barrier
	ds_read_b128 v[16:19], v2 offset:1456
	ds_read_b128 v[12:15], v2 offset:1472
	;; [unrolled: 1-line block ×4, first 2 shown]
	scratch_load_dwordx4 v[20:23], off, off offset:592
	scratch_load_dwordx4 v[40:43], off, off offset:656
	;; [unrolled: 1-line block ×13, first 2 shown]
	v_cmp_lt_u32_e32 vcc, 34, v240
	scratch_load_dwordx4 v[48:51], off, off offset:672
	scratch_load_dwordx4 v[56:59], off, off offset:688
	;; [unrolled: 1-line block ×3, first 2 shown]
	s_waitcnt vmcnt(15) lgkmcnt(3)
	v_mul_f64 v[24:25], v[16:17], v[22:23]
	v_fmac_f64_e32 v[24:25], v[18:19], v[20:21]
	v_add_f64 v[28:29], v[24:25], 0
	scratch_load_dwordx4 v[24:27], off, off offset:608
	v_mul_f64 v[18:19], v[18:19], v[22:23]
	v_fma_f64 v[16:17], v[16:17], v[20:21], -v[18:19]
	v_add_f64 v[16:17], v[16:17], 0
	s_waitcnt vmcnt(0) lgkmcnt(2)
	v_mul_f64 v[30:31], v[12:13], v[26:27]
	v_fmac_f64_e32 v[30:31], v[14:15], v[24:25]
	v_add_f64 v[32:33], v[28:29], v[30:31]
	scratch_load_dwordx4 v[28:31], off, off offset:624
	v_mul_f64 v[14:15], v[14:15], v[26:27]
	v_fma_f64 v[12:13], v[12:13], v[24:25], -v[14:15]
	v_add_f64 v[12:13], v[16:17], v[12:13]
	;; [unrolled: 8-line block ×3, first 2 shown]
	s_waitcnt vmcnt(0) lgkmcnt(0)
	v_mul_f64 v[38:39], v[4:5], v[34:35]
	v_fmac_f64_e32 v[38:39], v[6:7], v[32:33]
	v_add_f64 v[44:45], v[36:37], v[38:39]
	ds_read_b128 v[36:39], v2 offset:1520
	v_mul_f64 v[6:7], v[6:7], v[34:35]
	v_fma_f64 v[4:5], v[4:5], v[32:33], -v[6:7]
	v_add_f64 v[4:5], v[8:9], v[4:5]
	s_waitcnt lgkmcnt(0)
	v_mul_f64 v[46:47], v[36:37], v[42:43]
	v_fmac_f64_e32 v[46:47], v[38:39], v[40:41]
	v_add_f64 v[52:53], v[44:45], v[46:47]
	ds_read_b128 v[44:47], v2 offset:1536
	v_mul_f64 v[6:7], v[38:39], v[42:43]
	v_fma_f64 v[6:7], v[36:37], v[40:41], -v[6:7]
	v_add_f64 v[4:5], v[4:5], v[6:7]
	s_waitcnt lgkmcnt(0)
	v_mul_f64 v[54:55], v[44:45], v[50:51]
	v_fmac_f64_e32 v[54:55], v[46:47], v[48:49]
	v_add_f64 v[60:61], v[52:53], v[54:55]
	ds_read_b128 v[52:55], v2 offset:1552
	v_mul_f64 v[6:7], v[46:47], v[50:51]
	v_fma_f64 v[6:7], v[44:45], v[48:49], -v[6:7]
	v_add_f64 v[4:5], v[4:5], v[6:7]
	s_waitcnt lgkmcnt(0)
	v_mul_f64 v[62:63], v[52:53], v[58:59]
	v_fmac_f64_e32 v[62:63], v[54:55], v[56:57]
	v_add_f64 v[68:69], v[60:61], v[62:63]
	ds_read_b128 v[60:63], v2 offset:1568
	v_mul_f64 v[6:7], v[54:55], v[58:59]
	v_fma_f64 v[6:7], v[52:53], v[56:57], -v[6:7]
	v_add_f64 v[4:5], v[4:5], v[6:7]
	s_waitcnt lgkmcnt(0)
	v_mul_f64 v[70:71], v[60:61], v[66:67]
	v_fmac_f64_e32 v[70:71], v[62:63], v[64:65]
	v_add_f64 v[76:77], v[68:69], v[70:71]
	ds_read_b128 v[68:71], v2 offset:1584
	v_mul_f64 v[6:7], v[62:63], v[66:67]
	v_fma_f64 v[6:7], v[60:61], v[64:65], -v[6:7]
	v_add_f64 v[4:5], v[4:5], v[6:7]
	s_waitcnt lgkmcnt(0)
	v_mul_f64 v[78:79], v[68:69], v[74:75]
	v_fmac_f64_e32 v[78:79], v[70:71], v[72:73]
	v_add_f64 v[84:85], v[76:77], v[78:79]
	ds_read_b128 v[76:79], v2 offset:1600
	v_mul_f64 v[6:7], v[70:71], v[74:75]
	v_fma_f64 v[6:7], v[68:69], v[72:73], -v[6:7]
	v_add_f64 v[4:5], v[4:5], v[6:7]
	s_waitcnt lgkmcnt(0)
	v_mul_f64 v[86:87], v[76:77], v[82:83]
	v_fmac_f64_e32 v[86:87], v[78:79], v[80:81]
	v_add_f64 v[88:89], v[84:85], v[86:87]
	ds_read_b128 v[84:87], v2 offset:1616
	v_mul_f64 v[6:7], v[78:79], v[82:83]
	v_fma_f64 v[6:7], v[76:77], v[80:81], -v[6:7]
	v_add_f64 v[4:5], v[4:5], v[6:7]
	s_waitcnt lgkmcnt(0)
	v_mul_f64 v[94:95], v[84:85], v[92:93]
	v_fmac_f64_e32 v[94:95], v[86:87], v[90:91]
	v_add_f64 v[88:89], v[88:89], v[94:95]
	ds_read_b128 v[94:97], v2 offset:1632
	v_mul_f64 v[6:7], v[86:87], v[92:93]
	v_fma_f64 v[6:7], v[84:85], v[90:91], -v[6:7]
	v_add_f64 v[4:5], v[4:5], v[6:7]
	s_waitcnt lgkmcnt(0)
	v_mul_f64 v[102:103], v[94:95], v[100:101]
	v_fmac_f64_e32 v[102:103], v[96:97], v[98:99]
	v_add_f64 v[88:89], v[88:89], v[102:103]
	ds_read_b128 v[102:105], v2 offset:1648
	v_mul_f64 v[6:7], v[96:97], v[100:101]
	v_fma_f64 v[6:7], v[94:95], v[98:99], -v[6:7]
	v_add_f64 v[4:5], v[4:5], v[6:7]
	s_waitcnt lgkmcnt(0)
	v_mul_f64 v[110:111], v[102:103], v[108:109]
	v_fmac_f64_e32 v[110:111], v[104:105], v[106:107]
	v_add_f64 v[88:89], v[88:89], v[110:111]
	ds_read_b128 v[110:113], v2 offset:1664
	v_mul_f64 v[6:7], v[104:105], v[108:109]
	v_fma_f64 v[6:7], v[102:103], v[106:107], -v[6:7]
	v_add_f64 v[4:5], v[4:5], v[6:7]
	s_waitcnt lgkmcnt(0)
	v_mul_f64 v[118:119], v[110:111], v[116:117]
	v_fmac_f64_e32 v[118:119], v[112:113], v[114:115]
	v_add_f64 v[88:89], v[88:89], v[118:119]
	ds_read_b128 v[118:121], v2 offset:1680
	v_mul_f64 v[6:7], v[112:113], v[116:117]
	v_fma_f64 v[6:7], v[110:111], v[114:115], -v[6:7]
	v_add_f64 v[4:5], v[4:5], v[6:7]
	s_waitcnt lgkmcnt(0)
	v_mul_f64 v[126:127], v[118:119], v[124:125]
	v_fmac_f64_e32 v[126:127], v[120:121], v[122:123]
	v_add_f64 v[88:89], v[88:89], v[126:127]
	ds_read_b128 v[126:129], v2 offset:1696
	v_mul_f64 v[6:7], v[120:121], v[124:125]
	v_fma_f64 v[6:7], v[118:119], v[122:123], -v[6:7]
	v_add_f64 v[4:5], v[4:5], v[6:7]
	s_waitcnt lgkmcnt(0)
	v_mul_f64 v[134:135], v[126:127], v[132:133]
	v_fmac_f64_e32 v[134:135], v[128:129], v[130:131]
	v_add_f64 v[88:89], v[88:89], v[134:135]
	ds_read_b128 v[134:137], v2 offset:1712
	v_mul_f64 v[6:7], v[128:129], v[132:133]
	v_fma_f64 v[6:7], v[126:127], v[130:131], -v[6:7]
	v_add_f64 v[4:5], v[4:5], v[6:7]
	s_waitcnt lgkmcnt(0)
	v_mul_f64 v[142:143], v[134:135], v[140:141]
	v_fmac_f64_e32 v[142:143], v[136:137], v[138:139]
	v_add_f64 v[88:89], v[88:89], v[142:143]
	ds_read_b128 v[142:145], v2 offset:1728
	v_mul_f64 v[6:7], v[136:137], v[140:141]
	v_fma_f64 v[6:7], v[134:135], v[138:139], -v[6:7]
	v_add_f64 v[4:5], v[4:5], v[6:7]
	s_waitcnt lgkmcnt(0)
	v_mul_f64 v[150:151], v[142:143], v[148:149]
	v_fmac_f64_e32 v[150:151], v[144:145], v[146:147]
	v_add_f64 v[88:89], v[88:89], v[150:151]
	ds_read_b128 v[150:153], v2 offset:1744
	v_mul_f64 v[6:7], v[144:145], v[148:149]
	v_fma_f64 v[6:7], v[142:143], v[146:147], -v[6:7]
	v_add_f64 v[4:5], v[4:5], v[6:7]
	s_waitcnt lgkmcnt(0)
	v_mul_f64 v[6:7], v[152:153], v[156:157]
	v_fma_f64 v[6:7], v[150:151], v[154:155], -v[6:7]
	v_add_f64 v[8:9], v[4:5], v[6:7]
	scratch_load_dwordx4 v[4:7], off, off offset:576
	v_mul_f64 v[158:159], v[150:151], v[156:157]
	v_fmac_f64_e32 v[158:159], v[152:153], v[154:155]
	v_add_f64 v[88:89], v[88:89], v[158:159]
	s_waitcnt vmcnt(0)
	v_add_f64 v[4:5], v[4:5], -v[8:9]
	v_add_f64 v[6:7], v[6:7], -v[88:89]
	scratch_store_dwordx4 off, v[4:7], off offset:576
	s_and_saveexec_b64 s[0:1], vcc
	s_cbranch_execz .LBB118_275
; %bb.274:
	scratch_load_dwordx4 v[6:9], off, s37
	v_mov_b32_e32 v3, v2
	v_mov_b32_e32 v4, v2
	;; [unrolled: 1-line block ×3, first 2 shown]
	v_accvgpr_read_b32 v0, a111
	scratch_store_dwordx4 off, v[2:5], off offset:560
	s_waitcnt vmcnt(1)
	ds_write_b128 v0, v[6:9]
.LBB118_275:
	s_or_b64 exec, exec, s[0:1]
	s_waitcnt lgkmcnt(0)
	; wave barrier
	ds_read_b128 v[16:19], v2 offset:1440
	ds_read_b128 v[12:15], v2 offset:1456
	;; [unrolled: 1-line block ×4, first 2 shown]
	scratch_load_dwordx4 v[20:23], off, off offset:576
	scratch_load_dwordx4 v[40:43], off, off offset:640
	;; [unrolled: 1-line block ×14, first 2 shown]
	v_cmp_lt_u32_e32 vcc, 33, v240
	scratch_load_dwordx4 v[48:51], off, off offset:656
	scratch_load_dwordx4 v[56:59], off, off offset:672
	;; [unrolled: 1-line block ×3, first 2 shown]
	s_waitcnt vmcnt(16) lgkmcnt(3)
	v_mul_f64 v[24:25], v[16:17], v[22:23]
	v_fmac_f64_e32 v[24:25], v[18:19], v[20:21]
	v_add_f64 v[28:29], v[24:25], 0
	scratch_load_dwordx4 v[24:27], off, off offset:592
	s_waitcnt vmcnt(0) lgkmcnt(2)
	v_mul_f64 v[30:31], v[12:13], v[26:27]
	v_fmac_f64_e32 v[30:31], v[14:15], v[24:25]
	v_add_f64 v[32:33], v[28:29], v[30:31]
	scratch_load_dwordx4 v[28:31], off, off offset:608
	v_mul_f64 v[14:15], v[14:15], v[26:27]
	v_fma_f64 v[12:13], v[12:13], v[24:25], -v[14:15]
	s_waitcnt vmcnt(0) lgkmcnt(1)
	v_mul_f64 v[34:35], v[8:9], v[30:31]
	v_fmac_f64_e32 v[34:35], v[10:11], v[28:29]
	v_add_f64 v[36:37], v[32:33], v[34:35]
	scratch_load_dwordx4 v[32:35], off, off offset:624
	v_mul_f64 v[10:11], v[10:11], v[30:31]
	v_fma_f64 v[8:9], v[8:9], v[28:29], -v[10:11]
	s_waitcnt vmcnt(0) lgkmcnt(0)
	v_mul_f64 v[38:39], v[4:5], v[34:35]
	v_fmac_f64_e32 v[38:39], v[6:7], v[32:33]
	v_add_f64 v[44:45], v[36:37], v[38:39]
	ds_read_b128 v[36:39], v2 offset:1504
	v_mul_f64 v[6:7], v[6:7], v[34:35]
	v_fma_f64 v[4:5], v[4:5], v[32:33], -v[6:7]
	s_waitcnt lgkmcnt(0)
	v_mul_f64 v[46:47], v[36:37], v[42:43]
	v_fmac_f64_e32 v[46:47], v[38:39], v[40:41]
	v_add_f64 v[52:53], v[44:45], v[46:47]
	ds_read_b128 v[44:47], v2 offset:1520
	s_waitcnt lgkmcnt(0)
	v_mul_f64 v[54:55], v[44:45], v[50:51]
	v_fmac_f64_e32 v[54:55], v[46:47], v[48:49]
	v_add_f64 v[60:61], v[52:53], v[54:55]
	ds_read_b128 v[52:55], v2 offset:1536
	;; [unrolled: 5-line block ×15, first 2 shown]
	s_waitcnt lgkmcnt(0)
	v_mul_f64 v[2:3], v[158:159], v[164:165]
	v_fmac_f64_e32 v[2:3], v[160:161], v[162:163]
	v_add_f64 v[96:97], v[96:97], v[2:3]
	v_mul_f64 v[2:3], v[18:19], v[22:23]
	v_fma_f64 v[2:3], v[16:17], v[20:21], -v[2:3]
	v_add_f64 v[2:3], v[2:3], 0
	v_add_f64 v[2:3], v[2:3], v[12:13]
	;; [unrolled: 1-line block ×4, first 2 shown]
	v_mul_f64 v[4:5], v[38:39], v[42:43]
	v_fma_f64 v[4:5], v[36:37], v[40:41], -v[4:5]
	v_add_f64 v[2:3], v[2:3], v[4:5]
	v_mul_f64 v[4:5], v[46:47], v[50:51]
	v_fma_f64 v[4:5], v[44:45], v[48:49], -v[4:5]
	v_add_f64 v[2:3], v[2:3], v[4:5]
	;; [unrolled: 3-line block ×16, first 2 shown]
	scratch_load_dwordx4 v[2:5], off, off offset:560
	s_waitcnt vmcnt(0)
	v_add_f64 v[2:3], v[2:3], -v[6:7]
	v_add_f64 v[4:5], v[4:5], -v[96:97]
	scratch_store_dwordx4 off, v[2:5], off offset:560
	s_and_saveexec_b64 s[0:1], vcc
	s_cbranch_execz .LBB118_277
; %bb.276:
	scratch_load_dwordx4 v[2:5], off, s38
	v_mov_b32_e32 v6, 0
	v_mov_b32_e32 v7, v6
	;; [unrolled: 1-line block ×4, first 2 shown]
	v_accvgpr_read_b32 v0, a111
	scratch_store_dwordx4 off, v[6:9], off offset:544
	s_waitcnt vmcnt(1)
	ds_write_b128 v0, v[2:5]
.LBB118_277:
	s_or_b64 exec, exec, s[0:1]
	v_mov_b32_e32 v2, 0
	s_waitcnt lgkmcnt(0)
	; wave barrier
	ds_read_b128 v[16:19], v2 offset:1424
	ds_read_b128 v[12:15], v2 offset:1440
	;; [unrolled: 1-line block ×4, first 2 shown]
	scratch_load_dwordx4 v[20:23], off, off offset:560
	scratch_load_dwordx4 v[40:43], off, off offset:624
	scratch_load_dwordx4 v[72:75], off, off offset:688
	scratch_load_dwordx4 v[80:83], off, off offset:704
	scratch_load_dwordx4 v[88:91], off, off offset:720
	scratch_load_dwordx4 v[96:99], off, off offset:736
	scratch_load_dwordx4 v[106:109], off, off offset:752
	scratch_load_dwordx4 v[114:117], off, off offset:768
	scratch_load_dwordx4 v[122:125], off, off offset:784
	scratch_load_dwordx4 v[130:133], off, off offset:800
	scratch_load_dwordx4 v[138:141], off, off offset:816
	scratch_load_dwordx4 v[146:149], off, off offset:832
	scratch_load_dwordx4 v[154:157], off, off offset:848
	scratch_load_dwordx4 v[162:165], off, off offset:864
	scratch_load_dwordx4 v[170:173], off, off offset:880
	v_cmp_lt_u32_e32 vcc, 32, v240
	scratch_load_dwordx4 v[48:51], off, off offset:640
	scratch_load_dwordx4 v[56:59], off, off offset:656
	;; [unrolled: 1-line block ×3, first 2 shown]
	s_waitcnt vmcnt(17) lgkmcnt(3)
	v_mul_f64 v[24:25], v[16:17], v[22:23]
	v_fmac_f64_e32 v[24:25], v[18:19], v[20:21]
	v_add_f64 v[28:29], v[24:25], 0
	scratch_load_dwordx4 v[24:27], off, off offset:576
	v_mul_f64 v[18:19], v[18:19], v[22:23]
	v_fma_f64 v[16:17], v[16:17], v[20:21], -v[18:19]
	v_add_f64 v[16:17], v[16:17], 0
	s_waitcnt vmcnt(0) lgkmcnt(2)
	v_mul_f64 v[30:31], v[12:13], v[26:27]
	v_fmac_f64_e32 v[30:31], v[14:15], v[24:25]
	v_add_f64 v[32:33], v[28:29], v[30:31]
	scratch_load_dwordx4 v[28:31], off, off offset:592
	v_mul_f64 v[14:15], v[14:15], v[26:27]
	v_fma_f64 v[12:13], v[12:13], v[24:25], -v[14:15]
	v_add_f64 v[12:13], v[16:17], v[12:13]
	;; [unrolled: 8-line block ×3, first 2 shown]
	s_waitcnt vmcnt(0) lgkmcnt(0)
	v_mul_f64 v[38:39], v[4:5], v[34:35]
	v_fmac_f64_e32 v[38:39], v[6:7], v[32:33]
	v_add_f64 v[44:45], v[36:37], v[38:39]
	ds_read_b128 v[36:39], v2 offset:1488
	v_mul_f64 v[6:7], v[6:7], v[34:35]
	v_fma_f64 v[4:5], v[4:5], v[32:33], -v[6:7]
	v_add_f64 v[4:5], v[8:9], v[4:5]
	s_waitcnt lgkmcnt(0)
	v_mul_f64 v[46:47], v[36:37], v[42:43]
	v_fmac_f64_e32 v[46:47], v[38:39], v[40:41]
	v_add_f64 v[52:53], v[44:45], v[46:47]
	ds_read_b128 v[44:47], v2 offset:1504
	v_mul_f64 v[6:7], v[38:39], v[42:43]
	v_fma_f64 v[6:7], v[36:37], v[40:41], -v[6:7]
	v_add_f64 v[4:5], v[4:5], v[6:7]
	s_waitcnt lgkmcnt(0)
	;; [unrolled: 8-line block ×17, first 2 shown]
	v_mul_f64 v[6:7], v[168:169], v[172:173]
	v_fma_f64 v[6:7], v[166:167], v[170:171], -v[6:7]
	v_add_f64 v[8:9], v[4:5], v[6:7]
	scratch_load_dwordx4 v[4:7], off, off offset:544
	v_mul_f64 v[174:175], v[166:167], v[172:173]
	v_fmac_f64_e32 v[174:175], v[168:169], v[170:171]
	v_add_f64 v[104:105], v[104:105], v[174:175]
	s_waitcnt vmcnt(0)
	v_add_f64 v[4:5], v[4:5], -v[8:9]
	v_add_f64 v[6:7], v[6:7], -v[104:105]
	scratch_store_dwordx4 off, v[4:7], off offset:544
	s_and_saveexec_b64 s[0:1], vcc
	s_cbranch_execz .LBB118_279
; %bb.278:
	scratch_load_dwordx4 v[6:9], off, s39
	v_mov_b32_e32 v3, v2
	v_mov_b32_e32 v4, v2
	;; [unrolled: 1-line block ×3, first 2 shown]
	v_accvgpr_read_b32 v0, a111
	scratch_store_dwordx4 off, v[2:5], off offset:528
	s_waitcnt vmcnt(1)
	ds_write_b128 v0, v[6:9]
.LBB118_279:
	s_or_b64 exec, exec, s[0:1]
	s_waitcnt lgkmcnt(0)
	; wave barrier
	ds_read_b128 v[16:19], v2 offset:1408
	ds_read_b128 v[12:15], v2 offset:1424
	;; [unrolled: 1-line block ×4, first 2 shown]
	scratch_load_dwordx4 v[20:23], off, off offset:544
	scratch_load_dwordx4 v[40:43], off, off offset:608
	;; [unrolled: 1-line block ×16, first 2 shown]
	v_cmp_lt_u32_e32 vcc, 31, v240
	scratch_load_dwordx4 v[48:51], off, off offset:624
	scratch_load_dwordx4 v[56:59], off, off offset:640
	;; [unrolled: 1-line block ×3, first 2 shown]
	s_waitcnt vmcnt(18) lgkmcnt(3)
	v_mul_f64 v[24:25], v[16:17], v[22:23]
	v_fmac_f64_e32 v[24:25], v[18:19], v[20:21]
	v_add_f64 v[28:29], v[24:25], 0
	scratch_load_dwordx4 v[24:27], off, off offset:560
	s_waitcnt vmcnt(0) lgkmcnt(2)
	v_mul_f64 v[30:31], v[12:13], v[26:27]
	v_fmac_f64_e32 v[30:31], v[14:15], v[24:25]
	v_add_f64 v[32:33], v[28:29], v[30:31]
	scratch_load_dwordx4 v[28:31], off, off offset:576
	v_mul_f64 v[14:15], v[14:15], v[26:27]
	v_fma_f64 v[12:13], v[12:13], v[24:25], -v[14:15]
	s_waitcnt vmcnt(0) lgkmcnt(1)
	v_mul_f64 v[34:35], v[8:9], v[30:31]
	v_fmac_f64_e32 v[34:35], v[10:11], v[28:29]
	v_add_f64 v[36:37], v[32:33], v[34:35]
	scratch_load_dwordx4 v[32:35], off, off offset:592
	v_mul_f64 v[10:11], v[10:11], v[30:31]
	v_fma_f64 v[8:9], v[8:9], v[28:29], -v[10:11]
	s_waitcnt vmcnt(0) lgkmcnt(0)
	v_mul_f64 v[38:39], v[4:5], v[34:35]
	v_fmac_f64_e32 v[38:39], v[6:7], v[32:33]
	v_add_f64 v[44:45], v[36:37], v[38:39]
	ds_read_b128 v[36:39], v2 offset:1472
	v_mul_f64 v[6:7], v[6:7], v[34:35]
	v_fma_f64 v[4:5], v[4:5], v[32:33], -v[6:7]
	s_waitcnt lgkmcnt(0)
	v_mul_f64 v[46:47], v[36:37], v[42:43]
	v_fmac_f64_e32 v[46:47], v[38:39], v[40:41]
	v_add_f64 v[52:53], v[44:45], v[46:47]
	ds_read_b128 v[44:47], v2 offset:1488
	s_waitcnt lgkmcnt(0)
	v_mul_f64 v[54:55], v[44:45], v[50:51]
	v_fmac_f64_e32 v[54:55], v[46:47], v[48:49]
	v_add_f64 v[60:61], v[52:53], v[54:55]
	ds_read_b128 v[52:55], v2 offset:1504
	;; [unrolled: 5-line block ×17, first 2 shown]
	s_waitcnt lgkmcnt(0)
	v_mul_f64 v[2:3], v[174:175], v[180:181]
	v_fmac_f64_e32 v[2:3], v[176:177], v[178:179]
	v_add_f64 v[120:121], v[120:121], v[2:3]
	v_mul_f64 v[2:3], v[18:19], v[22:23]
	v_fma_f64 v[2:3], v[16:17], v[20:21], -v[2:3]
	v_add_f64 v[2:3], v[2:3], 0
	v_add_f64 v[2:3], v[2:3], v[12:13]
	;; [unrolled: 1-line block ×4, first 2 shown]
	v_mul_f64 v[4:5], v[38:39], v[42:43]
	v_fma_f64 v[4:5], v[36:37], v[40:41], -v[4:5]
	v_add_f64 v[2:3], v[2:3], v[4:5]
	v_mul_f64 v[4:5], v[46:47], v[50:51]
	v_fma_f64 v[4:5], v[44:45], v[48:49], -v[4:5]
	v_add_f64 v[2:3], v[2:3], v[4:5]
	;; [unrolled: 3-line block ×18, first 2 shown]
	scratch_load_dwordx4 v[2:5], off, off offset:528
	s_waitcnt vmcnt(0)
	v_add_f64 v[2:3], v[2:3], -v[6:7]
	v_add_f64 v[4:5], v[4:5], -v[120:121]
	scratch_store_dwordx4 off, v[2:5], off offset:528
	s_and_saveexec_b64 s[0:1], vcc
	s_cbranch_execz .LBB118_281
; %bb.280:
	scratch_load_dwordx4 v[2:5], off, s40
	v_mov_b32_e32 v6, 0
	v_mov_b32_e32 v7, v6
	;; [unrolled: 1-line block ×4, first 2 shown]
	v_accvgpr_read_b32 v0, a111
	scratch_store_dwordx4 off, v[6:9], off offset:512
	s_waitcnt vmcnt(1)
	ds_write_b128 v0, v[2:5]
.LBB118_281:
	s_or_b64 exec, exec, s[0:1]
	v_mov_b32_e32 v2, 0
	s_waitcnt lgkmcnt(0)
	; wave barrier
	ds_read_b128 v[16:19], v2 offset:1392
	ds_read_b128 v[12:15], v2 offset:1408
	;; [unrolled: 1-line block ×4, first 2 shown]
	scratch_load_dwordx4 v[20:23], off, off offset:528
	scratch_load_dwordx4 v[40:43], off, off offset:592
	;; [unrolled: 1-line block ×17, first 2 shown]
	v_cmp_lt_u32_e32 vcc, 30, v240
	scratch_load_dwordx4 v[48:51], off, off offset:608
	scratch_load_dwordx4 v[56:59], off, off offset:624
	;; [unrolled: 1-line block ×3, first 2 shown]
	s_waitcnt vmcnt(19) lgkmcnt(3)
	v_mul_f64 v[24:25], v[16:17], v[22:23]
	v_fmac_f64_e32 v[24:25], v[18:19], v[20:21]
	v_add_f64 v[28:29], v[24:25], 0
	scratch_load_dwordx4 v[24:27], off, off offset:544
	v_mul_f64 v[18:19], v[18:19], v[22:23]
	v_fma_f64 v[16:17], v[16:17], v[20:21], -v[18:19]
	v_add_f64 v[16:17], v[16:17], 0
	s_waitcnt vmcnt(0) lgkmcnt(2)
	v_mul_f64 v[30:31], v[12:13], v[26:27]
	v_fmac_f64_e32 v[30:31], v[14:15], v[24:25]
	v_add_f64 v[32:33], v[28:29], v[30:31]
	scratch_load_dwordx4 v[28:31], off, off offset:560
	v_mul_f64 v[14:15], v[14:15], v[26:27]
	v_fma_f64 v[12:13], v[12:13], v[24:25], -v[14:15]
	v_add_f64 v[12:13], v[16:17], v[12:13]
	;; [unrolled: 8-line block ×3, first 2 shown]
	s_waitcnt vmcnt(0) lgkmcnt(0)
	v_mul_f64 v[38:39], v[4:5], v[34:35]
	v_fmac_f64_e32 v[38:39], v[6:7], v[32:33]
	v_add_f64 v[44:45], v[36:37], v[38:39]
	ds_read_b128 v[36:39], v2 offset:1456
	v_mul_f64 v[6:7], v[6:7], v[34:35]
	v_fma_f64 v[4:5], v[4:5], v[32:33], -v[6:7]
	v_add_f64 v[4:5], v[8:9], v[4:5]
	s_waitcnt lgkmcnt(0)
	v_mul_f64 v[46:47], v[36:37], v[42:43]
	v_fmac_f64_e32 v[46:47], v[38:39], v[40:41]
	v_add_f64 v[52:53], v[44:45], v[46:47]
	ds_read_b128 v[44:47], v2 offset:1472
	v_mul_f64 v[6:7], v[38:39], v[42:43]
	v_fma_f64 v[6:7], v[36:37], v[40:41], -v[6:7]
	v_add_f64 v[4:5], v[4:5], v[6:7]
	s_waitcnt lgkmcnt(0)
	;; [unrolled: 8-line block ×19, first 2 shown]
	v_mul_f64 v[6:7], v[184:185], v[188:189]
	v_fma_f64 v[6:7], v[182:183], v[186:187], -v[6:7]
	v_add_f64 v[8:9], v[4:5], v[6:7]
	scratch_load_dwordx4 v[4:7], off, off offset:512
	v_mul_f64 v[190:191], v[182:183], v[188:189]
	v_fmac_f64_e32 v[190:191], v[184:185], v[186:187]
	v_add_f64 v[128:129], v[128:129], v[190:191]
	s_waitcnt vmcnt(0)
	v_add_f64 v[4:5], v[4:5], -v[8:9]
	v_add_f64 v[6:7], v[6:7], -v[128:129]
	scratch_store_dwordx4 off, v[4:7], off offset:512
	s_and_saveexec_b64 s[0:1], vcc
	s_cbranch_execz .LBB118_283
; %bb.282:
	scratch_load_dwordx4 v[6:9], off, s41
	v_mov_b32_e32 v3, v2
	v_mov_b32_e32 v4, v2
	;; [unrolled: 1-line block ×3, first 2 shown]
	v_accvgpr_read_b32 v0, a111
	scratch_store_dwordx4 off, v[2:5], off offset:496
	s_waitcnt vmcnt(1)
	ds_write_b128 v0, v[6:9]
.LBB118_283:
	s_or_b64 exec, exec, s[0:1]
	s_waitcnt lgkmcnt(0)
	; wave barrier
	ds_read_b128 v[16:19], v2 offset:1376
	ds_read_b128 v[12:15], v2 offset:1392
	;; [unrolled: 1-line block ×4, first 2 shown]
	scratch_load_dwordx4 v[20:23], off, off offset:512
	scratch_load_dwordx4 v[40:43], off, off offset:576
	;; [unrolled: 1-line block ×18, first 2 shown]
	v_cmp_lt_u32_e32 vcc, 29, v240
	scratch_load_dwordx4 v[48:51], off, off offset:592
	scratch_load_dwordx4 v[56:59], off, off offset:608
	;; [unrolled: 1-line block ×3, first 2 shown]
	s_waitcnt vmcnt(20) lgkmcnt(3)
	v_mul_f64 v[24:25], v[16:17], v[22:23]
	v_fmac_f64_e32 v[24:25], v[18:19], v[20:21]
	v_add_f64 v[28:29], v[24:25], 0
	scratch_load_dwordx4 v[24:27], off, off offset:528
	s_waitcnt vmcnt(0) lgkmcnt(2)
	v_mul_f64 v[30:31], v[12:13], v[26:27]
	v_fmac_f64_e32 v[30:31], v[14:15], v[24:25]
	v_add_f64 v[32:33], v[28:29], v[30:31]
	scratch_load_dwordx4 v[28:31], off, off offset:544
	v_mul_f64 v[14:15], v[14:15], v[26:27]
	v_fma_f64 v[12:13], v[12:13], v[24:25], -v[14:15]
	s_waitcnt vmcnt(0) lgkmcnt(1)
	v_mul_f64 v[34:35], v[8:9], v[30:31]
	v_fmac_f64_e32 v[34:35], v[10:11], v[28:29]
	v_add_f64 v[36:37], v[32:33], v[34:35]
	scratch_load_dwordx4 v[32:35], off, off offset:560
	v_mul_f64 v[10:11], v[10:11], v[30:31]
	v_fma_f64 v[8:9], v[8:9], v[28:29], -v[10:11]
	s_waitcnt vmcnt(0) lgkmcnt(0)
	v_mul_f64 v[38:39], v[4:5], v[34:35]
	v_fmac_f64_e32 v[38:39], v[6:7], v[32:33]
	v_add_f64 v[44:45], v[36:37], v[38:39]
	ds_read_b128 v[36:39], v2 offset:1440
	v_mul_f64 v[6:7], v[6:7], v[34:35]
	v_fma_f64 v[4:5], v[4:5], v[32:33], -v[6:7]
	s_waitcnt lgkmcnt(0)
	v_mul_f64 v[46:47], v[36:37], v[42:43]
	v_fmac_f64_e32 v[46:47], v[38:39], v[40:41]
	v_add_f64 v[52:53], v[44:45], v[46:47]
	ds_read_b128 v[44:47], v2 offset:1456
	s_waitcnt lgkmcnt(0)
	v_mul_f64 v[54:55], v[44:45], v[50:51]
	v_fmac_f64_e32 v[54:55], v[46:47], v[48:49]
	v_add_f64 v[60:61], v[52:53], v[54:55]
	ds_read_b128 v[52:55], v2 offset:1472
	;; [unrolled: 5-line block ×19, first 2 shown]
	s_waitcnt lgkmcnt(0)
	v_mul_f64 v[2:3], v[190:191], v[196:197]
	v_fmac_f64_e32 v[2:3], v[192:193], v[194:195]
	v_add_f64 v[148:149], v[148:149], v[2:3]
	v_mul_f64 v[2:3], v[18:19], v[22:23]
	v_fma_f64 v[2:3], v[16:17], v[20:21], -v[2:3]
	v_add_f64 v[2:3], v[2:3], 0
	v_add_f64 v[2:3], v[2:3], v[12:13]
	;; [unrolled: 1-line block ×4, first 2 shown]
	v_mul_f64 v[4:5], v[38:39], v[42:43]
	v_fma_f64 v[4:5], v[36:37], v[40:41], -v[4:5]
	v_add_f64 v[2:3], v[2:3], v[4:5]
	v_mul_f64 v[4:5], v[46:47], v[50:51]
	v_fma_f64 v[4:5], v[44:45], v[48:49], -v[4:5]
	v_add_f64 v[2:3], v[2:3], v[4:5]
	;; [unrolled: 3-line block ×20, first 2 shown]
	scratch_load_dwordx4 v[2:5], off, off offset:496
	s_waitcnt vmcnt(0)
	v_add_f64 v[2:3], v[2:3], -v[6:7]
	v_add_f64 v[4:5], v[4:5], -v[148:149]
	scratch_store_dwordx4 off, v[2:5], off offset:496
	s_and_saveexec_b64 s[0:1], vcc
	s_cbranch_execz .LBB118_285
; %bb.284:
	scratch_load_dwordx4 v[2:5], off, s42
	v_mov_b32_e32 v6, 0
	v_mov_b32_e32 v7, v6
	v_mov_b32_e32 v8, v6
	v_mov_b32_e32 v9, v6
	v_accvgpr_read_b32 v0, a111
	scratch_store_dwordx4 off, v[6:9], off offset:480
	s_waitcnt vmcnt(1)
	ds_write_b128 v0, v[2:5]
.LBB118_285:
	s_or_b64 exec, exec, s[0:1]
	v_mov_b32_e32 v2, 0
	s_waitcnt lgkmcnt(0)
	; wave barrier
	ds_read_b128 v[16:19], v2 offset:1360
	ds_read_b128 v[12:15], v2 offset:1376
	ds_read_b128 v[8:11], v2 offset:1392
	ds_read_b128 v[4:7], v2 offset:1408
	scratch_load_dwordx4 v[20:23], off, off offset:496
	scratch_load_dwordx4 v[40:43], off, off offset:560
	;; [unrolled: 1-line block ×19, first 2 shown]
	v_cmp_lt_u32_e32 vcc, 28, v240
	scratch_load_dwordx4 v[48:51], off, off offset:576
	scratch_load_dwordx4 v[56:59], off, off offset:592
	;; [unrolled: 1-line block ×3, first 2 shown]
	s_waitcnt vmcnt(21) lgkmcnt(3)
	v_mul_f64 v[24:25], v[16:17], v[22:23]
	v_fmac_f64_e32 v[24:25], v[18:19], v[20:21]
	v_add_f64 v[28:29], v[24:25], 0
	scratch_load_dwordx4 v[24:27], off, off offset:512
	v_mul_f64 v[18:19], v[18:19], v[22:23]
	v_fma_f64 v[16:17], v[16:17], v[20:21], -v[18:19]
	v_add_f64 v[16:17], v[16:17], 0
	s_waitcnt vmcnt(0) lgkmcnt(2)
	v_mul_f64 v[30:31], v[12:13], v[26:27]
	v_fmac_f64_e32 v[30:31], v[14:15], v[24:25]
	v_add_f64 v[32:33], v[28:29], v[30:31]
	scratch_load_dwordx4 v[28:31], off, off offset:528
	v_mul_f64 v[14:15], v[14:15], v[26:27]
	v_fma_f64 v[12:13], v[12:13], v[24:25], -v[14:15]
	v_add_f64 v[12:13], v[16:17], v[12:13]
	;; [unrolled: 8-line block ×3, first 2 shown]
	s_waitcnt vmcnt(0) lgkmcnt(0)
	v_mul_f64 v[38:39], v[4:5], v[34:35]
	v_fmac_f64_e32 v[38:39], v[6:7], v[32:33]
	v_add_f64 v[44:45], v[36:37], v[38:39]
	ds_read_b128 v[36:39], v2 offset:1424
	v_mul_f64 v[6:7], v[6:7], v[34:35]
	v_fma_f64 v[4:5], v[4:5], v[32:33], -v[6:7]
	v_add_f64 v[4:5], v[8:9], v[4:5]
	s_waitcnt lgkmcnt(0)
	v_mul_f64 v[46:47], v[36:37], v[42:43]
	v_fmac_f64_e32 v[46:47], v[38:39], v[40:41]
	v_add_f64 v[52:53], v[44:45], v[46:47]
	ds_read_b128 v[44:47], v2 offset:1440
	v_mul_f64 v[6:7], v[38:39], v[42:43]
	v_fma_f64 v[6:7], v[36:37], v[40:41], -v[6:7]
	v_add_f64 v[4:5], v[4:5], v[6:7]
	s_waitcnt lgkmcnt(0)
	;; [unrolled: 8-line block ×21, first 2 shown]
	v_mul_f64 v[6:7], v[200:201], v[204:205]
	v_fma_f64 v[6:7], v[198:199], v[202:203], -v[6:7]
	v_add_f64 v[8:9], v[4:5], v[6:7]
	scratch_load_dwordx4 v[4:7], off, off offset:480
	v_mul_f64 v[206:207], v[198:199], v[204:205]
	v_fmac_f64_e32 v[206:207], v[200:201], v[202:203]
	v_add_f64 v[144:145], v[144:145], v[206:207]
	s_waitcnt vmcnt(0)
	v_add_f64 v[4:5], v[4:5], -v[8:9]
	v_add_f64 v[6:7], v[6:7], -v[144:145]
	scratch_store_dwordx4 off, v[4:7], off offset:480
	s_and_saveexec_b64 s[0:1], vcc
	s_cbranch_execz .LBB118_287
; %bb.286:
	scratch_load_dwordx4 v[6:9], off, s43
	v_mov_b32_e32 v3, v2
	v_mov_b32_e32 v4, v2
	v_mov_b32_e32 v5, v2
	v_accvgpr_read_b32 v0, a111
	scratch_store_dwordx4 off, v[2:5], off offset:464
	s_waitcnt vmcnt(1)
	ds_write_b128 v0, v[6:9]
.LBB118_287:
	s_or_b64 exec, exec, s[0:1]
	s_waitcnt lgkmcnt(0)
	; wave barrier
	ds_read_b128 v[16:19], v2 offset:1344
	ds_read_b128 v[12:15], v2 offset:1360
	;; [unrolled: 1-line block ×4, first 2 shown]
	scratch_load_dwordx4 v[20:23], off, off offset:480
	scratch_load_dwordx4 v[40:43], off, off offset:544
	;; [unrolled: 1-line block ×20, first 2 shown]
	v_cmp_lt_u32_e32 vcc, 27, v240
	scratch_load_dwordx4 v[48:51], off, off offset:560
	scratch_load_dwordx4 v[56:59], off, off offset:576
	;; [unrolled: 1-line block ×3, first 2 shown]
	s_waitcnt vmcnt(22) lgkmcnt(3)
	v_mul_f64 v[24:25], v[16:17], v[22:23]
	v_fmac_f64_e32 v[24:25], v[18:19], v[20:21]
	v_add_f64 v[28:29], v[24:25], 0
	scratch_load_dwordx4 v[24:27], off, off offset:496
	s_waitcnt vmcnt(0) lgkmcnt(2)
	v_mul_f64 v[30:31], v[12:13], v[26:27]
	v_fmac_f64_e32 v[30:31], v[14:15], v[24:25]
	v_add_f64 v[32:33], v[28:29], v[30:31]
	scratch_load_dwordx4 v[28:31], off, off offset:512
	v_mul_f64 v[14:15], v[14:15], v[26:27]
	v_fma_f64 v[12:13], v[12:13], v[24:25], -v[14:15]
	s_waitcnt vmcnt(0) lgkmcnt(1)
	v_mul_f64 v[34:35], v[8:9], v[30:31]
	v_fmac_f64_e32 v[34:35], v[10:11], v[28:29]
	v_add_f64 v[36:37], v[32:33], v[34:35]
	scratch_load_dwordx4 v[32:35], off, off offset:528
	v_mul_f64 v[10:11], v[10:11], v[30:31]
	v_fma_f64 v[8:9], v[8:9], v[28:29], -v[10:11]
	s_waitcnt vmcnt(0) lgkmcnt(0)
	v_mul_f64 v[38:39], v[4:5], v[34:35]
	v_fmac_f64_e32 v[38:39], v[6:7], v[32:33]
	v_add_f64 v[44:45], v[36:37], v[38:39]
	ds_read_b128 v[36:39], v2 offset:1408
	v_mul_f64 v[6:7], v[6:7], v[34:35]
	v_fma_f64 v[4:5], v[4:5], v[32:33], -v[6:7]
	s_waitcnt lgkmcnt(0)
	v_mul_f64 v[46:47], v[36:37], v[42:43]
	v_fmac_f64_e32 v[46:47], v[38:39], v[40:41]
	v_add_f64 v[52:53], v[44:45], v[46:47]
	ds_read_b128 v[44:47], v2 offset:1424
	s_waitcnt lgkmcnt(0)
	v_mul_f64 v[54:55], v[44:45], v[50:51]
	v_fmac_f64_e32 v[54:55], v[46:47], v[48:49]
	v_add_f64 v[60:61], v[52:53], v[54:55]
	ds_read_b128 v[52:55], v2 offset:1440
	;; [unrolled: 5-line block ×21, first 2 shown]
	s_waitcnt lgkmcnt(0)
	v_mul_f64 v[2:3], v[206:207], v[212:213]
	v_fmac_f64_e32 v[2:3], v[208:209], v[210:211]
	v_add_f64 v[168:169], v[168:169], v[2:3]
	v_mul_f64 v[2:3], v[18:19], v[22:23]
	v_fma_f64 v[2:3], v[16:17], v[20:21], -v[2:3]
	v_add_f64 v[2:3], v[2:3], 0
	v_add_f64 v[2:3], v[2:3], v[12:13]
	v_add_f64 v[2:3], v[2:3], v[8:9]
	v_add_f64 v[2:3], v[2:3], v[4:5]
	v_mul_f64 v[4:5], v[38:39], v[42:43]
	v_fma_f64 v[4:5], v[36:37], v[40:41], -v[4:5]
	v_add_f64 v[2:3], v[2:3], v[4:5]
	v_mul_f64 v[4:5], v[46:47], v[50:51]
	v_fma_f64 v[4:5], v[44:45], v[48:49], -v[4:5]
	v_add_f64 v[2:3], v[2:3], v[4:5]
	;; [unrolled: 3-line block ×22, first 2 shown]
	scratch_load_dwordx4 v[2:5], off, off offset:464
	s_waitcnt vmcnt(0)
	v_add_f64 v[2:3], v[2:3], -v[6:7]
	v_add_f64 v[4:5], v[4:5], -v[168:169]
	scratch_store_dwordx4 off, v[2:5], off offset:464
	s_and_saveexec_b64 s[0:1], vcc
	s_cbranch_execz .LBB118_289
; %bb.288:
	scratch_load_dwordx4 v[2:5], off, s44
	v_mov_b32_e32 v6, 0
	v_mov_b32_e32 v7, v6
	;; [unrolled: 1-line block ×4, first 2 shown]
	v_accvgpr_read_b32 v0, a111
	scratch_store_dwordx4 off, v[6:9], off offset:448
	s_waitcnt vmcnt(1)
	ds_write_b128 v0, v[2:5]
.LBB118_289:
	s_or_b64 exec, exec, s[0:1]
	v_mov_b32_e32 v2, 0
	s_waitcnt lgkmcnt(0)
	; wave barrier
	ds_read_b128 v[16:19], v2 offset:1328
	ds_read_b128 v[12:15], v2 offset:1344
	;; [unrolled: 1-line block ×4, first 2 shown]
	scratch_load_dwordx4 v[20:23], off, off offset:464
	scratch_load_dwordx4 v[40:43], off, off offset:528
	;; [unrolled: 1-line block ×21, first 2 shown]
	v_cmp_lt_u32_e32 vcc, 26, v240
	scratch_load_dwordx4 v[48:51], off, off offset:544
	scratch_load_dwordx4 v[56:59], off, off offset:560
	;; [unrolled: 1-line block ×3, first 2 shown]
	s_waitcnt vmcnt(23) lgkmcnt(3)
	v_mul_f64 v[24:25], v[16:17], v[22:23]
	v_fmac_f64_e32 v[24:25], v[18:19], v[20:21]
	v_add_f64 v[28:29], v[24:25], 0
	scratch_load_dwordx4 v[24:27], off, off offset:480
	v_mul_f64 v[18:19], v[18:19], v[22:23]
	v_fma_f64 v[16:17], v[16:17], v[20:21], -v[18:19]
	v_add_f64 v[16:17], v[16:17], 0
	s_waitcnt vmcnt(0) lgkmcnt(2)
	v_mul_f64 v[30:31], v[12:13], v[26:27]
	v_fmac_f64_e32 v[30:31], v[14:15], v[24:25]
	v_add_f64 v[32:33], v[28:29], v[30:31]
	scratch_load_dwordx4 v[28:31], off, off offset:496
	v_mul_f64 v[14:15], v[14:15], v[26:27]
	v_fma_f64 v[12:13], v[12:13], v[24:25], -v[14:15]
	v_add_f64 v[12:13], v[16:17], v[12:13]
	;; [unrolled: 8-line block ×3, first 2 shown]
	s_waitcnt vmcnt(0) lgkmcnt(0)
	v_mul_f64 v[38:39], v[4:5], v[34:35]
	v_fmac_f64_e32 v[38:39], v[6:7], v[32:33]
	v_add_f64 v[44:45], v[36:37], v[38:39]
	ds_read_b128 v[36:39], v2 offset:1392
	v_mul_f64 v[6:7], v[6:7], v[34:35]
	v_fma_f64 v[4:5], v[4:5], v[32:33], -v[6:7]
	v_add_f64 v[4:5], v[8:9], v[4:5]
	s_waitcnt lgkmcnt(0)
	v_mul_f64 v[46:47], v[36:37], v[42:43]
	v_fmac_f64_e32 v[46:47], v[38:39], v[40:41]
	v_add_f64 v[52:53], v[44:45], v[46:47]
	ds_read_b128 v[44:47], v2 offset:1408
	v_mul_f64 v[6:7], v[38:39], v[42:43]
	v_fma_f64 v[6:7], v[36:37], v[40:41], -v[6:7]
	v_add_f64 v[4:5], v[4:5], v[6:7]
	s_waitcnt lgkmcnt(0)
	;; [unrolled: 8-line block ×23, first 2 shown]
	v_mul_f64 v[6:7], v[216:217], v[220:221]
	v_fma_f64 v[6:7], v[214:215], v[218:219], -v[6:7]
	v_add_f64 v[8:9], v[4:5], v[6:7]
	scratch_load_dwordx4 v[4:7], off, off offset:448
	v_mul_f64 v[222:223], v[214:215], v[220:221]
	v_fmac_f64_e32 v[222:223], v[216:217], v[218:219]
	v_add_f64 v[160:161], v[160:161], v[222:223]
	s_waitcnt vmcnt(0)
	v_add_f64 v[4:5], v[4:5], -v[8:9]
	v_add_f64 v[6:7], v[6:7], -v[160:161]
	scratch_store_dwordx4 off, v[4:7], off offset:448
	s_and_saveexec_b64 s[0:1], vcc
	s_cbranch_execz .LBB118_291
; %bb.290:
	scratch_load_dwordx4 v[6:9], off, s45
	v_mov_b32_e32 v3, v2
	v_mov_b32_e32 v4, v2
	v_mov_b32_e32 v5, v2
	v_accvgpr_read_b32 v0, a111
	scratch_store_dwordx4 off, v[2:5], off offset:432
	s_waitcnt vmcnt(1)
	ds_write_b128 v0, v[6:9]
.LBB118_291:
	s_or_b64 exec, exec, s[0:1]
	s_waitcnt lgkmcnt(0)
	; wave barrier
	ds_read_b128 v[16:19], v2 offset:1312
	ds_read_b128 v[12:15], v2 offset:1328
	;; [unrolled: 1-line block ×4, first 2 shown]
	scratch_load_dwordx4 v[20:23], off, off offset:448
	scratch_load_dwordx4 v[40:43], off, off offset:512
	;; [unrolled: 1-line block ×22, first 2 shown]
	v_cmp_lt_u32_e32 vcc, 25, v240
	scratch_load_dwordx4 v[48:51], off, off offset:528
	scratch_load_dwordx4 v[56:59], off, off offset:544
	scratch_load_dwordx4 v[64:67], off, off offset:560
	s_waitcnt vmcnt(24) lgkmcnt(3)
	v_mul_f64 v[24:25], v[16:17], v[22:23]
	v_fmac_f64_e32 v[24:25], v[18:19], v[20:21]
	v_add_f64 v[28:29], v[24:25], 0
	scratch_load_dwordx4 v[24:27], off, off offset:464
	s_waitcnt vmcnt(0) lgkmcnt(2)
	v_mul_f64 v[30:31], v[12:13], v[26:27]
	v_fmac_f64_e32 v[30:31], v[14:15], v[24:25]
	v_add_f64 v[32:33], v[28:29], v[30:31]
	scratch_load_dwordx4 v[28:31], off, off offset:480
	v_mul_f64 v[14:15], v[14:15], v[26:27]
	v_fma_f64 v[12:13], v[12:13], v[24:25], -v[14:15]
	s_waitcnt vmcnt(0) lgkmcnt(1)
	v_mul_f64 v[34:35], v[8:9], v[30:31]
	v_fmac_f64_e32 v[34:35], v[10:11], v[28:29]
	v_add_f64 v[36:37], v[32:33], v[34:35]
	scratch_load_dwordx4 v[32:35], off, off offset:496
	v_mul_f64 v[10:11], v[10:11], v[30:31]
	v_fma_f64 v[8:9], v[8:9], v[28:29], -v[10:11]
	s_waitcnt vmcnt(0) lgkmcnt(0)
	v_mul_f64 v[38:39], v[4:5], v[34:35]
	v_fmac_f64_e32 v[38:39], v[6:7], v[32:33]
	v_add_f64 v[44:45], v[36:37], v[38:39]
	ds_read_b128 v[36:39], v2 offset:1376
	v_mul_f64 v[6:7], v[6:7], v[34:35]
	v_fma_f64 v[4:5], v[4:5], v[32:33], -v[6:7]
	s_waitcnt lgkmcnt(0)
	v_mul_f64 v[46:47], v[36:37], v[42:43]
	v_fmac_f64_e32 v[46:47], v[38:39], v[40:41]
	v_add_f64 v[52:53], v[44:45], v[46:47]
	ds_read_b128 v[44:47], v2 offset:1392
	s_waitcnt lgkmcnt(0)
	v_mul_f64 v[54:55], v[44:45], v[50:51]
	v_fmac_f64_e32 v[54:55], v[46:47], v[48:49]
	v_add_f64 v[60:61], v[52:53], v[54:55]
	ds_read_b128 v[52:55], v2 offset:1408
	;; [unrolled: 5-line block ×23, first 2 shown]
	s_waitcnt lgkmcnt(0)
	v_mul_f64 v[2:3], v[222:223], v[228:229]
	v_fmac_f64_e32 v[2:3], v[224:225], v[226:227]
	v_add_f64 v[176:177], v[176:177], v[2:3]
	v_mul_f64 v[2:3], v[18:19], v[22:23]
	v_fma_f64 v[2:3], v[16:17], v[20:21], -v[2:3]
	v_add_f64 v[2:3], v[2:3], 0
	v_add_f64 v[2:3], v[2:3], v[12:13]
	;; [unrolled: 1-line block ×4, first 2 shown]
	v_mul_f64 v[4:5], v[38:39], v[42:43]
	v_fma_f64 v[4:5], v[36:37], v[40:41], -v[4:5]
	v_add_f64 v[2:3], v[2:3], v[4:5]
	v_mul_f64 v[4:5], v[46:47], v[50:51]
	v_fma_f64 v[4:5], v[44:45], v[48:49], -v[4:5]
	v_add_f64 v[2:3], v[2:3], v[4:5]
	;; [unrolled: 3-line block ×24, first 2 shown]
	scratch_load_dwordx4 v[2:5], off, off offset:432
	s_waitcnt vmcnt(0)
	v_add_f64 v[2:3], v[2:3], -v[6:7]
	v_add_f64 v[4:5], v[4:5], -v[176:177]
	scratch_store_dwordx4 off, v[2:5], off offset:432
	s_and_saveexec_b64 s[0:1], vcc
	s_cbranch_execz .LBB118_293
; %bb.292:
	scratch_load_dwordx4 v[2:5], off, s46
	v_mov_b32_e32 v6, 0
	v_mov_b32_e32 v7, v6
	;; [unrolled: 1-line block ×4, first 2 shown]
	v_accvgpr_read_b32 v0, a111
	scratch_store_dwordx4 off, v[6:9], off offset:416
	s_waitcnt vmcnt(1)
	ds_write_b128 v0, v[2:5]
.LBB118_293:
	s_or_b64 exec, exec, s[0:1]
	v_mov_b32_e32 v2, 0
	s_waitcnt lgkmcnt(0)
	; wave barrier
	ds_read_b128 v[16:19], v2 offset:1296
	ds_read_b128 v[12:15], v2 offset:1312
	;; [unrolled: 1-line block ×4, first 2 shown]
	scratch_load_dwordx4 v[20:23], off, off offset:432
	scratch_load_dwordx4 v[40:43], off, off offset:496
	;; [unrolled: 1-line block ×23, first 2 shown]
	v_cmp_lt_u32_e32 vcc, 24, v240
	scratch_load_dwordx4 v[48:51], off, off offset:512
	scratch_load_dwordx4 v[56:59], off, off offset:528
	;; [unrolled: 1-line block ×3, first 2 shown]
	s_waitcnt vmcnt(25) lgkmcnt(3)
	v_mul_f64 v[24:25], v[16:17], v[22:23]
	v_fmac_f64_e32 v[24:25], v[18:19], v[20:21]
	v_add_f64 v[28:29], v[24:25], 0
	scratch_load_dwordx4 v[24:27], off, off offset:448
	v_mul_f64 v[18:19], v[18:19], v[22:23]
	v_fma_f64 v[16:17], v[16:17], v[20:21], -v[18:19]
	v_add_f64 v[16:17], v[16:17], 0
	s_waitcnt vmcnt(0) lgkmcnt(2)
	v_mul_f64 v[30:31], v[12:13], v[26:27]
	v_fmac_f64_e32 v[30:31], v[14:15], v[24:25]
	v_add_f64 v[32:33], v[28:29], v[30:31]
	scratch_load_dwordx4 v[28:31], off, off offset:464
	v_mul_f64 v[14:15], v[14:15], v[26:27]
	v_fma_f64 v[12:13], v[12:13], v[24:25], -v[14:15]
	v_add_f64 v[12:13], v[16:17], v[12:13]
	;; [unrolled: 8-line block ×3, first 2 shown]
	s_waitcnt vmcnt(0) lgkmcnt(0)
	v_mul_f64 v[38:39], v[4:5], v[34:35]
	v_fmac_f64_e32 v[38:39], v[6:7], v[32:33]
	v_add_f64 v[44:45], v[36:37], v[38:39]
	ds_read_b128 v[36:39], v2 offset:1360
	v_mul_f64 v[6:7], v[6:7], v[34:35]
	v_fma_f64 v[4:5], v[4:5], v[32:33], -v[6:7]
	v_add_f64 v[4:5], v[8:9], v[4:5]
	s_waitcnt lgkmcnt(0)
	v_mul_f64 v[46:47], v[36:37], v[42:43]
	v_fmac_f64_e32 v[46:47], v[38:39], v[40:41]
	v_add_f64 v[52:53], v[44:45], v[46:47]
	ds_read_b128 v[44:47], v2 offset:1376
	v_mul_f64 v[6:7], v[38:39], v[42:43]
	v_fma_f64 v[6:7], v[36:37], v[40:41], -v[6:7]
	v_add_f64 v[4:5], v[4:5], v[6:7]
	s_waitcnt lgkmcnt(0)
	;; [unrolled: 8-line block ×25, first 2 shown]
	v_mul_f64 v[6:7], v[232:233], v[236:237]
	v_fma_f64 v[6:7], v[230:231], v[234:235], -v[6:7]
	v_add_f64 v[8:9], v[4:5], v[6:7]
	scratch_load_dwordx4 v[4:7], off, off offset:416
	v_mul_f64 v[238:239], v[230:231], v[236:237]
	v_fmac_f64_e32 v[238:239], v[232:233], v[234:235]
	v_add_f64 v[176:177], v[176:177], v[238:239]
	s_waitcnt vmcnt(0)
	v_add_f64 v[4:5], v[4:5], -v[8:9]
	v_add_f64 v[6:7], v[6:7], -v[176:177]
	scratch_store_dwordx4 off, v[4:7], off offset:416
	s_and_saveexec_b64 s[0:1], vcc
	s_cbranch_execz .LBB118_295
; %bb.294:
	scratch_load_dwordx4 v[6:9], off, s47
	v_mov_b32_e32 v3, v2
	v_mov_b32_e32 v4, v2
	;; [unrolled: 1-line block ×3, first 2 shown]
	v_accvgpr_read_b32 v0, a111
	scratch_store_dwordx4 off, v[2:5], off offset:400
	s_waitcnt vmcnt(1)
	ds_write_b128 v0, v[6:9]
.LBB118_295:
	s_or_b64 exec, exec, s[0:1]
	s_waitcnt lgkmcnt(0)
	; wave barrier
	ds_read_b128 v[16:19], v2 offset:1280
	ds_read_b128 v[12:15], v2 offset:1296
	;; [unrolled: 1-line block ×4, first 2 shown]
	scratch_load_dwordx4 v[20:23], off, off offset:416
	scratch_load_dwordx4 v[40:43], off, off offset:480
	;; [unrolled: 1-line block ×24, first 2 shown]
	v_cmp_lt_u32_e32 vcc, 23, v240
	scratch_load_dwordx4 v[48:51], off, off offset:496
	scratch_load_dwordx4 v[56:59], off, off offset:512
	;; [unrolled: 1-line block ×3, first 2 shown]
	ds_read_b128 v[252:255], v2 offset:1744
	s_waitcnt vmcnt(26) lgkmcnt(4)
	v_mul_f64 v[24:25], v[16:17], v[22:23]
	v_fmac_f64_e32 v[24:25], v[18:19], v[20:21]
	v_add_f64 v[28:29], v[24:25], 0
	scratch_load_dwordx4 v[24:27], off, off offset:432
	s_waitcnt vmcnt(0) lgkmcnt(3)
	v_mul_f64 v[30:31], v[12:13], v[26:27]
	v_fmac_f64_e32 v[30:31], v[14:15], v[24:25]
	v_add_f64 v[32:33], v[28:29], v[30:31]
	scratch_load_dwordx4 v[28:31], off, off offset:448
	v_mul_f64 v[14:15], v[14:15], v[26:27]
	v_fma_f64 v[12:13], v[12:13], v[24:25], -v[14:15]
	s_waitcnt vmcnt(0) lgkmcnt(2)
	v_mul_f64 v[34:35], v[8:9], v[30:31]
	v_fmac_f64_e32 v[34:35], v[10:11], v[28:29]
	v_add_f64 v[36:37], v[32:33], v[34:35]
	scratch_load_dwordx4 v[32:35], off, off offset:464
	v_mul_f64 v[10:11], v[10:11], v[30:31]
	v_fma_f64 v[8:9], v[8:9], v[28:29], -v[10:11]
	s_waitcnt vmcnt(0) lgkmcnt(1)
	v_mul_f64 v[38:39], v[4:5], v[34:35]
	v_fmac_f64_e32 v[38:39], v[6:7], v[32:33]
	v_add_f64 v[44:45], v[36:37], v[38:39]
	ds_read_b128 v[36:39], v2 offset:1344
	v_mul_f64 v[6:7], v[6:7], v[34:35]
	v_fma_f64 v[4:5], v[4:5], v[32:33], -v[6:7]
	s_waitcnt lgkmcnt(0)
	v_mul_f64 v[46:47], v[36:37], v[42:43]
	v_fmac_f64_e32 v[46:47], v[38:39], v[40:41]
	v_add_f64 v[52:53], v[44:45], v[46:47]
	ds_read_b128 v[44:47], v2 offset:1360
	s_waitcnt lgkmcnt(0)
	v_mul_f64 v[54:55], v[44:45], v[50:51]
	v_fmac_f64_e32 v[54:55], v[46:47], v[48:49]
	v_add_f64 v[60:61], v[52:53], v[54:55]
	ds_read_b128 v[52:55], v2 offset:1376
	;; [unrolled: 5-line block ×24, first 2 shown]
	v_mul_f64 v[2:3], v[252:253], v[244:245]
	v_fmac_f64_e32 v[2:3], v[254:255], v[242:243]
	s_waitcnt lgkmcnt(0)
	v_mul_f64 v[238:239], v[230:231], v[236:237]
	v_fmac_f64_e32 v[238:239], v[232:233], v[234:235]
	v_add_f64 v[184:185], v[184:185], v[238:239]
	v_add_f64 v[184:185], v[184:185], v[2:3]
	v_mul_f64 v[2:3], v[18:19], v[22:23]
	v_fma_f64 v[2:3], v[16:17], v[20:21], -v[2:3]
	v_add_f64 v[2:3], v[2:3], 0
	v_add_f64 v[2:3], v[2:3], v[12:13]
	;; [unrolled: 1-line block ×4, first 2 shown]
	v_mul_f64 v[4:5], v[38:39], v[42:43]
	v_fma_f64 v[4:5], v[36:37], v[40:41], -v[4:5]
	v_add_f64 v[2:3], v[2:3], v[4:5]
	v_mul_f64 v[4:5], v[46:47], v[50:51]
	v_fma_f64 v[4:5], v[44:45], v[48:49], -v[4:5]
	v_add_f64 v[2:3], v[2:3], v[4:5]
	;; [unrolled: 3-line block ×26, first 2 shown]
	scratch_load_dwordx4 v[2:5], off, off offset:400
	s_waitcnt vmcnt(0)
	v_add_f64 v[2:3], v[2:3], -v[6:7]
	v_add_f64 v[4:5], v[4:5], -v[184:185]
	scratch_store_dwordx4 off, v[2:5], off offset:400
	s_and_saveexec_b64 s[0:1], vcc
	s_cbranch_execz .LBB118_297
; %bb.296:
	scratch_load_dwordx4 v[2:5], off, s48
	v_mov_b32_e32 v6, 0
	v_mov_b32_e32 v7, v6
	;; [unrolled: 1-line block ×4, first 2 shown]
	v_accvgpr_read_b32 v0, a111
	scratch_store_dwordx4 off, v[6:9], off offset:384
	s_waitcnt vmcnt(1)
	ds_write_b128 v0, v[2:5]
.LBB118_297:
	s_or_b64 exec, exec, s[0:1]
	s_waitcnt lgkmcnt(0)
	; wave barrier
	scratch_load_dwordx4 v[16:19], off, off offset:400
	scratch_load_dwordx4 v[12:15], off, off offset:416
	scratch_load_dwordx4 v[8:11], off, off offset:432
	scratch_load_dwordx4 v[4:7], off, off offset:448
	scratch_load_dwordx4 v[20:23], off, off offset:464
	scratch_load_dwordx4 v[24:27], off, off offset:480
	scratch_load_dwordx4 v[28:31], off, off offset:496
	scratch_load_dwordx4 v[32:35], off, off offset:512
	scratch_load_dwordx4 v[36:39], off, off offset:528
	scratch_load_dwordx4 v[40:43], off, off offset:544
	scratch_load_dwordx4 v[44:47], off, off offset:560
	scratch_load_dwordx4 v[48:51], off, off offset:576
	scratch_load_dwordx4 v[52:55], off, off offset:592
	scratch_load_dwordx4 v[56:59], off, off offset:608
	scratch_load_dwordx4 v[60:63], off, off offset:624
	scratch_load_dwordx4 v[64:67], off, off offset:640
	scratch_load_dwordx4 v[68:71], off, off offset:656
	scratch_load_dwordx4 v[72:75], off, off offset:672
	scratch_load_dwordx4 v[76:79], off, off offset:688
	scratch_load_dwordx4 v[80:83], off, off offset:704
	scratch_load_dwordx4 v[84:87], off, off offset:720
	scratch_load_dwordx4 v[88:91], off, off offset:736
	scratch_load_dwordx4 v[92:95], off, off offset:752
	scratch_load_dwordx4 v[96:99], off, off offset:768
	scratch_load_dwordx4 v[100:103], off, off offset:784
	scratch_load_dwordx4 v[104:107], off, off offset:800
	scratch_load_dwordx4 v[108:111], off, off offset:816
	scratch_load_dwordx4 v[112:115], off, off offset:832
	scratch_load_dwordx4 v[116:119], off, off offset:848
	scratch_load_dwordx4 v[120:123], off, off offset:864
	scratch_load_dwordx4 v[124:127], off, off offset:880
	scratch_load_dwordx4 v[128:131], off, off offset:384
	v_mov_b32_e32 v2, 0
	ds_read_b128 v[132:135], v2 offset:1264
	ds_read_b128 v[136:139], v2 offset:1280
	;; [unrolled: 1-line block ×17, first 2 shown]
	v_cmp_lt_u32_e32 vcc, 22, v240
	s_waitcnt vmcnt(31) lgkmcnt(14)
	v_mul_f64 v[200:201], v[132:133], v[18:19]
	s_waitcnt vmcnt(30)
	v_mul_f64 v[202:203], v[136:137], v[14:15]
	v_fmac_f64_e32 v[200:201], v[134:135], v[16:17]
	s_waitcnt vmcnt(29)
	v_mul_f64 v[204:205], v[140:141], v[10:11]
	v_fmac_f64_e32 v[202:203], v[138:139], v[12:13]
	v_add_f64 v[200:201], v[200:201], 0
	s_waitcnt vmcnt(28) lgkmcnt(13)
	v_mul_f64 v[206:207], v[144:145], v[6:7]
	v_fmac_f64_e32 v[204:205], v[142:143], v[8:9]
	v_add_f64 v[200:201], v[200:201], v[202:203]
	s_waitcnt vmcnt(27) lgkmcnt(12)
	;; [unrolled: 4-line block ×12, first 2 shown]
	v_mul_f64 v[228:229], v[188:189], v[62:63]
	v_fmac_f64_e32 v[226:227], v[186:187], v[56:57]
	v_add_f64 v[200:201], v[200:201], v[224:225]
	v_fmac_f64_e32 v[228:229], v[190:191], v[60:61]
	v_add_f64 v[200:201], v[200:201], v[226:227]
	s_waitcnt vmcnt(16) lgkmcnt(1)
	v_mul_f64 v[202:203], v[192:193], v[66:67]
	v_add_f64 v[200:201], v[200:201], v[228:229]
	v_fmac_f64_e32 v[202:203], v[194:195], v[64:65]
	s_waitcnt vmcnt(15) lgkmcnt(0)
	v_mul_f64 v[206:207], v[196:197], v[70:71]
	v_add_f64 v[204:205], v[200:201], v[202:203]
	ds_read_b128 v[200:203], v2 offset:1536
	v_fmac_f64_e32 v[206:207], v[198:199], v[68:69]
	v_add_f64 v[208:209], v[204:205], v[206:207]
	ds_read_b128 v[204:207], v2 offset:1552
	v_mul_f64 v[18:19], v[134:135], v[18:19]
	s_waitcnt vmcnt(14) lgkmcnt(1)
	v_mul_f64 v[210:211], v[200:201], v[74:75]
	v_fmac_f64_e32 v[210:211], v[202:203], v[72:73]
	v_add_f64 v[212:213], v[208:209], v[210:211]
	s_waitcnt vmcnt(13) lgkmcnt(0)
	v_mul_f64 v[214:215], v[204:205], v[78:79]
	ds_read_b128 v[208:211], v2 offset:1568
	v_fmac_f64_e32 v[214:215], v[206:207], v[76:77]
	v_add_f64 v[216:217], v[212:213], v[214:215]
	ds_read_b128 v[212:215], v2 offset:1584
	v_fma_f64 v[244:245], v[132:133], v[16:17], -v[18:19]
	s_waitcnt vmcnt(12) lgkmcnt(1)
	v_mul_f64 v[218:219], v[208:209], v[82:83]
	v_fmac_f64_e32 v[218:219], v[210:211], v[80:81]
	v_add_f64 v[220:221], v[216:217], v[218:219]
	s_waitcnt vmcnt(11) lgkmcnt(0)
	v_mul_f64 v[222:223], v[212:213], v[86:87]
	ds_read_b128 v[216:219], v2 offset:1600
	v_fmac_f64_e32 v[222:223], v[214:215], v[84:85]
	v_add_f64 v[224:225], v[220:221], v[222:223]
	ds_read_b128 v[220:223], v2 offset:1616
	ds_read_b128 v[16:19], v2 offset:1696
	s_waitcnt vmcnt(10) lgkmcnt(2)
	v_mul_f64 v[226:227], v[216:217], v[90:91]
	v_fmac_f64_e32 v[226:227], v[218:219], v[88:89]
	v_add_f64 v[228:229], v[224:225], v[226:227]
	s_waitcnt vmcnt(9) lgkmcnt(1)
	v_mul_f64 v[230:231], v[220:221], v[94:95]
	ds_read_b128 v[224:227], v2 offset:1632
	v_fmac_f64_e32 v[230:231], v[222:223], v[92:93]
	v_add_f64 v[232:233], v[228:229], v[230:231]
	ds_read_b128 v[228:231], v2 offset:1648
	v_mul_f64 v[14:15], v[138:139], v[14:15]
	s_waitcnt vmcnt(8) lgkmcnt(1)
	v_mul_f64 v[234:235], v[224:225], v[98:99]
	v_fmac_f64_e32 v[234:235], v[226:227], v[96:97]
	v_add_f64 v[236:237], v[232:233], v[234:235]
	s_waitcnt vmcnt(7) lgkmcnt(0)
	v_mul_f64 v[238:239], v[228:229], v[102:103]
	ds_read_b128 v[232:235], v2 offset:1664
	v_fmac_f64_e32 v[238:239], v[230:231], v[100:101]
	v_add_f64 v[242:243], v[236:237], v[238:239]
	ds_read_b128 v[236:239], v2 offset:1680
	v_fma_f64 v[136:137], v[136:137], v[12:13], -v[14:15]
	s_waitcnt vmcnt(6) lgkmcnt(1)
	v_mul_f64 v[132:133], v[232:233], v[106:107]
	v_fmac_f64_e32 v[132:133], v[234:235], v[104:105]
	v_add_f64 v[132:133], v[242:243], v[132:133]
	s_waitcnt vmcnt(5) lgkmcnt(0)
	v_mul_f64 v[134:135], v[236:237], v[110:111]
	v_fmac_f64_e32 v[134:135], v[238:239], v[108:109]
	v_add_f64 v[132:133], v[132:133], v[134:135]
	ds_read_b128 v[12:15], v2 offset:1712
	s_waitcnt vmcnt(4)
	v_mul_f64 v[134:135], v[16:17], v[114:115]
	v_fmac_f64_e32 v[134:135], v[18:19], v[112:113]
	v_add_f64 v[138:139], v[132:133], v[134:135]
	ds_read_b128 v[132:135], v2 offset:1728
	v_mul_f64 v[10:11], v[142:143], v[10:11]
	v_fma_f64 v[140:141], v[140:141], v[8:9], -v[10:11]
	ds_read_b128 v[8:11], v2 offset:1744
	s_waitcnt vmcnt(3) lgkmcnt(2)
	v_mul_f64 v[142:143], v[12:13], v[118:119]
	v_fmac_f64_e32 v[142:143], v[14:15], v[116:117]
	v_add_f64 v[138:139], v[138:139], v[142:143]
	s_waitcnt vmcnt(2) lgkmcnt(1)
	v_mul_f64 v[142:143], v[132:133], v[122:123]
	v_fmac_f64_e32 v[142:143], v[134:135], v[120:121]
	v_add_f64 v[138:139], v[138:139], v[142:143]
	;; [unrolled: 4-line block ×3, first 2 shown]
	v_add_f64 v[142:143], v[244:245], 0
	v_add_f64 v[136:137], v[142:143], v[136:137]
	v_mul_f64 v[6:7], v[146:147], v[6:7]
	v_add_f64 v[136:137], v[136:137], v[140:141]
	v_fma_f64 v[4:5], v[144:145], v[4:5], -v[6:7]
	v_mul_f64 v[6:7], v[150:151], v[22:23]
	v_add_f64 v[4:5], v[136:137], v[4:5]
	v_fma_f64 v[6:7], v[148:149], v[20:21], -v[6:7]
	v_add_f64 v[4:5], v[4:5], v[6:7]
	v_mul_f64 v[6:7], v[154:155], v[26:27]
	v_fma_f64 v[6:7], v[152:153], v[24:25], -v[6:7]
	v_add_f64 v[4:5], v[4:5], v[6:7]
	v_mul_f64 v[6:7], v[158:159], v[30:31]
	;; [unrolled: 3-line block ×26, first 2 shown]
	v_fma_f64 v[6:7], v[8:9], v[124:125], -v[6:7]
	v_add_f64 v[4:5], v[4:5], v[6:7]
	s_waitcnt vmcnt(0)
	v_add_f64 v[4:5], v[128:129], -v[4:5]
	v_add_f64 v[6:7], v[130:131], -v[138:139]
	scratch_store_dwordx4 off, v[4:7], off offset:384
	s_and_saveexec_b64 s[0:1], vcc
	s_cbranch_execz .LBB118_299
; %bb.298:
	scratch_load_dwordx4 v[6:9], off, s49
	v_mov_b32_e32 v3, v2
	v_mov_b32_e32 v4, v2
	;; [unrolled: 1-line block ×3, first 2 shown]
	v_accvgpr_read_b32 v0, a111
	scratch_store_dwordx4 off, v[2:5], off offset:368
	s_waitcnt vmcnt(1)
	ds_write_b128 v0, v[6:9]
.LBB118_299:
	s_or_b64 exec, exec, s[0:1]
	s_waitcnt lgkmcnt(0)
	; wave barrier
	scratch_load_dwordx4 v[140:143], off, off offset:384
	scratch_load_dwordx4 v[148:151], off, off offset:400
	scratch_load_dwordx4 v[152:155], off, off offset:416
	scratch_load_dwordx4 v[4:7], off, off offset:432
	scratch_load_dwordx4 v[8:11], off, off offset:448
	scratch_load_dwordx4 v[12:15], off, off offset:464
	scratch_load_dwordx4 v[16:19], off, off offset:480
	scratch_load_dwordx4 v[20:23], off, off offset:496
	scratch_load_dwordx4 v[24:27], off, off offset:512
	scratch_load_dwordx4 v[28:31], off, off offset:528
	scratch_load_dwordx4 v[32:35], off, off offset:544
	scratch_load_dwordx4 v[36:39], off, off offset:560
	scratch_load_dwordx4 v[40:43], off, off offset:576
	scratch_load_dwordx4 v[44:47], off, off offset:592
	scratch_load_dwordx4 v[48:51], off, off offset:608
	scratch_load_dwordx4 v[52:55], off, off offset:624
	ds_read_b128 v[188:191], v2 offset:1248
	ds_read_b128 v[184:187], v2 offset:1264
	scratch_load_dwordx4 v[56:59], off, off offset:640
	ds_read_b128 v[192:195], v2 offset:1280
	ds_read_b128 v[68:71], v2 offset:1296
	scratch_load_dwordx4 v[60:63], off, off offset:656
	ds_read_b128 v[88:91], v2 offset:1312
	ds_read_b128 v[84:87], v2 offset:1328
	;; [unrolled: 1-line block ×4, first 2 shown]
	scratch_load_dwordx4 v[64:67], off, off offset:672
	ds_read_b128 v[100:103], v2 offset:1376
	ds_read_b128 v[96:99], v2 offset:1392
	scratch_load_dwordx4 v[72:75], off, off offset:688
	ds_read_b128 v[116:119], v2 offset:1408
	ds_read_b128 v[112:115], v2 offset:1424
	;; [unrolled: 1-line block ×4, first 2 shown]
	scratch_load_dwordx4 v[92:95], off, off offset:704
	ds_read_b128 v[132:135], v2 offset:1472
	ds_read_b128 v[128:131], v2 offset:1488
	;; [unrolled: 1-line block ×3, first 2 shown]
	scratch_load_dwordx4 v[120:123], off, off offset:720
	scratch_load_dwordx4 v[136:139], off, off offset:736
	;; [unrolled: 1-line block ×11, first 2 shown]
	v_cmp_lt_u32_e32 vcc, 21, v240
	s_waitcnt vmcnt(31) lgkmcnt(14)
	v_mul_f64 v[200:201], v[188:189], v[142:143]
	s_waitcnt vmcnt(30)
	v_mul_f64 v[202:203], v[184:185], v[150:151]
	v_fmac_f64_e32 v[200:201], v[190:191], v[140:141]
	s_waitcnt vmcnt(29)
	v_mul_f64 v[204:205], v[192:193], v[154:155]
	v_fmac_f64_e32 v[202:203], v[186:187], v[148:149]
	v_add_f64 v[200:201], v[200:201], 0
	s_waitcnt vmcnt(28) lgkmcnt(13)
	v_mul_f64 v[206:207], v[68:69], v[6:7]
	v_fmac_f64_e32 v[204:205], v[194:195], v[152:153]
	v_add_f64 v[200:201], v[200:201], v[202:203]
	s_waitcnt vmcnt(27) lgkmcnt(12)
	;; [unrolled: 4-line block ×13, first 2 shown]
	v_mul_f64 v[230:231], v[128:129], v[54:55]
	v_fmac_f64_e32 v[228:229], v[134:135], v[48:49]
	v_add_f64 v[200:201], v[200:201], v[226:227]
	v_add_f64 v[200:201], v[200:201], v[228:229]
	v_fmac_f64_e32 v[230:231], v[130:131], v[52:53]
	v_add_f64 v[204:205], v[200:201], v[230:231]
	ds_read_b128 v[200:203], v2 offset:1520
	s_waitcnt vmcnt(15) lgkmcnt(1)
	v_mul_f64 v[206:207], v[124:125], v[58:59]
	v_fmac_f64_e32 v[206:207], v[126:127], v[56:57]
	v_add_f64 v[208:209], v[204:205], v[206:207]
	ds_read_b128 v[204:207], v2 offset:1536
	s_waitcnt vmcnt(14) lgkmcnt(1)
	v_mul_f64 v[210:211], v[200:201], v[62:63]
	;; [unrolled: 5-line block ×10, first 2 shown]
	v_fmac_f64_e32 v[244:245], v[234:235], v[160:161]
	v_mul_f64 v[142:143], v[190:191], v[142:143]
	v_add_f64 v[244:245], v[242:243], v[244:245]
	v_fma_f64 v[242:243], v[188:189], v[140:141], -v[142:143]
	ds_read_b128 v[140:143], v2 offset:1680
	v_mul_f64 v[150:151], v[186:187], v[150:151]
	s_waitcnt vmcnt(5) lgkmcnt(1)
	v_mul_f64 v[188:189], v[236:237], v[166:167]
	v_fma_f64 v[252:253], v[184:185], v[148:149], -v[150:151]
	ds_read_b128 v[148:151], v2 offset:1696
	v_fmac_f64_e32 v[188:189], v[238:239], v[164:165]
	s_waitcnt vmcnt(4) lgkmcnt(1)
	v_mul_f64 v[184:185], v[140:141], v[170:171]
	v_add_f64 v[188:189], v[244:245], v[188:189]
	v_fmac_f64_e32 v[184:185], v[142:143], v[168:169]
	v_add_f64 v[188:189], v[188:189], v[184:185]
	ds_read_b128 v[184:187], v2 offset:1712
	v_mul_f64 v[154:155], v[194:195], v[154:155]
	s_waitcnt vmcnt(3) lgkmcnt(1)
	v_mul_f64 v[190:191], v[148:149], v[174:175]
	v_fma_f64 v[254:255], v[192:193], v[152:153], -v[154:155]
	ds_read_b128 v[152:155], v2 offset:1728
	v_fmac_f64_e32 v[190:191], v[150:151], v[172:173]
	v_add_f64 v[244:245], v[188:189], v[190:191]
	ds_read_b128 v[188:191], v2 offset:1744
	s_waitcnt vmcnt(2) lgkmcnt(2)
	v_mul_f64 v[192:193], v[184:185], v[178:179]
	v_fmac_f64_e32 v[192:193], v[186:187], v[176:177]
	v_add_f64 v[2:3], v[244:245], v[192:193]
	s_waitcnt vmcnt(1) lgkmcnt(1)
	v_mul_f64 v[192:193], v[152:153], v[182:183]
	v_fmac_f64_e32 v[192:193], v[154:155], v[180:181]
	v_add_f64 v[2:3], v[2:3], v[192:193]
	;; [unrolled: 4-line block ×3, first 2 shown]
	scratch_load_dwordx4 v[192:195], off, off offset:368
	v_add_f64 v[242:243], v[242:243], 0
	v_add_f64 v[242:243], v[242:243], v[252:253]
	v_mul_f64 v[6:7], v[70:71], v[6:7]
	v_add_f64 v[242:243], v[242:243], v[254:255]
	v_fma_f64 v[4:5], v[68:69], v[4:5], -v[6:7]
	v_mul_f64 v[6:7], v[90:91], v[10:11]
	v_add_f64 v[4:5], v[242:243], v[4:5]
	v_fma_f64 v[6:7], v[88:89], v[8:9], -v[6:7]
	v_add_f64 v[4:5], v[4:5], v[6:7]
	v_mul_f64 v[6:7], v[86:87], v[14:15]
	v_fma_f64 v[6:7], v[84:85], v[12:13], -v[6:7]
	v_add_f64 v[4:5], v[4:5], v[6:7]
	v_mul_f64 v[6:7], v[82:83], v[18:19]
	;; [unrolled: 3-line block ×27, first 2 shown]
	v_fma_f64 v[6:7], v[188:189], v[196:197], -v[6:7]
	v_add_f64 v[4:5], v[4:5], v[6:7]
	s_waitcnt vmcnt(0)
	v_add_f64 v[4:5], v[192:193], -v[4:5]
	v_add_f64 v[6:7], v[194:195], -v[2:3]
	scratch_store_dwordx4 off, v[4:7], off offset:368
	s_and_saveexec_b64 s[0:1], vcc
	s_cbranch_execz .LBB118_301
; %bb.300:
	scratch_load_dwordx4 v[2:5], off, s50
	v_mov_b32_e32 v6, 0
	v_mov_b32_e32 v7, v6
	v_mov_b32_e32 v8, v6
	v_mov_b32_e32 v9, v6
	v_accvgpr_read_b32 v0, a111
	scratch_store_dwordx4 off, v[6:9], off offset:352
	s_waitcnt vmcnt(1)
	ds_write_b128 v0, v[2:5]
.LBB118_301:
	s_or_b64 exec, exec, s[0:1]
	s_waitcnt lgkmcnt(0)
	; wave barrier
	scratch_load_dwordx4 v[108:111], off, off offset:368
	scratch_load_dwordx4 v[116:119], off, off offset:384
	;; [unrolled: 1-line block ×33, first 2 shown]
	v_mov_b32_e32 v2, 0
	ds_read_b128 v[220:223], v2 offset:1232
	ds_read_b128 v[224:227], v2 offset:1248
	;; [unrolled: 1-line block ×16, first 2 shown]
	v_cmp_lt_u32_e32 vcc, 20, v240
	s_waitcnt vmcnt(32) lgkmcnt(14)
	v_mul_f64 v[180:181], v[220:221], v[110:111]
	s_waitcnt vmcnt(31)
	v_mul_f64 v[182:183], v[224:225], v[118:119]
	v_fmac_f64_e32 v[180:181], v[222:223], v[108:109]
	s_waitcnt vmcnt(30) lgkmcnt(13)
	v_mul_f64 v[184:185], v[234:235], v[122:123]
	v_fmac_f64_e32 v[182:183], v[226:227], v[116:117]
	v_add_f64 v[180:181], v[180:181], 0
	s_waitcnt vmcnt(29) lgkmcnt(12)
	v_mul_f64 v[186:187], v[242:243], v[126:127]
	v_fmac_f64_e32 v[184:185], v[236:237], v[120:121]
	v_add_f64 v[180:181], v[180:181], v[182:183]
	;; [unrolled: 4-line block ×13, first 2 shown]
	v_fmac_f64_e32 v[208:209], v[142:143], v[40:41]
	v_add_f64 v[180:181], v[180:181], v[206:207]
	v_add_f64 v[184:185], v[180:181], v[208:209]
	ds_read_b128 v[180:183], v2 offset:1488
	s_waitcnt vmcnt(17) lgkmcnt(1)
	v_mul_f64 v[186:187], v[136:137], v[46:47]
	v_fmac_f64_e32 v[186:187], v[138:139], v[44:45]
	v_add_f64 v[188:189], v[184:185], v[186:187]
	ds_read_b128 v[184:187], v2 offset:1504
	s_waitcnt vmcnt(16) lgkmcnt(1)
	v_mul_f64 v[190:191], v[180:181], v[50:51]
	v_fmac_f64_e32 v[190:191], v[182:183], v[48:49]
	;; [unrolled: 5-line block ×10, first 2 shown]
	v_mul_f64 v[110:111], v[222:223], v[110:111]
	v_add_f64 v[228:229], v[228:229], v[230:231]
	v_fma_f64 v[230:231], v[220:221], v[108:109], -v[110:111]
	ds_read_b128 v[108:111], v2 offset:1648
	s_waitcnt vmcnt(7) lgkmcnt(1)
	v_mul_f64 v[220:221], v[216:217], v[86:87]
	v_mul_f64 v[118:119], v[226:227], v[118:119]
	v_fmac_f64_e32 v[220:221], v[218:219], v[84:85]
	v_fma_f64 v[232:233], v[224:225], v[116:117], -v[118:119]
	ds_read_b128 v[116:119], v2 offset:1664
	s_waitcnt vmcnt(6) lgkmcnt(1)
	v_mul_f64 v[222:223], v[108:109], v[90:91]
	v_add_f64 v[220:221], v[228:229], v[220:221]
	v_fmac_f64_e32 v[222:223], v[110:111], v[88:89]
	v_add_f64 v[224:225], v[220:221], v[222:223]
	ds_read_b128 v[220:223], v2 offset:1680
	v_mul_f64 v[122:123], v[236:237], v[122:123]
	v_fma_f64 v[234:235], v[234:235], v[120:121], -v[122:123]
	ds_read_b128 v[120:123], v2 offset:1696
	s_waitcnt vmcnt(5) lgkmcnt(2)
	v_mul_f64 v[226:227], v[116:117], v[94:95]
	v_fmac_f64_e32 v[226:227], v[118:119], v[92:93]
	v_mul_f64 v[126:127], v[244:245], v[126:127]
	v_add_f64 v[224:225], v[224:225], v[226:227]
	s_waitcnt vmcnt(4) lgkmcnt(1)
	v_mul_f64 v[226:227], v[220:221], v[98:99]
	v_fma_f64 v[236:237], v[242:243], v[124:125], -v[126:127]
	ds_read_b128 v[124:127], v2 offset:1712
	v_fmac_f64_e32 v[226:227], v[222:223], v[96:97]
	v_add_f64 v[228:229], v[224:225], v[226:227]
	s_waitcnt vmcnt(3) lgkmcnt(1)
	v_mul_f64 v[238:239], v[120:121], v[102:103]
	ds_read_b128 v[224:227], v2 offset:1728
	v_fmac_f64_e32 v[238:239], v[122:123], v[100:101]
	v_mul_f64 v[130:131], v[254:255], v[130:131]
	v_add_f64 v[228:229], v[228:229], v[238:239]
	v_fma_f64 v[238:239], v[252:253], v[128:129], -v[130:131]
	ds_read_b128 v[128:131], v2 offset:1744
	s_waitcnt vmcnt(2) lgkmcnt(2)
	v_mul_f64 v[242:243], v[124:125], v[106:107]
	v_fmac_f64_e32 v[242:243], v[126:127], v[104:105]
	v_add_f64 v[228:229], v[228:229], v[242:243]
	s_waitcnt vmcnt(1) lgkmcnt(1)
	v_mul_f64 v[242:243], v[224:225], v[114:115]
	v_fmac_f64_e32 v[242:243], v[226:227], v[112:113]
	v_add_f64 v[228:229], v[228:229], v[242:243]
	;; [unrolled: 4-line block ×3, first 2 shown]
	scratch_load_dwordx4 v[242:245], off, off offset:352
	v_add_f64 v[230:231], v[230:231], 0
	v_add_f64 v[230:231], v[230:231], v[232:233]
	;; [unrolled: 1-line block ×4, first 2 shown]
	v_mul_f64 v[6:7], v[178:179], v[6:7]
	v_add_f64 v[230:231], v[230:231], v[238:239]
	v_fma_f64 v[4:5], v[176:177], v[4:5], -v[6:7]
	v_mul_f64 v[6:7], v[174:175], v[10:11]
	v_add_f64 v[4:5], v[230:231], v[4:5]
	v_fma_f64 v[6:7], v[172:173], v[8:9], -v[6:7]
	v_add_f64 v[4:5], v[4:5], v[6:7]
	v_mul_f64 v[6:7], v[170:171], v[14:15]
	v_fma_f64 v[6:7], v[168:169], v[12:13], -v[6:7]
	v_add_f64 v[4:5], v[4:5], v[6:7]
	v_mul_f64 v[6:7], v[166:167], v[18:19]
	;; [unrolled: 3-line block ×26, first 2 shown]
	v_fma_f64 v[6:7], v[128:129], v[132:133], -v[6:7]
	v_add_f64 v[4:5], v[4:5], v[6:7]
	s_waitcnt vmcnt(0)
	v_add_f64 v[4:5], v[242:243], -v[4:5]
	v_add_f64 v[6:7], v[244:245], -v[228:229]
	scratch_store_dwordx4 off, v[4:7], off offset:352
	s_and_saveexec_b64 s[0:1], vcc
	s_cbranch_execz .LBB118_303
; %bb.302:
	scratch_load_dwordx4 v[6:9], off, s51
	v_mov_b32_e32 v3, v2
	v_mov_b32_e32 v4, v2
	;; [unrolled: 1-line block ×3, first 2 shown]
	v_accvgpr_read_b32 v0, a111
	scratch_store_dwordx4 off, v[2:5], off offset:336
	s_waitcnt vmcnt(1)
	ds_write_b128 v0, v[6:9]
.LBB118_303:
	s_or_b64 exec, exec, s[0:1]
	s_waitcnt lgkmcnt(0)
	; wave barrier
	scratch_load_dwordx4 v[144:147], off, off offset:352
	scratch_load_dwordx4 v[152:155], off, off offset:368
	;; [unrolled: 1-line block ×16, first 2 shown]
	ds_read_b128 v[196:199], v2 offset:1216
	ds_read_b128 v[188:191], v2 offset:1232
	ds_read_b128 v[180:183], v2 offset:1248
	scratch_load_dwordx4 v[48:51], off, off offset:608
	ds_read_b128 v[192:195], v2 offset:1264
	ds_read_b128 v[184:187], v2 offset:1280
	ds_read_b128 v[64:67], v2 offset:1296
	scratch_load_dwordx4 v[52:55], off, off offset:624
	;; [unrolled: 4-line block ×5, first 2 shown]
	ds_read_b128 v[116:119], v2 offset:1456
	ds_read_b128 v[112:115], v2 offset:1472
	scratch_load_dwordx4 v[108:111], off, off offset:688
	scratch_load_dwordx4 v[120:123], off, off offset:704
	;; [unrolled: 1-line block ×12, first 2 shown]
	v_cmp_lt_u32_e32 vcc, 19, v240
	s_waitcnt vmcnt(32) lgkmcnt(14)
	v_mul_f64 v[204:205], v[196:197], v[146:147]
	s_waitcnt vmcnt(31)
	v_mul_f64 v[206:207], v[188:189], v[154:155]
	v_fmac_f64_e32 v[204:205], v[198:199], v[144:145]
	s_waitcnt vmcnt(30)
	v_mul_f64 v[208:209], v[180:181], v[158:159]
	v_fmac_f64_e32 v[206:207], v[190:191], v[152:153]
	v_add_f64 v[204:205], v[204:205], 0
	s_waitcnt vmcnt(29) lgkmcnt(13)
	v_mul_f64 v[210:211], v[192:193], v[162:163]
	v_fmac_f64_e32 v[208:209], v[182:183], v[156:157]
	v_add_f64 v[204:205], v[204:205], v[206:207]
	s_waitcnt vmcnt(28) lgkmcnt(12)
	;; [unrolled: 4-line block ×12, first 2 shown]
	v_mul_f64 v[232:233], v[96:97], v[42:43]
	v_fmac_f64_e32 v[230:231], v[102:103], v[36:37]
	v_add_f64 v[204:205], v[204:205], v[228:229]
	v_fmac_f64_e32 v[232:233], v[98:99], v[40:41]
	v_add_f64 v[204:205], v[204:205], v[230:231]
	s_waitcnt vmcnt(17) lgkmcnt(1)
	v_mul_f64 v[206:207], v[116:117], v[46:47]
	v_add_f64 v[204:205], v[204:205], v[232:233]
	v_fmac_f64_e32 v[206:207], v[118:119], v[44:45]
	s_waitcnt vmcnt(16) lgkmcnt(0)
	v_mul_f64 v[210:211], v[112:113], v[50:51]
	v_add_f64 v[208:209], v[204:205], v[206:207]
	ds_read_b128 v[204:207], v2 offset:1488
	v_fmac_f64_e32 v[210:211], v[114:115], v[48:49]
	v_add_f64 v[212:213], v[208:209], v[210:211]
	ds_read_b128 v[208:211], v2 offset:1504
	v_mul_f64 v[146:147], v[198:199], v[146:147]
	s_waitcnt vmcnt(15) lgkmcnt(1)
	v_mul_f64 v[214:215], v[204:205], v[54:55]
	v_fmac_f64_e32 v[214:215], v[206:207], v[52:53]
	v_add_f64 v[216:217], v[212:213], v[214:215]
	s_waitcnt vmcnt(14) lgkmcnt(0)
	v_mul_f64 v[218:219], v[208:209], v[58:59]
	ds_read_b128 v[212:215], v2 offset:1520
	v_fmac_f64_e32 v[218:219], v[210:211], v[56:57]
	v_add_f64 v[220:221], v[216:217], v[218:219]
	ds_read_b128 v[216:219], v2 offset:1536
	v_mul_f64 v[154:155], v[190:191], v[154:155]
	s_waitcnt vmcnt(13) lgkmcnt(1)
	v_mul_f64 v[222:223], v[212:213], v[62:63]
	v_fmac_f64_e32 v[222:223], v[214:215], v[60:61]
	v_add_f64 v[224:225], v[220:221], v[222:223]
	s_waitcnt vmcnt(12) lgkmcnt(0)
	v_mul_f64 v[226:227], v[216:217], v[94:95]
	ds_read_b128 v[220:223], v2 offset:1552
	v_fmac_f64_e32 v[226:227], v[218:219], v[92:93]
	v_add_f64 v[228:229], v[224:225], v[226:227]
	ds_read_b128 v[224:227], v2 offset:1568
	v_fma_f64 v[252:253], v[188:189], v[152:153], -v[154:155]
	s_waitcnt vmcnt(11) lgkmcnt(1)
	v_mul_f64 v[230:231], v[220:221], v[110:111]
	v_fmac_f64_e32 v[230:231], v[222:223], v[108:109]
	v_add_f64 v[232:233], v[228:229], v[230:231]
	s_waitcnt vmcnt(10) lgkmcnt(0)
	v_mul_f64 v[234:235], v[224:225], v[122:123]
	ds_read_b128 v[228:231], v2 offset:1584
	v_fmac_f64_e32 v[234:235], v[226:227], v[120:121]
	v_add_f64 v[236:237], v[232:233], v[234:235]
	ds_read_b128 v[232:235], v2 offset:1600
	ds_read_b128 v[152:155], v2 offset:1648
	s_waitcnt vmcnt(9) lgkmcnt(2)
	v_mul_f64 v[238:239], v[228:229], v[126:127]
	v_fmac_f64_e32 v[238:239], v[230:231], v[124:125]
	v_add_f64 v[242:243], v[236:237], v[238:239]
	s_waitcnt vmcnt(8) lgkmcnt(1)
	v_mul_f64 v[244:245], v[232:233], v[130:131]
	ds_read_b128 v[236:239], v2 offset:1616
	v_fmac_f64_e32 v[244:245], v[234:235], v[128:129]
	v_add_f64 v[242:243], v[242:243], v[244:245]
	v_fma_f64 v[244:245], v[196:197], v[144:145], -v[146:147]
	ds_read_b128 v[144:147], v2 offset:1632
	s_waitcnt vmcnt(7) lgkmcnt(1)
	v_mul_f64 v[196:197], v[236:237], v[134:135]
	v_fmac_f64_e32 v[196:197], v[238:239], v[132:133]
	v_add_f64 v[188:189], v[242:243], v[196:197]
	v_mul_f64 v[158:159], v[182:183], v[158:159]
	s_waitcnt vmcnt(6) lgkmcnt(0)
	v_mul_f64 v[190:191], v[144:145], v[138:139]
	v_fmac_f64_e32 v[190:191], v[146:147], v[136:137]
	v_add_f64 v[196:197], v[188:189], v[190:191]
	ds_read_b128 v[188:191], v2 offset:1664
	v_fma_f64 v[242:243], v[180:181], v[156:157], -v[158:159]
	ds_read_b128 v[156:159], v2 offset:1680
	s_waitcnt vmcnt(5)
	v_mul_f64 v[198:199], v[152:153], v[142:143]
	v_fmac_f64_e32 v[198:199], v[154:155], v[140:141]
	s_waitcnt vmcnt(4) lgkmcnt(1)
	v_mul_f64 v[180:181], v[188:189], v[150:151]
	v_add_f64 v[196:197], v[196:197], v[198:199]
	v_fmac_f64_e32 v[180:181], v[190:191], v[148:149]
	v_mul_f64 v[162:163], v[194:195], v[162:163]
	v_add_f64 v[198:199], v[196:197], v[180:181]
	v_fma_f64 v[196:197], v[192:193], v[160:161], -v[162:163]
	ds_read_b128 v[160:163], v2 offset:1696
	s_waitcnt vmcnt(3) lgkmcnt(1)
	v_mul_f64 v[192:193], v[156:157], v[166:167]
	ds_read_b128 v[180:183], v2 offset:1712
	v_fmac_f64_e32 v[192:193], v[158:159], v[164:165]
	v_mul_f64 v[170:171], v[186:187], v[170:171]
	v_add_f64 v[192:193], v[198:199], v[192:193]
	v_fma_f64 v[198:199], v[184:185], v[168:169], -v[170:171]
	ds_read_b128 v[168:171], v2 offset:1728
	s_waitcnt vmcnt(2) lgkmcnt(2)
	v_mul_f64 v[184:185], v[160:161], v[174:175]
	v_fmac_f64_e32 v[184:185], v[162:163], v[172:173]
	s_waitcnt vmcnt(1) lgkmcnt(1)
	v_mul_f64 v[186:187], v[180:181], v[178:179]
	v_add_f64 v[184:185], v[192:193], v[184:185]
	v_fmac_f64_e32 v[186:187], v[182:183], v[176:177]
	v_add_f64 v[184:185], v[184:185], v[186:187]
	s_waitcnt vmcnt(0) lgkmcnt(0)
	v_mul_f64 v[186:187], v[168:169], v[202:203]
	v_fmac_f64_e32 v[186:187], v[170:171], v[200:201]
	v_add_f64 v[254:255], v[184:185], v[186:187]
	scratch_load_dwordx4 v[184:187], off, off offset:880
	ds_read_b128 v[192:195], v2 offset:1744
	v_add_f64 v[244:245], v[244:245], 0
	v_add_f64 v[244:245], v[244:245], v[252:253]
	;; [unrolled: 1-line block ×4, first 2 shown]
	v_mul_f64 v[6:7], v[66:67], v[6:7]
	v_add_f64 v[196:197], v[196:197], v[198:199]
	v_fma_f64 v[4:5], v[64:65], v[4:5], -v[6:7]
	v_mul_f64 v[6:7], v[78:79], v[10:11]
	v_add_f64 v[4:5], v[196:197], v[4:5]
	v_fma_f64 v[6:7], v[76:77], v[8:9], -v[6:7]
	v_add_f64 v[4:5], v[4:5], v[6:7]
	v_mul_f64 v[6:7], v[74:75], v[14:15]
	v_fma_f64 v[6:7], v[72:73], v[12:13], -v[6:7]
	v_add_f64 v[4:5], v[4:5], v[6:7]
	v_mul_f64 v[6:7], v[70:71], v[18:19]
	;; [unrolled: 3-line block ×23, first 2 shown]
	s_waitcnt vmcnt(0) lgkmcnt(0)
	v_mul_f64 v[2:3], v[192:193], v[186:187]
	v_fmac_f64_e32 v[2:3], v[194:195], v[184:185]
	v_add_f64 v[2:3], v[254:255], v[2:3]
	scratch_load_dwordx4 v[252:255], off, off offset:336
	v_fma_f64 v[6:7], v[156:157], v[164:165], -v[6:7]
	v_add_f64 v[4:5], v[4:5], v[6:7]
	v_mul_f64 v[6:7], v[162:163], v[174:175]
	v_fma_f64 v[6:7], v[160:161], v[172:173], -v[6:7]
	v_add_f64 v[4:5], v[4:5], v[6:7]
	v_mul_f64 v[6:7], v[182:183], v[178:179]
	;; [unrolled: 3-line block ×4, first 2 shown]
	v_fma_f64 v[6:7], v[192:193], v[184:185], -v[6:7]
	v_add_f64 v[4:5], v[4:5], v[6:7]
	s_waitcnt vmcnt(0)
	v_add_f64 v[4:5], v[252:253], -v[4:5]
	v_add_f64 v[6:7], v[254:255], -v[2:3]
	scratch_store_dwordx4 off, v[4:7], off offset:336
	s_and_saveexec_b64 s[0:1], vcc
	s_cbranch_execz .LBB118_305
; %bb.304:
	scratch_load_dwordx4 v[2:5], off, s52
	v_mov_b32_e32 v6, 0
	v_mov_b32_e32 v7, v6
	;; [unrolled: 1-line block ×4, first 2 shown]
	v_accvgpr_read_b32 v0, a111
	scratch_store_dwordx4 off, v[6:9], off offset:320
	s_waitcnt vmcnt(1)
	ds_write_b128 v0, v[2:5]
.LBB118_305:
	s_or_b64 exec, exec, s[0:1]
	s_waitcnt lgkmcnt(0)
	; wave barrier
	scratch_load_dwordx4 v[184:187], off, off offset:336
	scratch_load_dwordx4 v[188:191], off, off offset:352
	;; [unrolled: 1-line block ×32, first 2 shown]
	v_mov_b32_e32 v2, 0
	ds_read_b128 v[192:195], v2 offset:1200
	ds_read_b128 v[204:207], v2 offset:1216
	;; [unrolled: 1-line block ×16, first 2 shown]
	v_cmp_lt_u32_e32 vcc, 18, v240
	s_waitcnt vmcnt(31) lgkmcnt(14)
	v_mul_f64 v[104:105], v[192:193], v[186:187]
	s_waitcnt vmcnt(30)
	v_mul_f64 v[106:107], v[204:205], v[190:191]
	v_fmac_f64_e32 v[104:105], v[194:195], v[184:185]
	s_waitcnt vmcnt(29) lgkmcnt(13)
	v_mul_f64 v[112:113], v[216:217], v[198:199]
	v_fmac_f64_e32 v[106:107], v[206:207], v[188:189]
	v_add_f64 v[104:105], v[104:105], 0
	s_waitcnt vmcnt(28) lgkmcnt(12)
	v_mul_f64 v[114:115], v[224:225], v[202:203]
	v_fmac_f64_e32 v[112:113], v[218:219], v[196:197]
	v_add_f64 v[104:105], v[104:105], v[106:107]
	;; [unrolled: 4-line block ×10, first 2 shown]
	ds_read_b128 v[152:155], v2 offset:1456
	ds_read_b128 v[156:159], v2 offset:1472
	s_waitcnt vmcnt(19) lgkmcnt(5)
	v_mul_f64 v[164:165], v[124:125], v[26:27]
	v_fmac_f64_e32 v[162:163], v[134:135], v[20:21]
	v_add_f64 v[104:105], v[104:105], v[160:161]
	s_waitcnt vmcnt(18) lgkmcnt(4)
	v_mul_f64 v[166:167], v[120:121], v[30:31]
	v_fmac_f64_e32 v[164:165], v[126:127], v[24:25]
	v_add_f64 v[104:105], v[104:105], v[162:163]
	;; [unrolled: 4-line block ×4, first 2 shown]
	v_add_f64 v[112:113], v[104:105], v[168:169]
	v_fmac_f64_e32 v[170:171], v[110:111], v[36:37]
	scratch_load_dwordx4 v[104:107], off, off offset:848
	s_waitcnt vmcnt(16) lgkmcnt(1)
	v_mul_f64 v[114:115], v[152:153], v[42:43]
	v_add_f64 v[112:113], v[112:113], v[170:171]
	v_fmac_f64_e32 v[114:115], v[154:155], v[40:41]
	v_add_f64 v[128:129], v[112:113], v[114:115]
	scratch_load_dwordx4 v[112:115], off, off offset:864
	s_waitcnt vmcnt(16) lgkmcnt(0)
	v_mul_f64 v[130:131], v[156:157], v[46:47]
	v_fmac_f64_e32 v[130:131], v[158:159], v[44:45]
	v_add_f64 v[168:169], v[128:129], v[130:131]
	scratch_load_dwordx4 v[128:131], off, off offset:880
	ds_read_b128 v[160:163], v2 offset:1488
	ds_read_b128 v[164:167], v2 offset:1504
	v_mul_f64 v[186:187], v[194:195], v[186:187]
	v_fma_f64 v[246:247], v[192:193], v[184:185], -v[186:187]
	ds_read_b128 v[184:187], v2 offset:1584
	s_waitcnt vmcnt(16) lgkmcnt(2)
	v_mul_f64 v[170:171], v[160:161], v[50:51]
	v_fmac_f64_e32 v[170:171], v[162:163], v[48:49]
	s_waitcnt vmcnt(15) lgkmcnt(1)
	v_mul_f64 v[174:175], v[164:165], v[54:55]
	v_add_f64 v[172:173], v[168:169], v[170:171]
	ds_read_b128 v[168:171], v2 offset:1520
	v_fmac_f64_e32 v[174:175], v[166:167], v[52:53]
	v_add_f64 v[176:177], v[172:173], v[174:175]
	ds_read_b128 v[172:175], v2 offset:1536
	v_mul_f64 v[190:191], v[206:207], v[190:191]
	s_waitcnt vmcnt(14) lgkmcnt(1)
	v_mul_f64 v[178:179], v[168:169], v[58:59]
	v_fmac_f64_e32 v[178:179], v[170:171], v[56:57]
	v_add_f64 v[180:181], v[176:177], v[178:179]
	s_waitcnt vmcnt(13) lgkmcnt(0)
	v_mul_f64 v[182:183], v[172:173], v[62:63]
	ds_read_b128 v[176:179], v2 offset:1552
	v_fmac_f64_e32 v[182:183], v[174:175], v[60:61]
	v_add_f64 v[232:233], v[180:181], v[182:183]
	ds_read_b128 v[180:183], v2 offset:1568
	v_fma_f64 v[248:249], v[204:205], v[188:189], -v[190:191]
	s_waitcnt vmcnt(12) lgkmcnt(1)
	v_mul_f64 v[234:235], v[176:177], v[66:67]
	v_fmac_f64_e32 v[234:235], v[178:179], v[64:65]
	v_add_f64 v[232:233], v[232:233], v[234:235]
	s_waitcnt vmcnt(11) lgkmcnt(0)
	v_mul_f64 v[192:193], v[180:181], v[70:71]
	v_fmac_f64_e32 v[192:193], v[182:183], v[68:69]
	ds_read_b128 v[188:191], v2 offset:1600
	s_waitcnt vmcnt(10)
	v_mul_f64 v[194:195], v[184:185], v[74:75]
	v_add_f64 v[192:193], v[232:233], v[192:193]
	v_fmac_f64_e32 v[194:195], v[186:187], v[72:73]
	v_add_f64 v[204:205], v[192:193], v[194:195]
	ds_read_b128 v[192:195], v2 offset:1616
	v_mul_f64 v[198:199], v[218:219], v[198:199]
	v_fma_f64 v[250:251], v[216:217], v[196:197], -v[198:199]
	ds_read_b128 v[196:199], v2 offset:1632
	s_waitcnt vmcnt(9) lgkmcnt(2)
	v_mul_f64 v[206:207], v[188:189], v[78:79]
	v_fmac_f64_e32 v[206:207], v[190:191], v[76:77]
	v_add_f64 v[204:205], v[204:205], v[206:207]
	s_waitcnt vmcnt(8) lgkmcnt(1)
	v_mul_f64 v[206:207], v[192:193], v[82:83]
	v_fmac_f64_e32 v[206:207], v[194:195], v[80:81]
	v_mul_f64 v[202:203], v[226:227], v[202:203]
	v_add_f64 v[204:205], v[204:205], v[206:207]
	v_fma_f64 v[234:235], v[224:225], v[200:201], -v[202:203]
	ds_read_b128 v[200:203], v2 offset:1648
	s_waitcnt vmcnt(7) lgkmcnt(1)
	v_mul_f64 v[206:207], v[196:197], v[86:87]
	v_fmac_f64_e32 v[206:207], v[198:199], v[84:85]
	v_add_f64 v[216:217], v[204:205], v[206:207]
	ds_read_b128 v[204:207], v2 offset:1664
	v_mul_f64 v[210:211], v[230:231], v[210:211]
	v_fma_f64 v[236:237], v[228:229], v[208:209], -v[210:211]
	ds_read_b128 v[208:211], v2 offset:1680
	s_waitcnt vmcnt(6) lgkmcnt(2)
	v_mul_f64 v[218:219], v[200:201], v[90:91]
	v_fmac_f64_e32 v[218:219], v[202:203], v[88:89]
	v_add_f64 v[216:217], v[216:217], v[218:219]
	s_waitcnt vmcnt(5) lgkmcnt(1)
	v_mul_f64 v[218:219], v[204:205], v[94:95]
	v_fmac_f64_e32 v[218:219], v[206:207], v[92:93]
	v_mul_f64 v[214:215], v[244:245], v[214:215]
	v_fma_f64 v[238:239], v[242:243], v[212:213], -v[214:215]
	ds_read_b128 v[212:215], v2 offset:1696
	v_add_f64 v[216:217], v[216:217], v[218:219]
	s_waitcnt vmcnt(4) lgkmcnt(1)
	v_mul_f64 v[218:219], v[208:209], v[102:103]
	v_fmac_f64_e32 v[218:219], v[210:211], v[100:101]
	v_add_f64 v[224:225], v[216:217], v[218:219]
	ds_read_b128 v[216:219], v2 offset:1712
	v_mul_f64 v[222:223], v[254:255], v[222:223]
	v_fma_f64 v[242:243], v[252:253], v[220:221], -v[222:223]
	ds_read_b128 v[220:223], v2 offset:1728
	s_waitcnt vmcnt(3) lgkmcnt(2)
	v_mul_f64 v[226:227], v[212:213], v[98:99]
	v_fmac_f64_e32 v[226:227], v[214:215], v[96:97]
	v_add_f64 v[224:225], v[224:225], v[226:227]
	s_waitcnt vmcnt(2) lgkmcnt(1)
	v_mul_f64 v[226:227], v[216:217], v[106:107]
	v_fmac_f64_e32 v[226:227], v[218:219], v[104:105]
	v_add_f64 v[224:225], v[224:225], v[226:227]
	;; [unrolled: 4-line block ×3, first 2 shown]
	ds_read_b128 v[224:227], v2 offset:1744
	v_mul_f64 v[6:7], v[150:151], v[6:7]
	v_fma_f64 v[4:5], v[148:149], v[4:5], -v[6:7]
	v_mul_f64 v[6:7], v[146:147], v[10:11]
	v_fma_f64 v[6:7], v[144:145], v[8:9], -v[6:7]
	s_waitcnt vmcnt(0) lgkmcnt(0)
	v_mul_f64 v[230:231], v[224:225], v[130:131]
	v_fmac_f64_e32 v[230:231], v[226:227], v[128:129]
	v_add_f64 v[232:233], v[228:229], v[230:231]
	v_add_f64 v[228:229], v[246:247], 0
	;; [unrolled: 1-line block ×4, first 2 shown]
	scratch_load_dwordx4 v[228:231], off, off offset:320
	v_add_f64 v[234:235], v[252:253], v[234:235]
	v_add_f64 v[234:235], v[234:235], v[236:237]
	;; [unrolled: 1-line block ×6, first 2 shown]
	v_mul_f64 v[6:7], v[142:143], v[14:15]
	v_fma_f64 v[6:7], v[140:141], v[12:13], -v[6:7]
	v_add_f64 v[4:5], v[4:5], v[6:7]
	v_mul_f64 v[6:7], v[138:139], v[18:19]
	v_fma_f64 v[6:7], v[136:137], v[16:17], -v[6:7]
	v_add_f64 v[4:5], v[4:5], v[6:7]
	;; [unrolled: 3-line block ×26, first 2 shown]
	s_waitcnt vmcnt(0)
	v_add_f64 v[4:5], v[228:229], -v[4:5]
	v_add_f64 v[6:7], v[230:231], -v[232:233]
	scratch_store_dwordx4 off, v[4:7], off offset:320
	s_and_saveexec_b64 s[0:1], vcc
	s_cbranch_execz .LBB118_307
; %bb.306:
	scratch_load_dwordx4 v[6:9], off, s53
	v_mov_b32_e32 v3, v2
	v_mov_b32_e32 v4, v2
	;; [unrolled: 1-line block ×3, first 2 shown]
	v_accvgpr_read_b32 v0, a111
	scratch_store_dwordx4 off, v[2:5], off offset:304
	s_waitcnt vmcnt(1)
	ds_write_b128 v0, v[6:9]
.LBB118_307:
	s_or_b64 exec, exec, s[0:1]
	s_waitcnt lgkmcnt(0)
	; wave barrier
	scratch_load_dwordx4 v[140:143], off, off offset:320
	scratch_load_dwordx4 v[144:147], off, off offset:336
	;; [unrolled: 1-line block ×16, first 2 shown]
	ds_read_b128 v[208:211], v2 offset:1184
	ds_read_b128 v[200:203], v2 offset:1200
	;; [unrolled: 1-line block ×3, first 2 shown]
	scratch_load_dwordx4 v[40:43], off, off offset:576
	ds_read_b128 v[204:207], v2 offset:1232
	ds_read_b128 v[192:195], v2 offset:1248
	ds_read_b128 v[184:187], v2 offset:1264
	scratch_load_dwordx4 v[44:47], off, off offset:592
	ds_read_b128 v[196:199], v2 offset:1280
	ds_read_b128 v[64:67], v2 offset:1296
	;; [unrolled: 1-line block ×4, first 2 shown]
	scratch_load_dwordx4 v[48:51], off, off offset:608
	ds_read_b128 v[72:75], v2 offset:1344
	ds_read_b128 v[68:71], v2 offset:1360
	scratch_load_dwordx4 v[56:59], off, off offset:624
	ds_read_b128 v[92:95], v2 offset:1376
	ds_read_b128 v[88:91], v2 offset:1392
	;; [unrolled: 1-line block ×4, first 2 shown]
	scratch_load_dwordx4 v[76:79], off, off offset:640
	scratch_load_dwordx4 v[96:99], off, off offset:656
	;; [unrolled: 1-line block ×12, first 2 shown]
	ds_read_b128 v[168:171], v2 offset:1440
	v_accvgpr_write_b32 a110, v240
	v_cmp_lt_u32_e32 vcc, 17, v240
	s_waitcnt vmcnt(31) lgkmcnt(14)
	v_mul_f64 v[172:173], v[208:209], v[142:143]
	s_waitcnt vmcnt(30)
	v_mul_f64 v[174:175], v[200:201], v[146:147]
	v_fmac_f64_e32 v[172:173], v[210:211], v[140:141]
	s_waitcnt vmcnt(29)
	v_mul_f64 v[176:177], v[188:189], v[150:151]
	v_fmac_f64_e32 v[174:175], v[202:203], v[144:145]
	v_add_f64 v[172:173], v[172:173], 0
	s_waitcnt vmcnt(28) lgkmcnt(13)
	v_mul_f64 v[178:179], v[204:205], v[154:155]
	v_fmac_f64_e32 v[176:177], v[190:191], v[148:149]
	v_add_f64 v[172:173], v[172:173], v[174:175]
	s_waitcnt vmcnt(27) lgkmcnt(12)
	v_mul_f64 v[180:181], v[192:193], v[158:159]
	v_fmac_f64_e32 v[178:179], v[206:207], v[152:153]
	v_add_f64 v[172:173], v[172:173], v[176:177]
	s_waitcnt vmcnt(26) lgkmcnt(11)
	v_mul_f64 v[182:183], v[184:185], v[162:163]
	v_fmac_f64_e32 v[180:181], v[194:195], v[156:157]
	v_add_f64 v[172:173], v[172:173], v[178:179]
	s_waitcnt vmcnt(25) lgkmcnt(10)
	v_mul_f64 v[212:213], v[196:197], v[166:167]
	v_fmac_f64_e32 v[182:183], v[186:187], v[160:161]
	v_add_f64 v[172:173], v[172:173], v[180:181]
	s_waitcnt vmcnt(24) lgkmcnt(9)
	v_mul_f64 v[214:215], v[64:65], v[6:7]
	v_fmac_f64_e32 v[212:213], v[198:199], v[164:165]
	v_add_f64 v[172:173], v[172:173], v[182:183]
	s_waitcnt vmcnt(23) lgkmcnt(8)
	v_mul_f64 v[216:217], v[60:61], v[10:11]
	v_fmac_f64_e32 v[214:215], v[66:67], v[4:5]
	v_add_f64 v[172:173], v[172:173], v[212:213]
	s_waitcnt vmcnt(22) lgkmcnt(7)
	v_mul_f64 v[218:219], v[52:53], v[14:15]
	v_fmac_f64_e32 v[216:217], v[62:63], v[8:9]
	v_add_f64 v[172:173], v[172:173], v[214:215]
	s_waitcnt vmcnt(21) lgkmcnt(6)
	v_mul_f64 v[220:221], v[72:73], v[18:19]
	v_fmac_f64_e32 v[218:219], v[54:55], v[12:13]
	v_add_f64 v[172:173], v[172:173], v[216:217]
	s_waitcnt vmcnt(20) lgkmcnt(5)
	v_mul_f64 v[222:223], v[68:69], v[22:23]
	v_fmac_f64_e32 v[220:221], v[74:75], v[16:17]
	v_add_f64 v[172:173], v[172:173], v[218:219]
	s_waitcnt vmcnt(19) lgkmcnt(4)
	v_mul_f64 v[224:225], v[92:93], v[26:27]
	v_fmac_f64_e32 v[222:223], v[70:71], v[20:21]
	v_add_f64 v[172:173], v[172:173], v[220:221]
	ds_read_b128 v[212:215], v2 offset:1456
	s_waitcnt vmcnt(18) lgkmcnt(4)
	v_mul_f64 v[226:227], v[88:89], v[30:31]
	v_fmac_f64_e32 v[224:225], v[94:95], v[24:25]
	v_add_f64 v[172:173], v[172:173], v[222:223]
	ds_read_b128 v[216:219], v2 offset:1472
	ds_read_b128 v[220:223], v2 offset:1488
	s_waitcnt vmcnt(17) lgkmcnt(5)
	v_mul_f64 v[228:229], v[84:85], v[34:35]
	v_fmac_f64_e32 v[226:227], v[90:91], v[28:29]
	v_add_f64 v[172:173], v[172:173], v[224:225]
	s_waitcnt vmcnt(16) lgkmcnt(4)
	v_mul_f64 v[230:231], v[80:81], v[38:39]
	v_fmac_f64_e32 v[228:229], v[86:87], v[32:33]
	v_add_f64 v[172:173], v[172:173], v[226:227]
	v_add_f64 v[176:177], v[172:173], v[228:229]
	v_fmac_f64_e32 v[230:231], v[82:83], v[36:37]
	s_waitcnt vmcnt(15) lgkmcnt(3)
	v_mul_f64 v[178:179], v[168:169], v[42:43]
	v_add_f64 v[176:177], v[176:177], v[230:231]
	v_fmac_f64_e32 v[178:179], v[170:171], v[40:41]
	s_waitcnt vmcnt(14) lgkmcnt(2)
	v_mul_f64 v[182:183], v[212:213], v[46:47]
	;; [unrolled: 4-line block ×3, first 2 shown]
	v_add_f64 v[224:225], v[180:181], v[182:183]
	v_fmac_f64_e32 v[226:227], v[218:219], v[48:49]
	v_add_f64 v[228:229], v[224:225], v[226:227]
	ds_read_b128 v[224:227], v2 offset:1504
	s_waitcnt vmcnt(12) lgkmcnt(1)
	v_mul_f64 v[230:231], v[220:221], v[58:59]
	v_fmac_f64_e32 v[230:231], v[222:223], v[56:57]
	v_add_f64 v[232:233], v[228:229], v[230:231]
	ds_read_b128 v[228:231], v2 offset:1520
	s_waitcnt vmcnt(11) lgkmcnt(1)
	v_mul_f64 v[234:235], v[224:225], v[78:79]
	v_fmac_f64_e32 v[234:235], v[226:227], v[76:77]
	v_add_f64 v[236:237], v[232:233], v[234:235]
	ds_read_b128 v[232:235], v2 offset:1536
	s_waitcnt vmcnt(10) lgkmcnt(1)
	v_mul_f64 v[238:239], v[228:229], v[98:99]
	v_fmac_f64_e32 v[238:239], v[230:231], v[96:97]
	v_add_f64 v[242:243], v[236:237], v[238:239]
	ds_read_b128 v[236:239], v2 offset:1552
	s_waitcnt vmcnt(9) lgkmcnt(1)
	v_mul_f64 v[244:245], v[232:233], v[102:103]
	v_fmac_f64_e32 v[244:245], v[234:235], v[100:101]
	v_mul_f64 v[142:143], v[210:211], v[142:143]
	v_add_f64 v[242:243], v[242:243], v[244:245]
	v_fma_f64 v[244:245], v[208:209], v[140:141], -v[142:143]
	ds_read_b128 v[140:143], v2 offset:1568
	s_waitcnt vmcnt(8) lgkmcnt(1)
	v_mul_f64 v[208:209], v[236:237], v[106:107]
	v_fmac_f64_e32 v[208:209], v[238:239], v[104:105]
	v_mul_f64 v[146:147], v[202:203], v[146:147]
	v_add_f64 v[208:209], v[242:243], v[208:209]
	v_fma_f64 v[242:243], v[200:201], v[144:145], -v[146:147]
	ds_read_b128 v[144:147], v2 offset:1584
	s_waitcnt vmcnt(7) lgkmcnt(1)
	v_mul_f64 v[200:201], v[140:141], v[110:111]
	scratch_load_dwordx4 v[172:175], off, off offset:832
	scratch_load_dwordx4 v[176:179], off, off offset:848
	v_fmac_f64_e32 v[200:201], v[142:143], v[108:109]
	v_add_f64 v[208:209], v[208:209], v[200:201]
	ds_read_b128 v[200:203], v2 offset:1600
	v_mul_f64 v[150:151], v[190:191], v[150:151]
	v_fma_f64 v[246:247], v[188:189], v[148:149], -v[150:151]
	ds_read_b128 v[148:151], v2 offset:1616
	s_waitcnt vmcnt(8) lgkmcnt(2)
	v_mul_f64 v[210:211], v[144:145], v[114:115]
	v_fmac_f64_e32 v[210:211], v[146:147], v[112:113]
	s_waitcnt vmcnt(7) lgkmcnt(1)
	v_mul_f64 v[188:189], v[200:201], v[118:119]
	v_add_f64 v[208:209], v[208:209], v[210:211]
	v_fmac_f64_e32 v[188:189], v[202:203], v[116:117]
	v_mul_f64 v[154:155], v[206:207], v[154:155]
	s_waitcnt vmcnt(6) lgkmcnt(0)
	v_mul_f64 v[190:191], v[148:149], v[122:123]
	v_add_f64 v[188:189], v[208:209], v[188:189]
	v_fma_f64 v[248:249], v[204:205], v[152:153], -v[154:155]
	ds_read_b128 v[152:155], v2 offset:1632
	v_fmac_f64_e32 v[190:191], v[150:151], v[120:121]
	scratch_load_dwordx4 v[180:183], off, off offset:864
	v_add_f64 v[204:205], v[188:189], v[190:191]
	ds_read_b128 v[188:191], v2 offset:1648
	s_waitcnt vmcnt(6) lgkmcnt(1)
	v_mul_f64 v[206:207], v[152:153], v[126:127]
	v_mul_f64 v[158:159], v[194:195], v[158:159]
	v_fmac_f64_e32 v[206:207], v[154:155], v[124:125]
	v_fma_f64 v[250:251], v[192:193], v[156:157], -v[158:159]
	s_waitcnt vmcnt(5) lgkmcnt(0)
	v_mul_f64 v[192:193], v[188:189], v[130:131]
	v_add_f64 v[204:205], v[204:205], v[206:207]
	v_fmac_f64_e32 v[192:193], v[190:191], v[128:129]
	v_mul_f64 v[162:163], v[186:187], v[162:163]
	v_fma_f64 v[208:209], v[184:185], v[160:161], -v[162:163]
	v_add_f64 v[184:185], v[204:205], v[192:193]
	scratch_load_dwordx4 v[204:207], off, off offset:880
	ds_read_b128 v[156:159], v2 offset:1664
	ds_read_b128 v[160:163], v2 offset:1680
	v_mul_f64 v[166:167], v[198:199], v[166:167]
	v_fma_f64 v[210:211], v[196:197], v[164:165], -v[166:167]
	ds_read_b128 v[164:167], v2 offset:1712
	s_waitcnt vmcnt(5) lgkmcnt(2)
	v_mul_f64 v[186:187], v[156:157], v[138:139]
	v_fmac_f64_e32 v[186:187], v[158:159], v[136:137]
	v_add_f64 v[192:193], v[184:185], v[186:187]
	ds_read_b128 v[184:187], v2 offset:1696
	s_waitcnt vmcnt(4) lgkmcnt(2)
	v_mul_f64 v[194:195], v[160:161], v[134:135]
	v_fmac_f64_e32 v[194:195], v[162:163], v[132:133]
	v_add_f64 v[192:193], v[192:193], v[194:195]
	v_add_f64 v[244:245], v[244:245], 0
	;; [unrolled: 1-line block ×7, first 2 shown]
	v_mul_f64 v[6:7], v[66:67], v[6:7]
	v_add_f64 v[208:209], v[208:209], v[210:211]
	v_fma_f64 v[4:5], v[64:65], v[4:5], -v[6:7]
	v_mul_f64 v[6:7], v[62:63], v[10:11]
	v_add_f64 v[4:5], v[208:209], v[4:5]
	v_fma_f64 v[6:7], v[60:61], v[8:9], -v[6:7]
	v_add_f64 v[4:5], v[4:5], v[6:7]
	v_mul_f64 v[6:7], v[54:55], v[14:15]
	v_fma_f64 v[6:7], v[52:53], v[12:13], -v[6:7]
	v_add_f64 v[4:5], v[4:5], v[6:7]
	v_mul_f64 v[6:7], v[74:75], v[18:19]
	;; [unrolled: 3-line block ×8, first 2 shown]
	s_waitcnt vmcnt(3) lgkmcnt(0)
	v_mul_f64 v[194:195], v[184:185], v[174:175]
	v_fmac_f64_e32 v[194:195], v[186:187], v[172:173]
	v_add_f64 v[192:193], v[192:193], v[194:195]
	s_waitcnt vmcnt(2)
	v_mul_f64 v[194:195], v[164:165], v[178:179]
	v_fmac_f64_e32 v[194:195], v[166:167], v[176:177]
	v_add_f64 v[196:197], v[192:193], v[194:195]
	ds_read_b128 v[192:195], v2 offset:1728
	v_fma_f64 v[6:7], v[168:169], v[40:41], -v[6:7]
	v_add_f64 v[4:5], v[4:5], v[6:7]
	v_mul_f64 v[6:7], v[214:215], v[46:47]
	v_fma_f64 v[6:7], v[212:213], v[44:45], -v[6:7]
	v_add_f64 v[4:5], v[4:5], v[6:7]
	v_mul_f64 v[6:7], v[218:219], v[50:51]
	;; [unrolled: 3-line block ×4, first 2 shown]
	s_waitcnt vmcnt(1) lgkmcnt(0)
	v_mul_f64 v[198:199], v[192:193], v[182:183]
	v_fmac_f64_e32 v[198:199], v[194:195], v[180:181]
	v_add_f64 v[252:253], v[196:197], v[198:199]
	ds_read_b128 v[196:199], v2 offset:1744
	v_fma_f64 v[6:7], v[224:225], v[76:77], -v[6:7]
	v_add_f64 v[4:5], v[4:5], v[6:7]
	v_mul_f64 v[6:7], v[230:231], v[98:99]
	v_fma_f64 v[6:7], v[228:229], v[96:97], -v[6:7]
	v_add_f64 v[4:5], v[4:5], v[6:7]
	v_mul_f64 v[6:7], v[234:235], v[102:103]
	;; [unrolled: 3-line block ×3, first 2 shown]
	s_waitcnt vmcnt(0) lgkmcnt(0)
	v_mul_f64 v[2:3], v[196:197], v[206:207]
	v_fmac_f64_e32 v[2:3], v[198:199], v[204:205]
	v_add_f64 v[2:3], v[252:253], v[2:3]
	scratch_load_dwordx4 v[252:255], off, off offset:304
	v_fma_f64 v[6:7], v[236:237], v[104:105], -v[6:7]
	v_add_f64 v[4:5], v[4:5], v[6:7]
	v_mul_f64 v[6:7], v[142:143], v[110:111]
	v_fma_f64 v[6:7], v[140:141], v[108:109], -v[6:7]
	v_add_f64 v[4:5], v[4:5], v[6:7]
	v_mul_f64 v[6:7], v[146:147], v[114:115]
	;; [unrolled: 3-line block ×12, first 2 shown]
	v_fma_f64 v[6:7], v[196:197], v[204:205], -v[6:7]
	v_add_f64 v[4:5], v[4:5], v[6:7]
	s_waitcnt vmcnt(0)
	v_add_f64 v[4:5], v[252:253], -v[4:5]
	v_add_f64 v[6:7], v[254:255], -v[2:3]
	scratch_store_dwordx4 off, v[4:7], off offset:304
	s_and_saveexec_b64 s[0:1], vcc
	s_cbranch_execz .LBB118_309
; %bb.308:
	scratch_load_dwordx4 v[2:5], off, s54
	v_mov_b32_e32 v6, 0
	v_mov_b32_e32 v7, v6
	;; [unrolled: 1-line block ×4, first 2 shown]
	v_accvgpr_read_b32 v0, a111
	scratch_store_dwordx4 off, v[6:9], off offset:288
	s_waitcnt vmcnt(1)
	ds_write_b128 v0, v[2:5]
.LBB118_309:
	s_or_b64 exec, exec, s[0:1]
	s_waitcnt lgkmcnt(0)
	; wave barrier
	scratch_load_dwordx4 v[168:171], off, off offset:304
	scratch_load_dwordx4 v[172:175], off, off offset:320
	;; [unrolled: 1-line block ×32, first 2 shown]
	v_mov_b32_e32 v2, 0
	ds_read_b128 v[176:179], v2 offset:1168
	ds_read_b128 v[188:191], v2 offset:1184
	;; [unrolled: 1-line block ×17, first 2 shown]
	v_accvgpr_read_b32 v0, a110
	v_cmp_lt_u32_e32 vcc, 16, v0
	s_waitcnt vmcnt(31) lgkmcnt(14)
	v_mul_f64 v[104:105], v[176:177], v[170:171]
	s_waitcnt vmcnt(30)
	v_mul_f64 v[106:107], v[188:189], v[174:175]
	v_fmac_f64_e32 v[104:105], v[178:179], v[168:169]
	s_waitcnt vmcnt(29)
	v_mul_f64 v[108:109], v[200:201], v[182:183]
	v_fmac_f64_e32 v[106:107], v[190:191], v[172:173]
	v_add_f64 v[104:105], v[104:105], 0
	s_waitcnt vmcnt(28) lgkmcnt(13)
	v_mul_f64 v[110:111], v[212:213], v[186:187]
	v_fmac_f64_e32 v[108:109], v[202:203], v[180:181]
	v_add_f64 v[104:105], v[104:105], v[106:107]
	s_waitcnt vmcnt(27) lgkmcnt(12)
	;; [unrolled: 4-line block ×12, first 2 shown]
	v_mul_f64 v[156:157], v[112:113], v[26:27]
	v_fmac_f64_e32 v[154:155], v[118:119], v[20:21]
	v_add_f64 v[104:105], v[104:105], v[152:153]
	v_fmac_f64_e32 v[156:157], v[114:115], v[24:25]
	v_add_f64 v[104:105], v[104:105], v[154:155]
	s_waitcnt vmcnt(16) lgkmcnt(1)
	v_mul_f64 v[106:107], v[100:101], v[30:31]
	v_add_f64 v[104:105], v[104:105], v[156:157]
	v_fmac_f64_e32 v[106:107], v[102:103], v[28:29]
	v_add_f64 v[108:109], v[104:105], v[106:107]
	ds_read_b128 v[144:147], v2 offset:1440
	ds_read_b128 v[148:151], v2 offset:1456
	scratch_load_dwordx4 v[104:107], off, off offset:816
	s_waitcnt vmcnt(16) lgkmcnt(2)
	v_mul_f64 v[110:111], v[96:97], v[34:35]
	v_fmac_f64_e32 v[110:111], v[98:99], v[32:33]
	v_add_f64 v[120:121], v[108:109], v[110:111]
	scratch_load_dwordx4 v[108:111], off, off offset:832
	s_waitcnt vmcnt(16) lgkmcnt(1)
	v_mul_f64 v[122:123], v[144:145], v[38:39]
	v_fmac_f64_e32 v[122:123], v[146:147], v[36:37]
	v_add_f64 v[132:133], v[120:121], v[122:123]
	s_waitcnt vmcnt(15) lgkmcnt(0)
	v_mul_f64 v[134:135], v[148:149], v[42:43]
	scratch_load_dwordx4 v[120:123], off, off offset:848
	v_fmac_f64_e32 v[134:135], v[150:151], v[40:41]
	v_add_f64 v[160:161], v[132:133], v[134:135]
	scratch_load_dwordx4 v[132:135], off, off offset:864
	ds_read_b128 v[152:155], v2 offset:1472
	ds_read_b128 v[156:159], v2 offset:1488
	v_mul_f64 v[170:171], v[178:179], v[170:171]
	v_fma_f64 v[246:247], v[176:177], v[168:169], -v[170:171]
	ds_read_b128 v[168:171], v2 offset:1536
	s_waitcnt vmcnt(16) lgkmcnt(2)
	v_mul_f64 v[162:163], v[152:153], v[46:47]
	v_fmac_f64_e32 v[162:163], v[154:155], v[44:45]
	s_waitcnt vmcnt(15) lgkmcnt(1)
	v_mul_f64 v[166:167], v[156:157], v[50:51]
	v_add_f64 v[164:165], v[160:161], v[162:163]
	ds_read_b128 v[160:163], v2 offset:1504
	v_fmac_f64_e32 v[166:167], v[158:159], v[48:49]
	v_add_f64 v[232:233], v[164:165], v[166:167]
	ds_read_b128 v[164:167], v2 offset:1520
	v_mul_f64 v[174:175], v[190:191], v[174:175]
	s_waitcnt vmcnt(14) lgkmcnt(1)
	v_mul_f64 v[234:235], v[160:161], v[54:55]
	v_fmac_f64_e32 v[234:235], v[162:163], v[52:53]
	v_add_f64 v[232:233], v[232:233], v[234:235]
	s_waitcnt vmcnt(13) lgkmcnt(0)
	v_mul_f64 v[176:177], v[164:165], v[58:59]
	v_fmac_f64_e32 v[176:177], v[166:167], v[56:57]
	v_fma_f64 v[248:249], v[188:189], v[172:173], -v[174:175]
	ds_read_b128 v[172:175], v2 offset:1552
	s_waitcnt vmcnt(12)
	v_mul_f64 v[178:179], v[168:169], v[62:63]
	v_add_f64 v[176:177], v[232:233], v[176:177]
	v_fmac_f64_e32 v[178:179], v[170:171], v[60:61]
	v_add_f64 v[188:189], v[176:177], v[178:179]
	ds_read_b128 v[176:179], v2 offset:1568
	v_mul_f64 v[182:183], v[202:203], v[182:183]
	v_fma_f64 v[250:251], v[200:201], v[180:181], -v[182:183]
	ds_read_b128 v[180:183], v2 offset:1584
	s_waitcnt vmcnt(11) lgkmcnt(2)
	v_mul_f64 v[190:191], v[172:173], v[66:67]
	v_fmac_f64_e32 v[190:191], v[174:175], v[64:65]
	v_add_f64 v[188:189], v[188:189], v[190:191]
	s_waitcnt vmcnt(10) lgkmcnt(1)
	v_mul_f64 v[190:191], v[176:177], v[70:71]
	v_fmac_f64_e32 v[190:191], v[178:179], v[68:69]
	v_mul_f64 v[186:187], v[214:215], v[186:187]
	v_fma_f64 v[240:241], v[212:213], v[184:185], -v[186:187]
	ds_read_b128 v[184:187], v2 offset:1600
	v_add_f64 v[188:189], v[188:189], v[190:191]
	s_waitcnt vmcnt(9) lgkmcnt(1)
	v_mul_f64 v[190:191], v[180:181], v[74:75]
	v_fmac_f64_e32 v[190:191], v[182:183], v[72:73]
	v_add_f64 v[200:201], v[188:189], v[190:191]
	ds_read_b128 v[188:191], v2 offset:1616
	v_mul_f64 v[194:195], v[222:223], v[194:195]
	v_fma_f64 v[232:233], v[220:221], v[192:193], -v[194:195]
	ds_read_b128 v[192:195], v2 offset:1632
	s_waitcnt vmcnt(8) lgkmcnt(2)
	v_mul_f64 v[202:203], v[184:185], v[78:79]
	v_fmac_f64_e32 v[202:203], v[186:187], v[76:77]
	v_add_f64 v[200:201], v[200:201], v[202:203]
	s_waitcnt vmcnt(7) lgkmcnt(1)
	v_mul_f64 v[202:203], v[188:189], v[82:83]
	v_fmac_f64_e32 v[202:203], v[190:191], v[80:81]
	v_mul_f64 v[198:199], v[226:227], v[198:199]
	v_add_f64 v[200:201], v[200:201], v[202:203]
	v_fma_f64 v[234:235], v[224:225], v[196:197], -v[198:199]
	ds_read_b128 v[196:199], v2 offset:1648
	s_waitcnt vmcnt(6) lgkmcnt(1)
	v_mul_f64 v[202:203], v[192:193], v[86:87]
	v_fmac_f64_e32 v[202:203], v[194:195], v[84:85]
	v_add_f64 v[212:213], v[200:201], v[202:203]
	ds_read_b128 v[200:203], v2 offset:1664
	v_mul_f64 v[206:207], v[230:231], v[206:207]
	v_fma_f64 v[236:237], v[228:229], v[204:205], -v[206:207]
	ds_read_b128 v[204:207], v2 offset:1680
	s_waitcnt vmcnt(5) lgkmcnt(2)
	v_mul_f64 v[214:215], v[196:197], v[94:95]
	v_fmac_f64_e32 v[214:215], v[198:199], v[92:93]
	v_add_f64 v[212:213], v[212:213], v[214:215]
	s_waitcnt vmcnt(4) lgkmcnt(1)
	v_mul_f64 v[214:215], v[200:201], v[90:91]
	v_fmac_f64_e32 v[214:215], v[202:203], v[88:89]
	v_mul_f64 v[210:211], v[244:245], v[210:211]
	v_fma_f64 v[238:239], v[242:243], v[208:209], -v[210:211]
	ds_read_b128 v[208:211], v2 offset:1696
	v_add_f64 v[212:213], v[212:213], v[214:215]
	s_waitcnt vmcnt(3) lgkmcnt(1)
	v_mul_f64 v[214:215], v[204:205], v[106:107]
	v_fmac_f64_e32 v[214:215], v[206:207], v[104:105]
	v_add_f64 v[220:221], v[212:213], v[214:215]
	ds_read_b128 v[212:215], v2 offset:1712
	v_mul_f64 v[218:219], v[254:255], v[218:219]
	v_fma_f64 v[242:243], v[252:253], v[216:217], -v[218:219]
	ds_read_b128 v[216:219], v2 offset:1728
	ds_read_b128 v[224:227], v2 offset:1744
	s_waitcnt vmcnt(2) lgkmcnt(3)
	v_mul_f64 v[222:223], v[208:209], v[110:111]
	v_fmac_f64_e32 v[222:223], v[210:211], v[108:109]
	v_add_f64 v[220:221], v[220:221], v[222:223]
	s_waitcnt vmcnt(1) lgkmcnt(2)
	v_mul_f64 v[222:223], v[212:213], v[122:123]
	v_fmac_f64_e32 v[222:223], v[214:215], v[120:121]
	v_add_f64 v[220:221], v[220:221], v[222:223]
	;; [unrolled: 4-line block ×3, first 2 shown]
	scratch_load_dwordx4 v[220:223], off, off offset:880
	v_mul_f64 v[6:7], v[142:143], v[6:7]
	v_fma_f64 v[4:5], v[140:141], v[4:5], -v[6:7]
	v_mul_f64 v[6:7], v[138:139], v[10:11]
	v_fma_f64 v[6:7], v[136:137], v[8:9], -v[6:7]
	s_waitcnt vmcnt(0) lgkmcnt(0)
	v_mul_f64 v[230:231], v[224:225], v[222:223]
	v_fmac_f64_e32 v[230:231], v[226:227], v[220:221]
	v_add_f64 v[244:245], v[228:229], v[230:231]
	v_add_f64 v[228:229], v[246:247], 0
	;; [unrolled: 1-line block ×6, first 2 shown]
	scratch_load_dwordx4 v[228:231], off, off offset:288
	v_add_f64 v[232:233], v[252:253], v[234:235]
	v_add_f64 v[232:233], v[232:233], v[236:237]
	;; [unrolled: 1-line block ×6, first 2 shown]
	v_mul_f64 v[6:7], v[130:131], v[14:15]
	v_fma_f64 v[6:7], v[128:129], v[12:13], -v[6:7]
	v_add_f64 v[4:5], v[4:5], v[6:7]
	v_mul_f64 v[6:7], v[126:127], v[18:19]
	v_fma_f64 v[6:7], v[124:125], v[16:17], -v[6:7]
	v_add_f64 v[4:5], v[4:5], v[6:7]
	;; [unrolled: 3-line block ×26, first 2 shown]
	s_waitcnt vmcnt(0)
	v_add_f64 v[4:5], v[228:229], -v[4:5]
	v_add_f64 v[6:7], v[230:231], -v[244:245]
	scratch_store_dwordx4 off, v[4:7], off offset:288
	s_and_saveexec_b64 s[0:1], vcc
	s_cbranch_execz .LBB118_311
; %bb.310:
	scratch_load_dwordx4 v[6:9], off, s55
	v_mov_b32_e32 v3, v2
	v_mov_b32_e32 v4, v2
	;; [unrolled: 1-line block ×3, first 2 shown]
	v_accvgpr_read_b32 v0, a111
	scratch_store_dwordx4 off, v[2:5], off offset:272
	s_waitcnt vmcnt(1)
	ds_write_b128 v0, v[6:9]
.LBB118_311:
	s_or_b64 exec, exec, s[0:1]
	s_waitcnt lgkmcnt(0)
	; wave barrier
	scratch_load_dwordx4 v[168:171], off, off offset:288
	scratch_load_dwordx4 v[172:175], off, off offset:304
	scratch_load_dwordx4 v[180:183], off, off offset:320
	scratch_load_dwordx4 v[184:187], off, off offset:336
	scratch_load_dwordx4 v[192:195], off, off offset:352
	scratch_load_dwordx4 v[196:199], off, off offset:368
	scratch_load_dwordx4 v[204:207], off, off offset:384
	scratch_load_dwordx4 v[208:211], off, off offset:400
	scratch_load_dwordx4 v[216:219], off, off offset:416
	scratch_load_dwordx4 v[4:7], off, off offset:432
	scratch_load_dwordx4 v[8:11], off, off offset:448
	scratch_load_dwordx4 v[12:15], off, off offset:464
	scratch_load_dwordx4 v[16:19], off, off offset:480
	scratch_load_dwordx4 v[20:23], off, off offset:496
	scratch_load_dwordx4 v[24:27], off, off offset:512
	scratch_load_dwordx4 v[28:31], off, off offset:528
	ds_read_b128 v[232:235], v2 offset:1152
	ds_read_b128 v[176:179], v2 offset:1168
	scratch_load_dwordx4 v[32:35], off, off offset:544
	ds_read_b128 v[236:239], v2 offset:1184
	ds_read_b128 v[188:191], v2 offset:1200
	;; [unrolled: 1-line block ×5, first 2 shown]
	scratch_load_dwordx4 v[36:39], off, off offset:560
	ds_read_b128 v[224:227], v2 offset:1264
	ds_read_b128 v[220:223], v2 offset:1280
	;; [unrolled: 1-line block ×3, first 2 shown]
	scratch_load_dwordx4 v[40:43], off, off offset:576
	ds_read_b128 v[64:67], v2 offset:1312
	ds_read_b128 v[60:63], v2 offset:1328
	;; [unrolled: 1-line block ×4, first 2 shown]
	scratch_load_dwordx4 v[48:51], off, off offset:592
	ds_read_b128 v[80:83], v2 offset:1376
	ds_read_b128 v[72:75], v2 offset:1392
	;; [unrolled: 1-line block ×3, first 2 shown]
	scratch_load_dwordx4 v[76:79], off, off offset:608
	scratch_load_dwordx4 v[84:87], off, off offset:624
	;; [unrolled: 1-line block ×12, first 2 shown]
	v_accvgpr_read_b32 v0, a110
	v_cmp_lt_u32_e32 vcc, 15, v0
	s_waitcnt vmcnt(31) lgkmcnt(14)
	v_mul_f64 v[128:129], v[232:233], v[170:171]
	s_waitcnt vmcnt(30)
	v_mul_f64 v[130:131], v[176:177], v[174:175]
	v_fmac_f64_e32 v[128:129], v[234:235], v[168:169]
	s_waitcnt vmcnt(29)
	v_mul_f64 v[132:133], v[236:237], v[182:183]
	v_fmac_f64_e32 v[130:131], v[178:179], v[172:173]
	v_add_f64 v[128:129], v[128:129], 0
	s_waitcnt vmcnt(28) lgkmcnt(13)
	v_mul_f64 v[134:135], v[188:189], v[186:187]
	v_fmac_f64_e32 v[132:133], v[238:239], v[180:181]
	v_add_f64 v[128:129], v[128:129], v[130:131]
	s_waitcnt vmcnt(27) lgkmcnt(12)
	;; [unrolled: 4-line block ×13, first 2 shown]
	v_mul_f64 v[158:159], v[72:73], v[30:31]
	v_fmac_f64_e32 v[156:157], v[82:83], v[24:25]
	v_add_f64 v[128:129], v[128:129], v[154:155]
	v_add_f64 v[128:129], v[128:129], v[156:157]
	v_fmac_f64_e32 v[158:159], v[74:75], v[28:29]
	v_add_f64 v[132:133], v[128:129], v[158:159]
	ds_read_b128 v[144:147], v2 offset:1424
	ds_read_b128 v[148:151], v2 offset:1440
	scratch_load_dwordx4 v[128:131], off, off offset:800
	s_waitcnt vmcnt(16) lgkmcnt(2)
	v_mul_f64 v[134:135], v[68:69], v[34:35]
	v_fmac_f64_e32 v[134:135], v[70:71], v[32:33]
	s_waitcnt vmcnt(15) lgkmcnt(1)
	v_mul_f64 v[138:139], v[144:145], v[38:39]
	v_add_f64 v[136:137], v[132:133], v[134:135]
	scratch_load_dwordx4 v[132:135], off, off offset:816
	v_fmac_f64_e32 v[138:139], v[146:147], v[36:37]
	v_add_f64 v[140:141], v[136:137], v[138:139]
	s_waitcnt vmcnt(15) lgkmcnt(0)
	v_mul_f64 v[142:143], v[148:149], v[42:43]
	scratch_load_dwordx4 v[136:139], off, off offset:832
	v_fmac_f64_e32 v[142:143], v[150:151], v[40:41]
	v_add_f64 v[160:161], v[140:141], v[142:143]
	scratch_load_dwordx4 v[140:143], off, off offset:848
	ds_read_b128 v[152:155], v2 offset:1456
	ds_read_b128 v[156:159], v2 offset:1472
	v_mul_f64 v[170:171], v[234:235], v[170:171]
	v_fma_f64 v[244:245], v[232:233], v[168:169], -v[170:171]
	ds_read_b128 v[168:171], v2 offset:1520
	s_waitcnt vmcnt(16) lgkmcnt(2)
	v_mul_f64 v[162:163], v[152:153], v[50:51]
	v_fmac_f64_e32 v[162:163], v[154:155], v[48:49]
	s_waitcnt vmcnt(15) lgkmcnt(1)
	v_mul_f64 v[166:167], v[156:157], v[78:79]
	v_add_f64 v[164:165], v[160:161], v[162:163]
	ds_read_b128 v[160:163], v2 offset:1488
	v_fmac_f64_e32 v[166:167], v[158:159], v[76:77]
	v_add_f64 v[240:241], v[164:165], v[166:167]
	ds_read_b128 v[164:167], v2 offset:1504
	v_mul_f64 v[174:175], v[178:179], v[174:175]
	s_waitcnt vmcnt(14) lgkmcnt(1)
	v_mul_f64 v[242:243], v[160:161], v[86:87]
	v_fmac_f64_e32 v[242:243], v[162:163], v[84:85]
	v_add_f64 v[240:241], v[240:241], v[242:243]
	s_waitcnt vmcnt(13) lgkmcnt(0)
	v_mul_f64 v[232:233], v[164:165], v[90:91]
	v_fmac_f64_e32 v[232:233], v[166:167], v[88:89]
	v_add_f64 v[232:233], v[240:241], v[232:233]
	v_fma_f64 v[240:241], v[176:177], v[172:173], -v[174:175]
	ds_read_b128 v[172:175], v2 offset:1536
	s_waitcnt vmcnt(12)
	v_mul_f64 v[176:177], v[168:169], v[94:95]
	v_fmac_f64_e32 v[176:177], v[170:171], v[92:93]
	v_add_f64 v[232:233], v[232:233], v[176:177]
	ds_read_b128 v[176:179], v2 offset:1552
	v_mul_f64 v[182:183], v[238:239], v[182:183]
	v_fma_f64 v[236:237], v[236:237], v[180:181], -v[182:183]
	ds_read_b128 v[180:183], v2 offset:1568
	s_waitcnt vmcnt(11) lgkmcnt(2)
	v_mul_f64 v[234:235], v[172:173], v[98:99]
	v_fmac_f64_e32 v[234:235], v[174:175], v[96:97]
	v_add_f64 v[232:233], v[232:233], v[234:235]
	s_waitcnt vmcnt(10) lgkmcnt(1)
	v_mul_f64 v[234:235], v[176:177], v[102:103]
	v_fmac_f64_e32 v[234:235], v[178:179], v[100:101]
	v_mul_f64 v[186:187], v[190:191], v[186:187]
	s_waitcnt vmcnt(9) lgkmcnt(0)
	v_mul_f64 v[190:191], v[180:181], v[106:107]
	v_fma_f64 v[238:239], v[188:189], v[184:185], -v[186:187]
	ds_read_b128 v[184:187], v2 offset:1584
	v_add_f64 v[188:189], v[232:233], v[234:235]
	v_fmac_f64_e32 v[190:191], v[182:183], v[104:105]
	v_add_f64 v[232:233], v[188:189], v[190:191]
	ds_read_b128 v[188:191], v2 offset:1600
	v_mul_f64 v[194:195], v[230:231], v[194:195]
	v_fma_f64 v[246:247], v[228:229], v[192:193], -v[194:195]
	ds_read_b128 v[192:195], v2 offset:1616
	s_waitcnt vmcnt(8) lgkmcnt(2)
	v_mul_f64 v[234:235], v[184:185], v[110:111]
	v_fmac_f64_e32 v[234:235], v[186:187], v[108:109]
	s_waitcnt vmcnt(7) lgkmcnt(1)
	v_mul_f64 v[228:229], v[188:189], v[114:115]
	v_mul_f64 v[198:199], v[202:203], v[198:199]
	v_add_f64 v[232:233], v[232:233], v[234:235]
	v_fmac_f64_e32 v[228:229], v[190:191], v[112:113]
	v_fma_f64 v[248:249], v[200:201], v[196:197], -v[198:199]
	ds_read_b128 v[196:199], v2 offset:1632
	s_waitcnt vmcnt(6) lgkmcnt(1)
	v_mul_f64 v[200:201], v[192:193], v[118:119]
	v_add_f64 v[228:229], v[232:233], v[228:229]
	v_fmac_f64_e32 v[200:201], v[194:195], v[116:117]
	v_add_f64 v[228:229], v[228:229], v[200:201]
	ds_read_b128 v[200:203], v2 offset:1648
	v_mul_f64 v[206:207], v[214:215], v[206:207]
	v_fma_f64 v[250:251], v[212:213], v[204:205], -v[206:207]
	ds_read_b128 v[204:207], v2 offset:1664
	s_waitcnt vmcnt(5) lgkmcnt(2)
	v_mul_f64 v[230:231], v[196:197], v[126:127]
	v_fmac_f64_e32 v[230:231], v[198:199], v[124:125]
	s_waitcnt vmcnt(4) lgkmcnt(1)
	v_mul_f64 v[212:213], v[200:201], v[122:123]
	v_add_f64 v[228:229], v[228:229], v[230:231]
	v_fmac_f64_e32 v[212:213], v[202:203], v[120:121]
	v_mul_f64 v[210:211], v[226:227], v[210:211]
	s_waitcnt vmcnt(3) lgkmcnt(0)
	v_mul_f64 v[214:215], v[204:205], v[130:131]
	v_fma_f64 v[242:243], v[224:225], v[208:209], -v[210:211]
	ds_read_b128 v[208:211], v2 offset:1680
	v_add_f64 v[212:213], v[228:229], v[212:213]
	v_fmac_f64_e32 v[214:215], v[206:207], v[128:129]
	v_add_f64 v[224:225], v[212:213], v[214:215]
	ds_read_b128 v[212:215], v2 offset:1696
	v_mul_f64 v[218:219], v[222:223], v[218:219]
	v_fma_f64 v[252:253], v[220:221], v[216:217], -v[218:219]
	ds_read_b128 v[216:219], v2 offset:1712
	s_waitcnt vmcnt(2) lgkmcnt(2)
	v_mul_f64 v[220:221], v[208:209], v[134:135]
	v_fmac_f64_e32 v[220:221], v[210:211], v[132:133]
	s_waitcnt vmcnt(1) lgkmcnt(1)
	v_mul_f64 v[222:223], v[212:213], v[138:139]
	v_add_f64 v[220:221], v[224:225], v[220:221]
	v_fmac_f64_e32 v[222:223], v[214:215], v[136:137]
	v_add_f64 v[220:221], v[220:221], v[222:223]
	ds_read_b128 v[224:227], v2 offset:1728
	s_waitcnt vmcnt(0) lgkmcnt(1)
	v_mul_f64 v[222:223], v[216:217], v[142:143]
	v_fmac_f64_e32 v[222:223], v[218:219], v[140:141]
	v_add_f64 v[228:229], v[220:221], v[222:223]
	scratch_load_dwordx4 v[220:223], off, off offset:864
	scratch_load_dwordx4 v[232:235], off, off offset:880
	v_add_f64 v[244:245], v[244:245], 0
	v_add_f64 v[240:241], v[244:245], v[240:241]
	;; [unrolled: 1-line block ×6, first 2 shown]
	v_mul_f64 v[6:7], v[46:47], v[6:7]
	v_fma_f64 v[4:5], v[44:45], v[4:5], -v[6:7]
	v_mul_f64 v[6:7], v[66:67], v[10:11]
	v_fma_f64 v[6:7], v[64:65], v[8:9], -v[6:7]
	s_waitcnt vmcnt(1) lgkmcnt(0)
	v_mul_f64 v[230:231], v[224:225], v[222:223]
	v_fmac_f64_e32 v[230:231], v[226:227], v[220:221]
	v_add_f64 v[254:255], v[228:229], v[230:231]
	ds_read_b128 v[228:231], v2 offset:1744
	s_waitcnt vmcnt(0) lgkmcnt(0)
	v_mul_f64 v[2:3], v[228:229], v[234:235]
	v_fmac_f64_e32 v[2:3], v[230:231], v[232:233]
	v_add_f64 v[2:3], v[254:255], v[2:3]
	v_add_f64 v[254:255], v[236:237], v[250:251]
	scratch_load_dwordx4 v[236:239], off, off offset:272
	v_add_f64 v[240:241], v[254:255], v[242:243]
	v_add_f64 v[240:241], v[240:241], v[252:253]
	;; [unrolled: 1-line block ×4, first 2 shown]
	v_mul_f64 v[6:7], v[62:63], v[14:15]
	v_fma_f64 v[6:7], v[60:61], v[12:13], -v[6:7]
	v_add_f64 v[4:5], v[4:5], v[6:7]
	v_mul_f64 v[6:7], v[58:59], v[18:19]
	v_fma_f64 v[6:7], v[56:57], v[16:17], -v[6:7]
	v_add_f64 v[4:5], v[4:5], v[6:7]
	;; [unrolled: 3-line block ×27, first 2 shown]
	s_waitcnt vmcnt(0)
	v_add_f64 v[4:5], v[236:237], -v[4:5]
	v_add_f64 v[6:7], v[238:239], -v[2:3]
	scratch_store_dwordx4 off, v[4:7], off offset:272
	s_and_saveexec_b64 s[0:1], vcc
	s_cbranch_execz .LBB118_313
; %bb.312:
	scratch_load_dwordx4 v[2:5], off, s56
	v_mov_b32_e32 v6, 0
	v_mov_b32_e32 v7, v6
	;; [unrolled: 1-line block ×4, first 2 shown]
	v_accvgpr_read_b32 v0, a111
	scratch_store_dwordx4 off, v[6:9], off offset:256
	s_waitcnt vmcnt(1)
	ds_write_b128 v0, v[2:5]
.LBB118_313:
	s_or_b64 exec, exec, s[0:1]
	s_waitcnt lgkmcnt(0)
	; wave barrier
	scratch_load_dwordx4 v[80:83], off, off offset:272
	scratch_load_dwordx4 v[84:87], off, off offset:288
	;; [unrolled: 1-line block ×31, first 2 shown]
	v_mov_b32_e32 v2, 0
	ds_read_b128 v[196:199], v2 offset:1136
	ds_read_b128 v[200:203], v2 offset:1152
	;; [unrolled: 1-line block ×20, first 2 shown]
	s_waitcnt vmcnt(30) lgkmcnt(14)
	v_mul_f64 v[140:141], v[196:197], v[82:83]
	s_waitcnt vmcnt(29)
	v_mul_f64 v[142:143], v[200:201], v[86:87]
	v_fmac_f64_e32 v[140:141], v[198:199], v[80:81]
	s_waitcnt vmcnt(28)
	v_mul_f64 v[152:153], v[204:205], v[90:91]
	v_fmac_f64_e32 v[142:143], v[202:203], v[84:85]
	v_add_f64 v[140:141], v[140:141], 0
	s_waitcnt vmcnt(27)
	v_mul_f64 v[154:155], v[208:209], v[94:95]
	v_fmac_f64_e32 v[152:153], v[206:207], v[88:89]
	v_add_f64 v[140:141], v[140:141], v[142:143]
	;; [unrolled: 4-line block ×4, first 2 shown]
	s_waitcnt vmcnt(24) lgkmcnt(13)
	v_mul_f64 v[164:165], v[220:221], v[106:107]
	v_fmac_f64_e32 v[162:163], v[218:219], v[100:101]
	v_add_f64 v[140:141], v[140:141], v[160:161]
	s_waitcnt vmcnt(23) lgkmcnt(12)
	v_mul_f64 v[166:167], v[224:225], v[110:111]
	v_fmac_f64_e32 v[164:165], v[222:223], v[104:105]
	v_add_f64 v[140:141], v[140:141], v[162:163]
	;; [unrolled: 4-line block ×8, first 2 shown]
	v_fmac_f64_e32 v[178:179], v[146:147], v[12:13]
	v_add_f64 v[140:141], v[140:141], v[176:177]
	v_add_f64 v[140:141], v[140:141], v[178:179]
	ds_read_b128 v[176:179], v2 offset:1408
	s_waitcnt vmcnt(16) lgkmcnt(6)
	v_mul_f64 v[180:181], v[136:137], v[18:19]
	s_waitcnt vmcnt(15) lgkmcnt(5)
	v_mul_f64 v[182:183], v[132:133], v[22:23]
	v_fmac_f64_e32 v[180:181], v[138:139], v[16:17]
	v_add_f64 v[152:153], v[140:141], v[180:181]
	v_fmac_f64_e32 v[182:183], v[134:135], v[20:21]
	scratch_load_dwordx4 v[140:143], off, off offset:768
	s_waitcnt vmcnt(15) lgkmcnt(4)
	v_mul_f64 v[154:155], v[128:129], v[26:27]
	v_add_f64 v[152:153], v[152:153], v[182:183]
	v_fmac_f64_e32 v[154:155], v[130:131], v[24:25]
	v_add_f64 v[160:161], v[152:153], v[154:155]
	ds_read_b128 v[180:183], v2 offset:1424
	s_waitcnt vmcnt(14) lgkmcnt(1)
	v_mul_f64 v[162:163], v[176:177], v[30:31]
	scratch_load_dwordx4 v[152:155], off, off offset:784
	v_fmac_f64_e32 v[162:163], v[178:179], v[28:29]
	v_add_f64 v[164:165], v[160:161], v[162:163]
	scratch_load_dwordx4 v[160:163], off, off offset:800
	s_waitcnt vmcnt(15) lgkmcnt(0)
	v_mul_f64 v[166:167], v[180:181], v[34:35]
	v_fmac_f64_e32 v[166:167], v[182:183], v[32:33]
	v_add_f64 v[168:169], v[164:165], v[166:167]
	s_waitcnt vmcnt(14)
	v_mul_f64 v[170:171], v[184:185], v[38:39]
	scratch_load_dwordx4 v[164:167], off, off offset:816
	v_fmac_f64_e32 v[170:171], v[186:187], v[36:37]
	v_add_f64 v[168:169], v[168:169], v[170:171]
	s_waitcnt vmcnt(14)
	v_mul_f64 v[170:171], v[188:189], v[42:43]
	scratch_load_dwordx4 v[172:175], off, off offset:832
	v_fmac_f64_e32 v[170:171], v[190:191], v[40:41]
	v_add_f64 v[232:233], v[168:169], v[170:171]
	scratch_load_dwordx4 v[168:171], off, off offset:848
	v_mul_f64 v[82:83], v[198:199], v[82:83]
	v_fma_f64 v[240:241], v[196:197], v[80:81], -v[82:83]
	ds_read_b128 v[196:199], v2 offset:1488
	s_waitcnt vmcnt(15)
	v_mul_f64 v[80:81], v[192:193], v[46:47]
	v_fmac_f64_e32 v[80:81], v[194:195], v[44:45]
	v_add_f64 v[232:233], v[232:233], v[80:81]
	v_mul_f64 v[80:81], v[202:203], v[86:87]
	v_fma_f64 v[246:247], v[200:201], v[84:85], -v[80:81]
	scratch_load_dwordx4 v[80:83], off, off offset:864
	ds_read_b128 v[84:87], v2 offset:1504
	v_mul_f64 v[90:91], v[206:207], v[90:91]
	v_fma_f64 v[248:249], v[204:205], v[88:89], -v[90:91]
	ds_read_b128 v[88:91], v2 offset:1520
	s_waitcnt vmcnt(15) lgkmcnt(2)
	v_mul_f64 v[200:201], v[196:197], v[50:51]
	v_fmac_f64_e32 v[200:201], v[198:199], v[48:49]
	s_waitcnt vmcnt(14) lgkmcnt(1)
	v_mul_f64 v[202:203], v[84:85], v[54:55]
	v_add_f64 v[200:201], v[232:233], v[200:201]
	v_fmac_f64_e32 v[202:203], v[86:87], v[52:53]
	v_mul_f64 v[94:95], v[210:211], v[94:95]
	v_fma_f64 v[250:251], v[208:209], v[92:93], -v[94:95]
	ds_read_b128 v[92:95], v2 offset:1536
	v_add_f64 v[200:201], v[200:201], v[202:203]
	s_waitcnt vmcnt(13) lgkmcnt(1)
	v_mul_f64 v[202:203], v[88:89], v[58:59]
	v_fmac_f64_e32 v[202:203], v[90:91], v[56:57]
	v_add_f64 v[204:205], v[200:201], v[202:203]
	ds_read_b128 v[200:203], v2 offset:1552
	v_mul_f64 v[98:99], v[214:215], v[98:99]
	v_fma_f64 v[232:233], v[212:213], v[96:97], -v[98:99]
	ds_read_b128 v[96:99], v2 offset:1568
	s_waitcnt vmcnt(12) lgkmcnt(2)
	v_mul_f64 v[206:207], v[92:93], v[62:63]
	v_fmac_f64_e32 v[206:207], v[94:95], v[60:61]
	v_add_f64 v[204:205], v[204:205], v[206:207]
	s_waitcnt vmcnt(11) lgkmcnt(1)
	v_mul_f64 v[206:207], v[200:201], v[66:67]
	v_fmac_f64_e32 v[206:207], v[202:203], v[64:65]
	v_mul_f64 v[102:103], v[218:219], v[102:103]
	v_add_f64 v[204:205], v[204:205], v[206:207]
	v_fma_f64 v[4:5], v[216:217], v[100:101], -v[102:103]
	ds_read_b128 v[100:103], v2 offset:1584
	s_waitcnt vmcnt(10) lgkmcnt(1)
	v_mul_f64 v[206:207], v[96:97], v[70:71]
	v_fmac_f64_e32 v[206:207], v[98:99], v[68:69]
	v_add_f64 v[208:209], v[204:205], v[206:207]
	ds_read_b128 v[204:207], v2 offset:1600
	v_mul_f64 v[106:107], v[222:223], v[106:107]
	v_fma_f64 v[0:1], v[220:221], v[104:105], -v[106:107]
	ds_read_b128 v[104:107], v2 offset:1616
	s_waitcnt vmcnt(9) lgkmcnt(2)
	v_mul_f64 v[210:211], v[100:101], v[74:75]
	v_fmac_f64_e32 v[210:211], v[102:103], v[72:73]
	v_add_f64 v[208:209], v[208:209], v[210:211]
	s_waitcnt vmcnt(8) lgkmcnt(1)
	v_mul_f64 v[210:211], v[204:205], v[78:79]
	v_fmac_f64_e32 v[210:211], v[206:207], v[76:77]
	v_mul_f64 v[6:7], v[226:227], v[110:111]
	v_fma_f64 v[6:7], v[224:225], v[108:109], -v[6:7]
	ds_read_b128 v[108:111], v2 offset:1632
	v_add_f64 v[208:209], v[208:209], v[210:211]
	s_waitcnt vmcnt(7) lgkmcnt(1)
	v_mul_f64 v[210:211], v[104:105], v[126:127]
	v_fmac_f64_e32 v[210:211], v[106:107], v[124:125]
	v_mul_f64 v[114:115], v[230:231], v[114:115]
	v_add_f64 v[212:213], v[208:209], v[210:211]
	ds_read_b128 v[208:211], v2 offset:1648
	v_fma_f64 v[112:113], v[228:229], v[112:113], -v[114:115]
	v_accvgpr_write_b32 a112, v112
	v_accvgpr_write_b32 a113, v113
	ds_read_b128 v[112:115], v2 offset:1664
	s_waitcnt vmcnt(6) lgkmcnt(2)
	v_mul_f64 v[214:215], v[108:109], v[142:143]
	v_fmac_f64_e32 v[214:215], v[110:111], v[140:141]
	v_add_f64 v[212:213], v[212:213], v[214:215]
	s_waitcnt vmcnt(5) lgkmcnt(1)
	v_mul_f64 v[214:215], v[208:209], v[154:155]
	v_fmac_f64_e32 v[214:215], v[210:211], v[152:153]
	v_mul_f64 v[118:119], v[244:245], v[118:119]
	v_add_f64 v[212:213], v[212:213], v[214:215]
	v_fma_f64 v[238:239], v[242:243], v[116:117], -v[118:119]
	ds_read_b128 v[116:119], v2 offset:1680
	s_waitcnt vmcnt(4) lgkmcnt(1)
	v_mul_f64 v[214:215], v[112:113], v[162:163]
	v_fmac_f64_e32 v[214:215], v[114:115], v[160:161]
	v_add_f64 v[216:217], v[212:213], v[214:215]
	ds_read_b128 v[212:215], v2 offset:1696
	v_mul_f64 v[122:123], v[254:255], v[122:123]
	v_fma_f64 v[242:243], v[252:253], v[120:121], -v[122:123]
	ds_read_b128 v[120:123], v2 offset:1712
	s_waitcnt vmcnt(3) lgkmcnt(2)
	v_mul_f64 v[218:219], v[116:117], v[166:167]
	v_fmac_f64_e32 v[218:219], v[118:119], v[164:165]
	v_add_f64 v[216:217], v[216:217], v[218:219]
	s_waitcnt vmcnt(2) lgkmcnt(1)
	v_mul_f64 v[218:219], v[212:213], v[174:175]
	v_fmac_f64_e32 v[218:219], v[214:215], v[172:173]
	v_add_f64 v[216:217], v[216:217], v[218:219]
	;; [unrolled: 4-line block ×3, first 2 shown]
	ds_read_b128 v[216:219], v2 offset:1728
	ds_read_b128 v[224:227], v2 offset:1744
	s_waitcnt vmcnt(0) lgkmcnt(1)
	v_mul_f64 v[222:223], v[216:217], v[82:83]
	v_fmac_f64_e32 v[222:223], v[218:219], v[80:81]
	v_add_f64 v[228:229], v[220:221], v[222:223]
	scratch_load_dwordx4 v[220:223], off, off offset:880
	s_waitcnt vmcnt(0) lgkmcnt(0)
	v_mul_f64 v[230:231], v[224:225], v[222:223]
	v_fmac_f64_e32 v[230:231], v[226:227], v[220:221]
	v_add_f64 v[244:245], v[228:229], v[230:231]
	v_add_f64 v[228:229], v[240:241], 0
	;; [unrolled: 1-line block ×7, first 2 shown]
	scratch_load_dwordx4 v[228:231], off, off offset:256
	v_add_f64 v[252:253], v[4:5], v[0:1]
	v_accvgpr_read_b32 v4, a112
	v_add_f64 v[0:1], v[252:253], v[6:7]
	v_accvgpr_read_b32 v5, a113
	v_add_f64 v[0:1], v[0:1], v[4:5]
	v_add_f64 v[0:1], v[0:1], v[238:239]
	v_mul_f64 v[4:5], v[158:159], v[236:237]
	v_add_f64 v[0:1], v[0:1], v[242:243]
	v_fma_f64 v[4:5], v[156:157], v[234:235], -v[4:5]
	v_add_f64 v[0:1], v[0:1], v[4:5]
	v_mul_f64 v[4:5], v[150:151], v[10:11]
	v_fma_f64 v[4:5], v[148:149], v[8:9], -v[4:5]
	v_add_f64 v[0:1], v[0:1], v[4:5]
	v_mul_f64 v[4:5], v[146:147], v[14:15]
	;; [unrolled: 3-line block ×27, first 2 shown]
	v_fma_f64 v[4:5], v[224:225], v[220:221], -v[4:5]
	v_add_f64 v[0:1], v[0:1], v[4:5]
	s_waitcnt vmcnt(0)
	v_add_f64 v[4:5], v[228:229], -v[0:1]
	v_accvgpr_read_b32 v0, a110
	v_add_f64 v[6:7], v[230:231], -v[244:245]
	v_cmp_lt_u32_e32 vcc, 14, v0
	scratch_store_dwordx4 off, v[4:7], off offset:256
	s_and_saveexec_b64 s[0:1], vcc
	s_cbranch_execz .LBB118_315
; %bb.314:
	scratch_load_dwordx4 v[6:9], off, s57
	v_mov_b32_e32 v3, v2
	v_mov_b32_e32 v4, v2
	;; [unrolled: 1-line block ×3, first 2 shown]
	v_accvgpr_read_b32 v0, a111
	scratch_store_dwordx4 off, v[2:5], off offset:240
	s_waitcnt vmcnt(1)
	ds_write_b128 v0, v[6:9]
.LBB118_315:
	s_or_b64 exec, exec, s[0:1]
	s_waitcnt lgkmcnt(0)
	; wave barrier
	scratch_load_dwordx4 v[132:135], off, off offset:256
	scratch_load_dwordx4 v[160:163], off, off offset:272
	scratch_load_dwordx4 v[164:167], off, off offset:288
	scratch_load_dwordx4 v[168:171], off, off offset:304
	scratch_load_dwordx4 v[176:179], off, off offset:320
	scratch_load_dwordx4 v[180:183], off, off offset:336
	scratch_load_dwordx4 v[188:191], off, off offset:352
	scratch_load_dwordx4 v[192:195], off, off offset:368
	scratch_load_dwordx4 v[200:203], off, off offset:384
	scratch_load_dwordx4 v[204:207], off, off offset:400
	scratch_load_dwordx4 v[212:215], off, off offset:416
	scratch_load_dwordx4 v[4:7], off, off offset:432
	scratch_load_dwordx4 v[8:11], off, off offset:448
	scratch_load_dwordx4 v[12:15], off, off offset:464
	scratch_load_dwordx4 v[16:19], off, off offset:480
	scratch_load_dwordx4 v[20:23], off, off offset:496
	ds_read_b128 v[156:159], v2 offset:1120
	ds_read_b128 v[172:175], v2 offset:1136
	scratch_load_dwordx4 v[24:27], off, off offset:512
	ds_read_b128 v[232:235], v2 offset:1152
	ds_read_b128 v[228:231], v2 offset:1168
	scratch_load_dwordx4 v[28:31], off, off offset:528
	ds_read_b128 v[236:239], v2 offset:1184
	ds_read_b128 v[184:187], v2 offset:1200
	;; [unrolled: 1-line block ×5, first 2 shown]
	scratch_load_dwordx4 v[32:35], off, off offset:544
	ds_read_b128 v[220:223], v2 offset:1264
	ds_read_b128 v[216:219], v2 offset:1280
	;; [unrolled: 1-line block ×3, first 2 shown]
	scratch_load_dwordx4 v[36:39], off, off offset:560
	ds_read_b128 v[64:67], v2 offset:1312
	ds_read_b128 v[60:63], v2 offset:1328
	;; [unrolled: 1-line block ×5, first 2 shown]
	scratch_load_dwordx4 v[52:55], off, off offset:576
	scratch_load_dwordx4 v[68:71], off, off offset:592
	;; [unrolled: 1-line block ×11, first 2 shown]
	ds_read_b128 v[144:147], v2 offset:1424
	ds_read_b128 v[148:151], v2 offset:1440
	;; [unrolled: 1-line block ×3, first 2 shown]
	s_waitcnt vmcnt(30) lgkmcnt(14)
	v_mul_f64 v[0:1], v[156:157], v[134:135]
	s_waitcnt vmcnt(29)
	v_mul_f64 v[108:109], v[172:173], v[162:163]
	v_fmac_f64_e32 v[0:1], v[158:159], v[132:133]
	s_waitcnt vmcnt(28)
	v_mul_f64 v[110:111], v[232:233], v[166:167]
	v_fmac_f64_e32 v[108:109], v[174:175], v[160:161]
	v_add_f64 v[0:1], v[0:1], 0
	s_waitcnt vmcnt(27)
	v_mul_f64 v[112:113], v[228:229], v[170:171]
	v_fmac_f64_e32 v[110:111], v[234:235], v[164:165]
	v_add_f64 v[0:1], v[0:1], v[108:109]
	;; [unrolled: 4-line block ×4, first 2 shown]
	s_waitcnt vmcnt(24) lgkmcnt(13)
	v_mul_f64 v[118:119], v[224:225], v[190:191]
	v_fmac_f64_e32 v[116:117], v[186:187], v[180:181]
	v_add_f64 v[0:1], v[0:1], v[114:115]
	s_waitcnt vmcnt(23) lgkmcnt(12)
	v_mul_f64 v[120:121], v[196:197], v[194:195]
	v_fmac_f64_e32 v[118:119], v[226:227], v[188:189]
	v_add_f64 v[0:1], v[0:1], v[116:117]
	;; [unrolled: 4-line block ×9, first 2 shown]
	v_fmac_f64_e32 v[138:139], v[58:59], v[16:17]
	v_add_f64 v[0:1], v[0:1], v[136:137]
	v_add_f64 v[0:1], v[0:1], v[138:139]
	ds_read_b128 v[136:139], v2 offset:1392
	s_waitcnt vmcnt(15) lgkmcnt(5)
	v_mul_f64 v[140:141], v[48:49], v[22:23]
	v_fmac_f64_e32 v[140:141], v[50:51], v[20:21]
	s_waitcnt vmcnt(14) lgkmcnt(4)
	v_mul_f64 v[112:113], v[44:45], v[26:27]
	scratch_load_dwordx4 v[108:111], off, off offset:752
	v_add_f64 v[0:1], v[0:1], v[140:141]
	v_fmac_f64_e32 v[112:113], v[46:47], v[24:25]
	v_add_f64 v[0:1], v[0:1], v[112:113]
	scratch_load_dwordx4 v[112:115], off, off offset:768
	ds_read_b128 v[140:143], v2 offset:1408
	s_waitcnt vmcnt(15) lgkmcnt(1)
	v_mul_f64 v[116:117], v[136:137], v[30:31]
	v_fmac_f64_e32 v[116:117], v[138:139], v[28:29]
	v_add_f64 v[0:1], v[0:1], v[116:117]
	scratch_load_dwordx4 v[116:119], off, off offset:784
	s_waitcnt vmcnt(15) lgkmcnt(0)
	v_mul_f64 v[120:121], v[140:141], v[34:35]
	v_fmac_f64_e32 v[120:121], v[142:143], v[32:33]
	s_waitcnt vmcnt(14)
	v_mul_f64 v[124:125], v[144:145], v[38:39]
	v_add_f64 v[0:1], v[0:1], v[120:121]
	scratch_load_dwordx4 v[120:123], off, off offset:800
	v_fmac_f64_e32 v[124:125], v[146:147], v[36:37]
	v_add_f64 v[0:1], v[0:1], v[124:125]
	s_waitcnt vmcnt(14)
	v_mul_f64 v[124:125], v[148:149], v[54:55]
	scratch_load_dwordx4 v[128:131], off, off offset:816
	v_fmac_f64_e32 v[124:125], v[150:151], v[52:53]
	v_add_f64 v[0:1], v[0:1], v[124:125]
	scratch_load_dwordx4 v[124:127], off, off offset:832
	v_mul_f64 v[134:135], v[158:159], v[134:135]
	v_fma_f64 v[240:241], v[156:157], v[132:133], -v[134:135]
	ds_read_b128 v[156:159], v2 offset:1472
	s_waitcnt vmcnt(15)
	v_mul_f64 v[132:133], v[152:153], v[70:71]
	v_fmac_f64_e32 v[132:133], v[154:155], v[68:69]
	v_add_f64 v[0:1], v[0:1], v[132:133]
	v_mul_f64 v[132:133], v[174:175], v[162:163]
	v_fma_f64 v[244:245], v[172:173], v[160:161], -v[132:133]
	scratch_load_dwordx4 v[132:135], off, off offset:848
	ds_read_b128 v[160:163], v2 offset:1488
	v_mul_f64 v[166:167], v[234:235], v[166:167]
	v_fma_f64 v[246:247], v[232:233], v[164:165], -v[166:167]
	ds_read_b128 v[164:167], v2 offset:1504
	s_waitcnt vmcnt(15) lgkmcnt(2)
	v_mul_f64 v[172:173], v[156:157], v[74:75]
	v_fmac_f64_e32 v[172:173], v[158:159], v[72:73]
	v_add_f64 v[0:1], v[0:1], v[172:173]
	s_waitcnt vmcnt(14) lgkmcnt(1)
	v_mul_f64 v[172:173], v[160:161], v[78:79]
	v_fmac_f64_e32 v[172:173], v[162:163], v[76:77]
	v_mul_f64 v[170:171], v[230:231], v[170:171]
	v_fma_f64 v[248:249], v[228:229], v[168:169], -v[170:171]
	ds_read_b128 v[168:171], v2 offset:1520
	v_add_f64 v[0:1], v[0:1], v[172:173]
	s_waitcnt vmcnt(13) lgkmcnt(1)
	v_mul_f64 v[172:173], v[164:165], v[82:83]
	v_fmac_f64_e32 v[172:173], v[166:167], v[80:81]
	v_add_f64 v[0:1], v[0:1], v[172:173]
	ds_read_b128 v[172:175], v2 offset:1536
	v_mul_f64 v[178:179], v[238:239], v[178:179]
	v_fma_f64 v[236:237], v[236:237], v[176:177], -v[178:179]
	ds_read_b128 v[176:179], v2 offset:1552
	s_waitcnt vmcnt(12) lgkmcnt(2)
	v_mul_f64 v[228:229], v[168:169], v[86:87]
	v_fmac_f64_e32 v[228:229], v[170:171], v[84:85]
	v_add_f64 v[0:1], v[0:1], v[228:229]
	s_waitcnt vmcnt(11) lgkmcnt(1)
	v_mul_f64 v[228:229], v[172:173], v[90:91]
	v_mul_f64 v[182:183], v[186:187], v[182:183]
	v_fmac_f64_e32 v[228:229], v[174:175], v[88:89]
	v_fma_f64 v[238:239], v[184:185], v[180:181], -v[182:183]
	ds_read_b128 v[180:183], v2 offset:1568
	s_waitcnt vmcnt(10) lgkmcnt(1)
	v_mul_f64 v[184:185], v[176:177], v[94:95]
	v_add_f64 v[0:1], v[0:1], v[228:229]
	v_fmac_f64_e32 v[184:185], v[178:179], v[92:93]
	v_add_f64 v[0:1], v[0:1], v[184:185]
	ds_read_b128 v[184:187], v2 offset:1584
	v_mul_f64 v[190:191], v[226:227], v[190:191]
	v_fma_f64 v[250:251], v[224:225], v[188:189], -v[190:191]
	ds_read_b128 v[188:191], v2 offset:1600
	s_waitcnt vmcnt(9) lgkmcnt(2)
	v_mul_f64 v[228:229], v[180:181], v[98:99]
	v_fmac_f64_e32 v[228:229], v[182:183], v[96:97]
	s_waitcnt vmcnt(8) lgkmcnt(1)
	v_mul_f64 v[224:225], v[184:185], v[102:103]
	v_mul_f64 v[194:195], v[198:199], v[194:195]
	v_add_f64 v[0:1], v[0:1], v[228:229]
	v_fmac_f64_e32 v[224:225], v[186:187], v[100:101]
	v_fma_f64 v[254:255], v[196:197], v[192:193], -v[194:195]
	s_waitcnt vmcnt(7) lgkmcnt(0)
	v_mul_f64 v[196:197], v[188:189], v[106:107]
	ds_read_b128 v[192:195], v2 offset:1616
	v_add_f64 v[0:1], v[0:1], v[224:225]
	v_fmac_f64_e32 v[196:197], v[190:191], v[104:105]
	v_add_f64 v[0:1], v[0:1], v[196:197]
	ds_read_b128 v[196:199], v2 offset:1632
	v_mul_f64 v[202:203], v[210:211], v[202:203]
	v_fma_f64 v[242:243], v[208:209], v[200:201], -v[202:203]
	ds_read_b128 v[200:203], v2 offset:1648
	s_waitcnt vmcnt(6) lgkmcnt(2)
	v_mul_f64 v[224:225], v[192:193], v[110:111]
	v_fmac_f64_e32 v[224:225], v[194:195], v[108:109]
	s_waitcnt vmcnt(5) lgkmcnt(1)
	v_mul_f64 v[208:209], v[196:197], v[114:115]
	v_add_f64 v[0:1], v[0:1], v[224:225]
	v_fmac_f64_e32 v[208:209], v[198:199], v[112:113]
	v_add_f64 v[208:209], v[0:1], v[208:209]
	v_mul_f64 v[0:1], v[222:223], v[206:207]
	v_fma_f64 v[0:1], v[220:221], v[204:205], -v[0:1]
	ds_read_b128 v[204:207], v2 offset:1664
	s_waitcnt vmcnt(4) lgkmcnt(1)
	v_mul_f64 v[210:211], v[200:201], v[118:119]
	v_fmac_f64_e32 v[210:211], v[202:203], v[116:117]
	v_add_f64 v[220:221], v[208:209], v[210:211]
	ds_read_b128 v[208:211], v2 offset:1680
	v_mul_f64 v[214:215], v[218:219], v[214:215]
	v_fma_f64 v[252:253], v[216:217], v[212:213], -v[214:215]
	ds_read_b128 v[212:215], v2 offset:1696
	s_waitcnt vmcnt(3) lgkmcnt(2)
	v_mul_f64 v[216:217], v[204:205], v[122:123]
	v_fmac_f64_e32 v[216:217], v[206:207], v[120:121]
	s_waitcnt vmcnt(2) lgkmcnt(1)
	v_mul_f64 v[218:219], v[208:209], v[130:131]
	v_add_f64 v[216:217], v[220:221], v[216:217]
	v_fmac_f64_e32 v[218:219], v[210:211], v[128:129]
	v_add_f64 v[216:217], v[216:217], v[218:219]
	s_waitcnt vmcnt(1) lgkmcnt(0)
	v_mul_f64 v[218:219], v[212:213], v[126:127]
	v_fmac_f64_e32 v[218:219], v[214:215], v[124:125]
	v_add_f64 v[220:221], v[216:217], v[218:219]
	ds_read_b128 v[216:219], v2 offset:1712
	ds_read_b128 v[224:227], v2 offset:1728
	scratch_load_dwordx4 v[232:235], off, off offset:880
	v_accvgpr_write_b32 a113, v1
	v_accvgpr_write_b32 a112, v0
	s_waitcnt vmcnt(1) lgkmcnt(1)
	v_mul_f64 v[222:223], v[216:217], v[134:135]
	v_fmac_f64_e32 v[222:223], v[218:219], v[132:133]
	v_add_f64 v[228:229], v[220:221], v[222:223]
	scratch_load_dwordx4 v[220:223], off, off offset:864
	v_mul_f64 v[6:7], v[42:43], v[6:7]
	v_fma_f64 v[4:5], v[40:41], v[4:5], -v[6:7]
	s_waitcnt vmcnt(0) lgkmcnt(0)
	v_mul_f64 v[230:231], v[224:225], v[222:223]
	v_fmac_f64_e32 v[230:231], v[226:227], v[220:221]
	v_add_f64 v[0:1], v[228:229], v[230:231]
	ds_read_b128 v[228:231], v2 offset:1744
	s_waitcnt lgkmcnt(0)
	v_mul_f64 v[2:3], v[228:229], v[234:235]
	v_fmac_f64_e32 v[2:3], v[230:231], v[232:233]
	v_add_f64 v[2:3], v[0:1], v[2:3]
	v_add_f64 v[0:1], v[240:241], 0
	;; [unrolled: 1-line block ×7, first 2 shown]
	scratch_load_dwordx4 v[236:239], off, off offset:240
	v_add_f64 v[0:1], v[0:1], v[250:251]
	v_add_f64 v[0:1], v[0:1], v[254:255]
	;; [unrolled: 1-line block ×3, first 2 shown]
	v_accvgpr_read_b32 v0, a112
	v_accvgpr_read_b32 v1, a113
	v_add_f64 v[0:1], v[254:255], v[0:1]
	v_add_f64 v[0:1], v[0:1], v[252:253]
	;; [unrolled: 1-line block ×3, first 2 shown]
	v_mul_f64 v[4:5], v[66:67], v[10:11]
	v_fma_f64 v[4:5], v[64:65], v[8:9], -v[4:5]
	v_add_f64 v[0:1], v[0:1], v[4:5]
	v_mul_f64 v[4:5], v[62:63], v[14:15]
	v_fma_f64 v[4:5], v[60:61], v[12:13], -v[4:5]
	v_add_f64 v[0:1], v[0:1], v[4:5]
	;; [unrolled: 3-line block ×28, first 2 shown]
	s_waitcnt vmcnt(0)
	v_add_f64 v[4:5], v[236:237], -v[0:1]
	v_accvgpr_read_b32 v0, a110
	v_add_f64 v[6:7], v[238:239], -v[2:3]
	v_cmp_lt_u32_e32 vcc, 13, v0
	scratch_store_dwordx4 off, v[4:7], off offset:240
	s_and_saveexec_b64 s[0:1], vcc
	s_cbranch_execz .LBB118_317
; %bb.316:
	scratch_load_dwordx4 v[2:5], off, s58
	v_mov_b32_e32 v6, 0
	v_mov_b32_e32 v7, v6
	;; [unrolled: 1-line block ×4, first 2 shown]
	v_accvgpr_read_b32 v0, a111
	scratch_store_dwordx4 off, v[6:9], off offset:224
	s_waitcnt vmcnt(1)
	ds_write_b128 v0, v[2:5]
.LBB118_317:
	s_or_b64 exec, exec, s[0:1]
	s_waitcnt lgkmcnt(0)
	; wave barrier
	scratch_load_dwordx4 v[112:115], off, off offset:240
	scratch_load_dwordx4 v[116:119], off, off offset:256
	;; [unrolled: 1-line block ×30, first 2 shown]
	v_mov_b32_e32 v2, 0
	ds_read_b128 v[144:147], v2 offset:1104
	ds_read_b128 v[156:159], v2 offset:1120
	;; [unrolled: 1-line block ×20, first 2 shown]
	s_waitcnt vmcnt(29) lgkmcnt(14)
	v_mul_f64 v[0:1], v[144:145], v[114:115]
	s_waitcnt vmcnt(28)
	v_mul_f64 v[88:89], v[156:157], v[118:119]
	v_fmac_f64_e32 v[0:1], v[146:147], v[112:113]
	s_waitcnt vmcnt(27)
	v_mul_f64 v[90:91], v[168:169], v[122:123]
	v_fmac_f64_e32 v[88:89], v[158:159], v[116:117]
	v_add_f64 v[0:1], v[0:1], 0
	s_waitcnt vmcnt(26)
	v_mul_f64 v[92:93], v[180:181], v[154:155]
	v_fmac_f64_e32 v[90:91], v[170:171], v[120:121]
	v_add_f64 v[0:1], v[0:1], v[88:89]
	;; [unrolled: 4-line block ×4, first 2 shown]
	s_waitcnt vmcnt(23) lgkmcnt(13)
	v_mul_f64 v[98:99], v[212:213], v[174:175]
	v_fmac_f64_e32 v[96:97], v[206:207], v[164:165]
	v_add_f64 v[0:1], v[0:1], v[94:95]
	s_waitcnt vmcnt(22) lgkmcnt(12)
	v_mul_f64 v[100:101], v[216:217], v[178:179]
	v_fmac_f64_e32 v[98:99], v[214:215], v[172:173]
	v_add_f64 v[0:1], v[0:1], v[96:97]
	;; [unrolled: 4-line block ×9, first 2 shown]
	v_fmac_f64_e32 v[126:127], v[82:83], v[234:235]
	v_add_f64 v[0:1], v[0:1], v[124:125]
	scratch_load_dwordx4 v[88:91], off, off offset:720
	s_waitcnt vmcnt(15) lgkmcnt(4)
	v_mul_f64 v[128:129], v[76:77], v[14:15]
	v_add_f64 v[0:1], v[0:1], v[126:127]
	ds_read_b128 v[124:127], v2 offset:1376
	v_fmac_f64_e32 v[128:129], v[78:79], v[12:13]
	v_add_f64 v[0:1], v[0:1], v[128:129]
	ds_read_b128 v[128:131], v2 offset:1392
	s_waitcnt vmcnt(14) lgkmcnt(5)
	v_mul_f64 v[92:93], v[72:73], v[18:19]
	v_fmac_f64_e32 v[92:93], v[74:75], v[16:17]
	v_add_f64 v[0:1], v[0:1], v[92:93]
	s_waitcnt vmcnt(13) lgkmcnt(1)
	v_mul_f64 v[96:97], v[124:125], v[22:23]
	scratch_load_dwordx4 v[92:95], off, off offset:736
	v_fmac_f64_e32 v[96:97], v[126:127], v[20:21]
	v_add_f64 v[0:1], v[0:1], v[96:97]
	s_waitcnt vmcnt(13) lgkmcnt(0)
	v_mul_f64 v[100:101], v[128:129], v[26:27]
	scratch_load_dwordx4 v[96:99], off, off offset:752
	v_fmac_f64_e32 v[100:101], v[130:131], v[24:25]
	v_add_f64 v[0:1], v[0:1], v[100:101]
	scratch_load_dwordx4 v[100:103], off, off offset:768
	s_waitcnt vmcnt(14)
	v_mul_f64 v[104:105], v[132:133], v[30:31]
	v_fmac_f64_e32 v[104:105], v[134:135], v[28:29]
	v_add_f64 v[0:1], v[0:1], v[104:105]
	s_waitcnt vmcnt(13)
	v_mul_f64 v[104:105], v[136:137], v[34:35]
	v_fmac_f64_e32 v[104:105], v[138:139], v[32:33]
	v_add_f64 v[0:1], v[0:1], v[104:105]
	scratch_load_dwordx4 v[104:107], off, off offset:784
	s_waitcnt vmcnt(13)
	v_mul_f64 v[108:109], v[140:141], v[38:39]
	v_fmac_f64_e32 v[108:109], v[142:143], v[36:37]
	v_add_f64 v[0:1], v[0:1], v[108:109]
	scratch_load_dwordx4 v[108:111], off, off offset:800
	v_mul_f64 v[114:115], v[146:147], v[114:115]
	v_fma_f64 v[240:241], v[144:145], v[112:113], -v[114:115]
	v_mul_f64 v[112:113], v[158:159], v[118:119]
	ds_read_b128 v[148:151], v2 offset:1456
	ds_read_b128 v[144:147], v2 offset:1472
	v_fma_f64 v[246:247], v[156:157], v[116:117], -v[112:113]
	scratch_load_dwordx4 v[116:119], off, off offset:816
	scratch_load_dwordx4 v[112:115], off, off offset:832
	v_mul_f64 v[122:123], v[170:171], v[122:123]
	v_fma_f64 v[248:249], v[168:169], v[120:121], -v[122:123]
	scratch_load_dwordx4 v[120:123], off, off offset:848
	s_waitcnt vmcnt(16) lgkmcnt(1)
	v_mul_f64 v[156:157], v[148:149], v[42:43]
	v_fmac_f64_e32 v[156:157], v[150:151], v[40:41]
	v_mul_f64 v[154:155], v[182:183], v[154:155]
	v_add_f64 v[0:1], v[0:1], v[156:157]
	v_fma_f64 v[250:251], v[180:181], v[152:153], -v[154:155]
	ds_read_b128 v[152:155], v2 offset:1488
	s_waitcnt vmcnt(15) lgkmcnt(1)
	v_mul_f64 v[156:157], v[144:145], v[46:47]
	v_fmac_f64_e32 v[156:157], v[146:147], v[44:45]
	v_add_f64 v[0:1], v[0:1], v[156:157]
	ds_read_b128 v[156:159], v2 offset:1504
	v_mul_f64 v[162:163], v[194:195], v[162:163]
	v_fma_f64 v[232:233], v[192:193], v[160:161], -v[162:163]
	ds_read_b128 v[160:163], v2 offset:1520
	s_waitcnt vmcnt(14) lgkmcnt(2)
	v_mul_f64 v[168:169], v[152:153], v[50:51]
	v_fmac_f64_e32 v[168:169], v[154:155], v[48:49]
	v_add_f64 v[0:1], v[0:1], v[168:169]
	s_waitcnt vmcnt(13) lgkmcnt(1)
	v_mul_f64 v[168:169], v[156:157], v[54:55]
	v_fmac_f64_e32 v[168:169], v[158:159], v[52:53]
	v_mul_f64 v[166:167], v[206:207], v[166:167]
	v_add_f64 v[0:1], v[0:1], v[168:169]
	v_fma_f64 v[238:239], v[204:205], v[164:165], -v[166:167]
	ds_read_b128 v[164:167], v2 offset:1536
	s_waitcnt vmcnt(12) lgkmcnt(1)
	v_mul_f64 v[168:169], v[160:161], v[58:59]
	v_fmac_f64_e32 v[168:169], v[162:163], v[56:57]
	v_add_f64 v[0:1], v[0:1], v[168:169]
	ds_read_b128 v[168:171], v2 offset:1552
	v_accvgpr_write_b32 a115, v7
	v_accvgpr_write_b32 a114, v6
	;; [unrolled: 1-line block ×4, first 2 shown]
	s_waitcnt vmcnt(11) lgkmcnt(1)
	v_mul_f64 v[6:7], v[164:165], v[62:63]
	v_mul_f64 v[174:175], v[214:215], v[174:175]
	v_fmac_f64_e32 v[6:7], v[166:167], v[60:61]
	v_fma_f64 v[8:9], v[212:213], v[172:173], -v[174:175]
	ds_read_b128 v[172:175], v2 offset:1568
	v_add_f64 v[0:1], v[0:1], v[6:7]
	s_waitcnt vmcnt(10) lgkmcnt(1)
	v_mul_f64 v[6:7], v[168:169], v[66:67]
	v_fmac_f64_e32 v[6:7], v[170:171], v[64:65]
	v_add_f64 v[0:1], v[0:1], v[6:7]
	v_mul_f64 v[6:7], v[218:219], v[178:179]
	v_fma_f64 v[4:5], v[216:217], v[176:177], -v[6:7]
	ds_read_b128 v[176:179], v2 offset:1584
	ds_read_b128 v[180:183], v2 offset:1600
	s_waitcnt vmcnt(9) lgkmcnt(2)
	v_mul_f64 v[6:7], v[172:173], v[70:71]
	v_fmac_f64_e32 v[6:7], v[174:175], v[68:69]
	v_add_f64 v[0:1], v[0:1], v[6:7]
	s_waitcnt vmcnt(8) lgkmcnt(1)
	v_mul_f64 v[6:7], v[176:177], v[90:91]
	v_fmac_f64_e32 v[6:7], v[178:179], v[88:89]
	v_add_f64 v[0:1], v[0:1], v[6:7]
	v_mul_f64 v[6:7], v[222:223], v[186:187]
	v_fma_f64 v[10:11], v[220:221], v[184:185], -v[6:7]
	ds_read_b128 v[184:187], v2 offset:1616
	v_mul_f64 v[6:7], v[226:227], v[190:191]
	v_fma_f64 v[6:7], v[224:225], v[188:189], -v[6:7]
	ds_read_b128 v[188:191], v2 offset:1632
	s_waitcnt vmcnt(7) lgkmcnt(2)
	v_mul_f64 v[192:193], v[180:181], v[94:95]
	v_fmac_f64_e32 v[192:193], v[182:183], v[92:93]
	v_add_f64 v[0:1], v[0:1], v[192:193]
	s_waitcnt vmcnt(6) lgkmcnt(1)
	v_mul_f64 v[192:193], v[184:185], v[98:99]
	v_fmac_f64_e32 v[192:193], v[186:187], v[96:97]
	v_add_f64 v[0:1], v[0:1], v[192:193]
	s_waitcnt vmcnt(5) lgkmcnt(0)
	v_mul_f64 v[204:205], v[188:189], v[102:103]
	ds_read_b128 v[192:195], v2 offset:1648
	v_fmac_f64_e32 v[204:205], v[190:191], v[100:101]
	v_add_f64 v[204:205], v[0:1], v[204:205]
	v_mul_f64 v[0:1], v[230:231], v[198:199]
	v_fma_f64 v[0:1], v[228:229], v[196:197], -v[0:1]
	ds_read_b128 v[196:199], v2 offset:1664
	v_mul_f64 v[202:203], v[244:245], v[202:203]
	s_waitcnt vmcnt(4) lgkmcnt(1)
	v_mul_f64 v[206:207], v[192:193], v[106:107]
	v_fma_f64 v[244:245], v[242:243], v[200:201], -v[202:203]
	ds_read_b128 v[200:203], v2 offset:1680
	v_fmac_f64_e32 v[206:207], v[194:195], v[104:105]
	v_add_f64 v[212:213], v[204:205], v[206:207]
	ds_read_b128 v[204:207], v2 offset:1696
	s_waitcnt vmcnt(3) lgkmcnt(2)
	v_mul_f64 v[214:215], v[196:197], v[110:111]
	v_mul_f64 v[210:211], v[254:255], v[210:211]
	v_fmac_f64_e32 v[214:215], v[198:199], v[108:109]
	v_fma_f64 v[242:243], v[252:253], v[208:209], -v[210:211]
	ds_read_b128 v[208:211], v2 offset:1712
	ds_read_b128 v[216:219], v2 offset:1728
	v_add_f64 v[212:213], v[212:213], v[214:215]
	s_waitcnt vmcnt(2) lgkmcnt(3)
	v_mul_f64 v[214:215], v[200:201], v[118:119]
	v_fmac_f64_e32 v[214:215], v[202:203], v[116:117]
	v_add_f64 v[212:213], v[212:213], v[214:215]
	s_waitcnt vmcnt(1) lgkmcnt(2)
	v_mul_f64 v[214:215], v[204:205], v[114:115]
	v_fmac_f64_e32 v[214:215], v[206:207], v[112:113]
	;; [unrolled: 4-line block ×3, first 2 shown]
	v_add_f64 v[220:221], v[212:213], v[214:215]
	scratch_load_dwordx4 v[212:215], off, off offset:864
	ds_read_b128 v[224:227], v2 offset:1744
	s_waitcnt vmcnt(0) lgkmcnt(1)
	v_mul_f64 v[222:223], v[216:217], v[214:215]
	v_fmac_f64_e32 v[222:223], v[218:219], v[212:213]
	v_add_f64 v[228:229], v[220:221], v[222:223]
	scratch_load_dwordx4 v[220:223], off, off offset:880
	s_waitcnt vmcnt(0) lgkmcnt(0)
	v_mul_f64 v[230:231], v[224:225], v[222:223]
	v_fmac_f64_e32 v[230:231], v[226:227], v[220:221]
	v_add_f64 v[254:255], v[228:229], v[230:231]
	v_add_f64 v[228:229], v[240:241], 0
	;; [unrolled: 1-line block ×8, first 2 shown]
	scratch_load_dwordx4 v[228:231], off, off offset:224
	v_add_f64 v[4:5], v[8:9], v[4:5]
	v_add_f64 v[252:253], v[4:5], v[10:11]
	;; [unrolled: 1-line block ×3, first 2 shown]
	v_accvgpr_read_b32 v6, a112
	v_add_f64 v[0:1], v[4:5], v[0:1]
	v_accvgpr_read_b32 v8, a114
	v_accvgpr_read_b32 v9, a115
	v_add_f64 v[0:1], v[0:1], v[244:245]
	v_accvgpr_read_b32 v7, a113
	v_mul_f64 v[4:5], v[86:87], v[8:9]
	v_add_f64 v[0:1], v[0:1], v[242:243]
	v_fma_f64 v[4:5], v[84:85], v[6:7], -v[4:5]
	v_add_f64 v[0:1], v[0:1], v[4:5]
	v_mul_f64 v[4:5], v[82:83], v[236:237]
	v_fma_f64 v[4:5], v[80:81], v[234:235], -v[4:5]
	v_add_f64 v[0:1], v[0:1], v[4:5]
	v_mul_f64 v[4:5], v[78:79], v[14:15]
	;; [unrolled: 3-line block ×27, first 2 shown]
	v_fma_f64 v[4:5], v[224:225], v[220:221], -v[4:5]
	v_add_f64 v[0:1], v[0:1], v[4:5]
	s_waitcnt vmcnt(0)
	v_add_f64 v[4:5], v[228:229], -v[0:1]
	v_accvgpr_read_b32 v0, a110
	v_add_f64 v[6:7], v[230:231], -v[254:255]
	v_cmp_lt_u32_e32 vcc, 12, v0
	scratch_store_dwordx4 off, v[4:7], off offset:224
	s_and_saveexec_b64 s[0:1], vcc
	s_cbranch_execz .LBB118_319
; %bb.318:
	scratch_load_dwordx4 v[6:9], off, s59
	v_mov_b32_e32 v3, v2
	v_mov_b32_e32 v4, v2
	;; [unrolled: 1-line block ×3, first 2 shown]
	v_accvgpr_read_b32 v0, a111
	scratch_store_dwordx4 off, v[2:5], off offset:208
	s_waitcnt vmcnt(1)
	ds_write_b128 v0, v[6:9]
.LBB118_319:
	s_or_b64 exec, exec, s[0:1]
	s_waitcnt lgkmcnt(0)
	; wave barrier
	scratch_load_dwordx4 v[88:91], off, off offset:224
	scratch_load_dwordx4 v[92:95], off, off offset:240
	;; [unrolled: 1-line block ×17, first 2 shown]
	ds_read_b128 v[212:215], v2 offset:1088
	ds_read_b128 v[204:207], v2 offset:1104
	;; [unrolled: 1-line block ×3, first 2 shown]
	scratch_load_dwordx4 v[20:23], off, off offset:496
	ds_read_b128 v[216:219], v2 offset:1136
	ds_read_b128 v[208:211], v2 offset:1152
	;; [unrolled: 1-line block ×5, first 2 shown]
	scratch_load_dwordx4 v[24:27], off, off offset:512
	ds_read_b128 v[180:183], v2 offset:1216
	ds_read_b128 v[160:163], v2 offset:1232
	;; [unrolled: 1-line block ×3, first 2 shown]
	scratch_load_dwordx4 v[28:31], off, off offset:528
	ds_read_b128 v[172:175], v2 offset:1264
	ds_read_b128 v[148:151], v2 offset:1280
	;; [unrolled: 1-line block ×5, first 2 shown]
	scratch_load_dwordx4 v[36:39], off, off offset:544
	ds_read_b128 v[48:51], v2 offset:1344
	scratch_load_dwordx4 v[52:55], off, off offset:560
	scratch_load_dwordx4 v[56:59], off, off offset:576
	;; [unrolled: 1-line block ×9, first 2 shown]
	ds_read_b128 v[140:143], v2 offset:1360
	ds_read_b128 v[232:235], v2 offset:1424
	;; [unrolled: 1-line block ×3, first 2 shown]
	s_waitcnt vmcnt(29) lgkmcnt(14)
	v_mul_f64 v[0:1], v[212:213], v[90:91]
	s_waitcnt vmcnt(28)
	v_mul_f64 v[152:153], v[204:205], v[94:95]
	v_fmac_f64_e32 v[0:1], v[214:215], v[88:89]
	s_waitcnt vmcnt(27)
	v_mul_f64 v[154:155], v[196:197], v[98:99]
	v_fmac_f64_e32 v[152:153], v[206:207], v[92:93]
	v_add_f64 v[0:1], v[0:1], 0
	s_waitcnt vmcnt(26)
	v_mul_f64 v[164:165], v[216:217], v[102:103]
	v_fmac_f64_e32 v[154:155], v[198:199], v[96:97]
	v_add_f64 v[0:1], v[0:1], v[152:153]
	s_waitcnt vmcnt(25)
	v_mul_f64 v[166:167], v[208:209], v[106:107]
	v_fmac_f64_e32 v[164:165], v[218:219], v[100:101]
	v_add_f64 v[0:1], v[0:1], v[154:155]
	s_waitcnt vmcnt(24)
	v_mul_f64 v[168:169], v[200:201], v[110:111]
	v_fmac_f64_e32 v[166:167], v[210:211], v[104:105]
	v_add_f64 v[0:1], v[0:1], v[164:165]
	s_waitcnt vmcnt(23) lgkmcnt(13)
	v_mul_f64 v[170:171], v[184:185], v[114:115]
	v_fmac_f64_e32 v[168:169], v[202:203], v[108:109]
	v_add_f64 v[0:1], v[0:1], v[166:167]
	s_waitcnt vmcnt(22) lgkmcnt(12)
	v_mul_f64 v[176:177], v[156:157], v[118:119]
	v_fmac_f64_e32 v[170:171], v[186:187], v[112:113]
	v_add_f64 v[0:1], v[0:1], v[168:169]
	;; [unrolled: 4-line block ×10, first 2 shown]
	v_fmac_f64_e32 v[224:225], v[34:35], v[12:13]
	v_add_f64 v[0:1], v[0:1], v[222:223]
	ds_read_b128 v[220:223], v2 offset:1376
	v_add_f64 v[0:1], v[0:1], v[224:225]
	ds_read_b128 v[224:227], v2 offset:1392
	s_waitcnt vmcnt(13) lgkmcnt(5)
	v_mul_f64 v[164:165], v[48:49], v[18:19]
	scratch_load_dwordx4 v[152:155], off, off offset:704
	v_fmac_f64_e32 v[164:165], v[50:51], v[16:17]
	s_waitcnt vmcnt(13) lgkmcnt(4)
	v_mul_f64 v[168:169], v[140:141], v[22:23]
	v_add_f64 v[0:1], v[0:1], v[164:165]
	v_fmac_f64_e32 v[168:169], v[142:143], v[20:21]
	scratch_load_dwordx4 v[164:167], off, off offset:720
	v_add_f64 v[0:1], v[0:1], v[168:169]
	s_waitcnt vmcnt(13) lgkmcnt(1)
	v_mul_f64 v[176:177], v[220:221], v[26:27]
	scratch_load_dwordx4 v[168:171], off, off offset:736
	v_fmac_f64_e32 v[176:177], v[222:223], v[24:25]
	s_waitcnt vmcnt(13) lgkmcnt(0)
	v_mul_f64 v[188:189], v[224:225], v[30:31]
	v_add_f64 v[0:1], v[0:1], v[176:177]
	scratch_load_dwordx4 v[176:179], off, off offset:752
	v_fmac_f64_e32 v[188:189], v[226:227], v[28:29]
	v_add_f64 v[0:1], v[0:1], v[188:189]
	s_waitcnt vmcnt(13)
	v_mul_f64 v[188:189], v[228:229], v[38:39]
	v_fmac_f64_e32 v[188:189], v[230:231], v[36:37]
	v_add_f64 v[0:1], v[0:1], v[188:189]
	scratch_load_dwordx4 v[188:191], off, off offset:768
	s_waitcnt vmcnt(13)
	v_mul_f64 v[192:193], v[232:233], v[54:55]
	v_fmac_f64_e32 v[192:193], v[234:235], v[52:53]
	v_mul_f64 v[90:91], v[214:215], v[90:91]
	v_add_f64 v[0:1], v[0:1], v[192:193]
	scratch_load_dwordx4 v[192:195], off, off offset:784
	v_fma_f64 v[240:241], v[212:213], v[88:89], -v[90:91]
	v_mul_f64 v[88:89], v[206:207], v[94:95]
	ds_read_b128 v[236:239], v2 offset:1440
	ds_read_b128 v[212:215], v2 offset:1456
	v_fma_f64 v[244:245], v[204:205], v[92:93], -v[88:89]
	scratch_load_dwordx4 v[92:95], off, off offset:800
	scratch_load_dwordx4 v[88:91], off, off offset:816
	v_mul_f64 v[98:99], v[198:199], v[98:99]
	v_fma_f64 v[246:247], v[196:197], v[96:97], -v[98:99]
	scratch_load_dwordx4 v[96:99], off, off offset:832
	s_waitcnt vmcnt(16) lgkmcnt(1)
	v_mul_f64 v[204:205], v[236:237], v[58:59]
	v_mul_f64 v[102:103], v[218:219], v[102:103]
	v_fmac_f64_e32 v[204:205], v[238:239], v[56:57]
	v_fma_f64 v[216:217], v[216:217], v[100:101], -v[102:103]
	ds_read_b128 v[100:103], v2 offset:1472
	s_waitcnt vmcnt(15) lgkmcnt(1)
	v_mul_f64 v[196:197], v[212:213], v[62:63]
	v_add_f64 v[0:1], v[0:1], v[204:205]
	v_fmac_f64_e32 v[196:197], v[214:215], v[60:61]
	v_add_f64 v[0:1], v[0:1], v[196:197]
	ds_read_b128 v[196:199], v2 offset:1488
	v_mul_f64 v[106:107], v[210:211], v[106:107]
	v_fma_f64 v[218:219], v[208:209], v[104:105], -v[106:107]
	ds_read_b128 v[104:107], v2 offset:1504
	s_waitcnt vmcnt(14) lgkmcnt(2)
	v_mul_f64 v[204:205], v[100:101], v[66:67]
	v_fmac_f64_e32 v[204:205], v[102:103], v[64:65]
	v_add_f64 v[0:1], v[0:1], v[204:205]
	s_waitcnt vmcnt(13) lgkmcnt(1)
	v_mul_f64 v[204:205], v[196:197], v[70:71]
	v_mul_f64 v[110:111], v[202:203], v[110:111]
	v_fmac_f64_e32 v[204:205], v[198:199], v[68:69]
	v_fma_f64 v[248:249], v[200:201], v[108:109], -v[110:111]
	ds_read_b128 v[108:111], v2 offset:1520
	s_waitcnt vmcnt(12) lgkmcnt(1)
	v_mul_f64 v[200:201], v[104:105], v[74:75]
	v_add_f64 v[0:1], v[0:1], v[204:205]
	v_fmac_f64_e32 v[200:201], v[106:107], v[72:73]
	v_add_f64 v[0:1], v[0:1], v[200:201]
	ds_read_b128 v[200:203], v2 offset:1536
	v_mul_f64 v[114:115], v[186:187], v[114:115]
	v_fma_f64 v[250:251], v[184:185], v[112:113], -v[114:115]
	ds_read_b128 v[112:115], v2 offset:1552
	s_waitcnt vmcnt(11) lgkmcnt(2)
	v_mul_f64 v[184:185], v[108:109], v[78:79]
	v_fmac_f64_e32 v[184:185], v[110:111], v[76:77]
	v_add_f64 v[0:1], v[0:1], v[184:185]
	s_waitcnt vmcnt(10) lgkmcnt(1)
	v_mul_f64 v[184:185], v[200:201], v[82:83]
	v_mul_f64 v[118:119], v[158:159], v[118:119]
	v_fmac_f64_e32 v[184:185], v[202:203], v[80:81]
	v_fma_f64 v[254:255], v[156:157], v[116:117], -v[118:119]
	s_waitcnt vmcnt(9) lgkmcnt(0)
	v_mul_f64 v[156:157], v[112:113], v[86:87]
	v_add_f64 v[0:1], v[0:1], v[184:185]
	ds_read_b128 v[116:119], v2 offset:1568
	v_fmac_f64_e32 v[156:157], v[114:115], v[84:85]
	v_add_f64 v[0:1], v[0:1], v[156:157]
	ds_read_b128 v[156:159], v2 offset:1584
	v_mul_f64 v[122:123], v[182:183], v[122:123]
	v_fma_f64 v[242:243], v[180:181], v[120:121], -v[122:123]
	ds_read_b128 v[120:123], v2 offset:1600
	v_accvgpr_write_b32 a115, v7
	v_mul_f64 v[126:127], v[162:163], v[126:127]
	v_accvgpr_write_b32 a114, v6
	v_accvgpr_write_b32 a113, v5
	v_accvgpr_write_b32 a112, v4
	v_fma_f64 v[4:5], v[160:161], v[124:125], -v[126:127]
	ds_read_b128 v[124:127], v2 offset:1616
	s_waitcnt vmcnt(8) lgkmcnt(3)
	v_mul_f64 v[184:185], v[116:117], v[154:155]
	v_fmac_f64_e32 v[184:185], v[118:119], v[152:153]
	s_waitcnt vmcnt(7) lgkmcnt(2)
	v_mul_f64 v[180:181], v[156:157], v[166:167]
	v_add_f64 v[0:1], v[0:1], v[184:185]
	v_fmac_f64_e32 v[180:181], v[158:159], v[164:165]
	s_waitcnt vmcnt(6) lgkmcnt(1)
	v_mul_f64 v[6:7], v[120:121], v[170:171]
	ds_read_b128 v[160:163], v2 offset:1632
	v_add_f64 v[0:1], v[0:1], v[180:181]
	v_fmac_f64_e32 v[6:7], v[122:123], v[168:169]
	v_add_f64 v[0:1], v[0:1], v[6:7]
	s_waitcnt vmcnt(5) lgkmcnt(1)
	v_mul_f64 v[6:7], v[124:125], v[178:179]
	v_fmac_f64_e32 v[6:7], v[126:127], v[176:177]
	v_add_f64 v[0:1], v[0:1], v[6:7]
	v_mul_f64 v[6:7], v[146:147], v[130:131]
	v_fma_f64 v[6:7], v[144:145], v[128:129], -v[6:7]
	ds_read_b128 v[128:131], v2 offset:1648
	s_waitcnt vmcnt(4) lgkmcnt(1)
	v_mul_f64 v[144:145], v[160:161], v[190:191]
	v_fmac_f64_e32 v[144:145], v[162:163], v[188:189]
	v_add_f64 v[180:181], v[0:1], v[144:145]
	v_mul_f64 v[0:1], v[174:175], v[134:135]
	v_fma_f64 v[0:1], v[172:173], v[132:133], -v[0:1]
	ds_read_b128 v[132:135], v2 offset:1664
	ds_read_b128 v[144:147], v2 offset:1680
	v_mul_f64 v[138:139], v[150:151], v[138:139]
	v_fma_f64 v[252:253], v[148:149], v[136:137], -v[138:139]
	ds_read_b128 v[136:139], v2 offset:1696
	s_waitcnt vmcnt(3) lgkmcnt(3)
	v_mul_f64 v[172:173], v[128:129], v[194:195]
	v_fmac_f64_e32 v[172:173], v[130:131], v[192:193]
	s_waitcnt vmcnt(2) lgkmcnt(2)
	v_mul_f64 v[148:149], v[132:133], v[94:95]
	v_add_f64 v[172:173], v[180:181], v[172:173]
	v_fmac_f64_e32 v[148:149], v[134:135], v[92:93]
	s_waitcnt vmcnt(1) lgkmcnt(1)
	v_mul_f64 v[150:151], v[144:145], v[90:91]
	v_add_f64 v[148:149], v[172:173], v[148:149]
	v_fmac_f64_e32 v[150:151], v[146:147], v[88:89]
	v_add_f64 v[148:149], v[148:149], v[150:151]
	ds_read_b128 v[172:175], v2 offset:1712
	scratch_load_dwordx4 v[208:211], off, off offset:880
	s_waitcnt vmcnt(1) lgkmcnt(1)
	v_mul_f64 v[150:151], v[136:137], v[98:99]
	v_fmac_f64_e32 v[150:151], v[138:139], v[96:97]
	v_add_f64 v[180:181], v[148:149], v[150:151]
	scratch_load_dwordx4 v[148:151], off, off offset:848
	ds_read_b128 v[184:187], v2 offset:1728
	v_accvgpr_write_b32 a117, v1
	v_accvgpr_write_b32 a116, v0
	s_waitcnt vmcnt(0) lgkmcnt(1)
	v_mul_f64 v[182:183], v[172:173], v[150:151]
	v_fmac_f64_e32 v[182:183], v[174:175], v[148:149]
	v_add_f64 v[204:205], v[180:181], v[182:183]
	scratch_load_dwordx4 v[180:183], off, off offset:864
	s_waitcnt vmcnt(0) lgkmcnt(0)
	v_mul_f64 v[206:207], v[184:185], v[182:183]
	v_fmac_f64_e32 v[206:207], v[186:187], v[180:181]
	v_add_f64 v[0:1], v[204:205], v[206:207]
	ds_read_b128 v[204:207], v2 offset:1744
	s_waitcnt lgkmcnt(0)
	v_mul_f64 v[2:3], v[204:205], v[210:211]
	v_fmac_f64_e32 v[2:3], v[206:207], v[208:209]
	v_add_f64 v[2:3], v[0:1], v[2:3]
	v_add_f64 v[0:1], v[240:241], 0
	;; [unrolled: 1-line block ×6, first 2 shown]
	scratch_load_dwordx4 v[216:219], off, off offset:208
	v_add_f64 v[0:1], v[0:1], v[248:249]
	v_add_f64 v[0:1], v[0:1], v[250:251]
	;; [unrolled: 1-line block ×6, first 2 shown]
	v_accvgpr_read_b32 v0, a116
	v_accvgpr_read_b32 v243, a115
	;; [unrolled: 1-line block ×4, first 2 shown]
	v_add_f64 v[0:1], v[254:255], v[0:1]
	v_accvgpr_read_b32 v241, a113
	v_accvgpr_read_b32 v240, a112
	v_mul_f64 v[4:5], v[46:47], v[242:243]
	v_add_f64 v[0:1], v[0:1], v[252:253]
	v_fma_f64 v[4:5], v[44:45], v[240:241], -v[4:5]
	v_add_f64 v[0:1], v[0:1], v[4:5]
	v_mul_f64 v[4:5], v[42:43], v[10:11]
	v_fma_f64 v[4:5], v[40:41], v[8:9], -v[4:5]
	v_add_f64 v[0:1], v[0:1], v[4:5]
	v_mul_f64 v[4:5], v[34:35], v[14:15]
	;; [unrolled: 3-line block ×28, first 2 shown]
	v_fma_f64 v[4:5], v[204:205], v[208:209], -v[4:5]
	v_add_f64 v[0:1], v[0:1], v[4:5]
	s_waitcnt vmcnt(0)
	v_add_f64 v[4:5], v[216:217], -v[0:1]
	v_accvgpr_read_b32 v0, a110
	v_add_f64 v[6:7], v[218:219], -v[2:3]
	v_cmp_lt_u32_e32 vcc, 11, v0
	scratch_store_dwordx4 off, v[4:7], off offset:208
	s_and_saveexec_b64 s[0:1], vcc
	s_cbranch_execz .LBB118_321
; %bb.320:
	scratch_load_dwordx4 v[2:5], off, s60
	v_mov_b32_e32 v6, 0
	v_mov_b32_e32 v7, v6
	;; [unrolled: 1-line block ×4, first 2 shown]
	v_accvgpr_read_b32 v0, a111
	scratch_store_dwordx4 off, v[6:9], off offset:192
	s_waitcnt vmcnt(1)
	ds_write_b128 v0, v[2:5]
.LBB118_321:
	s_or_b64 exec, exec, s[0:1]
	s_waitcnt lgkmcnt(0)
	; wave barrier
	scratch_load_dwordx4 v[96:99], off, off offset:208
	scratch_load_dwordx4 v[100:103], off, off offset:224
	;; [unrolled: 1-line block ×30, first 2 shown]
	v_mov_b32_e32 v2, 0
	ds_read_b128 v[136:139], v2 offset:1072
	ds_read_b128 v[144:147], v2 offset:1088
	;; [unrolled: 1-line block ×20, first 2 shown]
	s_waitcnt vmcnt(29) lgkmcnt(14)
	v_mul_f64 v[0:1], v[136:137], v[98:99]
	s_waitcnt vmcnt(28)
	v_mul_f64 v[72:73], v[144:145], v[102:103]
	v_fmac_f64_e32 v[0:1], v[138:139], v[96:97]
	s_waitcnt vmcnt(27)
	v_mul_f64 v[74:75], v[148:149], v[106:107]
	v_fmac_f64_e32 v[72:73], v[146:147], v[100:101]
	v_add_f64 v[0:1], v[0:1], 0
	s_waitcnt vmcnt(26)
	v_mul_f64 v[76:77], v[164:165], v[110:111]
	v_fmac_f64_e32 v[74:75], v[150:151], v[104:105]
	v_add_f64 v[0:1], v[0:1], v[72:73]
	;; [unrolled: 4-line block ×4, first 2 shown]
	s_waitcnt vmcnt(23) lgkmcnt(13)
	v_mul_f64 v[82:83], v[200:201], v[158:159]
	v_fmac_f64_e32 v[80:81], v[190:191], v[152:153]
	v_add_f64 v[0:1], v[0:1], v[78:79]
	s_waitcnt vmcnt(22) lgkmcnt(12)
	v_mul_f64 v[84:85], v[208:209], v[162:163]
	v_fmac_f64_e32 v[82:83], v[202:203], v[156:157]
	v_add_f64 v[0:1], v[0:1], v[80:81]
	;; [unrolled: 4-line block ×9, first 2 shown]
	s_waitcnt vmcnt(14) lgkmcnt(4)
	v_mul_f64 v[120:121], v[68:69], v[6:7]
	v_fmac_f64_e32 v[118:119], v[254:255], v[204:205]
	v_accvgpr_write_b32 a115, v7
	v_add_f64 v[0:1], v[0:1], v[116:117]
	v_fmac_f64_e32 v[120:121], v[70:71], v[4:5]
	v_accvgpr_write_b32 a114, v6
	v_accvgpr_write_b32 a113, v5
	;; [unrolled: 1-line block ×3, first 2 shown]
	v_add_f64 v[0:1], v[0:1], v[118:119]
	ds_read_b128 v[116:119], v2 offset:1344
	s_waitcnt vmcnt(13)
	v_mov_b64_e32 v[4:5], v[8:9]
	v_mov_b64_e32 v[6:7], v[10:11]
	s_waitcnt lgkmcnt(4)
	v_mul_f64 v[76:77], v[64:65], v[6:7]
	scratch_load_dwordx4 v[72:75], off, off offset:688
	v_add_f64 v[0:1], v[0:1], v[120:121]
	v_fmac_f64_e32 v[76:77], v[66:67], v[4:5]
	v_add_f64 v[0:1], v[0:1], v[76:77]
	scratch_load_dwordx4 v[76:79], off, off offset:704
	ds_read_b128 v[120:123], v2 offset:1360
	s_waitcnt vmcnt(14) lgkmcnt(1)
	v_mul_f64 v[80:81], v[116:117], v[236:237]
	v_fmac_f64_e32 v[80:81], v[118:119], v[234:235]
	v_add_f64 v[0:1], v[0:1], v[80:81]
	scratch_load_dwordx4 v[80:83], off, off offset:720
	s_waitcnt vmcnt(14) lgkmcnt(0)
	v_mul_f64 v[84:85], v[120:121], v[18:19]
	v_fmac_f64_e32 v[84:85], v[122:123], v[16:17]
	s_waitcnt vmcnt(13)
	v_mul_f64 v[88:89], v[124:125], v[22:23]
	v_add_f64 v[0:1], v[0:1], v[84:85]
	v_fmac_f64_e32 v[88:89], v[126:127], v[20:21]
	scratch_load_dwordx4 v[84:87], off, off offset:736
	v_add_f64 v[0:1], v[0:1], v[88:89]
	s_waitcnt vmcnt(13)
	v_mul_f64 v[88:89], v[128:129], v[26:27]
	v_fmac_f64_e32 v[88:89], v[130:131], v[24:25]
	v_add_f64 v[0:1], v[0:1], v[88:89]
	scratch_load_dwordx4 v[88:91], off, off offset:752
	s_waitcnt vmcnt(13)
	v_mul_f64 v[92:93], v[132:133], v[30:31]
	v_fmac_f64_e32 v[92:93], v[134:135], v[28:29]
	v_add_f64 v[0:1], v[0:1], v[92:93]
	scratch_load_dwordx4 v[92:95], off, off offset:768
	v_mul_f64 v[98:99], v[138:139], v[98:99]
	v_fma_f64 v[240:241], v[136:137], v[96:97], -v[98:99]
	v_mul_f64 v[96:97], v[146:147], v[102:103]
	ds_read_b128 v[140:143], v2 offset:1424
	ds_read_b128 v[136:139], v2 offset:1440
	v_fma_f64 v[246:247], v[144:145], v[100:101], -v[96:97]
	scratch_load_dwordx4 v[100:103], off, off offset:784
	scratch_load_dwordx4 v[96:99], off, off offset:800
	s_waitcnt vmcnt(15) lgkmcnt(1)
	v_mul_f64 v[144:145], v[140:141], v[34:35]
	v_fmac_f64_e32 v[144:145], v[142:143], v[32:33]
	v_mul_f64 v[106:107], v[150:151], v[106:107]
	v_add_f64 v[0:1], v[0:1], v[144:145]
	s_waitcnt vmcnt(14) lgkmcnt(0)
	v_mul_f64 v[144:145], v[136:137], v[38:39]
	v_fma_f64 v[248:249], v[148:149], v[104:105], -v[106:107]
	v_mul_f64 v[104:105], v[166:167], v[110:111]
	v_fmac_f64_e32 v[144:145], v[138:139], v[36:37]
	v_fma_f64 v[250:251], v[164:165], v[108:109], -v[104:105]
	scratch_load_dwordx4 v[104:107], off, off offset:816
	v_add_f64 v[0:1], v[0:1], v[144:145]
	ds_read_b128 v[144:147], v2 offset:1456
	ds_read_b128 v[148:151], v2 offset:1472
	v_mul_f64 v[108:109], v[178:179], v[114:115]
	v_fma_f64 v[232:233], v[176:177], v[112:113], -v[108:109]
	scratch_load_dwordx4 v[108:111], off, off offset:832
	s_waitcnt vmcnt(15) lgkmcnt(1)
	v_mul_f64 v[112:113], v[144:145], v[42:43]
	v_fmac_f64_e32 v[112:113], v[146:147], v[40:41]
	v_add_f64 v[0:1], v[0:1], v[112:113]
	v_mul_f64 v[112:113], v[190:191], v[154:155]
	v_fma_f64 v[238:239], v[188:189], v[152:153], -v[112:113]
	scratch_load_dwordx4 v[112:115], off, off offset:848
	ds_read_b128 v[152:155], v2 offset:1488
	s_waitcnt vmcnt(15) lgkmcnt(1)
	v_mul_f64 v[164:165], v[148:149], v[46:47]
	v_mul_f64 v[158:159], v[202:203], v[158:159]
	v_fmac_f64_e32 v[164:165], v[150:151], v[44:45]
	v_fma_f64 v[12:13], v[200:201], v[156:157], -v[158:159]
	ds_read_b128 v[156:159], v2 offset:1504
	s_waitcnt vmcnt(14) lgkmcnt(1)
	v_mul_f64 v[6:7], v[152:153], v[50:51]
	v_add_f64 v[0:1], v[0:1], v[164:165]
	v_fmac_f64_e32 v[6:7], v[154:155], v[48:49]
	v_accvgpr_write_b32 a119, v11
	v_add_f64 v[0:1], v[0:1], v[6:7]
	v_mul_f64 v[6:7], v[210:211], v[162:163]
	v_accvgpr_write_b32 a118, v10
	v_accvgpr_write_b32 a117, v9
	;; [unrolled: 1-line block ×3, first 2 shown]
	v_fma_f64 v[8:9], v[208:209], v[160:161], -v[6:7]
	ds_read_b128 v[160:163], v2 offset:1520
	ds_read_b128 v[164:167], v2 offset:1536
	s_waitcnt vmcnt(13) lgkmcnt(2)
	v_mul_f64 v[6:7], v[156:157], v[54:55]
	v_fmac_f64_e32 v[6:7], v[158:159], v[52:53]
	v_add_f64 v[0:1], v[0:1], v[6:7]
	s_waitcnt vmcnt(12) lgkmcnt(1)
	v_mul_f64 v[6:7], v[160:161], v[62:63]
	v_fmac_f64_e32 v[6:7], v[162:163], v[60:61]
	v_add_f64 v[0:1], v[0:1], v[6:7]
	v_mul_f64 v[6:7], v[214:215], v[170:171]
	v_fma_f64 v[10:11], v[212:213], v[168:169], -v[6:7]
	s_waitcnt vmcnt(11) lgkmcnt(0)
	v_mul_f64 v[6:7], v[164:165], v[58:59]
	v_fmac_f64_e32 v[6:7], v[166:167], v[56:57]
	ds_read_b128 v[168:171], v2 offset:1552
	v_add_f64 v[0:1], v[0:1], v[6:7]
	v_mul_f64 v[6:7], v[218:219], v[174:175]
	v_fma_f64 v[4:5], v[216:217], v[172:173], -v[6:7]
	ds_read_b128 v[172:175], v2 offset:1568
	s_waitcnt vmcnt(10) lgkmcnt(1)
	v_mul_f64 v[6:7], v[168:169], v[74:75]
	ds_read_b128 v[176:179], v2 offset:1584
	v_fmac_f64_e32 v[6:7], v[170:171], v[72:73]
	v_add_f64 v[0:1], v[0:1], v[6:7]
	s_waitcnt vmcnt(9) lgkmcnt(1)
	v_mul_f64 v[6:7], v[172:173], v[78:79]
	v_fmac_f64_e32 v[6:7], v[174:175], v[76:77]
	v_add_f64 v[0:1], v[0:1], v[6:7]
	v_mul_f64 v[6:7], v[222:223], v[182:183]
	v_fma_f64 v[14:15], v[220:221], v[180:181], -v[6:7]
	ds_read_b128 v[180:183], v2 offset:1600
	s_waitcnt vmcnt(8) lgkmcnt(1)
	v_mul_f64 v[6:7], v[176:177], v[82:83]
	v_fmac_f64_e32 v[6:7], v[178:179], v[80:81]
	v_add_f64 v[0:1], v[0:1], v[6:7]
	v_mul_f64 v[6:7], v[226:227], v[186:187]
	v_fma_f64 v[6:7], v[224:225], v[184:185], -v[6:7]
	ds_read_b128 v[184:187], v2 offset:1616
	s_waitcnt vmcnt(7) lgkmcnt(1)
	v_mul_f64 v[188:189], v[180:181], v[86:87]
	v_fmac_f64_e32 v[188:189], v[182:183], v[84:85]
	v_add_f64 v[0:1], v[0:1], v[188:189]
	ds_read_b128 v[188:191], v2 offset:1632
	s_waitcnt vmcnt(6) lgkmcnt(1)
	v_mul_f64 v[200:201], v[184:185], v[90:91]
	v_fmac_f64_e32 v[200:201], v[186:187], v[88:89]
	v_add_f64 v[200:201], v[0:1], v[200:201]
	v_mul_f64 v[0:1], v[230:231], v[194:195]
	v_fma_f64 v[0:1], v[228:229], v[192:193], -v[0:1]
	ds_read_b128 v[192:195], v2 offset:1648
	s_waitcnt vmcnt(5) lgkmcnt(1)
	v_mul_f64 v[202:203], v[188:189], v[94:95]
	v_fmac_f64_e32 v[202:203], v[190:191], v[92:93]
	v_mul_f64 v[198:199], v[244:245], v[198:199]
	v_fma_f64 v[244:245], v[242:243], v[196:197], -v[198:199]
	ds_read_b128 v[196:199], v2 offset:1664
	v_add_f64 v[200:201], v[200:201], v[202:203]
	s_waitcnt vmcnt(4) lgkmcnt(1)
	v_mul_f64 v[202:203], v[192:193], v[102:103]
	v_fmac_f64_e32 v[202:203], v[194:195], v[100:101]
	v_add_f64 v[208:209], v[200:201], v[202:203]
	ds_read_b128 v[200:203], v2 offset:1680
	v_mul_f64 v[206:207], v[254:255], v[206:207]
	v_fma_f64 v[242:243], v[252:253], v[204:205], -v[206:207]
	ds_read_b128 v[204:207], v2 offset:1696
	s_waitcnt vmcnt(3) lgkmcnt(2)
	v_mul_f64 v[210:211], v[196:197], v[98:99]
	v_fmac_f64_e32 v[210:211], v[198:199], v[96:97]
	v_add_f64 v[208:209], v[208:209], v[210:211]
	s_waitcnt vmcnt(2) lgkmcnt(1)
	v_mul_f64 v[210:211], v[200:201], v[106:107]
	v_fmac_f64_e32 v[210:211], v[202:203], v[104:105]
	v_add_f64 v[208:209], v[208:209], v[210:211]
	;; [unrolled: 4-line block ×3, first 2 shown]
	ds_read_b128 v[208:211], v2 offset:1712
	ds_read_b128 v[216:219], v2 offset:1728
	;; [unrolled: 1-line block ×3, first 2 shown]
	s_waitcnt vmcnt(0) lgkmcnt(2)
	v_mul_f64 v[214:215], v[208:209], v[114:115]
	v_fmac_f64_e32 v[214:215], v[210:211], v[112:113]
	v_add_f64 v[220:221], v[212:213], v[214:215]
	scratch_load_dwordx4 v[212:215], off, off offset:864
	s_waitcnt vmcnt(0) lgkmcnt(1)
	v_mul_f64 v[222:223], v[216:217], v[214:215]
	v_fmac_f64_e32 v[222:223], v[218:219], v[212:213]
	v_add_f64 v[228:229], v[220:221], v[222:223]
	scratch_load_dwordx4 v[220:223], off, off offset:880
	s_waitcnt vmcnt(0) lgkmcnt(0)
	v_mul_f64 v[230:231], v[224:225], v[222:223]
	v_fmac_f64_e32 v[230:231], v[226:227], v[220:221]
	v_add_f64 v[254:255], v[228:229], v[230:231]
	v_add_f64 v[228:229], v[240:241], 0
	;; [unrolled: 1-line block ×8, first 2 shown]
	scratch_load_dwordx4 v[228:231], off, off offset:192
	v_add_f64 v[8:9], v[12:13], v[8:9]
	v_add_f64 v[8:9], v[8:9], v[10:11]
	v_add_f64 v[4:5], v[8:9], v[4:5]
	v_add_f64 v[252:253], v[4:5], v[14:15]
	v_add_f64 v[4:5], v[252:253], v[6:7]
	v_accvgpr_read_b32 v6, a112
	v_accvgpr_read_b32 v8, a114
	;; [unrolled: 1-line block ×3, first 2 shown]
	v_add_f64 v[0:1], v[4:5], v[0:1]
	v_accvgpr_read_b32 v7, a113
	v_mul_f64 v[4:5], v[70:71], v[8:9]
	v_add_f64 v[0:1], v[0:1], v[244:245]
	v_fma_f64 v[4:5], v[68:69], v[6:7], -v[4:5]
	v_accvgpr_read_b32 v6, a116
	v_add_f64 v[0:1], v[0:1], v[242:243]
	v_accvgpr_read_b32 v8, a118
	v_accvgpr_read_b32 v9, a119
	v_add_f64 v[0:1], v[0:1], v[4:5]
	v_accvgpr_read_b32 v7, a117
	v_mul_f64 v[4:5], v[66:67], v[8:9]
	v_fma_f64 v[4:5], v[64:65], v[6:7], -v[4:5]
	v_add_f64 v[0:1], v[0:1], v[4:5]
	v_mul_f64 v[4:5], v[118:119], v[236:237]
	v_fma_f64 v[4:5], v[116:117], v[234:235], -v[4:5]
	v_add_f64 v[0:1], v[0:1], v[4:5]
	;; [unrolled: 3-line block ×27, first 2 shown]
	s_waitcnt vmcnt(0)
	v_add_f64 v[4:5], v[228:229], -v[0:1]
	v_accvgpr_read_b32 v0, a110
	v_add_f64 v[6:7], v[230:231], -v[254:255]
	v_cmp_lt_u32_e32 vcc, 10, v0
	scratch_store_dwordx4 off, v[4:7], off offset:192
	s_and_saveexec_b64 s[0:1], vcc
	s_cbranch_execz .LBB118_323
; %bb.322:
	scratch_load_dwordx4 v[6:9], off, s61
	v_mov_b32_e32 v3, v2
	v_mov_b32_e32 v4, v2
	;; [unrolled: 1-line block ×3, first 2 shown]
	v_accvgpr_read_b32 v0, a111
	scratch_store_dwordx4 off, v[2:5], off offset:176
	s_waitcnt vmcnt(1)
	ds_write_b128 v0, v[6:9]
.LBB118_323:
	s_or_b64 exec, exec, s[0:1]
	s_waitcnt lgkmcnt(0)
	; wave barrier
	scratch_load_dwordx4 v[72:75], off, off offset:192
	scratch_load_dwordx4 v[76:79], off, off offset:208
	;; [unrolled: 1-line block ×17, first 2 shown]
	ds_read_b128 v[176:179], v2 offset:1056
	ds_read_b128 v[192:195], v2 offset:1072
	;; [unrolled: 1-line block ×3, first 2 shown]
	scratch_load_dwordx4 v[20:23], off, off offset:464
	ds_read_b128 v[236:239], v2 offset:1104
	ds_read_b128 v[232:235], v2 offset:1120
	;; [unrolled: 1-line block ×5, first 2 shown]
	scratch_load_dwordx4 v[168:171], off, off offset:480
	ds_read_b128 v[224:227], v2 offset:1184
	ds_read_b128 v[212:215], v2 offset:1200
	;; [unrolled: 1-line block ×3, first 2 shown]
	scratch_load_dwordx4 v[12:15], off, off offset:496
	ds_read_b128 v[216:219], v2 offset:1232
	ds_read_b128 v[204:207], v2 offset:1248
	;; [unrolled: 1-line block ×5, first 2 shown]
	scratch_load_dwordx4 v[28:31], off, off offset:512
	ds_read_b128 v[32:35], v2 offset:1312
	scratch_load_dwordx4 v[36:39], off, off offset:528
	scratch_load_dwordx4 v[40:43], off, off offset:544
	;; [unrolled: 1-line block ×9, first 2 shown]
	ds_read_b128 v[132:135], v2 offset:1328
	s_waitcnt lgkmcnt(2)
	v_accvgpr_write_b32 a119, v19
	v_accvgpr_write_b32 a118, v18
	;; [unrolled: 1-line block ×4, first 2 shown]
	ds_read_b128 v[172:175], v2 offset:1392
	s_waitcnt vmcnt(29)
	v_mul_f64 v[0:1], v[176:177], v[74:75]
	s_waitcnt vmcnt(28)
	v_mul_f64 v[136:137], v[192:193], v[78:79]
	v_fmac_f64_e32 v[0:1], v[178:179], v[72:73]
	s_waitcnt vmcnt(27)
	v_mul_f64 v[138:139], v[188:189], v[82:83]
	v_fmac_f64_e32 v[136:137], v[194:195], v[76:77]
	v_add_f64 v[0:1], v[0:1], 0
	s_waitcnt vmcnt(26)
	v_mul_f64 v[140:141], v[236:237], v[86:87]
	v_fmac_f64_e32 v[138:139], v[190:191], v[80:81]
	v_add_f64 v[0:1], v[0:1], v[136:137]
	;; [unrolled: 4-line block ×14, first 2 shown]
	v_fmac_f64_e32 v[164:165], v[18:19], v[4:5]
	v_add_f64 v[0:1], v[0:1], v[162:163]
	s_waitcnt vmcnt(13) lgkmcnt(2)
	v_mul_f64 v[140:141], v[32:33], v[26:27]
	scratch_load_dwordx4 v[136:139], off, off offset:672
	v_add_f64 v[0:1], v[0:1], v[164:165]
	v_fmac_f64_e32 v[140:141], v[34:35], v[24:25]
	v_add_f64 v[0:1], v[0:1], v[140:141]
	ds_read_b128 v[160:163], v2 offset:1344
	scratch_load_dwordx4 v[140:143], off, off offset:688
	ds_read_b128 v[164:167], v2 offset:1360
	s_waitcnt vmcnt(13)
	v_mov_b64_e32 v[16:17], v[168:169]
	v_mov_b64_e32 v[18:19], v[170:171]
	ds_read_b128 v[168:171], v2 offset:1376
	s_waitcnt lgkmcnt(4)
	v_mul_f64 v[144:145], v[132:133], v[22:23]
	v_fmac_f64_e32 v[144:145], v[134:135], v[20:21]
	s_waitcnt lgkmcnt(2)
	v_mul_f64 v[148:149], v[160:161], v[18:19]
	v_add_f64 v[0:1], v[0:1], v[144:145]
	v_fmac_f64_e32 v[148:149], v[162:163], v[16:17]
	s_waitcnt vmcnt(12) lgkmcnt(1)
	v_mul_f64 v[152:153], v[164:165], v[14:15]
	scratch_load_dwordx4 v[144:147], off, off offset:704
	v_add_f64 v[0:1], v[0:1], v[148:149]
	v_fmac_f64_e32 v[152:153], v[166:167], v[12:13]
	scratch_load_dwordx4 v[148:151], off, off offset:720
	v_add_f64 v[0:1], v[0:1], v[152:153]
	s_waitcnt vmcnt(13) lgkmcnt(0)
	v_mul_f64 v[152:153], v[168:169], v[30:31]
	v_fmac_f64_e32 v[152:153], v[170:171], v[28:29]
	v_add_f64 v[0:1], v[0:1], v[152:153]
	scratch_load_dwordx4 v[152:155], off, off offset:736
	s_waitcnt vmcnt(13)
	v_mul_f64 v[156:157], v[172:173], v[38:39]
	v_fmac_f64_e32 v[156:157], v[174:175], v[36:37]
	v_mul_f64 v[74:75], v[178:179], v[74:75]
	v_add_f64 v[0:1], v[0:1], v[156:157]
	scratch_load_dwordx4 v[156:159], off, off offset:752
	v_fma_f64 v[240:241], v[176:177], v[72:73], -v[74:75]
	v_mul_f64 v[72:73], v[194:195], v[78:79]
	ds_read_b128 v[180:183], v2 offset:1408
	ds_read_b128 v[176:179], v2 offset:1424
	v_fma_f64 v[244:245], v[192:193], v[76:77], -v[72:73]
	scratch_load_dwordx4 v[76:79], off, off offset:768
	scratch_load_dwordx4 v[72:75], off, off offset:784
	v_mul_f64 v[82:83], v[190:191], v[82:83]
	v_fma_f64 v[246:247], v[188:189], v[80:81], -v[82:83]
	v_mul_f64 v[80:81], v[238:239], v[86:87]
	v_fma_f64 v[236:237], v[236:237], v[84:85], -v[80:81]
	scratch_load_dwordx4 v[80:83], off, off offset:800
	ds_read_b128 v[188:191], v2 offset:1440
	v_mul_f64 v[84:85], v[234:235], v[90:91]
	s_waitcnt vmcnt(16) lgkmcnt(2)
	v_mul_f64 v[192:193], v[180:181], v[42:43]
	v_fma_f64 v[238:239], v[232:233], v[88:89], -v[84:85]
	scratch_load_dwordx4 v[84:87], off, off offset:816
	v_fmac_f64_e32 v[192:193], v[182:183], v[40:41]
	v_add_f64 v[0:1], v[0:1], v[192:193]
	s_waitcnt vmcnt(16) lgkmcnt(1)
	v_mul_f64 v[192:193], v[176:177], v[46:47]
	v_fmac_f64_e32 v[192:193], v[178:179], v[44:45]
	v_add_f64 v[0:1], v[0:1], v[192:193]
	ds_read_b128 v[192:195], v2 offset:1456
	s_waitcnt vmcnt(15) lgkmcnt(1)
	v_mul_f64 v[88:89], v[188:189], v[50:51]
	v_fmac_f64_e32 v[88:89], v[190:191], v[48:49]
	v_add_f64 v[0:1], v[0:1], v[88:89]
	v_mul_f64 v[88:89], v[230:231], v[94:95]
	v_fma_f64 v[248:249], v[228:229], v[92:93], -v[88:89]
	scratch_load_dwordx4 v[88:91], off, off offset:832
	scratch_load_dwordx4 v[232:235], off, off offset:880
	ds_read_b128 v[92:95], v2 offset:1472
	v_mul_f64 v[98:99], v[222:223], v[98:99]
	v_fma_f64 v[250:251], v[220:221], v[96:97], -v[98:99]
	ds_read_b128 v[96:99], v2 offset:1488
	v_mul_f64 v[102:103], v[210:211], v[102:103]
	s_waitcnt vmcnt(16) lgkmcnt(2)
	v_mul_f64 v[228:229], v[192:193], v[54:55]
	v_fma_f64 v[254:255], v[208:209], v[100:101], -v[102:103]
	ds_read_b128 v[100:103], v2 offset:1504
	ds_read_b128 v[208:211], v2 offset:1520
	v_fmac_f64_e32 v[228:229], v[194:195], v[52:53]
	s_waitcnt vmcnt(15) lgkmcnt(3)
	v_mul_f64 v[220:221], v[92:93], v[58:59]
	v_add_f64 v[0:1], v[0:1], v[228:229]
	v_fmac_f64_e32 v[220:221], v[94:95], v[56:57]
	v_mul_f64 v[106:107], v[226:227], v[106:107]
	v_add_f64 v[0:1], v[0:1], v[220:221]
	s_waitcnt vmcnt(14) lgkmcnt(2)
	v_mul_f64 v[220:221], v[96:97], v[62:63]
	v_fma_f64 v[242:243], v[224:225], v[104:105], -v[106:107]
	ds_read_b128 v[104:107], v2 offset:1536
	v_fmac_f64_e32 v[220:221], v[98:99], v[60:61]
	v_mul_f64 v[110:111], v[214:215], v[110:111]
	v_add_f64 v[0:1], v[0:1], v[220:221]
	s_waitcnt vmcnt(13) lgkmcnt(2)
	v_mul_f64 v[220:221], v[100:101], v[70:71]
	v_fma_f64 v[8:9], v[212:213], v[108:109], -v[110:111]
	ds_read_b128 v[108:111], v2 offset:1552
	v_fmac_f64_e32 v[220:221], v[102:103], v[68:69]
	v_accvgpr_write_b32 a115, v7
	v_add_f64 v[0:1], v[0:1], v[220:221]
	s_waitcnt vmcnt(12) lgkmcnt(2)
	v_mul_f64 v[220:221], v[208:209], v[66:67]
	v_accvgpr_write_b32 a114, v6
	v_accvgpr_write_b32 a113, v5
	;; [unrolled: 1-line block ×3, first 2 shown]
	v_fmac_f64_e32 v[220:221], v[210:211], v[64:65]
	s_waitcnt vmcnt(11) lgkmcnt(1)
	v_mul_f64 v[6:7], v[104:105], v[138:139]
	v_add_f64 v[0:1], v[0:1], v[220:221]
	v_fmac_f64_e32 v[6:7], v[106:107], v[136:137]
	v_add_f64 v[0:1], v[0:1], v[6:7]
	s_waitcnt vmcnt(10) lgkmcnt(0)
	v_mul_f64 v[6:7], v[108:109], v[142:143]
	v_fmac_f64_e32 v[6:7], v[110:111], v[140:141]
	ds_read_b128 v[212:215], v2 offset:1568
	v_add_f64 v[0:1], v[0:1], v[6:7]
	v_mul_f64 v[6:7], v[202:203], v[114:115]
	v_fma_f64 v[6:7], v[200:201], v[112:113], -v[6:7]
	ds_read_b128 v[112:115], v2 offset:1584
	v_mul_f64 v[118:119], v[218:219], v[118:119]
	v_fma_f64 v[4:5], v[216:217], v[116:117], -v[118:119]
	ds_read_b128 v[116:119], v2 offset:1600
	s_waitcnt vmcnt(9) lgkmcnt(2)
	v_mul_f64 v[200:201], v[212:213], v[146:147]
	v_fmac_f64_e32 v[200:201], v[214:215], v[144:145]
	s_waitcnt vmcnt(8) lgkmcnt(1)
	v_mul_f64 v[10:11], v[112:113], v[150:151]
	v_add_f64 v[0:1], v[0:1], v[200:201]
	v_fmac_f64_e32 v[10:11], v[114:115], v[148:149]
	v_add_f64 v[0:1], v[0:1], v[10:11]
	ds_read_b128 v[200:203], v2 offset:1616
	s_waitcnt vmcnt(7) lgkmcnt(1)
	v_mul_f64 v[10:11], v[116:117], v[154:155]
	v_fmac_f64_e32 v[10:11], v[118:119], v[152:153]
	v_add_f64 v[10:11], v[0:1], v[10:11]
	v_mul_f64 v[0:1], v[206:207], v[122:123]
	v_fma_f64 v[0:1], v[204:205], v[120:121], -v[0:1]
	ds_read_b128 v[120:123], v2 offset:1632
	v_mul_f64 v[126:127], v[198:199], v[126:127]
	v_fma_f64 v[124:125], v[196:197], v[124:125], -v[126:127]
	s_waitcnt vmcnt(6) lgkmcnt(1)
	v_mul_f64 v[204:205], v[200:201], v[158:159]
	v_accvgpr_write_b32 a120, v124
	v_fmac_f64_e32 v[204:205], v[202:203], v[156:157]
	v_accvgpr_write_b32 a121, v125
	ds_read_b128 v[124:127], v2 offset:1648
	s_waitcnt vmcnt(5) lgkmcnt(1)
	v_mul_f64 v[196:197], v[120:121], v[78:79]
	v_add_f64 v[10:11], v[10:11], v[204:205]
	v_fmac_f64_e32 v[196:197], v[122:123], v[76:77]
	v_add_f64 v[10:11], v[10:11], v[196:197]
	ds_read_b128 v[196:199], v2 offset:1664
	v_mul_f64 v[130:131], v[186:187], v[130:131]
	v_fma_f64 v[252:253], v[184:185], v[128:129], -v[130:131]
	ds_read_b128 v[128:131], v2 offset:1680
	s_waitcnt vmcnt(4) lgkmcnt(2)
	v_mul_f64 v[184:185], v[124:125], v[74:75]
	v_fmac_f64_e32 v[184:185], v[126:127], v[72:73]
	v_add_f64 v[10:11], v[10:11], v[184:185]
	s_waitcnt vmcnt(3) lgkmcnt(1)
	v_mul_f64 v[184:185], v[196:197], v[82:83]
	v_fmac_f64_e32 v[184:185], v[198:199], v[80:81]
	v_add_f64 v[10:11], v[10:11], v[184:185]
	;; [unrolled: 4-line block ×3, first 2 shown]
	ds_read_b128 v[184:187], v2 offset:1696
	ds_read_b128 v[216:219], v2 offset:1712
	;; [unrolled: 1-line block ×3, first 2 shown]
	s_waitcnt vmcnt(1) lgkmcnt(2)
	v_mul_f64 v[204:205], v[184:185], v[90:91]
	v_fmac_f64_e32 v[204:205], v[186:187], v[88:89]
	v_add_f64 v[10:11], v[10:11], v[204:205]
	scratch_load_dwordx4 v[204:207], off, off offset:848
	s_waitcnt vmcnt(0) lgkmcnt(1)
	v_mul_f64 v[220:221], v[216:217], v[206:207]
	v_fmac_f64_e32 v[220:221], v[218:219], v[204:205]
	v_add_f64 v[10:11], v[10:11], v[220:221]
	scratch_load_dwordx4 v[220:223], off, off offset:864
	s_waitcnt vmcnt(0) lgkmcnt(0)
	v_mul_f64 v[228:229], v[224:225], v[222:223]
	v_fmac_f64_e32 v[228:229], v[226:227], v[220:221]
	v_add_f64 v[10:11], v[10:11], v[228:229]
	ds_read_b128 v[228:231], v2 offset:1744
	s_waitcnt lgkmcnt(0)
	v_mul_f64 v[2:3], v[228:229], v[234:235]
	v_fmac_f64_e32 v[2:3], v[230:231], v[232:233]
	v_add_f64 v[2:3], v[10:11], v[2:3]
	v_add_f64 v[10:11], v[240:241], 0
	;; [unrolled: 1-line block ×6, first 2 shown]
	scratch_load_dwordx4 v[236:239], off, off offset:176
	v_add_f64 v[10:11], v[10:11], v[248:249]
	v_add_f64 v[10:11], v[10:11], v[250:251]
	;; [unrolled: 1-line block ×8, first 2 shown]
	v_accvgpr_read_b32 v0, a120
	v_accvgpr_read_b32 v6, a112
	;; [unrolled: 1-line block ×7, first 2 shown]
	v_add_f64 v[0:1], v[254:255], v[0:1]
	v_accvgpr_read_b32 v7, a113
	v_accvgpr_read_b32 v241, a117
	;; [unrolled: 1-line block ×3, first 2 shown]
	v_mul_f64 v[4:5], v[242:243], v[8:9]
	v_add_f64 v[0:1], v[0:1], v[252:253]
	v_fma_f64 v[4:5], v[240:241], v[6:7], -v[4:5]
	v_add_f64 v[0:1], v[0:1], v[4:5]
	v_mul_f64 v[4:5], v[34:35], v[26:27]
	v_fma_f64 v[4:5], v[32:33], v[24:25], -v[4:5]
	v_add_f64 v[0:1], v[0:1], v[4:5]
	v_mul_f64 v[4:5], v[134:135], v[22:23]
	;; [unrolled: 3-line block ×28, first 2 shown]
	v_fma_f64 v[4:5], v[228:229], v[232:233], -v[4:5]
	v_add_f64 v[0:1], v[0:1], v[4:5]
	s_waitcnt vmcnt(0)
	v_add_f64 v[4:5], v[236:237], -v[0:1]
	v_accvgpr_read_b32 v0, a110
	v_add_f64 v[6:7], v[238:239], -v[2:3]
	v_cmp_lt_u32_e32 vcc, 9, v0
	scratch_store_dwordx4 off, v[4:7], off offset:176
	s_and_saveexec_b64 s[0:1], vcc
	s_cbranch_execz .LBB118_325
; %bb.324:
	scratch_load_dwordx4 v[2:5], off, s62
	v_mov_b32_e32 v6, 0
	v_mov_b32_e32 v7, v6
	;; [unrolled: 1-line block ×4, first 2 shown]
	v_accvgpr_read_b32 v0, a111
	scratch_store_dwordx4 off, v[6:9], off offset:160
	s_waitcnt vmcnt(1)
	ds_write_b128 v0, v[2:5]
.LBB118_325:
	s_or_b64 exec, exec, s[0:1]
	s_waitcnt lgkmcnt(0)
	; wave barrier
	scratch_load_dwordx4 v[80:83], off, off offset:176
	scratch_load_dwordx4 v[84:87], off, off offset:192
	;; [unrolled: 1-line block ×29, first 2 shown]
	v_mov_b32_e32 v2, 0
	ds_read_b128 v[132:135], v2 offset:1040
	ds_read_b128 v[136:139], v2 offset:1056
	;; [unrolled: 1-line block ×22, first 2 shown]
	s_waitcnt vmcnt(28) lgkmcnt(14)
	v_mul_f64 v[0:1], v[132:133], v[82:83]
	s_waitcnt vmcnt(27)
	v_mul_f64 v[56:57], v[136:137], v[86:87]
	v_fmac_f64_e32 v[0:1], v[134:135], v[80:81]
	s_waitcnt vmcnt(26)
	v_mul_f64 v[58:59], v[140:141], v[90:91]
	v_fmac_f64_e32 v[56:57], v[138:139], v[84:85]
	v_add_f64 v[0:1], v[0:1], 0
	s_waitcnt vmcnt(25)
	v_mul_f64 v[60:61], v[148:149], v[94:95]
	v_fmac_f64_e32 v[58:59], v[142:143], v[88:89]
	v_add_f64 v[0:1], v[0:1], v[56:57]
	;; [unrolled: 4-line block ×6, first 2 shown]
	s_waitcnt vmcnt(20) lgkmcnt(13)
	v_mul_f64 v[70:71], v[204:205], v[154:155]
	v_fmac_f64_e32 v[68:69], v[198:199], v[144:145]
	v_add_f64 v[0:1], v[0:1], v[66:67]
	s_waitcnt vmcnt(19) lgkmcnt(12)
	v_mul_f64 v[72:73], v[208:209], v[158:159]
	v_fmac_f64_e32 v[70:71], v[206:207], v[152:153]
	v_add_f64 v[0:1], v[0:1], v[68:69]
	;; [unrolled: 4-line block ×8, first 2 shown]
	v_fmac_f64_e32 v[112:113], v[244:245], v[192:193]
	v_add_f64 v[0:1], v[0:1], v[110:111]
	s_waitcnt vmcnt(12) lgkmcnt(5)
	v_mul_f64 v[60:61], v[252:253], v[202:203]
	scratch_load_dwordx4 v[56:59], off, off offset:640
	ds_read_b128 v[108:111], v2 offset:1328
	v_add_f64 v[0:1], v[0:1], v[112:113]
	v_fmac_f64_e32 v[60:61], v[254:255], v[200:201]
	v_add_f64 v[0:1], v[0:1], v[60:61]
	s_waitcnt vmcnt(12) lgkmcnt(5)
	v_mul_f64 v[64:65], v[52:53], v[6:7]
	scratch_load_dwordx4 v[60:63], off, off offset:656
	v_accvgpr_write_b32 a115, v7
	v_fmac_f64_e32 v[64:65], v[54:55], v[4:5]
	v_accvgpr_write_b32 a114, v6
	v_accvgpr_write_b32 a113, v5
	;; [unrolled: 1-line block ×3, first 2 shown]
	ds_read_b128 v[112:115], v2 offset:1344
	s_waitcnt vmcnt(12)
	v_mov_b64_e32 v[4:5], v[8:9]
	v_mov_b64_e32 v[6:7], v[10:11]
	s_waitcnt lgkmcnt(1)
	v_mul_f64 v[68:69], v[108:109], v[6:7]
	v_fmac_f64_e32 v[68:69], v[110:111], v[4:5]
	s_waitcnt vmcnt(11)
	v_mov_b64_e32 v[4:5], v[12:13]
	v_add_f64 v[0:1], v[0:1], v[64:65]
	v_mov_b64_e32 v[6:7], v[14:15]
	scratch_load_dwordx4 v[64:67], off, off offset:672
	v_add_f64 v[0:1], v[0:1], v[68:69]
	s_waitcnt lgkmcnt(0)
	v_mul_f64 v[68:69], v[112:113], v[6:7]
	v_fmac_f64_e32 v[68:69], v[114:115], v[4:5]
	v_add_f64 v[0:1], v[0:1], v[68:69]
	scratch_load_dwordx4 v[68:71], off, off offset:688
	s_waitcnt vmcnt(12)
	v_mul_f64 v[76:77], v[116:117], v[236:237]
	scratch_load_dwordx4 v[72:75], off, off offset:704
	v_fmac_f64_e32 v[76:77], v[118:119], v[234:235]
	v_add_f64 v[0:1], v[0:1], v[76:77]
	s_waitcnt vmcnt(12)
	v_mul_f64 v[76:77], v[120:121], v[22:23]
	v_fmac_f64_e32 v[76:77], v[122:123], v[20:21]
	v_add_f64 v[0:1], v[0:1], v[76:77]
	scratch_load_dwordx4 v[76:79], off, off offset:720
	v_mul_f64 v[82:83], v[134:135], v[82:83]
	v_fma_f64 v[240:241], v[132:133], v[80:81], -v[82:83]
	scratch_load_dwordx4 v[80:83], off, off offset:736
	v_mul_f64 v[86:87], v[138:139], v[86:87]
	v_fma_f64 v[246:247], v[136:137], v[84:85], -v[86:87]
	scratch_load_dwordx4 v[84:87], off, off offset:752
	v_mul_f64 v[90:91], v[142:143], v[90:91]
	s_waitcnt vmcnt(14)
	v_mul_f64 v[132:133], v[124:125], v[26:27]
	v_fma_f64 v[248:249], v[140:141], v[88:89], -v[90:91]
	scratch_load_dwordx4 v[88:91], off, off offset:768
	v_fmac_f64_e32 v[132:133], v[126:127], v[24:25]
	s_waitcnt vmcnt(14)
	v_mul_f64 v[136:137], v[128:129], v[30:31]
	v_mul_f64 v[94:95], v[150:151], v[94:95]
	v_add_f64 v[0:1], v[0:1], v[132:133]
	v_fmac_f64_e32 v[136:137], v[130:131], v[28:29]
	v_fma_f64 v[250:251], v[148:149], v[92:93], -v[94:95]
	v_mul_f64 v[92:93], v[162:163], v[98:99]
	ds_read_b128 v[132:135], v2 offset:1424
	v_add_f64 v[0:1], v[0:1], v[136:137]
	ds_read_b128 v[136:139], v2 offset:1440
	v_fma_f64 v[232:233], v[160:161], v[96:97], -v[92:93]
	scratch_load_dwordx4 v[96:99], off, off offset:784
	scratch_load_dwordx4 v[92:95], off, off offset:800
	v_mul_f64 v[102:103], v[174:175], v[102:103]
	v_fma_f64 v[238:239], v[172:173], v[100:101], -v[102:103]
	scratch_load_dwordx4 v[100:103], off, off offset:816
	v_mul_f64 v[106:107], v[186:187], v[106:107]
	v_fma_f64 v[16:17], v[184:185], v[104:105], -v[106:107]
	scratch_load_dwordx4 v[104:107], off, off offset:832
	s_waitcnt vmcnt(17) lgkmcnt(1)
	v_mul_f64 v[140:141], v[132:133], v[34:35]
	v_fmac_f64_e32 v[140:141], v[134:135], v[32:33]
	v_add_f64 v[0:1], v[0:1], v[140:141]
	ds_read_b128 v[140:143], v2 offset:1456
	v_accvgpr_write_b32 a123, v15
	v_mul_f64 v[6:7], v[198:199], v[146:147]
	v_accvgpr_write_b32 a122, v14
	v_accvgpr_write_b32 a121, v13
	;; [unrolled: 1-line block ×3, first 2 shown]
	v_fma_f64 v[12:13], v[196:197], v[144:145], -v[6:7]
	ds_read_b128 v[144:147], v2 offset:1472
	s_waitcnt vmcnt(16) lgkmcnt(2)
	v_mul_f64 v[148:149], v[136:137], v[38:39]
	v_fmac_f64_e32 v[148:149], v[138:139], v[36:37]
	v_add_f64 v[0:1], v[0:1], v[148:149]
	s_waitcnt vmcnt(15) lgkmcnt(1)
	v_mul_f64 v[6:7], v[140:141], v[42:43]
	ds_read_b128 v[148:151], v2 offset:1488
	v_fmac_f64_e32 v[6:7], v[142:143], v[40:41]
	v_add_f64 v[0:1], v[0:1], v[6:7]
	s_waitcnt vmcnt(14) lgkmcnt(1)
	v_mul_f64 v[6:7], v[144:145], v[46:47]
	v_fmac_f64_e32 v[6:7], v[146:147], v[44:45]
	v_accvgpr_write_b32 a119, v11
	v_add_f64 v[0:1], v[0:1], v[6:7]
	v_mul_f64 v[6:7], v[206:207], v[154:155]
	v_accvgpr_write_b32 a118, v10
	v_accvgpr_write_b32 a117, v9
	;; [unrolled: 1-line block ×3, first 2 shown]
	v_fma_f64 v[10:11], v[204:205], v[152:153], -v[6:7]
	ds_read_b128 v[152:155], v2 offset:1504
	s_waitcnt vmcnt(13) lgkmcnt(1)
	v_mul_f64 v[6:7], v[148:149], v[50:51]
	v_fmac_f64_e32 v[6:7], v[150:151], v[48:49]
	v_add_f64 v[0:1], v[0:1], v[6:7]
	v_mul_f64 v[6:7], v[210:211], v[158:159]
	v_fma_f64 v[8:9], v[208:209], v[156:157], -v[6:7]
	ds_read_b128 v[156:159], v2 offset:1520
	ds_read_b128 v[160:163], v2 offset:1536
	s_waitcnt vmcnt(12) lgkmcnt(2)
	v_mul_f64 v[6:7], v[152:153], v[58:59]
	v_fmac_f64_e32 v[6:7], v[154:155], v[56:57]
	v_add_f64 v[0:1], v[0:1], v[6:7]
	s_waitcnt vmcnt(11) lgkmcnt(1)
	v_mul_f64 v[6:7], v[156:157], v[62:63]
	v_fmac_f64_e32 v[6:7], v[158:159], v[60:61]
	v_add_f64 v[0:1], v[0:1], v[6:7]
	v_mul_f64 v[6:7], v[214:215], v[166:167]
	v_fma_f64 v[14:15], v[212:213], v[164:165], -v[6:7]
	ds_read_b128 v[164:167], v2 offset:1552
	v_mul_f64 v[170:171], v[218:219], v[170:171]
	v_fma_f64 v[4:5], v[216:217], v[168:169], -v[170:171]
	ds_read_b128 v[168:171], v2 offset:1568
	s_waitcnt vmcnt(10) lgkmcnt(2)
	v_mul_f64 v[6:7], v[160:161], v[66:67]
	v_fmac_f64_e32 v[6:7], v[162:163], v[64:65]
	v_add_f64 v[0:1], v[0:1], v[6:7]
	s_waitcnt vmcnt(9) lgkmcnt(1)
	v_mul_f64 v[6:7], v[164:165], v[70:71]
	ds_read_b128 v[172:175], v2 offset:1584
	v_fmac_f64_e32 v[6:7], v[166:167], v[68:69]
	v_add_f64 v[0:1], v[0:1], v[6:7]
	s_waitcnt vmcnt(8) lgkmcnt(1)
	v_mul_f64 v[6:7], v[168:169], v[74:75]
	v_fmac_f64_e32 v[6:7], v[170:171], v[72:73]
	v_add_f64 v[0:1], v[0:1], v[6:7]
	v_mul_f64 v[6:7], v[222:223], v[178:179]
	v_fma_f64 v[18:19], v[220:221], v[176:177], -v[6:7]
	ds_read_b128 v[176:179], v2 offset:1600
	s_waitcnt vmcnt(7) lgkmcnt(1)
	v_mul_f64 v[6:7], v[172:173], v[78:79]
	v_fmac_f64_e32 v[6:7], v[174:175], v[76:77]
	v_add_f64 v[0:1], v[0:1], v[6:7]
	v_mul_f64 v[6:7], v[226:227], v[182:183]
	v_fma_f64 v[6:7], v[224:225], v[180:181], -v[6:7]
	ds_read_b128 v[180:183], v2 offset:1616
	s_waitcnt vmcnt(6) lgkmcnt(1)
	v_mul_f64 v[184:185], v[176:177], v[82:83]
	v_fmac_f64_e32 v[184:185], v[178:179], v[80:81]
	v_add_f64 v[0:1], v[0:1], v[184:185]
	ds_read_b128 v[184:187], v2 offset:1632
	s_waitcnt vmcnt(5) lgkmcnt(1)
	v_mul_f64 v[196:197], v[180:181], v[86:87]
	v_fmac_f64_e32 v[196:197], v[182:183], v[84:85]
	v_add_f64 v[196:197], v[0:1], v[196:197]
	v_mul_f64 v[0:1], v[230:231], v[190:191]
	v_fma_f64 v[0:1], v[228:229], v[188:189], -v[0:1]
	ds_read_b128 v[188:191], v2 offset:1648
	s_waitcnt vmcnt(4) lgkmcnt(1)
	v_mul_f64 v[198:199], v[184:185], v[90:91]
	v_fmac_f64_e32 v[198:199], v[186:187], v[88:89]
	v_mul_f64 v[194:195], v[244:245], v[194:195]
	v_fma_f64 v[244:245], v[242:243], v[192:193], -v[194:195]
	ds_read_b128 v[192:195], v2 offset:1664
	v_add_f64 v[196:197], v[196:197], v[198:199]
	s_waitcnt vmcnt(3) lgkmcnt(1)
	v_mul_f64 v[198:199], v[188:189], v[98:99]
	v_fmac_f64_e32 v[198:199], v[190:191], v[96:97]
	v_add_f64 v[204:205], v[196:197], v[198:199]
	ds_read_b128 v[196:199], v2 offset:1680
	v_mul_f64 v[202:203], v[254:255], v[202:203]
	v_fma_f64 v[242:243], v[252:253], v[200:201], -v[202:203]
	ds_read_b128 v[200:203], v2 offset:1696
	s_waitcnt vmcnt(2) lgkmcnt(2)
	v_mul_f64 v[206:207], v[192:193], v[94:95]
	v_fmac_f64_e32 v[206:207], v[194:195], v[92:93]
	v_add_f64 v[204:205], v[204:205], v[206:207]
	s_waitcnt vmcnt(1) lgkmcnt(1)
	v_mul_f64 v[206:207], v[196:197], v[102:103]
	v_fmac_f64_e32 v[206:207], v[198:199], v[100:101]
	v_add_f64 v[204:205], v[204:205], v[206:207]
	s_waitcnt vmcnt(0) lgkmcnt(0)
	v_mul_f64 v[206:207], v[200:201], v[106:107]
	v_fmac_f64_e32 v[206:207], v[202:203], v[104:105]
	v_add_f64 v[212:213], v[204:205], v[206:207]
	scratch_load_dwordx4 v[204:207], off, off offset:848
	ds_read_b128 v[208:211], v2 offset:1712
	ds_read_b128 v[216:219], v2 offset:1728
	;; [unrolled: 1-line block ×3, first 2 shown]
	s_waitcnt vmcnt(0) lgkmcnt(2)
	v_mul_f64 v[214:215], v[208:209], v[206:207]
	v_fmac_f64_e32 v[214:215], v[210:211], v[204:205]
	v_add_f64 v[220:221], v[212:213], v[214:215]
	scratch_load_dwordx4 v[212:215], off, off offset:864
	s_waitcnt vmcnt(0) lgkmcnt(1)
	v_mul_f64 v[222:223], v[216:217], v[214:215]
	v_fmac_f64_e32 v[222:223], v[218:219], v[212:213]
	v_add_f64 v[228:229], v[220:221], v[222:223]
	scratch_load_dwordx4 v[220:223], off, off offset:880
	s_waitcnt vmcnt(0) lgkmcnt(0)
	v_mul_f64 v[230:231], v[224:225], v[222:223]
	v_fmac_f64_e32 v[230:231], v[226:227], v[220:221]
	v_add_f64 v[254:255], v[228:229], v[230:231]
	v_add_f64 v[228:229], v[240:241], 0
	;; [unrolled: 1-line block ×8, first 2 shown]
	scratch_load_dwordx4 v[228:231], off, off offset:160
	v_add_f64 v[12:13], v[16:17], v[12:13]
	v_add_f64 v[10:11], v[12:13], v[10:11]
	;; [unrolled: 1-line block ×7, first 2 shown]
	v_accvgpr_read_b32 v6, a112
	v_accvgpr_read_b32 v8, a114
	;; [unrolled: 1-line block ×3, first 2 shown]
	v_add_f64 v[0:1], v[4:5], v[0:1]
	v_accvgpr_read_b32 v7, a113
	v_mul_f64 v[4:5], v[54:55], v[8:9]
	v_add_f64 v[0:1], v[0:1], v[244:245]
	v_fma_f64 v[4:5], v[52:53], v[6:7], -v[4:5]
	v_accvgpr_read_b32 v6, a116
	v_add_f64 v[0:1], v[0:1], v[242:243]
	v_accvgpr_read_b32 v8, a118
	v_accvgpr_read_b32 v9, a119
	v_add_f64 v[0:1], v[0:1], v[4:5]
	v_accvgpr_read_b32 v7, a117
	v_mul_f64 v[4:5], v[110:111], v[8:9]
	v_fma_f64 v[4:5], v[108:109], v[6:7], -v[4:5]
	v_accvgpr_read_b32 v6, a120
	v_accvgpr_read_b32 v8, a122
	;; [unrolled: 1-line block ×3, first 2 shown]
	v_add_f64 v[0:1], v[0:1], v[4:5]
	v_accvgpr_read_b32 v7, a121
	v_mul_f64 v[4:5], v[114:115], v[8:9]
	v_fma_f64 v[4:5], v[112:113], v[6:7], -v[4:5]
	v_add_f64 v[0:1], v[0:1], v[4:5]
	v_mul_f64 v[4:5], v[118:119], v[236:237]
	v_fma_f64 v[4:5], v[116:117], v[234:235], -v[4:5]
	v_add_f64 v[0:1], v[0:1], v[4:5]
	;; [unrolled: 3-line block ×26, first 2 shown]
	s_waitcnt vmcnt(0)
	v_add_f64 v[4:5], v[228:229], -v[0:1]
	v_accvgpr_read_b32 v0, a110
	v_add_f64 v[6:7], v[230:231], -v[254:255]
	v_cmp_lt_u32_e32 vcc, 8, v0
	scratch_store_dwordx4 off, v[4:7], off offset:160
	s_and_saveexec_b64 s[0:1], vcc
	s_cbranch_execz .LBB118_327
; %bb.326:
	scratch_load_dwordx4 v[6:9], off, s63
	v_mov_b32_e32 v3, v2
	v_mov_b32_e32 v4, v2
	;; [unrolled: 1-line block ×3, first 2 shown]
	v_accvgpr_read_b32 v0, a111
	scratch_store_dwordx4 off, v[2:5], off offset:144
	s_waitcnt vmcnt(1)
	ds_write_b128 v0, v[6:9]
.LBB118_327:
	s_or_b64 exec, exec, s[0:1]
	s_waitcnt lgkmcnt(0)
	; wave barrier
	scratch_load_dwordx4 v[80:83], off, off offset:160
	scratch_load_dwordx4 v[84:87], off, off offset:176
	;; [unrolled: 1-line block ×17, first 2 shown]
	ds_read_b128 v[136:139], v2 offset:1024
	ds_read_b128 v[132:135], v2 offset:1040
	scratch_load_dwordx4 v[4:7], off, off offset:432
	ds_read_b128 v[236:239], v2 offset:1056
	ds_read_b128 v[228:231], v2 offset:1072
	;; [unrolled: 1-line block ×5, first 2 shown]
	scratch_load_dwordx4 v[8:11], off, off offset:448
	ds_read_b128 v[232:235], v2 offset:1136
	ds_read_b128 v[216:219], v2 offset:1152
	;; [unrolled: 1-line block ×3, first 2 shown]
	scratch_load_dwordx4 v[12:15], off, off offset:464
	ds_read_b128 v[220:223], v2 offset:1184
	ds_read_b128 v[172:175], v2 offset:1200
	;; [unrolled: 1-line block ×5, first 2 shown]
	scratch_load_dwordx4 v[16:19], off, off offset:480
	ds_read_b128 v[208:211], v2 offset:1264
	ds_read_b128 v[204:207], v2 offset:1280
	;; [unrolled: 1-line block ×3, first 2 shown]
	scratch_load_dwordx4 v[24:27], off, off offset:496
	scratch_load_dwordx4 v[28:31], off, off offset:512
	;; [unrolled: 1-line block ×8, first 2 shown]
	ds_read_b128 v[116:119], v2 offset:1344
	ds_read_b128 v[120:123], v2 offset:1360
	;; [unrolled: 1-line block ×4, first 2 shown]
	s_waitcnt vmcnt(28) lgkmcnt(14)
	v_mul_f64 v[0:1], v[136:137], v[82:83]
	s_waitcnt vmcnt(27)
	v_mul_f64 v[56:57], v[132:133], v[86:87]
	v_fmac_f64_e32 v[0:1], v[138:139], v[80:81]
	s_waitcnt vmcnt(26)
	v_mul_f64 v[58:59], v[236:237], v[90:91]
	v_fmac_f64_e32 v[56:57], v[134:135], v[84:85]
	v_add_f64 v[0:1], v[0:1], 0
	s_waitcnt vmcnt(25)
	v_mul_f64 v[60:61], v[228:229], v[94:95]
	v_fmac_f64_e32 v[58:59], v[238:239], v[88:89]
	v_add_f64 v[0:1], v[0:1], v[56:57]
	;; [unrolled: 4-line block ×6, first 2 shown]
	s_waitcnt vmcnt(20) lgkmcnt(13)
	v_mul_f64 v[70:71], v[216:217], v[154:155]
	v_fmac_f64_e32 v[68:69], v[234:235], v[144:145]
	v_add_f64 v[0:1], v[0:1], v[66:67]
	s_waitcnt vmcnt(19) lgkmcnt(12)
	v_mul_f64 v[72:73], v[160:161], v[158:159]
	v_fmac_f64_e32 v[70:71], v[218:219], v[152:153]
	v_add_f64 v[0:1], v[0:1], v[68:69]
	;; [unrolled: 4-line block ×7, first 2 shown]
	v_fmac_f64_e32 v[110:111], v[198:199], v[188:189]
	v_add_f64 v[0:1], v[0:1], v[108:109]
	s_waitcnt vmcnt(13) lgkmcnt(6)
	v_mul_f64 v[112:113], v[208:209], v[194:195]
	v_add_f64 v[0:1], v[0:1], v[110:111]
	scratch_load_dwordx4 v[56:59], off, off offset:624
	scratch_load_dwordx4 v[60:63], off, off offset:640
	ds_read_b128 v[108:111], v2 offset:1312
	s_waitcnt vmcnt(14) lgkmcnt(6)
	v_mul_f64 v[114:115], v[204:205], v[202:203]
	v_fmac_f64_e32 v[112:113], v[210:211], v[192:193]
	v_add_f64 v[0:1], v[0:1], v[112:113]
	v_fmac_f64_e32 v[114:115], v[206:207], v[200:201]
	s_waitcnt vmcnt(13) lgkmcnt(5)
	v_mul_f64 v[64:65], v[20:21], v[6:7]
	v_accvgpr_write_b32 a115, v7
	v_add_f64 v[0:1], v[0:1], v[114:115]
	v_fmac_f64_e32 v[64:65], v[22:23], v[4:5]
	v_accvgpr_write_b32 a114, v6
	v_accvgpr_write_b32 a113, v5
	;; [unrolled: 1-line block ×3, first 2 shown]
	ds_read_b128 v[112:115], v2 offset:1328
	s_waitcnt vmcnt(12)
	v_mov_b64_e32 v[4:5], v[8:9]
	v_mov_b64_e32 v[6:7], v[10:11]
	s_waitcnt lgkmcnt(1)
	v_mul_f64 v[68:69], v[108:109], v[6:7]
	v_fmac_f64_e32 v[68:69], v[110:111], v[4:5]
	s_waitcnt vmcnt(11)
	v_mov_b64_e32 v[4:5], v[12:13]
	v_add_f64 v[0:1], v[0:1], v[64:65]
	v_mov_b64_e32 v[6:7], v[14:15]
	v_add_f64 v[0:1], v[0:1], v[68:69]
	s_waitcnt lgkmcnt(0)
	v_mul_f64 v[68:69], v[112:113], v[6:7]
	scratch_load_dwordx4 v[64:67], off, off offset:656
	v_fmac_f64_e32 v[68:69], v[114:115], v[4:5]
	v_add_f64 v[0:1], v[0:1], v[68:69]
	scratch_load_dwordx4 v[68:71], off, off offset:672
	scratch_load_dwordx4 v[72:75], off, off offset:688
	s_waitcnt vmcnt(13)
	v_mul_f64 v[76:77], v[116:117], v[18:19]
	v_fmac_f64_e32 v[76:77], v[118:119], v[16:17]
	v_add_f64 v[0:1], v[0:1], v[76:77]
	s_waitcnt vmcnt(12)
	v_mul_f64 v[76:77], v[120:121], v[26:27]
	v_fmac_f64_e32 v[76:77], v[122:123], v[24:25]
	v_add_f64 v[0:1], v[0:1], v[76:77]
	scratch_load_dwordx4 v[76:79], off, off offset:704
	v_mul_f64 v[82:83], v[138:139], v[82:83]
	v_fma_f64 v[240:241], v[136:137], v[80:81], -v[82:83]
	scratch_load_dwordx4 v[80:83], off, off offset:720
	v_mul_f64 v[86:87], v[134:135], v[86:87]
	v_fma_f64 v[244:245], v[132:133], v[84:85], -v[86:87]
	scratch_load_dwordx4 v[84:87], off, off offset:736
	s_waitcnt vmcnt(14)
	v_mul_f64 v[136:137], v[124:125], v[30:31]
	v_mul_f64 v[90:91], v[238:239], v[90:91]
	v_fmac_f64_e32 v[136:137], v[126:127], v[28:29]
	v_fma_f64 v[236:237], v[236:237], v[88:89], -v[90:91]
	scratch_load_dwordx4 v[88:91], off, off offset:752
	v_add_f64 v[0:1], v[0:1], v[136:137]
	s_waitcnt vmcnt(14)
	v_mul_f64 v[136:137], v[128:129], v[34:35]
	v_mul_f64 v[94:95], v[230:231], v[94:95]
	v_fmac_f64_e32 v[136:137], v[130:131], v[32:33]
	v_fma_f64 v[238:239], v[228:229], v[92:93], -v[94:95]
	v_mul_f64 v[92:93], v[226:227], v[98:99]
	ds_read_b128 v[132:135], v2 offset:1408
	v_add_f64 v[0:1], v[0:1], v[136:137]
	ds_read_b128 v[136:139], v2 offset:1424
	v_fma_f64 v[246:247], v[224:225], v[96:97], -v[92:93]
	scratch_load_dwordx4 v[96:99], off, off offset:768
	scratch_load_dwordx4 v[92:95], off, off offset:784
	v_mul_f64 v[102:103], v[150:151], v[102:103]
	v_fma_f64 v[248:249], v[148:149], v[100:101], -v[102:103]
	scratch_load_dwordx4 v[100:103], off, off offset:800
	v_mul_f64 v[106:107], v[142:143], v[106:107]
	v_fma_f64 v[250:251], v[140:141], v[104:105], -v[106:107]
	v_mul_f64 v[104:105], v[234:235], v[146:147]
	v_fma_f64 v[254:255], v[232:233], v[144:145], -v[104:105]
	scratch_load_dwordx4 v[104:107], off, off offset:816
	ds_read_b128 v[140:143], v2 offset:1440
	ds_read_b128 v[144:147], v2 offset:1456
	s_waitcnt vmcnt(17) lgkmcnt(3)
	v_mul_f64 v[228:229], v[132:133], v[38:39]
	v_fmac_f64_e32 v[228:229], v[134:135], v[36:37]
	s_waitcnt vmcnt(16) lgkmcnt(2)
	v_mul_f64 v[224:225], v[136:137], v[42:43]
	v_add_f64 v[0:1], v[0:1], v[228:229]
	v_fmac_f64_e32 v[224:225], v[138:139], v[40:41]
	s_waitcnt vmcnt(15) lgkmcnt(1)
	v_mul_f64 v[148:149], v[140:141], v[46:47]
	v_add_f64 v[0:1], v[0:1], v[224:225]
	v_fmac_f64_e32 v[148:149], v[142:143], v[44:45]
	v_add_f64 v[0:1], v[0:1], v[148:149]
	ds_read_b128 v[148:151], v2 offset:1472
	v_mul_f64 v[154:155], v[218:219], v[154:155]
	v_fma_f64 v[242:243], v[216:217], v[152:153], -v[154:155]
	ds_read_b128 v[152:155], v2 offset:1488
	v_accvgpr_write_b32 a123, v15
	v_mul_f64 v[158:159], v[162:163], v[158:159]
	v_accvgpr_write_b32 a122, v14
	v_accvgpr_write_b32 a121, v13
	;; [unrolled: 1-line block ×3, first 2 shown]
	v_fma_f64 v[12:13], v[160:161], v[156:157], -v[158:159]
	ds_read_b128 v[156:159], v2 offset:1504
	ds_read_b128 v[160:163], v2 offset:1520
	s_waitcnt vmcnt(14) lgkmcnt(4)
	v_mul_f64 v[224:225], v[144:145], v[50:51]
	v_fmac_f64_e32 v[224:225], v[146:147], v[48:49]
	s_waitcnt vmcnt(13) lgkmcnt(3)
	v_mul_f64 v[216:217], v[148:149], v[54:55]
	v_add_f64 v[0:1], v[0:1], v[224:225]
	v_fmac_f64_e32 v[216:217], v[150:151], v[52:53]
	s_waitcnt vmcnt(12) lgkmcnt(2)
	v_mul_f64 v[6:7], v[152:153], v[58:59]
	v_add_f64 v[0:1], v[0:1], v[216:217]
	v_fmac_f64_e32 v[6:7], v[154:155], v[56:57]
	v_add_f64 v[0:1], v[0:1], v[6:7]
	s_waitcnt vmcnt(11) lgkmcnt(1)
	v_mul_f64 v[6:7], v[156:157], v[62:63]
	v_fmac_f64_e32 v[6:7], v[158:159], v[60:61]
	v_accvgpr_write_b32 a119, v11
	v_add_f64 v[0:1], v[0:1], v[6:7]
	v_mul_f64 v[6:7], v[222:223], v[166:167]
	v_accvgpr_write_b32 a118, v10
	v_accvgpr_write_b32 a117, v9
	;; [unrolled: 1-line block ×3, first 2 shown]
	v_fma_f64 v[8:9], v[220:221], v[164:165], -v[6:7]
	ds_read_b128 v[164:167], v2 offset:1536
	v_mul_f64 v[170:171], v[174:175], v[170:171]
	v_fma_f64 v[6:7], v[172:173], v[168:169], -v[170:171]
	ds_read_b128 v[168:171], v2 offset:1552
	s_waitcnt vmcnt(10) lgkmcnt(2)
	v_mul_f64 v[216:217], v[160:161], v[66:67]
	v_fmac_f64_e32 v[216:217], v[162:163], v[64:65]
	s_waitcnt vmcnt(9) lgkmcnt(1)
	v_mul_f64 v[10:11], v[164:165], v[70:71]
	v_add_f64 v[0:1], v[0:1], v[216:217]
	v_fmac_f64_e32 v[10:11], v[166:167], v[68:69]
	v_add_f64 v[0:1], v[0:1], v[10:11]
	s_waitcnt vmcnt(8) lgkmcnt(0)
	v_mul_f64 v[10:11], v[168:169], v[74:75]
	v_fmac_f64_e32 v[10:11], v[170:171], v[72:73]
	ds_read_b128 v[172:175], v2 offset:1568
	v_add_f64 v[0:1], v[0:1], v[10:11]
	v_mul_f64 v[10:11], v[214:215], v[178:179]
	v_fma_f64 v[10:11], v[212:213], v[176:177], -v[10:11]
	ds_read_b128 v[176:179], v2 offset:1584
	v_mul_f64 v[182:183], v[186:187], v[182:183]
	v_fma_f64 v[4:5], v[184:185], v[180:181], -v[182:183]
	ds_read_b128 v[180:183], v2 offset:1600
	ds_read_b128 v[184:187], v2 offset:1616
	s_waitcnt vmcnt(7) lgkmcnt(3)
	v_mul_f64 v[212:213], v[172:173], v[78:79]
	v_fmac_f64_e32 v[212:213], v[174:175], v[76:77]
	s_waitcnt vmcnt(6) lgkmcnt(2)
	v_mul_f64 v[14:15], v[176:177], v[82:83]
	v_add_f64 v[0:1], v[0:1], v[212:213]
	v_fmac_f64_e32 v[14:15], v[178:179], v[80:81]
	v_add_f64 v[0:1], v[0:1], v[14:15]
	s_waitcnt vmcnt(5) lgkmcnt(1)
	v_mul_f64 v[14:15], v[180:181], v[86:87]
	v_fmac_f64_e32 v[14:15], v[182:183], v[84:85]
	v_add_f64 v[14:15], v[0:1], v[14:15]
	v_mul_f64 v[0:1], v[198:199], v[190:191]
	v_fma_f64 v[0:1], v[196:197], v[188:189], -v[0:1]
	ds_read_b128 v[188:191], v2 offset:1632
	v_mul_f64 v[194:195], v[210:211], v[194:195]
	s_waitcnt vmcnt(4) lgkmcnt(1)
	v_mul_f64 v[196:197], v[184:185], v[90:91]
	v_fma_f64 v[192:193], v[208:209], v[192:193], -v[194:195]
	v_fmac_f64_e32 v[196:197], v[186:187], v[88:89]
	v_accvgpr_write_b32 a124, v192
	v_accvgpr_write_b32 a125, v193
	ds_read_b128 v[192:195], v2 offset:1648
	v_add_f64 v[14:15], v[14:15], v[196:197]
	s_waitcnt vmcnt(3) lgkmcnt(1)
	v_mul_f64 v[196:197], v[188:189], v[98:99]
	v_fmac_f64_e32 v[196:197], v[190:191], v[96:97]
	v_add_f64 v[14:15], v[14:15], v[196:197]
	ds_read_b128 v[196:199], v2 offset:1664
	v_mul_f64 v[202:203], v[206:207], v[202:203]
	v_fma_f64 v[252:253], v[204:205], v[200:201], -v[202:203]
	ds_read_b128 v[200:203], v2 offset:1680
	s_waitcnt vmcnt(2) lgkmcnt(2)
	v_mul_f64 v[204:205], v[192:193], v[94:95]
	v_fmac_f64_e32 v[204:205], v[194:195], v[92:93]
	v_add_f64 v[14:15], v[14:15], v[204:205]
	s_waitcnt vmcnt(1) lgkmcnt(1)
	v_mul_f64 v[204:205], v[196:197], v[102:103]
	v_fmac_f64_e32 v[204:205], v[198:199], v[100:101]
	v_add_f64 v[14:15], v[14:15], v[204:205]
	;; [unrolled: 4-line block ×3, first 2 shown]
	scratch_load_dwordx4 v[204:207], off, off offset:832
	scratch_load_dwordx4 v[232:235], off, off offset:880
	ds_read_b128 v[208:211], v2 offset:1696
	ds_read_b128 v[216:219], v2 offset:1712
	;; [unrolled: 1-line block ×3, first 2 shown]
	s_waitcnt vmcnt(1) lgkmcnt(2)
	v_mul_f64 v[212:213], v[208:209], v[206:207]
	v_fmac_f64_e32 v[212:213], v[210:211], v[204:205]
	v_add_f64 v[14:15], v[14:15], v[212:213]
	scratch_load_dwordx4 v[212:215], off, off offset:848
	s_waitcnt vmcnt(0) lgkmcnt(1)
	v_mul_f64 v[220:221], v[216:217], v[214:215]
	v_fmac_f64_e32 v[220:221], v[218:219], v[212:213]
	v_add_f64 v[14:15], v[14:15], v[220:221]
	scratch_load_dwordx4 v[220:223], off, off offset:864
	s_waitcnt vmcnt(0) lgkmcnt(0)
	v_mul_f64 v[228:229], v[224:225], v[222:223]
	v_fmac_f64_e32 v[228:229], v[226:227], v[220:221]
	v_add_f64 v[14:15], v[14:15], v[228:229]
	ds_read_b128 v[228:231], v2 offset:1744
	s_waitcnt lgkmcnt(0)
	v_mul_f64 v[2:3], v[228:229], v[234:235]
	v_fmac_f64_e32 v[2:3], v[230:231], v[232:233]
	v_add_f64 v[2:3], v[14:15], v[2:3]
	v_add_f64 v[14:15], v[240:241], 0
	;; [unrolled: 1-line block ×5, first 2 shown]
	scratch_load_dwordx4 v[236:239], off, off offset:144
	v_add_f64 v[14:15], v[14:15], v[246:247]
	v_add_f64 v[14:15], v[14:15], v[248:249]
	;; [unrolled: 1-line block ×10, first 2 shown]
	v_accvgpr_read_b32 v6, a112
	v_add_f64 v[254:255], v[4:5], v[0:1]
	v_accvgpr_read_b32 v0, a124
	v_accvgpr_read_b32 v8, a114
	;; [unrolled: 1-line block ×5, first 2 shown]
	v_mul_f64 v[4:5], v[22:23], v[8:9]
	v_add_f64 v[0:1], v[254:255], v[0:1]
	v_fma_f64 v[4:5], v[20:21], v[6:7], -v[4:5]
	v_accvgpr_read_b32 v6, a116
	v_add_f64 v[0:1], v[0:1], v[252:253]
	v_accvgpr_read_b32 v8, a118
	v_accvgpr_read_b32 v9, a119
	v_add_f64 v[0:1], v[0:1], v[4:5]
	v_accvgpr_read_b32 v7, a117
	v_mul_f64 v[4:5], v[110:111], v[8:9]
	v_fma_f64 v[4:5], v[108:109], v[6:7], -v[4:5]
	v_accvgpr_read_b32 v6, a120
	v_accvgpr_read_b32 v8, a122
	;; [unrolled: 1-line block ×3, first 2 shown]
	v_add_f64 v[0:1], v[0:1], v[4:5]
	v_accvgpr_read_b32 v7, a121
	v_mul_f64 v[4:5], v[114:115], v[8:9]
	v_fma_f64 v[4:5], v[112:113], v[6:7], -v[4:5]
	v_add_f64 v[0:1], v[0:1], v[4:5]
	v_mul_f64 v[4:5], v[118:119], v[18:19]
	v_fma_f64 v[4:5], v[116:117], v[16:17], -v[4:5]
	v_add_f64 v[0:1], v[0:1], v[4:5]
	;; [unrolled: 3-line block ×27, first 2 shown]
	s_waitcnt vmcnt(0)
	v_add_f64 v[4:5], v[236:237], -v[0:1]
	v_accvgpr_read_b32 v0, a110
	v_add_f64 v[6:7], v[238:239], -v[2:3]
	v_cmp_lt_u32_e32 vcc, 7, v0
	scratch_store_dwordx4 off, v[4:7], off offset:144
	s_and_saveexec_b64 s[0:1], vcc
	s_cbranch_execz .LBB118_329
; %bb.328:
	scratch_load_dwordx4 v[2:5], off, s64
	v_mov_b32_e32 v6, 0
	v_mov_b32_e32 v7, v6
	;; [unrolled: 1-line block ×4, first 2 shown]
	v_accvgpr_read_b32 v0, a111
	scratch_store_dwordx4 off, v[6:9], off offset:128
	s_waitcnt vmcnt(1)
	ds_write_b128 v0, v[2:5]
.LBB118_329:
	s_or_b64 exec, exec, s[0:1]
	s_waitcnt lgkmcnt(0)
	; wave barrier
	scratch_load_dwordx4 v[68:71], off, off offset:144
	scratch_load_dwordx4 v[72:75], off, off offset:160
	;; [unrolled: 1-line block ×28, first 2 shown]
	v_mov_b32_e32 v2, 0
	ds_read_b128 v[124:127], v2 offset:1008
	ds_read_b128 v[128:131], v2 offset:1024
	;; [unrolled: 1-line block ×23, first 2 shown]
	s_waitcnt vmcnt(27) lgkmcnt(14)
	v_mul_f64 v[0:1], v[124:125], v[70:71]
	s_waitcnt vmcnt(26)
	v_mul_f64 v[40:41], v[128:129], v[74:75]
	v_fmac_f64_e32 v[0:1], v[126:127], v[68:69]
	s_waitcnt vmcnt(25)
	v_mul_f64 v[42:43], v[132:133], v[78:79]
	v_fmac_f64_e32 v[40:41], v[130:131], v[72:73]
	v_add_f64 v[0:1], v[0:1], 0
	s_waitcnt vmcnt(24)
	v_mul_f64 v[44:45], v[136:137], v[82:83]
	v_fmac_f64_e32 v[42:43], v[134:135], v[76:77]
	v_add_f64 v[0:1], v[0:1], v[40:41]
	;; [unrolled: 4-line block ×7, first 2 shown]
	s_waitcnt vmcnt(18) lgkmcnt(13)
	v_mul_f64 v[56:57], v[200:201], v[146:147]
	v_fmac_f64_e32 v[54:55], v[194:195], v[112:113]
	v_add_f64 v[0:1], v[0:1], v[52:53]
	s_waitcnt vmcnt(17) lgkmcnt(12)
	v_mul_f64 v[58:59], v[204:205], v[150:151]
	v_fmac_f64_e32 v[56:57], v[202:203], v[144:145]
	v_add_f64 v[0:1], v[0:1], v[54:55]
	;; [unrolled: 4-line block ×7, first 2 shown]
	scratch_load_dwordx4 v[40:43], off, off offset:592
	scratch_load_dwordx4 v[44:47], off, off offset:608
	s_waitcnt vmcnt(13) lgkmcnt(6)
	v_mul_f64 v[102:103], v[228:229], v[186:187]
	v_fmac_f64_e32 v[100:101], v[226:227], v[176:177]
	v_add_f64 v[0:1], v[0:1], v[66:67]
	v_add_f64 v[0:1], v[0:1], v[100:101]
	v_fmac_f64_e32 v[102:103], v[230:231], v[184:185]
	v_add_f64 v[0:1], v[0:1], v[102:103]
	ds_read_b128 v[100:103], v2 offset:1312
	s_waitcnt vmcnt(12) lgkmcnt(6)
	v_mul_f64 v[48:49], v[242:243], v[190:191]
	v_fmac_f64_e32 v[48:49], v[244:245], v[188:189]
	v_add_f64 v[0:1], v[0:1], v[48:49]
	s_waitcnt vmcnt(11) lgkmcnt(5)
	v_mul_f64 v[48:49], v[252:253], v[198:199]
	v_fmac_f64_e32 v[48:49], v[254:255], v[196:197]
	v_add_f64 v[0:1], v[0:1], v[48:49]
	scratch_load_dwordx4 v[48:51], off, off offset:624
	scratch_load_dwordx4 v[52:55], off, off offset:640
	s_waitcnt vmcnt(12) lgkmcnt(0)
	v_mul_f64 v[56:57], v[100:101], v[6:7]
	v_accvgpr_write_b32 a115, v7
	v_fmac_f64_e32 v[56:57], v[102:103], v[4:5]
	v_accvgpr_write_b32 a114, v6
	v_accvgpr_write_b32 a113, v5
	;; [unrolled: 1-line block ×3, first 2 shown]
	s_waitcnt vmcnt(11)
	v_mov_b64_e32 v[4:5], v[8:9]
	v_mov_b64_e32 v[6:7], v[10:11]
	v_add_f64 v[0:1], v[0:1], v[56:57]
	v_mul_f64 v[56:57], v[104:105], v[6:7]
	v_fmac_f64_e32 v[56:57], v[106:107], v[4:5]
	v_add_f64 v[0:1], v[0:1], v[56:57]
	scratch_load_dwordx4 v[56:59], off, off offset:656
	s_waitcnt vmcnt(11)
	v_mov_b64_e32 v[4:5], v[12:13]
	v_mov_b64_e32 v[6:7], v[14:15]
	v_mul_f64 v[60:61], v[108:109], v[6:7]
	v_fmac_f64_e32 v[60:61], v[110:111], v[4:5]
	s_waitcnt vmcnt(10)
	v_mov_b64_e32 v[4:5], v[16:17]
	v_mov_b64_e32 v[6:7], v[18:19]
	v_add_f64 v[0:1], v[0:1], v[60:61]
	scratch_load_dwordx4 v[60:63], off, off offset:672
	v_mul_f64 v[64:65], v[116:117], v[6:7]
	v_fmac_f64_e32 v[64:65], v[118:119], v[4:5]
	v_add_f64 v[0:1], v[0:1], v[64:65]
	scratch_load_dwordx4 v[64:67], off, off offset:688
	v_mul_f64 v[70:71], v[126:127], v[70:71]
	v_fma_f64 v[240:241], v[124:125], v[68:69], -v[70:71]
	s_waitcnt vmcnt(11)
	v_mul_f64 v[124:125], v[120:121], v[236:237]
	scratch_load_dwordx4 v[68:71], off, off offset:704
	v_fmac_f64_e32 v[124:125], v[122:123], v[234:235]
	v_mul_f64 v[74:75], v[130:131], v[74:75]
	v_mul_f64 v[78:79], v[134:135], v[78:79]
	v_add_f64 v[0:1], v[0:1], v[124:125]
	v_fma_f64 v[246:247], v[128:129], v[72:73], -v[74:75]
	ds_read_b128 v[124:127], v2 offset:1392
	ds_read_b128 v[128:131], v2 offset:1408
	scratch_load_dwordx4 v[72:75], off, off offset:720
	v_fma_f64 v[248:249], v[132:133], v[76:77], -v[78:79]
	v_mul_f64 v[76:77], v[138:139], v[82:83]
	v_fma_f64 v[250:251], v[136:137], v[80:81], -v[76:77]
	scratch_load_dwordx4 v[76:79], off, off offset:736
	s_waitcnt vmcnt(13) lgkmcnt(1)
	v_mul_f64 v[132:133], v[124:125], v[26:27]
	v_fmac_f64_e32 v[132:133], v[126:127], v[24:25]
	v_add_f64 v[0:1], v[0:1], v[132:133]
	s_waitcnt vmcnt(12) lgkmcnt(0)
	v_mul_f64 v[132:133], v[128:129], v[30:31]
	scratch_load_dwordx4 v[80:83], off, off offset:752
	v_fmac_f64_e32 v[132:133], v[130:131], v[28:29]
	v_mul_f64 v[86:87], v[142:143], v[86:87]
	v_add_f64 v[0:1], v[0:1], v[132:133]
	v_fma_f64 v[232:233], v[140:141], v[84:85], -v[86:87]
	ds_read_b128 v[132:135], v2 offset:1424
	v_mul_f64 v[84:85], v[158:159], v[90:91]
	v_fma_f64 v[238:239], v[156:157], v[88:89], -v[84:85]
	scratch_load_dwordx4 v[88:91], off, off offset:768
	scratch_load_dwordx4 v[84:87], off, off offset:784
	v_accvgpr_write_b32 a127, v19
	s_waitcnt vmcnt(14) lgkmcnt(0)
	v_mul_f64 v[6:7], v[132:133], v[34:35]
	v_fmac_f64_e32 v[6:7], v[134:135], v[32:33]
	v_mul_f64 v[94:95], v[170:171], v[94:95]
	v_add_f64 v[0:1], v[0:1], v[6:7]
	v_mul_f64 v[6:7], v[182:183], v[98:99]
	v_accvgpr_write_b32 a126, v18
	v_accvgpr_write_b32 a125, v17
	;; [unrolled: 1-line block ×3, first 2 shown]
	v_fma_f64 v[20:21], v[168:169], v[92:93], -v[94:95]
	ds_read_b128 v[136:139], v2 offset:1440
	v_fma_f64 v[16:17], v[180:181], v[96:97], -v[6:7]
	scratch_load_dwordx4 v[96:99], off, off offset:800
	scratch_load_dwordx4 v[92:95], off, off offset:816
	v_accvgpr_write_b32 a123, v15
	v_mul_f64 v[6:7], v[194:195], v[114:115]
	v_accvgpr_write_b32 a122, v14
	v_accvgpr_write_b32 a121, v13
	;; [unrolled: 1-line block ×3, first 2 shown]
	v_fma_f64 v[12:13], v[192:193], v[112:113], -v[6:7]
	scratch_load_dwordx4 v[112:115], off, off offset:832
	ds_read_b128 v[140:143], v2 offset:1456
	s_waitcnt vmcnt(16) lgkmcnt(1)
	v_mul_f64 v[6:7], v[136:137], v[38:39]
	v_fmac_f64_e32 v[6:7], v[138:139], v[36:37]
	v_accvgpr_write_b32 a119, v11
	v_add_f64 v[0:1], v[0:1], v[6:7]
	v_mul_f64 v[6:7], v[202:203], v[146:147]
	v_accvgpr_write_b32 a118, v10
	v_accvgpr_write_b32 a117, v9
	;; [unrolled: 1-line block ×3, first 2 shown]
	v_fma_f64 v[10:11], v[200:201], v[144:145], -v[6:7]
	ds_read_b128 v[144:147], v2 offset:1472
	s_waitcnt vmcnt(15) lgkmcnt(1)
	v_mul_f64 v[6:7], v[140:141], v[42:43]
	v_fmac_f64_e32 v[6:7], v[142:143], v[40:41]
	v_add_f64 v[0:1], v[0:1], v[6:7]
	v_mul_f64 v[6:7], v[206:207], v[150:151]
	v_fma_f64 v[14:15], v[204:205], v[148:149], -v[6:7]
	ds_read_b128 v[148:151], v2 offset:1488
	v_mul_f64 v[154:155], v[210:211], v[154:155]
	v_fma_f64 v[8:9], v[208:209], v[152:153], -v[154:155]
	ds_read_b128 v[152:155], v2 offset:1504
	s_waitcnt vmcnt(14) lgkmcnt(2)
	v_mul_f64 v[6:7], v[144:145], v[46:47]
	v_fmac_f64_e32 v[6:7], v[146:147], v[44:45]
	v_add_f64 v[0:1], v[0:1], v[6:7]
	s_waitcnt vmcnt(13) lgkmcnt(1)
	v_mul_f64 v[6:7], v[148:149], v[50:51]
	ds_read_b128 v[156:159], v2 offset:1520
	v_fmac_f64_e32 v[6:7], v[150:151], v[48:49]
	v_add_f64 v[0:1], v[0:1], v[6:7]
	s_waitcnt vmcnt(12) lgkmcnt(1)
	v_mul_f64 v[6:7], v[152:153], v[54:55]
	v_fmac_f64_e32 v[6:7], v[154:155], v[52:53]
	v_add_f64 v[0:1], v[0:1], v[6:7]
	v_mul_f64 v[6:7], v[214:215], v[162:163]
	v_fma_f64 v[18:19], v[212:213], v[160:161], -v[6:7]
	ds_read_b128 v[160:163], v2 offset:1536
	s_waitcnt vmcnt(11) lgkmcnt(1)
	v_mul_f64 v[6:7], v[156:157], v[58:59]
	v_fmac_f64_e32 v[6:7], v[158:159], v[56:57]
	v_add_f64 v[0:1], v[0:1], v[6:7]
	v_mul_f64 v[6:7], v[218:219], v[166:167]
	v_fma_f64 v[4:5], v[216:217], v[164:165], -v[6:7]
	ds_read_b128 v[164:167], v2 offset:1552
	ds_read_b128 v[168:171], v2 offset:1568
	s_waitcnt vmcnt(10) lgkmcnt(2)
	v_mul_f64 v[6:7], v[160:161], v[62:63]
	v_fmac_f64_e32 v[6:7], v[162:163], v[60:61]
	v_add_f64 v[0:1], v[0:1], v[6:7]
	s_waitcnt vmcnt(9) lgkmcnt(1)
	v_mul_f64 v[6:7], v[164:165], v[66:67]
	v_fmac_f64_e32 v[6:7], v[166:167], v[64:65]
	v_add_f64 v[0:1], v[0:1], v[6:7]
	v_mul_f64 v[6:7], v[222:223], v[174:175]
	v_fma_f64 v[22:23], v[220:221], v[172:173], -v[6:7]
	ds_read_b128 v[172:175], v2 offset:1584
	v_mul_f64 v[6:7], v[226:227], v[178:179]
	v_fma_f64 v[6:7], v[224:225], v[176:177], -v[6:7]
	ds_read_b128 v[176:179], v2 offset:1600
	s_waitcnt vmcnt(8) lgkmcnt(2)
	v_mul_f64 v[180:181], v[168:169], v[70:71]
	v_fmac_f64_e32 v[180:181], v[170:171], v[68:69]
	v_add_f64 v[0:1], v[0:1], v[180:181]
	s_waitcnt vmcnt(7) lgkmcnt(1)
	v_mul_f64 v[180:181], v[172:173], v[74:75]
	v_fmac_f64_e32 v[180:181], v[174:175], v[72:73]
	s_waitcnt vmcnt(6) lgkmcnt(0)
	v_mul_f64 v[192:193], v[176:177], v[78:79]
	v_add_f64 v[0:1], v[0:1], v[180:181]
	v_fmac_f64_e32 v[192:193], v[178:179], v[76:77]
	ds_read_b128 v[180:183], v2 offset:1616
	v_add_f64 v[192:193], v[0:1], v[192:193]
	v_mul_f64 v[0:1], v[230:231], v[186:187]
	v_fma_f64 v[0:1], v[228:229], v[184:185], -v[0:1]
	ds_read_b128 v[184:187], v2 offset:1632
	s_waitcnt vmcnt(5) lgkmcnt(1)
	v_mul_f64 v[194:195], v[180:181], v[82:83]
	v_fmac_f64_e32 v[194:195], v[182:183], v[80:81]
	v_mul_f64 v[190:191], v[244:245], v[190:191]
	v_add_f64 v[192:193], v[192:193], v[194:195]
	v_fma_f64 v[244:245], v[242:243], v[188:189], -v[190:191]
	ds_read_b128 v[188:191], v2 offset:1648
	s_waitcnt vmcnt(4) lgkmcnt(1)
	v_mul_f64 v[194:195], v[184:185], v[90:91]
	v_fmac_f64_e32 v[194:195], v[186:187], v[88:89]
	v_add_f64 v[200:201], v[192:193], v[194:195]
	ds_read_b128 v[192:195], v2 offset:1664
	v_mul_f64 v[198:199], v[254:255], v[198:199]
	v_fma_f64 v[242:243], v[252:253], v[196:197], -v[198:199]
	ds_read_b128 v[196:199], v2 offset:1680
	ds_read_b128 v[208:211], v2 offset:1712
	s_waitcnt vmcnt(3) lgkmcnt(3)
	v_mul_f64 v[202:203], v[188:189], v[86:87]
	v_fmac_f64_e32 v[202:203], v[190:191], v[84:85]
	v_add_f64 v[200:201], v[200:201], v[202:203]
	s_waitcnt vmcnt(2) lgkmcnt(2)
	v_mul_f64 v[202:203], v[192:193], v[98:99]
	v_fmac_f64_e32 v[202:203], v[194:195], v[96:97]
	v_add_f64 v[200:201], v[200:201], v[202:203]
	;; [unrolled: 4-line block ×3, first 2 shown]
	ds_read_b128 v[200:203], v2 offset:1696
	ds_read_b128 v[216:219], v2 offset:1728
	;; [unrolled: 1-line block ×3, first 2 shown]
	s_waitcnt vmcnt(0) lgkmcnt(2)
	v_mul_f64 v[206:207], v[200:201], v[114:115]
	v_fmac_f64_e32 v[206:207], v[202:203], v[112:113]
	v_add_f64 v[212:213], v[204:205], v[206:207]
	scratch_load_dwordx4 v[204:207], off, off offset:848
	s_waitcnt vmcnt(0)
	v_mul_f64 v[214:215], v[208:209], v[206:207]
	v_fmac_f64_e32 v[214:215], v[210:211], v[204:205]
	v_add_f64 v[220:221], v[212:213], v[214:215]
	scratch_load_dwordx4 v[212:215], off, off offset:864
	s_waitcnt vmcnt(0) lgkmcnt(1)
	v_mul_f64 v[222:223], v[216:217], v[214:215]
	v_fmac_f64_e32 v[222:223], v[218:219], v[212:213]
	v_add_f64 v[228:229], v[220:221], v[222:223]
	scratch_load_dwordx4 v[220:223], off, off offset:880
	s_waitcnt vmcnt(0) lgkmcnt(0)
	v_mul_f64 v[230:231], v[224:225], v[222:223]
	v_fmac_f64_e32 v[230:231], v[226:227], v[220:221]
	v_add_f64 v[254:255], v[228:229], v[230:231]
	v_add_f64 v[228:229], v[240:241], 0
	;; [unrolled: 1-line block ×8, first 2 shown]
	scratch_load_dwordx4 v[228:231], off, off offset:128
	v_add_f64 v[16:17], v[20:21], v[16:17]
	v_add_f64 v[12:13], v[16:17], v[12:13]
	;; [unrolled: 1-line block ×9, first 2 shown]
	v_accvgpr_read_b32 v6, a112
	v_accvgpr_read_b32 v8, a114
	v_accvgpr_read_b32 v9, a115
	v_add_f64 v[0:1], v[4:5], v[0:1]
	v_accvgpr_read_b32 v7, a113
	v_mul_f64 v[4:5], v[102:103], v[8:9]
	v_add_f64 v[0:1], v[0:1], v[244:245]
	v_fma_f64 v[4:5], v[100:101], v[6:7], -v[4:5]
	v_accvgpr_read_b32 v6, a116
	v_add_f64 v[0:1], v[0:1], v[242:243]
	v_accvgpr_read_b32 v8, a118
	v_accvgpr_read_b32 v9, a119
	v_add_f64 v[0:1], v[0:1], v[4:5]
	v_accvgpr_read_b32 v7, a117
	v_mul_f64 v[4:5], v[106:107], v[8:9]
	v_fma_f64 v[4:5], v[104:105], v[6:7], -v[4:5]
	v_accvgpr_read_b32 v6, a120
	v_accvgpr_read_b32 v8, a122
	v_accvgpr_read_b32 v9, a123
	v_add_f64 v[0:1], v[0:1], v[4:5]
	v_accvgpr_read_b32 v7, a121
	v_mul_f64 v[4:5], v[110:111], v[8:9]
	v_fma_f64 v[4:5], v[108:109], v[6:7], -v[4:5]
	v_accvgpr_read_b32 v6, a124
	v_accvgpr_read_b32 v8, a126
	v_accvgpr_read_b32 v9, a127
	v_add_f64 v[0:1], v[0:1], v[4:5]
	v_accvgpr_read_b32 v7, a125
	v_mul_f64 v[4:5], v[118:119], v[8:9]
	v_fma_f64 v[4:5], v[116:117], v[6:7], -v[4:5]
	v_add_f64 v[0:1], v[0:1], v[4:5]
	v_mul_f64 v[4:5], v[122:123], v[236:237]
	v_fma_f64 v[4:5], v[120:121], v[234:235], -v[4:5]
	v_add_f64 v[0:1], v[0:1], v[4:5]
	;; [unrolled: 3-line block ×25, first 2 shown]
	s_waitcnt vmcnt(0)
	v_add_f64 v[4:5], v[228:229], -v[0:1]
	v_accvgpr_read_b32 v0, a110
	v_add_f64 v[6:7], v[230:231], -v[254:255]
	v_cmp_lt_u32_e32 vcc, 6, v0
	scratch_store_dwordx4 off, v[4:7], off offset:128
	s_and_saveexec_b64 s[0:1], vcc
	s_cbranch_execz .LBB118_331
; %bb.330:
	scratch_load_dwordx4 v[6:9], off, s65
	v_mov_b32_e32 v3, v2
	v_mov_b32_e32 v4, v2
	;; [unrolled: 1-line block ×3, first 2 shown]
	v_accvgpr_read_b32 v0, a111
	scratch_store_dwordx4 off, v[2:5], off offset:112
	s_waitcnt vmcnt(1)
	ds_write_b128 v0, v[6:9]
.LBB118_331:
	s_or_b64 exec, exec, s[0:1]
	s_waitcnt lgkmcnt(0)
	; wave barrier
	scratch_load_dwordx4 v[40:43], off, off offset:128
	scratch_load_dwordx4 v[44:47], off, off offset:144
	;; [unrolled: 1-line block ×18, first 2 shown]
	ds_read_b128 v[164:167], v2 offset:992
	ds_read_b128 v[232:235], v2 offset:1008
	;; [unrolled: 1-line block ×6, first 2 shown]
	scratch_load_dwordx4 v[140:143], off, off offset:416
	ds_read_b128 v[224:227], v2 offset:1088
	ds_read_b128 v[212:215], v2 offset:1104
	;; [unrolled: 1-line block ×3, first 2 shown]
	scratch_load_dwordx4 v[4:7], off, off offset:432
	ds_read_b128 v[228:231], v2 offset:1136
	ds_read_b128 v[216:219], v2 offset:1152
	;; [unrolled: 1-line block ×5, first 2 shown]
	scratch_load_dwordx4 v[8:11], off, off offset:448
	ds_read_b128 v[208:211], v2 offset:1216
	ds_read_b128 v[196:199], v2 offset:1232
	;; [unrolled: 1-line block ×3, first 2 shown]
	scratch_load_dwordx4 v[12:15], off, off offset:464
	ds_read_b128 v[200:203], v2 offset:1264
	scratch_load_dwordx4 v[16:19], off, off offset:480
	scratch_load_dwordx4 v[20:23], off, off offset:496
	;; [unrolled: 1-line block ×7, first 2 shown]
	ds_read_b128 v[236:239], v2 offset:1280
	ds_read_b128 v[156:159], v2 offset:1344
	;; [unrolled: 1-line block ×4, first 2 shown]
	s_waitcnt vmcnt(28) lgkmcnt(14)
	v_mul_f64 v[0:1], v[164:165], v[42:43]
	s_waitcnt vmcnt(27)
	v_mul_f64 v[108:109], v[232:233], v[46:47]
	v_fmac_f64_e32 v[0:1], v[166:167], v[40:41]
	s_waitcnt vmcnt(26)
	v_mul_f64 v[110:111], v[168:169], v[50:51]
	v_fmac_f64_e32 v[108:109], v[234:235], v[44:45]
	v_add_f64 v[0:1], v[0:1], 0
	s_waitcnt vmcnt(25)
	v_mul_f64 v[116:117], v[220:221], v[54:55]
	v_fmac_f64_e32 v[110:111], v[170:171], v[48:49]
	v_add_f64 v[0:1], v[0:1], v[108:109]
	;; [unrolled: 4-line block ×6, first 2 shown]
	s_waitcnt vmcnt(20) lgkmcnt(13)
	v_mul_f64 v[126:127], v[180:181], v[78:79]
	v_fmac_f64_e32 v[124:125], v[214:215], v[68:69]
	v_add_f64 v[0:1], v[0:1], v[122:123]
	s_waitcnt vmcnt(19) lgkmcnt(12)
	v_mul_f64 v[128:129], v[228:229], v[82:83]
	v_fmac_f64_e32 v[126:127], v[182:183], v[76:77]
	v_add_f64 v[0:1], v[0:1], v[124:125]
	s_waitcnt vmcnt(18) lgkmcnt(11)
	v_mul_f64 v[130:131], v[216:217], v[86:87]
	v_fmac_f64_e32 v[128:129], v[230:231], v[80:81]
	v_add_f64 v[0:1], v[0:1], v[126:127]
	s_waitcnt vmcnt(17) lgkmcnt(10)
	v_mul_f64 v[132:133], v[188:189], v[90:91]
	v_fmac_f64_e32 v[130:131], v[218:219], v[84:85]
	v_add_f64 v[0:1], v[0:1], v[128:129]
	s_waitcnt vmcnt(16) lgkmcnt(9)
	v_mul_f64 v[134:135], v[204:205], v[94:95]
	v_fmac_f64_e32 v[132:133], v[190:191], v[88:89]
	v_add_f64 v[0:1], v[0:1], v[130:131]
	s_waitcnt vmcnt(15) lgkmcnt(8)
	v_mul_f64 v[144:145], v[192:193], v[98:99]
	v_fmac_f64_e32 v[134:135], v[206:207], v[92:93]
	v_add_f64 v[0:1], v[0:1], v[132:133]
	s_waitcnt vmcnt(14) lgkmcnt(7)
	v_mul_f64 v[146:147], v[208:209], v[102:103]
	v_fmac_f64_e32 v[144:145], v[194:195], v[96:97]
	v_add_f64 v[0:1], v[0:1], v[134:135]
	s_waitcnt vmcnt(13) lgkmcnt(6)
	v_mul_f64 v[148:149], v[196:197], v[106:107]
	v_fmac_f64_e32 v[146:147], v[210:211], v[100:101]
	v_add_f64 v[0:1], v[0:1], v[144:145]
	s_waitcnt vmcnt(12) lgkmcnt(5)
	v_mul_f64 v[150:151], v[184:185], v[114:115]
	v_fmac_f64_e32 v[148:149], v[198:199], v[104:105]
	v_add_f64 v[0:1], v[0:1], v[146:147]
	v_add_f64 v[0:1], v[0:1], v[148:149]
	v_fmac_f64_e32 v[150:151], v[186:187], v[112:113]
	s_waitcnt vmcnt(11) lgkmcnt(4)
	v_mul_f64 v[116:117], v[200:201], v[138:139]
	v_add_f64 v[0:1], v[0:1], v[150:151]
	v_fmac_f64_e32 v[116:117], v[202:203], v[136:137]
	v_add_f64 v[0:1], v[0:1], v[116:117]
	ds_read_b128 v[144:147], v2 offset:1296
	s_waitcnt vmcnt(10) lgkmcnt(4)
	v_mul_f64 v[116:117], v[236:237], v[142:143]
	scratch_load_dwordx4 v[108:111], off, off offset:592
	v_fmac_f64_e32 v[116:117], v[238:239], v[140:141]
	v_add_f64 v[0:1], v[0:1], v[116:117]
	scratch_load_dwordx4 v[116:119], off, off offset:608
	ds_read_b128 v[148:151], v2 offset:1312
	scratch_load_dwordx4 v[120:123], off, off offset:624
	s_waitcnt vmcnt(12) lgkmcnt(1)
	v_mul_f64 v[124:125], v[144:145], v[6:7]
	v_fmac_f64_e32 v[124:125], v[146:147], v[4:5]
	v_add_f64 v[0:1], v[0:1], v[124:125]
	s_waitcnt vmcnt(11) lgkmcnt(0)
	v_mul_f64 v[124:125], v[148:149], v[10:11]
	v_fmac_f64_e32 v[124:125], v[150:151], v[8:9]
	s_waitcnt vmcnt(10)
	v_mul_f64 v[128:129], v[152:153], v[14:15]
	v_add_f64 v[0:1], v[0:1], v[124:125]
	scratch_load_dwordx4 v[124:127], off, off offset:640
	v_fmac_f64_e32 v[128:129], v[154:155], v[12:13]
	v_add_f64 v[0:1], v[0:1], v[128:129]
	scratch_load_dwordx4 v[128:131], off, off offset:656
	s_waitcnt vmcnt(11)
	v_mul_f64 v[132:133], v[156:157], v[18:19]
	v_fmac_f64_e32 v[132:133], v[158:159], v[16:17]
	v_add_f64 v[0:1], v[0:1], v[132:133]
	scratch_load_dwordx4 v[132:135], off, off offset:672
	v_mul_f64 v[42:43], v[166:167], v[42:43]
	v_fma_f64 v[240:241], v[164:165], v[40:41], -v[42:43]
	scratch_load_dwordx4 v[40:43], off, off offset:688
	v_mul_f64 v[46:47], v[234:235], v[46:47]
	v_fma_f64 v[244:245], v[232:233], v[44:45], -v[46:47]
	;; [unrolled: 3-line block ×3, first 2 shown]
	v_mul_f64 v[48:49], v[222:223], v[54:55]
	v_fma_f64 v[248:249], v[220:221], v[52:53], -v[48:49]
	scratch_load_dwordx4 v[48:51], off, off offset:720
	scratch_load_dwordx4 v[52:55], off, off offset:736
	s_waitcnt vmcnt(15)
	v_mul_f64 v[164:165], v[160:161], v[22:23]
	v_fmac_f64_e32 v[164:165], v[162:163], v[20:21]
	v_add_f64 v[0:1], v[0:1], v[164:165]
	ds_read_b128 v[164:167], v2 offset:1376
	ds_read_b128 v[168:171], v2 offset:1392
	v_mul_f64 v[58:59], v[174:175], v[58:59]
	v_fma_f64 v[250:251], v[172:173], v[56:57], -v[58:59]
	ds_read_b128 v[172:175], v2 offset:1408
	v_mul_f64 v[56:57], v[178:179], v[62:63]
	v_fma_f64 v[254:255], v[176:177], v[60:61], -v[56:57]
	scratch_load_dwordx4 v[60:63], off, off offset:752
	scratch_load_dwordx4 v[56:59], off, off offset:768
	s_waitcnt vmcnt(16) lgkmcnt(2)
	v_mul_f64 v[232:233], v[164:165], v[34:35]
	v_fmac_f64_e32 v[232:233], v[166:167], v[32:33]
	s_waitcnt vmcnt(15) lgkmcnt(1)
	v_mul_f64 v[220:221], v[168:169], v[38:39]
	v_mul_f64 v[66:67], v[226:227], v[66:67]
	v_add_f64 v[0:1], v[0:1], v[232:233]
	v_fmac_f64_e32 v[220:221], v[170:171], v[36:37]
	v_fma_f64 v[242:243], v[224:225], v[64:65], -v[66:67]
	s_waitcnt vmcnt(14) lgkmcnt(0)
	v_mul_f64 v[64:65], v[172:173], v[30:31]
	v_add_f64 v[0:1], v[0:1], v[220:221]
	v_fmac_f64_e32 v[64:65], v[174:175], v[28:29]
	v_accvgpr_write_b32 a139, v23
	v_add_f64 v[0:1], v[0:1], v[64:65]
	v_mul_f64 v[64:65], v[214:215], v[70:71]
	v_accvgpr_write_b32 a138, v22
	v_accvgpr_write_b32 a137, v21
	;; [unrolled: 1-line block ×3, first 2 shown]
	ds_read_b128 v[176:179], v2 offset:1424
	v_fma_f64 v[20:21], v[212:213], v[68:69], -v[64:65]
	scratch_load_dwordx4 v[68:71], off, off offset:784
	scratch_load_dwordx4 v[64:67], off, off offset:800
	v_accvgpr_write_b32 a123, v7
	v_accvgpr_write_b32 a122, v6
	;; [unrolled: 1-line block ×5, first 2 shown]
	v_mul_f64 v[6:7], v[182:183], v[78:79]
	v_accvgpr_write_b32 a134, v18
	v_accvgpr_write_b32 a133, v17
	;; [unrolled: 1-line block ×3, first 2 shown]
	v_fma_f64 v[16:17], v[180:181], v[76:77], -v[6:7]
	s_waitcnt vmcnt(15) lgkmcnt(0)
	v_mul_f64 v[76:77], v[176:177], v[26:27]
	v_fmac_f64_e32 v[76:77], v[178:179], v[24:25]
	v_accvgpr_write_b32 a131, v15
	v_add_f64 v[0:1], v[0:1], v[76:77]
	v_mul_f64 v[76:77], v[230:231], v[82:83]
	v_accvgpr_write_b32 a130, v14
	v_accvgpr_write_b32 a129, v13
	;; [unrolled: 1-line block ×3, first 2 shown]
	v_fma_f64 v[12:13], v[228:229], v[80:81], -v[76:77]
	scratch_load_dwordx4 v[76:79], off, off offset:816
	scratch_load_dwordx4 v[232:235], off, off offset:880
	ds_read_b128 v[180:183], v2 offset:1440
	ds_read_b128 v[80:83], v2 offset:1456
	v_accvgpr_write_b32 a127, v11
	v_accvgpr_write_b32 a126, v10
	;; [unrolled: 1-line block ×4, first 2 shown]
	s_waitcnt vmcnt(16) lgkmcnt(1)
	v_mul_f64 v[10:11], v[180:181], v[74:75]
	v_fmac_f64_e32 v[10:11], v[182:183], v[72:73]
	v_add_f64 v[0:1], v[0:1], v[10:11]
	v_mul_f64 v[10:11], v[218:219], v[86:87]
	v_fma_f64 v[10:11], v[216:217], v[84:85], -v[10:11]
	ds_read_b128 v[84:87], v2 offset:1472
	v_mul_f64 v[90:91], v[190:191], v[90:91]
	v_fma_f64 v[8:9], v[188:189], v[88:89], -v[90:91]
	ds_read_b128 v[88:91], v2 offset:1488
	s_waitcnt vmcnt(15) lgkmcnt(2)
	v_mul_f64 v[212:213], v[80:81], v[110:111]
	v_fmac_f64_e32 v[212:213], v[82:83], v[108:109]
	s_waitcnt vmcnt(14) lgkmcnt(1)
	v_mul_f64 v[14:15], v[84:85], v[118:119]
	v_add_f64 v[0:1], v[0:1], v[212:213]
	v_fmac_f64_e32 v[14:15], v[86:87], v[116:117]
	v_add_f64 v[0:1], v[0:1], v[14:15]
	s_waitcnt vmcnt(13) lgkmcnt(0)
	v_mul_f64 v[14:15], v[88:89], v[122:123]
	v_fmac_f64_e32 v[14:15], v[90:91], v[120:121]
	ds_read_b128 v[188:191], v2 offset:1504
	v_add_f64 v[0:1], v[0:1], v[14:15]
	v_mul_f64 v[14:15], v[206:207], v[94:95]
	v_fma_f64 v[14:15], v[204:205], v[92:93], -v[14:15]
	ds_read_b128 v[92:95], v2 offset:1520
	v_mul_f64 v[98:99], v[194:195], v[98:99]
	v_fma_f64 v[6:7], v[192:193], v[96:97], -v[98:99]
	ds_read_b128 v[96:99], v2 offset:1536
	ds_read_b128 v[192:195], v2 offset:1552
	s_waitcnt vmcnt(12) lgkmcnt(3)
	v_mul_f64 v[204:205], v[188:189], v[126:127]
	v_fmac_f64_e32 v[204:205], v[190:191], v[124:125]
	s_waitcnt vmcnt(11) lgkmcnt(2)
	v_mul_f64 v[18:19], v[92:93], v[130:131]
	v_add_f64 v[0:1], v[0:1], v[204:205]
	v_fmac_f64_e32 v[18:19], v[94:95], v[128:129]
	v_add_f64 v[0:1], v[0:1], v[18:19]
	s_waitcnt vmcnt(10) lgkmcnt(1)
	v_mul_f64 v[18:19], v[96:97], v[134:135]
	v_fmac_f64_e32 v[18:19], v[98:99], v[132:133]
	v_add_f64 v[0:1], v[0:1], v[18:19]
	v_mul_f64 v[18:19], v[210:211], v[102:103]
	v_fma_f64 v[18:19], v[208:209], v[100:101], -v[18:19]
	ds_read_b128 v[100:103], v2 offset:1568
	v_mul_f64 v[106:107], v[198:199], v[106:107]
	v_fma_f64 v[4:5], v[196:197], v[104:105], -v[106:107]
	ds_read_b128 v[104:107], v2 offset:1584
	s_waitcnt vmcnt(9) lgkmcnt(2)
	v_mul_f64 v[204:205], v[192:193], v[42:43]
	v_fmac_f64_e32 v[204:205], v[194:195], v[40:41]
	s_waitcnt vmcnt(8) lgkmcnt(1)
	v_mul_f64 v[22:23], v[100:101], v[46:47]
	v_add_f64 v[0:1], v[0:1], v[204:205]
	v_fmac_f64_e32 v[22:23], v[102:103], v[44:45]
	v_add_f64 v[0:1], v[0:1], v[22:23]
	s_waitcnt vmcnt(7) lgkmcnt(0)
	v_mul_f64 v[22:23], v[104:105], v[50:51]
	ds_read_b128 v[196:199], v2 offset:1600
	v_fmac_f64_e32 v[22:23], v[106:107], v[48:49]
	v_add_f64 v[0:1], v[0:1], v[22:23]
	v_mul_f64 v[22:23], v[186:187], v[114:115]
	v_fma_f64 v[22:23], v[184:185], v[112:113], -v[22:23]
	ds_read_b128 v[112:115], v2 offset:1616
	s_waitcnt vmcnt(6) lgkmcnt(1)
	v_mul_f64 v[184:185], v[196:197], v[54:55]
	v_fmac_f64_e32 v[184:185], v[198:199], v[52:53]
	v_add_f64 v[184:185], v[0:1], v[184:185]
	v_mul_f64 v[0:1], v[202:203], v[138:139]
	v_fma_f64 v[0:1], v[200:201], v[136:137], -v[0:1]
	ds_read_b128 v[136:139], v2 offset:1632
	s_waitcnt vmcnt(5) lgkmcnt(1)
	v_mul_f64 v[186:187], v[112:113], v[62:63]
	v_fmac_f64_e32 v[186:187], v[114:115], v[60:61]
	v_add_f64 v[200:201], v[184:185], v[186:187]
	ds_read_b128 v[184:187], v2 offset:1648
	v_mul_f64 v[142:143], v[238:239], v[142:143]
	v_fma_f64 v[252:253], v[236:237], v[140:141], -v[142:143]
	ds_read_b128 v[140:143], v2 offset:1664
	ds_read_b128 v[208:211], v2 offset:1696
	s_waitcnt vmcnt(4) lgkmcnt(3)
	v_mul_f64 v[202:203], v[136:137], v[58:59]
	v_fmac_f64_e32 v[202:203], v[138:139], v[56:57]
	v_add_f64 v[200:201], v[200:201], v[202:203]
	s_waitcnt vmcnt(3) lgkmcnt(2)
	v_mul_f64 v[202:203], v[184:185], v[70:71]
	v_fmac_f64_e32 v[202:203], v[186:187], v[68:69]
	v_add_f64 v[200:201], v[200:201], v[202:203]
	;; [unrolled: 4-line block ×3, first 2 shown]
	ds_read_b128 v[200:203], v2 offset:1680
	ds_read_b128 v[216:219], v2 offset:1712
	;; [unrolled: 1-line block ×3, first 2 shown]
	s_waitcnt vmcnt(1) lgkmcnt(2)
	v_mul_f64 v[206:207], v[200:201], v[78:79]
	v_fmac_f64_e32 v[206:207], v[202:203], v[76:77]
	v_add_f64 v[212:213], v[204:205], v[206:207]
	scratch_load_dwordx4 v[204:207], off, off offset:832
	s_waitcnt vmcnt(0)
	v_mul_f64 v[214:215], v[208:209], v[206:207]
	v_fmac_f64_e32 v[214:215], v[210:211], v[204:205]
	v_add_f64 v[220:221], v[212:213], v[214:215]
	scratch_load_dwordx4 v[212:215], off, off offset:848
	s_waitcnt vmcnt(0) lgkmcnt(1)
	v_mul_f64 v[222:223], v[216:217], v[214:215]
	v_fmac_f64_e32 v[222:223], v[218:219], v[212:213]
	v_add_f64 v[228:229], v[220:221], v[222:223]
	scratch_load_dwordx4 v[220:223], off, off offset:864
	s_waitcnt vmcnt(0) lgkmcnt(0)
	v_mul_f64 v[230:231], v[224:225], v[222:223]
	v_fmac_f64_e32 v[230:231], v[226:227], v[220:221]
	v_add_f64 v[236:237], v[228:229], v[230:231]
	ds_read_b128 v[228:231], v2 offset:1744
	s_waitcnt lgkmcnt(0)
	v_mul_f64 v[2:3], v[228:229], v[234:235]
	v_fmac_f64_e32 v[2:3], v[230:231], v[232:233]
	v_add_f64 v[2:3], v[236:237], v[2:3]
	v_add_f64 v[236:237], v[240:241], 0
	;; [unrolled: 1-line block ×9, first 2 shown]
	scratch_load_dwordx4 v[236:239], off, off offset:112
	v_add_f64 v[16:17], v[20:21], v[16:17]
	v_add_f64 v[12:13], v[16:17], v[12:13]
	;; [unrolled: 1-line block ×8, first 2 shown]
	v_accvgpr_read_b32 v6, a120
	v_accvgpr_read_b32 v8, a122
	;; [unrolled: 1-line block ×3, first 2 shown]
	v_add_f64 v[254:255], v[4:5], v[22:23]
	v_accvgpr_read_b32 v7, a121
	v_mul_f64 v[4:5], v[146:147], v[8:9]
	v_add_f64 v[0:1], v[254:255], v[0:1]
	v_fma_f64 v[4:5], v[144:145], v[6:7], -v[4:5]
	v_accvgpr_read_b32 v6, a124
	v_add_f64 v[0:1], v[0:1], v[252:253]
	v_accvgpr_read_b32 v8, a126
	v_accvgpr_read_b32 v9, a127
	v_add_f64 v[0:1], v[0:1], v[4:5]
	v_accvgpr_read_b32 v7, a125
	v_mul_f64 v[4:5], v[150:151], v[8:9]
	v_fma_f64 v[4:5], v[148:149], v[6:7], -v[4:5]
	v_accvgpr_read_b32 v6, a128
	v_accvgpr_read_b32 v8, a130
	v_accvgpr_read_b32 v9, a131
	v_add_f64 v[0:1], v[0:1], v[4:5]
	v_accvgpr_read_b32 v7, a129
	v_mul_f64 v[4:5], v[154:155], v[8:9]
	v_fma_f64 v[4:5], v[152:153], v[6:7], -v[4:5]
	v_accvgpr_read_b32 v6, a132
	;; [unrolled: 7-line block ×3, first 2 shown]
	v_accvgpr_read_b32 v8, a138
	v_accvgpr_read_b32 v9, a139
	v_add_f64 v[0:1], v[0:1], v[4:5]
	v_accvgpr_read_b32 v7, a137
	v_mul_f64 v[4:5], v[162:163], v[8:9]
	v_fma_f64 v[4:5], v[160:161], v[6:7], -v[4:5]
	v_add_f64 v[0:1], v[0:1], v[4:5]
	v_mul_f64 v[4:5], v[166:167], v[34:35]
	v_fma_f64 v[4:5], v[164:165], v[32:33], -v[4:5]
	v_add_f64 v[0:1], v[0:1], v[4:5]
	;; [unrolled: 3-line block ×25, first 2 shown]
	s_waitcnt vmcnt(0)
	v_add_f64 v[4:5], v[236:237], -v[0:1]
	v_accvgpr_read_b32 v0, a110
	v_add_f64 v[6:7], v[238:239], -v[2:3]
	v_cmp_lt_u32_e32 vcc, 5, v0
	scratch_store_dwordx4 off, v[4:7], off offset:112
	s_and_saveexec_b64 s[0:1], vcc
	s_cbranch_execz .LBB118_333
; %bb.332:
	scratch_load_dwordx4 v[2:5], off, s66
	v_mov_b32_e32 v6, 0
	v_mov_b32_e32 v7, v6
	;; [unrolled: 1-line block ×4, first 2 shown]
	v_accvgpr_read_b32 v0, a111
	scratch_store_dwordx4 off, v[6:9], off offset:96
	s_waitcnt vmcnt(1)
	ds_write_b128 v0, v[2:5]
.LBB118_333:
	s_or_b64 exec, exec, s[0:1]
	s_waitcnt lgkmcnt(0)
	; wave barrier
	scratch_load_dwordx4 v[56:59], off, off offset:112
	scratch_load_dwordx4 v[60:63], off, off offset:128
	;; [unrolled: 1-line block ×28, first 2 shown]
	v_mov_b32_e32 v2, 0
	ds_read_b128 v[116:119], v2 offset:976
	ds_read_b128 v[120:123], v2 offset:992
	;; [unrolled: 1-line block ×22, first 2 shown]
	s_waitcnt vmcnt(27) lgkmcnt(14)
	v_mul_f64 v[0:1], v[116:117], v[58:59]
	s_waitcnt vmcnt(26)
	v_mul_f64 v[32:33], v[120:121], v[62:63]
	v_fmac_f64_e32 v[0:1], v[118:119], v[56:57]
	s_waitcnt vmcnt(25)
	v_mul_f64 v[34:35], v[124:125], v[66:67]
	v_fmac_f64_e32 v[32:33], v[122:123], v[60:61]
	v_add_f64 v[0:1], v[0:1], 0
	v_fmac_f64_e32 v[34:35], v[126:127], v[64:65]
	v_add_f64 v[0:1], v[0:1], v[32:33]
	v_add_f64 v[0:1], v[0:1], v[34:35]
	scratch_load_dwordx4 v[32:35], off, off offset:560
	s_waitcnt vmcnt(25)
	v_mul_f64 v[36:37], v[128:129], v[70:71]
	s_waitcnt vmcnt(24)
	v_mul_f64 v[38:39], v[132:133], v[74:75]
	v_fmac_f64_e32 v[36:37], v[130:131], v[68:69]
	s_waitcnt vmcnt(23)
	v_mul_f64 v[40:41], v[140:141], v[78:79]
	v_fmac_f64_e32 v[38:39], v[134:135], v[72:73]
	v_add_f64 v[0:1], v[0:1], v[36:37]
	s_waitcnt vmcnt(22)
	v_mul_f64 v[42:43], v[152:153], v[82:83]
	v_fmac_f64_e32 v[40:41], v[142:143], v[76:77]
	v_add_f64 v[0:1], v[0:1], v[38:39]
	s_waitcnt vmcnt(21)
	v_mul_f64 v[44:45], v[164:165], v[86:87]
	v_fmac_f64_e32 v[42:43], v[154:155], v[80:81]
	v_add_f64 v[0:1], v[0:1], v[40:41]
	s_waitcnt vmcnt(20) lgkmcnt(13)
	v_mul_f64 v[46:47], v[176:177], v[94:95]
	v_fmac_f64_e32 v[44:45], v[166:167], v[84:85]
	v_add_f64 v[0:1], v[0:1], v[42:43]
	s_waitcnt vmcnt(19) lgkmcnt(12)
	v_mul_f64 v[48:49], v[188:189], v[98:99]
	v_fmac_f64_e32 v[46:47], v[178:179], v[92:93]
	v_add_f64 v[0:1], v[0:1], v[44:45]
	;; [unrolled: 4-line block ×9, first 2 shown]
	v_add_f64 v[0:1], v[0:1], v[104:105]
	v_fmac_f64_e32 v[106:107], v[222:223], v[168:169]
	s_waitcnt vmcnt(11) lgkmcnt(4)
	v_mul_f64 v[40:41], v[224:225], v[174:175]
	v_add_f64 v[0:1], v[0:1], v[106:107]
	v_fmac_f64_e32 v[40:41], v[226:227], v[172:173]
	scratch_load_dwordx4 v[36:39], off, off offset:576
	v_add_f64 v[0:1], v[0:1], v[40:41]
	s_waitcnt vmcnt(11) lgkmcnt(3)
	v_mul_f64 v[40:41], v[228:229], v[182:183]
	v_fmac_f64_e32 v[40:41], v[230:231], v[180:181]
	s_waitcnt vmcnt(10) lgkmcnt(2)
	v_mul_f64 v[44:45], v[242:243], v[186:187]
	v_add_f64 v[0:1], v[0:1], v[40:41]
	v_fmac_f64_e32 v[44:45], v[244:245], v[184:185]
	scratch_load_dwordx4 v[40:43], off, off offset:592
	ds_read_b128 v[88:91], v2 offset:1312
	v_add_f64 v[0:1], v[0:1], v[44:45]
	s_waitcnt vmcnt(10) lgkmcnt(2)
	v_mul_f64 v[44:45], v[252:253], v[194:195]
	v_fmac_f64_e32 v[44:45], v[254:255], v[192:193]
	v_add_f64 v[0:1], v[0:1], v[44:45]
	scratch_load_dwordx4 v[44:47], off, off offset:608
	ds_read_b128 v[104:107], v2 offset:1328
	s_waitcnt vmcnt(10) lgkmcnt(1)
	v_mul_f64 v[48:49], v[88:89], v[6:7]
	v_accvgpr_write_b32 a115, v7
	v_fmac_f64_e32 v[48:49], v[90:91], v[4:5]
	v_accvgpr_write_b32 a114, v6
	v_accvgpr_write_b32 a113, v5
	;; [unrolled: 1-line block ×3, first 2 shown]
	s_waitcnt vmcnt(9)
	v_mov_b64_e32 v[4:5], v[8:9]
	v_add_f64 v[0:1], v[0:1], v[48:49]
	scratch_load_dwordx4 v[48:51], off, off offset:624
	v_mov_b64_e32 v[6:7], v[10:11]
	s_waitcnt lgkmcnt(0)
	v_mul_f64 v[52:53], v[104:105], v[6:7]
	v_fmac_f64_e32 v[52:53], v[106:107], v[4:5]
	v_add_f64 v[0:1], v[0:1], v[52:53]
	scratch_load_dwordx4 v[52:55], off, off offset:640
	v_mul_f64 v[58:59], v[118:119], v[58:59]
	v_fma_f64 v[240:241], v[116:117], v[56:57], -v[58:59]
	scratch_load_dwordx4 v[56:59], off, off offset:656
	s_waitcnt vmcnt(11)
	v_mov_b64_e32 v[4:5], v[12:13]
	v_mov_b64_e32 v[6:7], v[14:15]
	v_mul_f64 v[112:113], v[108:109], v[6:7]
	v_fmac_f64_e32 v[112:113], v[110:111], v[4:5]
	v_mul_f64 v[62:63], v[122:123], v[62:63]
	v_add_f64 v[0:1], v[0:1], v[112:113]
	ds_read_b128 v[112:115], v2 offset:1360
	ds_read_b128 v[116:119], v2 offset:1376
	v_fma_f64 v[246:247], v[120:121], v[60:61], -v[62:63]
	scratch_load_dwordx4 v[60:63], off, off offset:672
	v_mul_f64 v[66:67], v[126:127], v[66:67]
	v_fma_f64 v[248:249], v[124:125], v[64:65], -v[66:67]
	scratch_load_dwordx4 v[64:67], off, off offset:688
	s_waitcnt vmcnt(12)
	v_mov_b64_e32 v[4:5], v[16:17]
	v_mov_b64_e32 v[6:7], v[18:19]
	s_waitcnt lgkmcnt(1)
	v_mul_f64 v[120:121], v[112:113], v[6:7]
	v_fmac_f64_e32 v[120:121], v[114:115], v[4:5]
	s_waitcnt vmcnt(11)
	v_mov_b64_e32 v[4:5], v[20:21]
	v_mov_b64_e32 v[6:7], v[22:23]
	v_mul_f64 v[70:71], v[130:131], v[70:71]
	v_add_f64 v[0:1], v[0:1], v[120:121]
	s_waitcnt lgkmcnt(0)
	v_mul_f64 v[120:121], v[116:117], v[6:7]
	v_fma_f64 v[250:251], v[128:129], v[68:69], -v[70:71]
	scratch_load_dwordx4 v[68:71], off, off offset:704
	v_fmac_f64_e32 v[120:121], v[118:119], v[4:5]
	v_mul_f64 v[74:75], v[134:135], v[74:75]
	v_add_f64 v[0:1], v[0:1], v[120:121]
	ds_read_b128 v[120:123], v2 offset:1392
	ds_read_b128 v[124:127], v2 offset:1408
	v_fma_f64 v[232:233], v[132:133], v[72:73], -v[74:75]
	scratch_load_dwordx4 v[72:75], off, off offset:720
	v_mul_f64 v[78:79], v[142:143], v[78:79]
	v_fma_f64 v[238:239], v[140:141], v[76:77], -v[78:79]
	scratch_load_dwordx4 v[76:79], off, off offset:736
	s_waitcnt vmcnt(13) lgkmcnt(1)
	v_mul_f64 v[128:129], v[120:121], v[236:237]
	v_fmac_f64_e32 v[128:129], v[122:123], v[234:235]
	v_mul_f64 v[82:83], v[154:155], v[82:83]
	s_waitcnt vmcnt(12) lgkmcnt(0)
	v_mul_f64 v[6:7], v[124:125], v[30:31]
	v_add_f64 v[0:1], v[0:1], v[128:129]
	v_fma_f64 v[24:25], v[152:153], v[80:81], -v[82:83]
	v_fmac_f64_e32 v[6:7], v[126:127], v[28:29]
	scratch_load_dwordx4 v[80:83], off, off offset:752
	v_accvgpr_write_b32 a131, v23
	v_add_f64 v[0:1], v[0:1], v[6:7]
	v_mul_f64 v[6:7], v[166:167], v[86:87]
	v_accvgpr_write_b32 a130, v22
	v_accvgpr_write_b32 a129, v21
	;; [unrolled: 1-line block ×3, first 2 shown]
	v_fma_f64 v[20:21], v[164:165], v[84:85], -v[6:7]
	scratch_load_dwordx4 v[84:87], off, off offset:768
	ds_read_b128 v[132:135], v2 offset:1424
	ds_read_b128 v[128:131], v2 offset:1440
	v_accvgpr_write_b32 a127, v19
	v_mul_f64 v[6:7], v[178:179], v[94:95]
	v_accvgpr_write_b32 a123, v15
	v_accvgpr_write_b32 a126, v18
	;; [unrolled: 1-line block ×4, first 2 shown]
	v_fma_f64 v[16:17], v[176:177], v[92:93], -v[6:7]
	v_mul_f64 v[6:7], v[190:191], v[98:99]
	v_accvgpr_write_b32 a122, v14
	v_accvgpr_write_b32 a121, v13
	;; [unrolled: 1-line block ×3, first 2 shown]
	v_fma_f64 v[12:13], v[188:189], v[96:97], -v[6:7]
	scratch_load_dwordx4 v[96:99], off, off offset:784
	scratch_load_dwordx4 v[92:95], off, off offset:800
	s_waitcnt vmcnt(15) lgkmcnt(1)
	v_mul_f64 v[6:7], v[132:133], v[34:35]
	v_fmac_f64_e32 v[6:7], v[134:135], v[32:33]
	v_add_f64 v[0:1], v[0:1], v[6:7]
	v_mul_f64 v[6:7], v[198:199], v[102:103]
	v_fma_f64 v[14:15], v[196:197], v[100:101], -v[6:7]
	scratch_load_dwordx4 v[100:103], off, off offset:816
	v_accvgpr_write_b32 a119, v11
	v_mul_f64 v[6:7], v[202:203], v[138:139]
	v_accvgpr_write_b32 a118, v10
	v_accvgpr_write_b32 a117, v9
	;; [unrolled: 1-line block ×3, first 2 shown]
	v_fma_f64 v[10:11], v[200:201], v[136:137], -v[6:7]
	ds_read_b128 v[136:139], v2 offset:1456
	ds_read_b128 v[140:143], v2 offset:1472
	s_waitcnt vmcnt(15) lgkmcnt(2)
	v_mul_f64 v[6:7], v[128:129], v[38:39]
	v_fmac_f64_e32 v[6:7], v[130:131], v[36:37]
	v_add_f64 v[0:1], v[0:1], v[6:7]
	s_waitcnt vmcnt(14) lgkmcnt(1)
	v_mul_f64 v[6:7], v[136:137], v[42:43]
	v_fmac_f64_e32 v[6:7], v[138:139], v[40:41]
	v_add_f64 v[0:1], v[0:1], v[6:7]
	v_mul_f64 v[6:7], v[206:207], v[146:147]
	v_fma_f64 v[18:19], v[204:205], v[144:145], -v[6:7]
	ds_read_b128 v[144:147], v2 offset:1488
	s_waitcnt vmcnt(13) lgkmcnt(1)
	v_mul_f64 v[6:7], v[140:141], v[46:47]
	v_fmac_f64_e32 v[6:7], v[142:143], v[44:45]
	v_add_f64 v[0:1], v[0:1], v[6:7]
	v_mul_f64 v[6:7], v[210:211], v[150:151]
	v_fma_f64 v[8:9], v[208:209], v[148:149], -v[6:7]
	ds_read_b128 v[148:151], v2 offset:1504
	s_waitcnt vmcnt(12) lgkmcnt(1)
	v_mul_f64 v[6:7], v[144:145], v[50:51]
	ds_read_b128 v[152:155], v2 offset:1520
	v_fmac_f64_e32 v[6:7], v[146:147], v[48:49]
	v_add_f64 v[0:1], v[0:1], v[6:7]
	v_mul_f64 v[6:7], v[214:215], v[158:159]
	v_fma_f64 v[22:23], v[212:213], v[156:157], -v[6:7]
	s_waitcnt vmcnt(11) lgkmcnt(1)
	v_mul_f64 v[6:7], v[148:149], v[54:55]
	v_fmac_f64_e32 v[6:7], v[150:151], v[52:53]
	ds_read_b128 v[156:159], v2 offset:1536
	v_add_f64 v[0:1], v[0:1], v[6:7]
	s_waitcnt vmcnt(10) lgkmcnt(1)
	v_mul_f64 v[6:7], v[152:153], v[58:59]
	v_fmac_f64_e32 v[6:7], v[154:155], v[56:57]
	v_add_f64 v[0:1], v[0:1], v[6:7]
	v_mul_f64 v[6:7], v[218:219], v[162:163]
	v_fma_f64 v[4:5], v[216:217], v[160:161], -v[6:7]
	ds_read_b128 v[160:163], v2 offset:1552
	ds_read_b128 v[164:167], v2 offset:1568
	s_waitcnt vmcnt(9) lgkmcnt(2)
	v_mul_f64 v[6:7], v[156:157], v[62:63]
	v_fmac_f64_e32 v[6:7], v[158:159], v[60:61]
	v_add_f64 v[0:1], v[0:1], v[6:7]
	s_waitcnt vmcnt(8) lgkmcnt(1)
	v_mul_f64 v[6:7], v[160:161], v[66:67]
	v_fmac_f64_e32 v[6:7], v[162:163], v[64:65]
	v_add_f64 v[0:1], v[0:1], v[6:7]
	v_mul_f64 v[6:7], v[222:223], v[170:171]
	v_fma_f64 v[26:27], v[220:221], v[168:169], -v[6:7]
	ds_read_b128 v[168:171], v2 offset:1584
	v_mul_f64 v[6:7], v[226:227], v[174:175]
	v_fma_f64 v[6:7], v[224:225], v[172:173], -v[6:7]
	ds_read_b128 v[172:175], v2 offset:1600
	s_waitcnt vmcnt(7) lgkmcnt(2)
	v_mul_f64 v[176:177], v[164:165], v[70:71]
	v_fmac_f64_e32 v[176:177], v[166:167], v[68:69]
	v_add_f64 v[0:1], v[0:1], v[176:177]
	s_waitcnt vmcnt(6) lgkmcnt(1)
	v_mul_f64 v[176:177], v[168:169], v[74:75]
	v_fmac_f64_e32 v[176:177], v[170:171], v[72:73]
	v_add_f64 v[0:1], v[0:1], v[176:177]
	s_waitcnt vmcnt(5) lgkmcnt(0)
	v_mul_f64 v[188:189], v[172:173], v[78:79]
	ds_read_b128 v[176:179], v2 offset:1616
	v_fmac_f64_e32 v[188:189], v[174:175], v[76:77]
	v_add_f64 v[188:189], v[0:1], v[188:189]
	v_mul_f64 v[0:1], v[230:231], v[182:183]
	v_fma_f64 v[0:1], v[228:229], v[180:181], -v[0:1]
	ds_read_b128 v[180:183], v2 offset:1632
	v_mul_f64 v[186:187], v[244:245], v[186:187]
	s_waitcnt vmcnt(4) lgkmcnt(1)
	v_mul_f64 v[190:191], v[176:177], v[82:83]
	v_fma_f64 v[244:245], v[242:243], v[184:185], -v[186:187]
	ds_read_b128 v[184:187], v2 offset:1648
	v_fmac_f64_e32 v[190:191], v[178:179], v[80:81]
	v_add_f64 v[196:197], v[188:189], v[190:191]
	ds_read_b128 v[188:191], v2 offset:1664
	s_waitcnt vmcnt(3) lgkmcnt(2)
	v_mul_f64 v[198:199], v[180:181], v[86:87]
	v_mul_f64 v[194:195], v[254:255], v[194:195]
	v_fmac_f64_e32 v[198:199], v[182:183], v[84:85]
	v_fma_f64 v[242:243], v[252:253], v[192:193], -v[194:195]
	ds_read_b128 v[192:195], v2 offset:1680
	ds_read_b128 v[200:203], v2 offset:1696
	v_add_f64 v[196:197], v[196:197], v[198:199]
	s_waitcnt vmcnt(2) lgkmcnt(3)
	v_mul_f64 v[198:199], v[184:185], v[98:99]
	v_fmac_f64_e32 v[198:199], v[186:187], v[96:97]
	v_add_f64 v[196:197], v[196:197], v[198:199]
	s_waitcnt vmcnt(1) lgkmcnt(2)
	v_mul_f64 v[198:199], v[188:189], v[94:95]
	v_fmac_f64_e32 v[198:199], v[190:191], v[92:93]
	;; [unrolled: 4-line block ×3, first 2 shown]
	v_add_f64 v[204:205], v[196:197], v[198:199]
	scratch_load_dwordx4 v[196:199], off, off offset:832
	ds_read_b128 v[208:211], v2 offset:1712
	ds_read_b128 v[216:219], v2 offset:1728
	;; [unrolled: 1-line block ×3, first 2 shown]
	s_waitcnt vmcnt(0) lgkmcnt(3)
	v_mul_f64 v[206:207], v[200:201], v[198:199]
	v_fmac_f64_e32 v[206:207], v[202:203], v[196:197]
	v_add_f64 v[212:213], v[204:205], v[206:207]
	scratch_load_dwordx4 v[204:207], off, off offset:848
	s_waitcnt vmcnt(0) lgkmcnt(2)
	v_mul_f64 v[214:215], v[208:209], v[206:207]
	v_fmac_f64_e32 v[214:215], v[210:211], v[204:205]
	v_add_f64 v[220:221], v[212:213], v[214:215]
	scratch_load_dwordx4 v[212:215], off, off offset:864
	;; [unrolled: 5-line block ×3, first 2 shown]
	s_waitcnt vmcnt(0) lgkmcnt(0)
	v_mul_f64 v[230:231], v[224:225], v[222:223]
	v_fmac_f64_e32 v[230:231], v[226:227], v[220:221]
	v_add_f64 v[254:255], v[228:229], v[230:231]
	v_add_f64 v[228:229], v[240:241], 0
	;; [unrolled: 1-line block ×8, first 2 shown]
	scratch_load_dwordx4 v[228:231], off, off offset:96
	v_add_f64 v[20:21], v[24:25], v[20:21]
	v_add_f64 v[16:17], v[20:21], v[16:17]
	;; [unrolled: 1-line block ×11, first 2 shown]
	v_accvgpr_read_b32 v6, a112
	v_accvgpr_read_b32 v8, a114
	;; [unrolled: 1-line block ×3, first 2 shown]
	v_add_f64 v[0:1], v[4:5], v[0:1]
	v_accvgpr_read_b32 v7, a113
	v_mul_f64 v[4:5], v[90:91], v[8:9]
	v_add_f64 v[0:1], v[0:1], v[244:245]
	v_fma_f64 v[4:5], v[88:89], v[6:7], -v[4:5]
	v_accvgpr_read_b32 v6, a116
	v_add_f64 v[0:1], v[0:1], v[242:243]
	v_accvgpr_read_b32 v8, a118
	v_accvgpr_read_b32 v9, a119
	v_add_f64 v[0:1], v[0:1], v[4:5]
	v_accvgpr_read_b32 v7, a117
	v_mul_f64 v[4:5], v[106:107], v[8:9]
	v_fma_f64 v[4:5], v[104:105], v[6:7], -v[4:5]
	v_accvgpr_read_b32 v6, a120
	v_accvgpr_read_b32 v8, a122
	v_accvgpr_read_b32 v9, a123
	v_add_f64 v[0:1], v[0:1], v[4:5]
	v_accvgpr_read_b32 v7, a121
	v_mul_f64 v[4:5], v[110:111], v[8:9]
	v_fma_f64 v[4:5], v[108:109], v[6:7], -v[4:5]
	v_accvgpr_read_b32 v6, a124
	;; [unrolled: 7-line block ×3, first 2 shown]
	v_accvgpr_read_b32 v8, a130
	v_accvgpr_read_b32 v9, a131
	v_add_f64 v[0:1], v[0:1], v[4:5]
	v_accvgpr_read_b32 v7, a129
	v_mul_f64 v[4:5], v[118:119], v[8:9]
	v_fma_f64 v[4:5], v[116:117], v[6:7], -v[4:5]
	v_add_f64 v[0:1], v[0:1], v[4:5]
	v_mul_f64 v[4:5], v[122:123], v[236:237]
	v_fma_f64 v[4:5], v[120:121], v[234:235], -v[4:5]
	v_add_f64 v[0:1], v[0:1], v[4:5]
	;; [unrolled: 3-line block ×24, first 2 shown]
	s_waitcnt vmcnt(0)
	v_add_f64 v[4:5], v[228:229], -v[0:1]
	v_accvgpr_read_b32 v0, a110
	v_add_f64 v[6:7], v[230:231], -v[254:255]
	v_cmp_lt_u32_e32 vcc, 4, v0
	scratch_store_dwordx4 off, v[4:7], off offset:96
	s_and_saveexec_b64 s[0:1], vcc
	s_cbranch_execz .LBB118_335
; %bb.334:
	scratch_load_dwordx4 v[6:9], off, s67
	v_mov_b32_e32 v3, v2
	v_mov_b32_e32 v4, v2
	v_mov_b32_e32 v5, v2
	v_accvgpr_read_b32 v0, a111
	scratch_store_dwordx4 off, v[2:5], off offset:80
	s_waitcnt vmcnt(1)
	ds_write_b128 v0, v[6:9]
.LBB118_335:
	s_or_b64 exec, exec, s[0:1]
	s_waitcnt lgkmcnt(0)
	; wave barrier
	scratch_load_dwordx4 v[56:59], off, off offset:96
	scratch_load_dwordx4 v[60:63], off, off offset:112
	;; [unrolled: 1-line block ×18, first 2 shown]
	ds_read_b128 v[116:119], v2 offset:960
	ds_read_b128 v[220:223], v2 offset:976
	;; [unrolled: 1-line block ×6, first 2 shown]
	scratch_load_dwordx4 v[180:183], off, off offset:384
	ds_read_b128 v[204:207], v2 offset:1056
	ds_read_b128 v[132:135], v2 offset:1072
	scratch_load_dwordx4 v[184:187], off, off offset:400
	ds_read_b128 v[224:227], v2 offset:1088
	ds_read_b128 v[216:219], v2 offset:1104
	;; [unrolled: 1-line block ×5, first 2 shown]
	scratch_load_dwordx4 v[192:195], off, off offset:416
	ds_read_b128 v[200:203], v2 offset:1168
	ds_read_b128 v[164:167], v2 offset:1184
	scratch_load_dwordx4 v[4:7], off, off offset:432
	ds_read_b128 v[212:215], v2 offset:1200
	ds_read_b128 v[188:191], v2 offset:1216
	;; [unrolled: 1-line block ×3, first 2 shown]
	scratch_load_dwordx4 v[8:11], off, off offset:448
	scratch_load_dwordx4 v[12:15], off, off offset:464
	;; [unrolled: 1-line block ×6, first 2 shown]
	ds_read_b128 v[228:231], v2 offset:1248
	ds_read_b128 v[232:235], v2 offset:1264
	;; [unrolled: 1-line block ×4, first 2 shown]
	s_waitcnt vmcnt(27) lgkmcnt(14)
	v_mul_f64 v[0:1], v[116:117], v[58:59]
	s_waitcnt vmcnt(26)
	v_mul_f64 v[32:33], v[220:221], v[62:63]
	v_fmac_f64_e32 v[0:1], v[118:119], v[56:57]
	s_waitcnt vmcnt(25)
	v_mul_f64 v[34:35], v[208:209], v[66:67]
	v_fmac_f64_e32 v[32:33], v[222:223], v[60:61]
	v_add_f64 v[0:1], v[0:1], 0
	v_fmac_f64_e32 v[34:35], v[210:211], v[64:65]
	v_add_f64 v[0:1], v[0:1], v[32:33]
	v_add_f64 v[0:1], v[0:1], v[34:35]
	scratch_load_dwordx4 v[32:35], off, off offset:544
	s_waitcnt vmcnt(25)
	v_mul_f64 v[36:37], v[120:121], v[70:71]
	s_waitcnt vmcnt(24)
	v_mul_f64 v[38:39], v[128:129], v[74:75]
	v_fmac_f64_e32 v[36:37], v[122:123], v[68:69]
	s_waitcnt vmcnt(23)
	v_mul_f64 v[40:41], v[124:125], v[78:79]
	v_fmac_f64_e32 v[38:39], v[130:131], v[72:73]
	v_add_f64 v[0:1], v[0:1], v[36:37]
	s_waitcnt vmcnt(22)
	v_mul_f64 v[42:43], v[204:205], v[82:83]
	v_fmac_f64_e32 v[40:41], v[126:127], v[76:77]
	v_add_f64 v[0:1], v[0:1], v[38:39]
	;; [unrolled: 4-line block ×3, first 2 shown]
	s_waitcnt vmcnt(20) lgkmcnt(13)
	v_mul_f64 v[46:47], v[224:225], v[94:95]
	v_fmac_f64_e32 v[44:45], v[134:135], v[84:85]
	v_add_f64 v[0:1], v[0:1], v[42:43]
	s_waitcnt vmcnt(19) lgkmcnt(12)
	v_mul_f64 v[48:49], v[216:217], v[98:99]
	v_fmac_f64_e32 v[46:47], v[226:227], v[92:93]
	v_add_f64 v[0:1], v[0:1], v[44:45]
	;; [unrolled: 4-line block ×9, first 2 shown]
	v_fmac_f64_e32 v[106:107], v[190:191], v[168:169]
	v_add_f64 v[0:1], v[0:1], v[104:105]
	s_waitcnt vmcnt(11) lgkmcnt(4)
	v_mul_f64 v[40:41], v[176:177], v[174:175]
	v_add_f64 v[0:1], v[0:1], v[106:107]
	v_fmac_f64_e32 v[40:41], v[178:179], v[172:173]
	scratch_load_dwordx4 v[36:39], off, off offset:560
	v_add_f64 v[0:1], v[0:1], v[40:41]
	s_waitcnt vmcnt(11) lgkmcnt(3)
	v_mul_f64 v[40:41], v[228:229], v[182:183]
	v_fmac_f64_e32 v[40:41], v[230:231], v[180:181]
	v_add_f64 v[0:1], v[0:1], v[40:41]
	scratch_load_dwordx4 v[40:43], off, off offset:576
	ds_read_b128 v[88:91], v2 offset:1296
	s_waitcnt vmcnt(11) lgkmcnt(3)
	v_mul_f64 v[44:45], v[232:233], v[186:187]
	v_fmac_f64_e32 v[44:45], v[234:235], v[184:185]
	v_add_f64 v[0:1], v[0:1], v[44:45]
	s_waitcnt vmcnt(10) lgkmcnt(2)
	v_mul_f64 v[44:45], v[236:237], v[194:195]
	v_fmac_f64_e32 v[44:45], v[238:239], v[192:193]
	s_waitcnt vmcnt(9) lgkmcnt(0)
	v_mul_f64 v[48:49], v[88:89], v[6:7]
	ds_read_b128 v[104:107], v2 offset:1312
	v_add_f64 v[0:1], v[0:1], v[44:45]
	scratch_load_dwordx4 v[44:47], off, off offset:592
	v_fmac_f64_e32 v[48:49], v[90:91], v[4:5]
	v_accvgpr_write_b32 a115, v7
	v_add_f64 v[0:1], v[0:1], v[48:49]
	scratch_load_dwordx4 v[48:51], off, off offset:608
	v_accvgpr_write_b32 a114, v6
	v_accvgpr_write_b32 a113, v5
	;; [unrolled: 1-line block ×3, first 2 shown]
	s_waitcnt vmcnt(10)
	v_mov_b64_e32 v[4:5], v[8:9]
	v_mov_b64_e32 v[6:7], v[10:11]
	s_waitcnt lgkmcnt(0)
	v_mul_f64 v[52:53], v[104:105], v[6:7]
	v_fmac_f64_e32 v[52:53], v[106:107], v[4:5]
	v_add_f64 v[0:1], v[0:1], v[52:53]
	scratch_load_dwordx4 v[52:55], off, off offset:624
	v_mul_f64 v[58:59], v[118:119], v[58:59]
	v_fma_f64 v[240:241], v[116:117], v[56:57], -v[58:59]
	scratch_load_dwordx4 v[56:59], off, off offset:640
	v_mul_f64 v[62:63], v[222:223], v[62:63]
	v_fma_f64 v[244:245], v[220:221], v[60:61], -v[62:63]
	scratch_load_dwordx4 v[60:63], off, off offset:656
	s_waitcnt vmcnt(12)
	v_mov_b64_e32 v[4:5], v[12:13]
	v_mul_f64 v[66:67], v[210:211], v[66:67]
	v_mov_b64_e32 v[6:7], v[14:15]
	v_fma_f64 v[246:247], v[208:209], v[64:65], -v[66:67]
	scratch_load_dwordx4 v[64:67], off, off offset:672
	v_mul_f64 v[112:113], v[108:109], v[6:7]
	v_fmac_f64_e32 v[112:113], v[110:111], v[4:5]
	v_add_f64 v[0:1], v[0:1], v[112:113]
	ds_read_b128 v[112:115], v2 offset:1344
	ds_read_b128 v[116:119], v2 offset:1360
	s_waitcnt vmcnt(12)
	v_mov_b64_e32 v[4:5], v[16:17]
	v_mul_f64 v[70:71], v[122:123], v[70:71]
	v_mov_b64_e32 v[6:7], v[18:19]
	v_fma_f64 v[248:249], v[120:121], v[68:69], -v[70:71]
	scratch_load_dwordx4 v[68:71], off, off offset:688
	v_mul_f64 v[74:75], v[130:131], v[74:75]
	s_waitcnt lgkmcnt(1)
	v_mul_f64 v[220:221], v[112:113], v[6:7]
	v_fma_f64 v[250:251], v[128:129], v[72:73], -v[74:75]
	scratch_load_dwordx4 v[72:75], off, off offset:704
	v_fmac_f64_e32 v[220:221], v[114:115], v[4:5]
	s_waitcnt vmcnt(13)
	v_mov_b64_e32 v[4:5], v[20:21]
	ds_read_b128 v[120:123], v2 offset:1376
	v_mul_f64 v[78:79], v[126:127], v[78:79]
	v_mov_b64_e32 v[6:7], v[22:23]
	v_fma_f64 v[254:255], v[124:125], v[76:77], -v[78:79]
	scratch_load_dwordx4 v[76:79], off, off offset:720
	s_waitcnt lgkmcnt(1)
	v_mul_f64 v[208:209], v[116:117], v[6:7]
	ds_read_b128 v[124:127], v2 offset:1392
	v_fmac_f64_e32 v[208:209], v[118:119], v[4:5]
	s_waitcnt vmcnt(13)
	v_mov_b64_e32 v[4:5], v[24:25]
	v_mul_f64 v[82:83], v[206:207], v[82:83]
	v_mov_b64_e32 v[6:7], v[26:27]
	v_fma_f64 v[242:243], v[204:205], v[80:81], -v[82:83]
	scratch_load_dwordx4 v[80:83], off, off offset:736
	v_add_f64 v[0:1], v[0:1], v[220:221]
	s_waitcnt lgkmcnt(1)
	v_mul_f64 v[128:129], v[120:121], v[6:7]
	v_add_f64 v[0:1], v[0:1], v[208:209]
	v_fmac_f64_e32 v[128:129], v[122:123], v[4:5]
	v_add_f64 v[0:1], v[0:1], v[128:129]
	s_waitcnt vmcnt(13) lgkmcnt(0)
	v_mul_f64 v[128:129], v[124:125], v[30:31]
	v_accvgpr_write_b32 a135, v27
	v_fmac_f64_e32 v[128:129], v[126:127], v[28:29]
	v_mul_f64 v[86:87], v[134:135], v[86:87]
	v_accvgpr_write_b32 a134, v26
	v_accvgpr_write_b32 a133, v25
	;; [unrolled: 1-line block ×3, first 2 shown]
	v_add_f64 v[0:1], v[0:1], v[128:129]
	v_fma_f64 v[24:25], v[132:133], v[84:85], -v[86:87]
	scratch_load_dwordx4 v[84:87], off, off offset:752
	ds_read_b128 v[132:135], v2 offset:1408
	ds_read_b128 v[128:131], v2 offset:1424
	v_accvgpr_write_b32 a131, v23
	v_mul_f64 v[6:7], v[226:227], v[94:95]
	v_accvgpr_write_b32 a127, v19
	v_accvgpr_write_b32 a130, v22
	;; [unrolled: 1-line block ×4, first 2 shown]
	v_fma_f64 v[20:21], v[224:225], v[92:93], -v[6:7]
	v_mul_f64 v[92:93], v[218:219], v[98:99]
	v_accvgpr_write_b32 a119, v11
	v_accvgpr_write_b32 a126, v18
	;; [unrolled: 1-line block ×4, first 2 shown]
	v_fma_f64 v[16:17], v[216:217], v[96:97], -v[92:93]
	scratch_load_dwordx4 v[96:99], off, off offset:768
	scratch_load_dwordx4 v[92:95], off, off offset:784
	v_accvgpr_write_b32 a118, v10
	v_accvgpr_write_b32 a117, v9
	;; [unrolled: 1-line block ×3, first 2 shown]
	s_waitcnt vmcnt(15) lgkmcnt(1)
	v_mul_f64 v[10:11], v[132:133], v[34:35]
	v_fmac_f64_e32 v[10:11], v[134:135], v[32:33]
	v_accvgpr_write_b32 a123, v15
	v_add_f64 v[0:1], v[0:1], v[10:11]
	v_mul_f64 v[10:11], v[198:199], v[102:103]
	v_accvgpr_write_b32 a122, v14
	v_accvgpr_write_b32 a121, v13
	;; [unrolled: 1-line block ×3, first 2 shown]
	v_fma_f64 v[12:13], v[196:197], v[100:101], -v[10:11]
	scratch_load_dwordx4 v[100:103], off, off offset:800
	v_mul_f64 v[138:139], v[142:143], v[138:139]
	v_fma_f64 v[10:11], v[140:141], v[136:137], -v[138:139]
	ds_read_b128 v[136:139], v2 offset:1440
	ds_read_b128 v[140:143], v2 offset:1456
	s_waitcnt vmcnt(15) lgkmcnt(2)
	v_mul_f64 v[14:15], v[128:129], v[38:39]
	v_fmac_f64_e32 v[14:15], v[130:131], v[36:37]
	v_add_f64 v[0:1], v[0:1], v[14:15]
	s_waitcnt vmcnt(14) lgkmcnt(1)
	v_mul_f64 v[14:15], v[136:137], v[42:43]
	v_fmac_f64_e32 v[14:15], v[138:139], v[40:41]
	v_add_f64 v[0:1], v[0:1], v[14:15]
	v_mul_f64 v[14:15], v[154:155], v[146:147]
	v_fma_f64 v[14:15], v[152:153], v[144:145], -v[14:15]
	ds_read_b128 v[144:147], v2 offset:1472
	s_waitcnt vmcnt(13) lgkmcnt(1)
	v_mul_f64 v[152:153], v[140:141], v[46:47]
	v_mul_f64 v[150:151], v[202:203], v[150:151]
	v_fmac_f64_e32 v[152:153], v[142:143], v[44:45]
	v_fma_f64 v[8:9], v[200:201], v[148:149], -v[150:151]
	ds_read_b128 v[148:151], v2 offset:1488
	s_waitcnt vmcnt(12) lgkmcnt(1)
	v_mul_f64 v[18:19], v[144:145], v[50:51]
	v_add_f64 v[0:1], v[0:1], v[152:153]
	v_fmac_f64_e32 v[18:19], v[146:147], v[48:49]
	v_add_f64 v[0:1], v[0:1], v[18:19]
	ds_read_b128 v[152:155], v2 offset:1504
	v_mul_f64 v[18:19], v[166:167], v[158:159]
	v_fma_f64 v[18:19], v[164:165], v[156:157], -v[18:19]
	ds_read_b128 v[156:159], v2 offset:1520
	v_mul_f64 v[162:163], v[214:215], v[162:163]
	s_waitcnt vmcnt(11) lgkmcnt(2)
	v_mul_f64 v[164:165], v[148:149], v[54:55]
	v_fma_f64 v[6:7], v[212:213], v[160:161], -v[162:163]
	ds_read_b128 v[160:163], v2 offset:1536
	v_fmac_f64_e32 v[164:165], v[150:151], v[52:53]
	v_add_f64 v[0:1], v[0:1], v[164:165]
	s_waitcnt vmcnt(10) lgkmcnt(2)
	v_mul_f64 v[164:165], v[152:153], v[58:59]
	v_fmac_f64_e32 v[164:165], v[154:155], v[56:57]
	s_waitcnt vmcnt(9) lgkmcnt(1)
	v_mul_f64 v[22:23], v[156:157], v[62:63]
	v_add_f64 v[0:1], v[0:1], v[164:165]
	v_fmac_f64_e32 v[22:23], v[158:159], v[60:61]
	v_add_f64 v[0:1], v[0:1], v[22:23]
	ds_read_b128 v[164:167], v2 offset:1552
	s_waitcnt vmcnt(8) lgkmcnt(1)
	v_mul_f64 v[22:23], v[160:161], v[66:67]
	v_fmac_f64_e32 v[22:23], v[162:163], v[64:65]
	v_add_f64 v[0:1], v[0:1], v[22:23]
	v_mul_f64 v[22:23], v[190:191], v[170:171]
	v_fma_f64 v[22:23], v[188:189], v[168:169], -v[22:23]
	ds_read_b128 v[168:171], v2 offset:1568
	v_mul_f64 v[174:175], v[178:179], v[174:175]
	v_fma_f64 v[4:5], v[176:177], v[172:173], -v[174:175]
	ds_read_b128 v[172:175], v2 offset:1584
	s_waitcnt vmcnt(7) lgkmcnt(2)
	v_mul_f64 v[188:189], v[164:165], v[70:71]
	v_fmac_f64_e32 v[188:189], v[166:167], v[68:69]
	s_waitcnt vmcnt(6) lgkmcnt(1)
	v_mul_f64 v[26:27], v[168:169], v[74:75]
	ds_read_b128 v[176:179], v2 offset:1600
	v_add_f64 v[0:1], v[0:1], v[188:189]
	v_fmac_f64_e32 v[26:27], v[170:171], v[72:73]
	v_add_f64 v[0:1], v[0:1], v[26:27]
	s_waitcnt vmcnt(5) lgkmcnt(1)
	v_mul_f64 v[26:27], v[172:173], v[78:79]
	v_fmac_f64_e32 v[26:27], v[174:175], v[76:77]
	v_add_f64 v[0:1], v[0:1], v[26:27]
	v_mul_f64 v[26:27], v[230:231], v[182:183]
	v_fma_f64 v[26:27], v[228:229], v[180:181], -v[26:27]
	ds_read_b128 v[180:183], v2 offset:1616
	s_waitcnt vmcnt(4) lgkmcnt(1)
	v_mul_f64 v[188:189], v[176:177], v[82:83]
	v_fmac_f64_e32 v[188:189], v[178:179], v[80:81]
	v_add_f64 v[196:197], v[0:1], v[188:189]
	v_mul_f64 v[0:1], v[234:235], v[186:187]
	v_fma_f64 v[0:1], v[232:233], v[184:185], -v[0:1]
	ds_read_b128 v[184:187], v2 offset:1632
	ds_read_b128 v[188:191], v2 offset:1648
	s_waitcnt vmcnt(3) lgkmcnt(2)
	v_mul_f64 v[198:199], v[180:181], v[86:87]
	v_mul_f64 v[194:195], v[238:239], v[194:195]
	v_fmac_f64_e32 v[198:199], v[182:183], v[84:85]
	v_fma_f64 v[252:253], v[236:237], v[192:193], -v[194:195]
	ds_read_b128 v[192:195], v2 offset:1664
	ds_read_b128 v[200:203], v2 offset:1680
	v_add_f64 v[196:197], v[196:197], v[198:199]
	s_waitcnt vmcnt(2) lgkmcnt(3)
	v_mul_f64 v[198:199], v[184:185], v[98:99]
	v_fmac_f64_e32 v[198:199], v[186:187], v[96:97]
	v_add_f64 v[196:197], v[196:197], v[198:199]
	s_waitcnt vmcnt(1) lgkmcnt(2)
	v_mul_f64 v[198:199], v[188:189], v[94:95]
	v_fmac_f64_e32 v[198:199], v[190:191], v[92:93]
	v_add_f64 v[196:197], v[196:197], v[198:199]
	scratch_load_dwordx4 v[232:235], off, off offset:880
	s_waitcnt vmcnt(1) lgkmcnt(1)
	v_mul_f64 v[198:199], v[192:193], v[102:103]
	v_fmac_f64_e32 v[198:199], v[194:195], v[100:101]
	v_add_f64 v[204:205], v[196:197], v[198:199]
	scratch_load_dwordx4 v[196:199], off, off offset:816
	ds_read_b128 v[208:211], v2 offset:1696
	ds_read_b128 v[216:219], v2 offset:1712
	;; [unrolled: 1-line block ×3, first 2 shown]
	s_waitcnt vmcnt(0) lgkmcnt(3)
	v_mul_f64 v[206:207], v[200:201], v[198:199]
	v_fmac_f64_e32 v[206:207], v[202:203], v[196:197]
	v_add_f64 v[212:213], v[204:205], v[206:207]
	scratch_load_dwordx4 v[204:207], off, off offset:832
	s_waitcnt vmcnt(0) lgkmcnt(2)
	v_mul_f64 v[214:215], v[208:209], v[206:207]
	v_fmac_f64_e32 v[214:215], v[210:211], v[204:205]
	v_add_f64 v[220:221], v[212:213], v[214:215]
	scratch_load_dwordx4 v[212:215], off, off offset:848
	;; [unrolled: 5-line block ×3, first 2 shown]
	s_waitcnt vmcnt(0) lgkmcnt(0)
	v_mul_f64 v[230:231], v[224:225], v[222:223]
	v_fmac_f64_e32 v[230:231], v[226:227], v[220:221]
	v_add_f64 v[236:237], v[228:229], v[230:231]
	ds_read_b128 v[228:231], v2 offset:1744
	s_waitcnt lgkmcnt(0)
	v_mul_f64 v[2:3], v[228:229], v[234:235]
	v_fmac_f64_e32 v[2:3], v[230:231], v[232:233]
	v_add_f64 v[2:3], v[236:237], v[2:3]
	v_add_f64 v[236:237], v[240:241], 0
	;; [unrolled: 1-line block ×9, first 2 shown]
	scratch_load_dwordx4 v[236:239], off, off offset:80
	v_add_f64 v[20:21], v[24:25], v[20:21]
	v_add_f64 v[16:17], v[20:21], v[16:17]
	;; [unrolled: 1-line block ×10, first 2 shown]
	v_accvgpr_read_b32 v6, a112
	v_accvgpr_read_b32 v8, a114
	;; [unrolled: 1-line block ×3, first 2 shown]
	v_add_f64 v[254:255], v[4:5], v[26:27]
	v_accvgpr_read_b32 v7, a113
	v_mul_f64 v[4:5], v[90:91], v[8:9]
	v_add_f64 v[0:1], v[254:255], v[0:1]
	v_fma_f64 v[4:5], v[88:89], v[6:7], -v[4:5]
	v_accvgpr_read_b32 v6, a116
	v_add_f64 v[0:1], v[0:1], v[252:253]
	v_accvgpr_read_b32 v8, a118
	v_accvgpr_read_b32 v9, a119
	v_add_f64 v[0:1], v[0:1], v[4:5]
	v_accvgpr_read_b32 v7, a117
	v_mul_f64 v[4:5], v[106:107], v[8:9]
	v_fma_f64 v[4:5], v[104:105], v[6:7], -v[4:5]
	v_accvgpr_read_b32 v6, a120
	v_accvgpr_read_b32 v8, a122
	v_accvgpr_read_b32 v9, a123
	v_add_f64 v[0:1], v[0:1], v[4:5]
	v_accvgpr_read_b32 v7, a121
	v_mul_f64 v[4:5], v[110:111], v[8:9]
	v_fma_f64 v[4:5], v[108:109], v[6:7], -v[4:5]
	v_accvgpr_read_b32 v6, a124
	;; [unrolled: 7-line block ×4, first 2 shown]
	v_accvgpr_read_b32 v8, a134
	v_accvgpr_read_b32 v9, a135
	v_add_f64 v[0:1], v[0:1], v[4:5]
	v_accvgpr_read_b32 v7, a133
	v_mul_f64 v[4:5], v[122:123], v[8:9]
	v_fma_f64 v[4:5], v[120:121], v[6:7], -v[4:5]
	v_add_f64 v[0:1], v[0:1], v[4:5]
	v_mul_f64 v[4:5], v[126:127], v[30:31]
	v_fma_f64 v[4:5], v[124:125], v[28:29], -v[4:5]
	v_add_f64 v[0:1], v[0:1], v[4:5]
	;; [unrolled: 3-line block ×24, first 2 shown]
	s_waitcnt vmcnt(0)
	v_add_f64 v[4:5], v[236:237], -v[0:1]
	v_accvgpr_read_b32 v0, a110
	v_add_f64 v[6:7], v[238:239], -v[2:3]
	v_cmp_lt_u32_e32 vcc, 3, v0
	scratch_store_dwordx4 off, v[4:7], off offset:80
	s_and_saveexec_b64 s[0:1], vcc
	s_cbranch_execz .LBB118_337
; %bb.336:
	scratch_load_dwordx4 v[2:5], off, s68
	v_mov_b32_e32 v6, 0
	v_mov_b32_e32 v7, v6
	;; [unrolled: 1-line block ×4, first 2 shown]
	v_accvgpr_read_b32 v0, a111
	scratch_store_dwordx4 off, v[6:9], off offset:64
	s_waitcnt vmcnt(1)
	ds_write_b128 v0, v[2:5]
.LBB118_337:
	s_or_b64 exec, exec, s[0:1]
	s_waitcnt lgkmcnt(0)
	; wave barrier
	scratch_load_dwordx4 v[48:51], off, off offset:80
	scratch_load_dwordx4 v[52:55], off, off offset:96
	;; [unrolled: 1-line block ×28, first 2 shown]
	v_mov_b32_e32 v2, 0
	ds_read_b128 v[104:107], v2 offset:944
	ds_read_b128 v[112:115], v2 offset:960
	;; [unrolled: 1-line block ×18, first 2 shown]
	scratch_load_dwordx4 a[112:115], off, off offset:528
	scratch_load_dwordx4 v[234:237], off, off offset:544
	ds_read_b128 v[220:223], v2 offset:1232
	ds_read_b128 v[224:227], v2 offset:1248
	;; [unrolled: 1-line block ×5, first 2 shown]
	s_waitcnt vmcnt(29) lgkmcnt(14)
	v_mul_f64 v[0:1], v[104:105], v[50:51]
	s_waitcnt vmcnt(28)
	v_mul_f64 v[24:25], v[112:113], v[54:55]
	v_fmac_f64_e32 v[0:1], v[106:107], v[48:49]
	s_waitcnt vmcnt(27)
	v_mul_f64 v[26:27], v[116:117], v[58:59]
	v_fmac_f64_e32 v[24:25], v[114:115], v[52:53]
	v_add_f64 v[0:1], v[0:1], 0
	s_waitcnt vmcnt(26)
	v_mul_f64 v[28:29], v[120:121], v[62:63]
	v_fmac_f64_e32 v[26:27], v[118:119], v[56:57]
	v_add_f64 v[0:1], v[0:1], v[24:25]
	;; [unrolled: 4-line block ×7, first 2 shown]
	s_waitcnt vmcnt(20) lgkmcnt(13)
	v_mul_f64 v[40:41], v[172:173], v[86:87]
	v_fmac_f64_e32 v[38:39], v[162:163], v[80:81]
	v_add_f64 v[0:1], v[0:1], v[36:37]
	s_waitcnt vmcnt(19) lgkmcnt(12)
	v_mul_f64 v[42:43], v[184:185], v[94:95]
	v_fmac_f64_e32 v[40:41], v[174:175], v[84:85]
	v_add_f64 v[0:1], v[0:1], v[38:39]
	;; [unrolled: 4-line block ×8, first 2 shown]
	v_add_f64 v[0:1], v[0:1], v[96:97]
	v_fmac_f64_e32 v[98:99], v[214:215], v[152:153]
	s_waitcnt vmcnt(12) lgkmcnt(5)
	v_mul_f64 v[32:33], v[216:217], v[158:159]
	v_add_f64 v[0:1], v[0:1], v[98:99]
	v_fmac_f64_e32 v[32:33], v[218:219], v[156:157]
	v_add_f64 v[0:1], v[0:1], v[32:33]
	s_waitcnt vmcnt(11) lgkmcnt(4)
	v_mul_f64 v[32:33], v[220:221], v[166:167]
	v_fmac_f64_e32 v[32:33], v[222:223], v[164:165]
	v_add_f64 v[0:1], v[0:1], v[32:33]
	scratch_load_dwordx4 v[32:35], off, off offset:560
	s_waitcnt vmcnt(11) lgkmcnt(3)
	v_mul_f64 v[36:37], v[224:225], v[170:171]
	v_fmac_f64_e32 v[36:37], v[226:227], v[168:169]
	v_add_f64 v[0:1], v[0:1], v[36:37]
	s_waitcnt vmcnt(10) lgkmcnt(2)
	v_mul_f64 v[36:37], v[228:229], v[178:179]
	v_fmac_f64_e32 v[36:37], v[230:231], v[176:177]
	v_add_f64 v[0:1], v[0:1], v[36:37]
	scratch_load_dwordx4 v[36:39], off, off offset:576
	s_waitcnt vmcnt(10) lgkmcnt(1)
	v_mul_f64 v[40:41], v[242:243], v[182:183]
	v_fmac_f64_e32 v[40:41], v[244:245], v[180:181]
	v_add_f64 v[0:1], v[0:1], v[40:41]
	scratch_load_dwordx4 v[40:43], off, off offset:592
	ds_read_b128 v[88:91], v2 offset:1312
	s_waitcnt vmcnt(10) lgkmcnt(1)
	v_mul_f64 v[44:45], v[252:253], v[190:191]
	v_fmac_f64_e32 v[44:45], v[254:255], v[188:189]
	v_add_f64 v[0:1], v[0:1], v[44:45]
	scratch_load_dwordx4 v[44:47], off, off offset:608
	v_mul_f64 v[50:51], v[106:107], v[50:51]
	v_fma_f64 v[240:241], v[104:105], v[48:49], -v[50:51]
	scratch_load_dwordx4 v[48:51], off, off offset:624
	v_mul_f64 v[54:55], v[114:115], v[54:55]
	v_fma_f64 v[246:247], v[112:113], v[52:53], -v[54:55]
	scratch_load_dwordx4 v[52:55], off, off offset:640
	s_waitcnt vmcnt(12) lgkmcnt(0)
	v_mul_f64 v[96:97], v[88:89], v[6:7]
	v_fmac_f64_e32 v[96:97], v[90:91], v[4:5]
	v_mul_f64 v[58:59], v[118:119], v[58:59]
	v_add_f64 v[0:1], v[0:1], v[96:97]
	ds_read_b128 v[96:99], v2 offset:1328
	ds_read_b128 v[104:107], v2 offset:1344
	v_fma_f64 v[248:249], v[116:117], v[56:57], -v[58:59]
	scratch_load_dwordx4 v[56:59], off, off offset:656
	v_mul_f64 v[62:63], v[122:123], v[62:63]
	v_accvgpr_write_b32 a119, v7
	v_fma_f64 v[250:251], v[120:121], v[60:61], -v[62:63]
	scratch_load_dwordx4 v[60:63], off, off offset:672
	v_accvgpr_write_b32 a118, v6
	v_accvgpr_write_b32 a117, v5
	;; [unrolled: 1-line block ×3, first 2 shown]
	s_waitcnt vmcnt(13)
	v_mov_b64_e32 v[4:5], v[8:9]
	v_mov_b64_e32 v[6:7], v[10:11]
	v_mul_f64 v[66:67], v[126:127], v[66:67]
	s_waitcnt lgkmcnt(1)
	v_mul_f64 v[112:113], v[96:97], v[6:7]
	v_fma_f64 v[232:233], v[124:125], v[64:65], -v[66:67]
	scratch_load_dwordx4 v[64:67], off, off offset:688
	v_fmac_f64_e32 v[112:113], v[98:99], v[4:5]
	s_waitcnt vmcnt(13)
	v_mov_b64_e32 v[4:5], v[12:13]
	v_mov_b64_e32 v[6:7], v[14:15]
	v_add_f64 v[0:1], v[0:1], v[112:113]
	s_waitcnt lgkmcnt(0)
	v_mul_f64 v[112:113], v[104:105], v[6:7]
	v_fmac_f64_e32 v[112:113], v[106:107], v[4:5]
	v_add_f64 v[0:1], v[0:1], v[112:113]
	ds_read_b128 v[112:115], v2 offset:1360
	ds_read_b128 v[116:119], v2 offset:1376
	v_mul_f64 v[70:71], v[130:131], v[70:71]
	v_fma_f64 v[238:239], v[128:129], v[68:69], -v[70:71]
	scratch_load_dwordx4 v[68:71], off, off offset:704
	v_mul_f64 v[74:75], v[134:135], v[74:75]
	v_accvgpr_write_b32 a123, v11
	s_waitcnt vmcnt(13)
	v_mov_b64_e32 v[4:5], v[16:17]
	v_fma_f64 v[28:29], v[132:133], v[72:73], -v[74:75]
	scratch_load_dwordx4 v[72:75], off, off offset:720
	v_accvgpr_write_b32 a122, v10
	v_accvgpr_write_b32 a121, v9
	;; [unrolled: 1-line block ×3, first 2 shown]
	v_mov_b64_e32 v[6:7], v[18:19]
	s_waitcnt vmcnt(13)
	v_mov_b64_e32 v[8:9], v[20:21]
	s_waitcnt lgkmcnt(1)
	v_mul_f64 v[120:121], v[112:113], v[6:7]
	v_mov_b64_e32 v[10:11], v[22:23]
	v_fmac_f64_e32 v[120:121], v[114:115], v[4:5]
	s_waitcnt lgkmcnt(0)
	v_mul_f64 v[6:7], v[116:117], v[10:11]
	v_add_f64 v[0:1], v[0:1], v[120:121]
	v_fmac_f64_e32 v[6:7], v[118:119], v[8:9]
	v_add_f64 v[0:1], v[0:1], v[6:7]
	v_mul_f64 v[6:7], v[150:151], v[78:79]
	v_accvgpr_write_b32 a135, v23
	v_fma_f64 v[24:25], v[148:149], v[76:77], -v[6:7]
	scratch_load_dwordx4 v[76:79], off, off offset:736
	v_mul_f64 v[6:7], v[162:163], v[82:83]
	ds_read_b128 v[124:127], v2 offset:1392
	ds_read_b128 v[120:123], v2 offset:1408
	v_accvgpr_write_b32 a131, v19
	v_accvgpr_write_b32 a134, v22
	v_accvgpr_write_b32 a133, v21
	v_accvgpr_write_b32 a132, v20
	v_fma_f64 v[20:21], v[160:161], v[80:81], -v[6:7]
	v_mul_f64 v[6:7], v[174:175], v[86:87]
	v_accvgpr_write_b32 a130, v18
	v_accvgpr_write_b32 a129, v17
	;; [unrolled: 1-line block ×3, first 2 shown]
	v_fma_f64 v[16:17], v[172:173], v[84:85], -v[6:7]
	scratch_load_dwordx4 v[84:87], off, off offset:752
	scratch_load_dwordx4 v[80:83], off, off offset:768
	s_waitcnt vmcnt(15)
	v_accvgpr_read_b32 v8, a112
	v_accvgpr_read_b32 v10, a114
	;; [unrolled: 1-line block ×4, first 2 shown]
	s_waitcnt lgkmcnt(1)
	v_mul_f64 v[6:7], v[124:125], v[10:11]
	v_fmac_f64_e32 v[6:7], v[126:127], v[8:9]
	v_add_f64 v[0:1], v[0:1], v[6:7]
	s_waitcnt vmcnt(14) lgkmcnt(0)
	v_mul_f64 v[6:7], v[120:121], v[236:237]
	v_fmac_f64_e32 v[6:7], v[122:123], v[234:235]
	v_accvgpr_write_b32 a127, v15
	v_add_f64 v[0:1], v[0:1], v[6:7]
	v_mul_f64 v[6:7], v[186:187], v[94:95]
	v_accvgpr_write_b32 a126, v14
	v_accvgpr_write_b32 a125, v13
	;; [unrolled: 1-line block ×3, first 2 shown]
	v_fma_f64 v[14:15], v[184:185], v[92:93], -v[6:7]
	scratch_load_dwordx4 v[92:95], off, off offset:784
	v_mul_f64 v[6:7], v[194:195], v[102:103]
	v_fma_f64 v[12:13], v[192:193], v[100:101], -v[6:7]
	scratch_load_dwordx4 v[100:103], off, off offset:800
	v_mul_f64 v[6:7], v[198:199], v[110:111]
	v_fma_f64 v[18:19], v[196:197], v[108:109], -v[6:7]
	scratch_load_dwordx4 v[108:111], off, off offset:816
	ds_read_b128 v[128:131], v2 offset:1424
	ds_read_b128 v[132:135], v2 offset:1440
	;; [unrolled: 1-line block ×4, first 2 shown]
	v_mul_f64 v[182:183], v[244:245], v[182:183]
	s_waitcnt vmcnt(16) lgkmcnt(3)
	v_mul_f64 v[6:7], v[128:129], v[34:35]
	v_fmac_f64_e32 v[6:7], v[130:131], v[32:33]
	v_add_f64 v[0:1], v[0:1], v[6:7]
	v_mul_f64 v[6:7], v[202:203], v[138:139]
	v_fma_f64 v[10:11], v[200:201], v[136:137], -v[6:7]
	ds_read_b128 v[136:139], v2 offset:1456
	s_waitcnt vmcnt(15) lgkmcnt(3)
	v_mul_f64 v[6:7], v[132:133], v[38:39]
	v_fmac_f64_e32 v[6:7], v[134:135], v[36:37]
	v_add_f64 v[0:1], v[0:1], v[6:7]
	v_mul_f64 v[6:7], v[206:207], v[142:143]
	v_fma_f64 v[22:23], v[204:205], v[140:141], -v[6:7]
	ds_read_b128 v[140:143], v2 offset:1472
	;; [unrolled: 7-line block ×3, first 2 shown]
	s_waitcnt vmcnt(13) lgkmcnt(1)
	v_mul_f64 v[6:7], v[140:141], v[46:47]
	v_fmac_f64_e32 v[6:7], v[142:143], v[44:45]
	v_add_f64 v[0:1], v[0:1], v[6:7]
	v_fma_f64 v[242:243], v[242:243], v[180:181], -v[182:183]
	s_waitcnt vmcnt(12) lgkmcnt(0)
	v_mul_f64 v[6:7], v[144:145], v[50:51]
	v_fmac_f64_e32 v[6:7], v[146:147], v[48:49]
	v_add_f64 v[0:1], v[0:1], v[6:7]
	v_mul_f64 v[6:7], v[214:215], v[154:155]
	v_fma_f64 v[26:27], v[212:213], v[152:153], -v[6:7]
	s_waitcnt vmcnt(11)
	v_mul_f64 v[6:7], v[148:149], v[54:55]
	v_fmac_f64_e32 v[6:7], v[150:151], v[52:53]
	ds_read_b128 v[152:155], v2 offset:1520
	v_add_f64 v[0:1], v[0:1], v[6:7]
	v_mul_f64 v[6:7], v[218:219], v[158:159]
	v_fma_f64 v[4:5], v[216:217], v[156:157], -v[6:7]
	ds_read_b128 v[156:159], v2 offset:1536
	s_waitcnt vmcnt(10) lgkmcnt(1)
	v_mul_f64 v[6:7], v[152:153], v[58:59]
	v_fmac_f64_e32 v[6:7], v[154:155], v[56:57]
	v_add_f64 v[0:1], v[0:1], v[6:7]
	ds_read_b128 v[180:183], v2 offset:1632
	s_waitcnt vmcnt(9) lgkmcnt(1)
	v_mul_f64 v[6:7], v[156:157], v[62:63]
	v_fmac_f64_e32 v[6:7], v[158:159], v[60:61]
	v_add_f64 v[0:1], v[0:1], v[6:7]
	v_mul_f64 v[6:7], v[222:223], v[166:167]
	v_fma_f64 v[30:31], v[220:221], v[164:165], -v[6:7]
	ds_read_b128 v[164:167], v2 offset:1568
	s_waitcnt vmcnt(8)
	v_mul_f64 v[6:7], v[160:161], v[66:67]
	v_fmac_f64_e32 v[6:7], v[162:163], v[64:65]
	v_add_f64 v[0:1], v[0:1], v[6:7]
	v_mul_f64 v[6:7], v[226:227], v[170:171]
	v_fma_f64 v[6:7], v[224:225], v[168:169], -v[6:7]
	ds_read_b128 v[168:171], v2 offset:1584
	s_waitcnt vmcnt(7) lgkmcnt(1)
	v_mul_f64 v[172:173], v[164:165], v[70:71]
	v_fmac_f64_e32 v[172:173], v[166:167], v[68:69]
	v_add_f64 v[0:1], v[0:1], v[172:173]
	ds_read_b128 v[172:175], v2 offset:1600
	s_waitcnt vmcnt(6) lgkmcnt(1)
	v_mul_f64 v[184:185], v[168:169], v[74:75]
	v_fmac_f64_e32 v[184:185], v[170:171], v[72:73]
	v_add_f64 v[184:185], v[0:1], v[184:185]
	v_mul_f64 v[0:1], v[230:231], v[178:179]
	v_fma_f64 v[0:1], v[228:229], v[176:177], -v[0:1]
	ds_read_b128 v[176:179], v2 offset:1616
	s_waitcnt vmcnt(5) lgkmcnt(1)
	v_mul_f64 v[186:187], v[172:173], v[78:79]
	v_fmac_f64_e32 v[186:187], v[174:175], v[76:77]
	v_add_f64 v[184:185], v[184:185], v[186:187]
	v_mul_f64 v[190:191], v[254:255], v[190:191]
	s_waitcnt vmcnt(4) lgkmcnt(0)
	v_mul_f64 v[186:187], v[176:177], v[86:87]
	v_fmac_f64_e32 v[186:187], v[178:179], v[84:85]
	v_add_f64 v[192:193], v[184:185], v[186:187]
	ds_read_b128 v[184:187], v2 offset:1648
	v_fma_f64 v[252:253], v[252:253], v[188:189], -v[190:191]
	ds_read_b128 v[188:191], v2 offset:1664
	s_waitcnt vmcnt(3)
	v_mul_f64 v[194:195], v[180:181], v[82:83]
	v_fmac_f64_e32 v[194:195], v[182:183], v[80:81]
	v_add_f64 v[192:193], v[192:193], v[194:195]
	s_waitcnt vmcnt(2) lgkmcnt(1)
	v_mul_f64 v[194:195], v[184:185], v[94:95]
	v_fmac_f64_e32 v[194:195], v[186:187], v[92:93]
	v_add_f64 v[192:193], v[192:193], v[194:195]
	s_waitcnt vmcnt(1) lgkmcnt(0)
	v_mul_f64 v[194:195], v[188:189], v[102:103]
	v_fmac_f64_e32 v[194:195], v[190:191], v[100:101]
	v_add_f64 v[196:197], v[192:193], v[194:195]
	ds_read_b128 v[192:195], v2 offset:1680
	ds_read_b128 v[200:203], v2 offset:1696
	;; [unrolled: 1-line block ×5, first 2 shown]
	s_waitcnt vmcnt(0) lgkmcnt(4)
	v_mul_f64 v[198:199], v[192:193], v[110:111]
	v_fmac_f64_e32 v[198:199], v[194:195], v[108:109]
	v_add_f64 v[204:205], v[196:197], v[198:199]
	scratch_load_dwordx4 v[196:199], off, off offset:832
	s_waitcnt vmcnt(0) lgkmcnt(3)
	v_mul_f64 v[206:207], v[200:201], v[198:199]
	v_fmac_f64_e32 v[206:207], v[202:203], v[196:197]
	v_add_f64 v[212:213], v[204:205], v[206:207]
	scratch_load_dwordx4 v[204:207], off, off offset:848
	;; [unrolled: 5-line block ×4, first 2 shown]
	s_waitcnt vmcnt(0) lgkmcnt(0)
	v_mul_f64 v[230:231], v[224:225], v[222:223]
	v_fmac_f64_e32 v[230:231], v[226:227], v[220:221]
	v_add_f64 v[244:245], v[228:229], v[230:231]
	v_add_f64 v[228:229], v[240:241], 0
	;; [unrolled: 1-line block ×8, first 2 shown]
	scratch_load_dwordx4 v[228:231], off, off offset:64
	v_add_f64 v[24:25], v[28:29], v[24:25]
	v_add_f64 v[20:21], v[24:25], v[20:21]
	;; [unrolled: 1-line block ×13, first 2 shown]
	v_accvgpr_read_b32 v6, a116
	v_accvgpr_read_b32 v8, a118
	;; [unrolled: 1-line block ×3, first 2 shown]
	v_add_f64 v[0:1], v[4:5], v[0:1]
	v_accvgpr_read_b32 v7, a117
	v_mul_f64 v[4:5], v[90:91], v[8:9]
	v_add_f64 v[0:1], v[0:1], v[242:243]
	v_fma_f64 v[4:5], v[88:89], v[6:7], -v[4:5]
	v_accvgpr_read_b32 v6, a120
	v_add_f64 v[0:1], v[0:1], v[252:253]
	v_accvgpr_read_b32 v8, a122
	v_accvgpr_read_b32 v9, a123
	v_add_f64 v[0:1], v[0:1], v[4:5]
	v_accvgpr_read_b32 v7, a121
	v_mul_f64 v[4:5], v[98:99], v[8:9]
	v_fma_f64 v[4:5], v[96:97], v[6:7], -v[4:5]
	v_accvgpr_read_b32 v6, a124
	v_accvgpr_read_b32 v8, a126
	v_accvgpr_read_b32 v9, a127
	v_add_f64 v[0:1], v[0:1], v[4:5]
	v_accvgpr_read_b32 v7, a125
	v_mul_f64 v[4:5], v[106:107], v[8:9]
	v_fma_f64 v[4:5], v[104:105], v[6:7], -v[4:5]
	v_accvgpr_read_b32 v6, a128
	;; [unrolled: 7-line block ×4, first 2 shown]
	v_accvgpr_read_b32 v8, a114
	v_accvgpr_read_b32 v9, a115
	v_add_f64 v[0:1], v[0:1], v[4:5]
	v_accvgpr_read_b32 v7, a113
	v_mul_f64 v[4:5], v[126:127], v[8:9]
	v_fma_f64 v[4:5], v[124:125], v[6:7], -v[4:5]
	v_add_f64 v[0:1], v[0:1], v[4:5]
	v_mul_f64 v[4:5], v[122:123], v[236:237]
	v_fma_f64 v[4:5], v[120:121], v[234:235], -v[4:5]
	v_add_f64 v[0:1], v[0:1], v[4:5]
	;; [unrolled: 3-line block ×23, first 2 shown]
	s_waitcnt vmcnt(0)
	v_add_f64 v[4:5], v[228:229], -v[0:1]
	v_accvgpr_read_b32 v0, a110
	v_add_f64 v[6:7], v[230:231], -v[244:245]
	v_cmp_lt_u32_e32 vcc, 2, v0
	scratch_store_dwordx4 off, v[4:7], off offset:64
	s_and_saveexec_b64 s[0:1], vcc
	s_cbranch_execz .LBB118_339
; %bb.338:
	scratch_load_dwordx4 v[6:9], off, s69
	v_mov_b32_e32 v3, v2
	v_mov_b32_e32 v4, v2
	;; [unrolled: 1-line block ×3, first 2 shown]
	v_accvgpr_read_b32 v0, a111
	scratch_store_dwordx4 off, v[2:5], off offset:48
	s_waitcnt vmcnt(1)
	ds_write_b128 v0, v[6:9]
.LBB118_339:
	s_or_b64 exec, exec, s[0:1]
	s_waitcnt lgkmcnt(0)
	; wave barrier
	scratch_load_dwordx4 v[48:51], off, off offset:64
	scratch_load_dwordx4 v[52:55], off, off offset:80
	;; [unrolled: 1-line block ×18, first 2 shown]
	ds_read_b128 v[104:107], v2 offset:928
	ds_read_b128 v[208:211], v2 offset:944
	;; [unrolled: 1-line block ×6, first 2 shown]
	scratch_load_dwordx4 v[164:167], off, off offset:352
	ds_read_b128 v[192:195], v2 offset:1024
	ds_read_b128 v[124:127], v2 offset:1040
	scratch_load_dwordx4 v[168:171], off, off offset:368
	ds_read_b128 v[212:215], v2 offset:1056
	ds_read_b128 v[204:207], v2 offset:1072
	;; [unrolled: 1-line block ×5, first 2 shown]
	scratch_load_dwordx4 v[176:179], off, off offset:384
	ds_read_b128 v[200:203], v2 offset:1136
	ds_read_b128 v[172:175], v2 offset:1152
	scratch_load_dwordx4 v[180:183], off, off offset:400
	ds_read_b128 v[216:219], v2 offset:1168
	ds_read_b128 v[184:187], v2 offset:1184
	;; [unrolled: 1-line block ×3, first 2 shown]
	scratch_load_dwordx4 v[188:191], off, off offset:416
	scratch_load_dwordx4 v[4:7], off, off offset:432
	;; [unrolled: 1-line block ×8, first 2 shown]
	ds_read_b128 v[220:223], v2 offset:1216
	ds_read_b128 v[224:227], v2 offset:1232
	;; [unrolled: 1-line block ×5, first 2 shown]
	s_waitcnt vmcnt(29) lgkmcnt(14)
	v_mul_f64 v[0:1], v[104:105], v[50:51]
	s_waitcnt vmcnt(28)
	v_mul_f64 v[24:25], v[208:209], v[54:55]
	v_fmac_f64_e32 v[0:1], v[106:107], v[48:49]
	s_waitcnt vmcnt(27)
	v_mul_f64 v[26:27], v[196:197], v[58:59]
	v_fmac_f64_e32 v[24:25], v[210:211], v[52:53]
	v_add_f64 v[0:1], v[0:1], 0
	s_waitcnt vmcnt(26)
	v_mul_f64 v[28:29], v[112:113], v[62:63]
	v_fmac_f64_e32 v[26:27], v[198:199], v[56:57]
	v_add_f64 v[0:1], v[0:1], v[24:25]
	;; [unrolled: 4-line block ×7, first 2 shown]
	s_waitcnt vmcnt(20) lgkmcnt(13)
	v_mul_f64 v[40:41], v[204:205], v[86:87]
	v_fmac_f64_e32 v[38:39], v[214:215], v[80:81]
	v_add_f64 v[0:1], v[0:1], v[36:37]
	s_waitcnt vmcnt(19) lgkmcnt(12)
	v_mul_f64 v[42:43], v[128:129], v[94:95]
	v_fmac_f64_e32 v[40:41], v[206:207], v[84:85]
	v_add_f64 v[0:1], v[0:1], v[38:39]
	;; [unrolled: 4-line block ×8, first 2 shown]
	v_fmac_f64_e32 v[98:99], v[186:187], v[152:153]
	v_add_f64 v[0:1], v[0:1], v[96:97]
	s_waitcnt vmcnt(12) lgkmcnt(5)
	v_mul_f64 v[32:33], v[160:161], v[158:159]
	v_add_f64 v[0:1], v[0:1], v[98:99]
	v_fmac_f64_e32 v[32:33], v[162:163], v[156:157]
	v_add_f64 v[0:1], v[0:1], v[32:33]
	s_waitcnt vmcnt(11) lgkmcnt(4)
	v_mul_f64 v[32:33], v[220:221], v[166:167]
	v_fmac_f64_e32 v[32:33], v[222:223], v[164:165]
	v_add_f64 v[0:1], v[0:1], v[32:33]
	scratch_load_dwordx4 v[32:35], off, off offset:544
	s_waitcnt vmcnt(11) lgkmcnt(3)
	v_mul_f64 v[36:37], v[224:225], v[170:171]
	v_fmac_f64_e32 v[36:37], v[226:227], v[168:169]
	v_add_f64 v[0:1], v[0:1], v[36:37]
	s_waitcnt vmcnt(10) lgkmcnt(2)
	v_mul_f64 v[36:37], v[228:229], v[178:179]
	v_fmac_f64_e32 v[36:37], v[230:231], v[176:177]
	v_add_f64 v[0:1], v[0:1], v[36:37]
	scratch_load_dwordx4 v[36:39], off, off offset:560
	s_waitcnt vmcnt(10) lgkmcnt(1)
	v_mul_f64 v[40:41], v[232:233], v[182:183]
	v_fmac_f64_e32 v[40:41], v[234:235], v[180:181]
	ds_read_b128 v[88:91], v2 offset:1296
	s_waitcnt vmcnt(9) lgkmcnt(1)
	v_mul_f64 v[44:45], v[236:237], v[190:191]
	v_add_f64 v[0:1], v[0:1], v[40:41]
	scratch_load_dwordx4 v[40:43], off, off offset:576
	v_fmac_f64_e32 v[44:45], v[238:239], v[188:189]
	v_add_f64 v[0:1], v[0:1], v[44:45]
	scratch_load_dwordx4 v[44:47], off, off offset:592
	v_mul_f64 v[50:51], v[106:107], v[50:51]
	v_fma_f64 v[240:241], v[104:105], v[48:49], -v[50:51]
	scratch_load_dwordx4 v[48:51], off, off offset:608
	s_waitcnt vmcnt(11) lgkmcnt(0)
	v_mul_f64 v[96:97], v[88:89], v[6:7]
	v_mul_f64 v[54:55], v[210:211], v[54:55]
	v_fmac_f64_e32 v[96:97], v[90:91], v[4:5]
	v_fma_f64 v[242:243], v[208:209], v[52:53], -v[54:55]
	scratch_load_dwordx4 v[52:55], off, off offset:624
	v_mul_f64 v[58:59], v[198:199], v[58:59]
	v_add_f64 v[0:1], v[0:1], v[96:97]
	ds_read_b128 v[96:99], v2 offset:1312
	ds_read_b128 v[104:107], v2 offset:1328
	v_fma_f64 v[244:245], v[196:197], v[56:57], -v[58:59]
	scratch_load_dwordx4 v[56:59], off, off offset:640
	v_mul_f64 v[62:63], v[114:115], v[62:63]
	v_accvgpr_write_b32 a123, v7
	v_fma_f64 v[246:247], v[112:113], v[60:61], -v[62:63]
	scratch_load_dwordx4 v[60:63], off, off offset:656
	v_accvgpr_write_b32 a122, v6
	v_accvgpr_write_b32 a121, v5
	;; [unrolled: 1-line block ×3, first 2 shown]
	s_waitcnt vmcnt(13)
	v_mov_b64_e32 v[4:5], v[8:9]
	v_mov_b64_e32 v[6:7], v[10:11]
	s_waitcnt lgkmcnt(1)
	v_mul_f64 v[208:209], v[96:97], v[6:7]
	v_fmac_f64_e32 v[208:209], v[98:99], v[4:5]
	s_waitcnt vmcnt(12)
	v_mov_b64_e32 v[4:5], v[12:13]
	ds_read_b128 v[112:115], v2 offset:1344
	v_mov_b64_e32 v[6:7], v[14:15]
	s_waitcnt lgkmcnt(1)
	v_mul_f64 v[196:197], v[104:105], v[6:7]
	v_mul_f64 v[66:67], v[122:123], v[66:67]
	;; [unrolled: 1-line block ×3, first 2 shown]
	v_fmac_f64_e32 v[196:197], v[106:107], v[4:5]
	v_fma_f64 v[248:249], v[120:121], v[64:65], -v[66:67]
	scratch_load_dwordx4 v[64:67], off, off offset:672
	v_fma_f64 v[250:251], v[116:117], v[68:69], -v[70:71]
	ds_read_b128 v[116:119], v2 offset:1360
	s_waitcnt vmcnt(12)
	v_mov_b64_e32 v[4:5], v[16:17]
	v_mov_b64_e32 v[6:7], v[18:19]
	scratch_load_dwordx4 v[68:71], off, off offset:688
	s_waitcnt lgkmcnt(1)
	v_mul_f64 v[120:121], v[112:113], v[6:7]
	v_mul_f64 v[74:75], v[194:195], v[74:75]
	v_add_f64 v[0:1], v[0:1], v[208:209]
	v_fmac_f64_e32 v[120:121], v[114:115], v[4:5]
	v_fma_f64 v[252:253], v[192:193], v[72:73], -v[74:75]
	s_waitcnt vmcnt(12)
	v_mov_b64_e32 v[4:5], v[20:21]
	scratch_load_dwordx4 v[72:75], off, off offset:704
	v_add_f64 v[0:1], v[0:1], v[196:197]
	v_mov_b64_e32 v[6:7], v[22:23]
	v_add_f64 v[0:1], v[0:1], v[120:121]
	s_waitcnt lgkmcnt(0)
	v_mul_f64 v[120:121], v[116:117], v[6:7]
	v_fmac_f64_e32 v[120:121], v[118:119], v[4:5]
	v_mul_f64 v[78:79], v[126:127], v[78:79]
	v_add_f64 v[0:1], v[0:1], v[120:121]
	v_fma_f64 v[28:29], v[124:125], v[76:77], -v[78:79]
	scratch_load_dwordx4 v[76:79], off, off offset:720
	ds_read_b128 v[124:127], v2 offset:1376
	ds_read_b128 v[120:123], v2 offset:1392
	v_mul_f64 v[6:7], v[214:215], v[82:83]
	v_fma_f64 v[24:25], v[212:213], v[80:81], -v[6:7]
	s_waitcnt vmcnt(13)
	v_accvgpr_read_b32 v4, a112
	v_accvgpr_write_b32 a127, v11
	v_accvgpr_write_b32 a139, v23
	v_mul_f64 v[80:81], v[206:207], v[86:87]
	v_accvgpr_read_b32 v6, a114
	v_accvgpr_read_b32 v7, a115
	v_accvgpr_write_b32 a126, v10
	v_accvgpr_write_b32 a125, v9
	;; [unrolled: 1-line block ×6, first 2 shown]
	v_fma_f64 v[20:21], v[204:205], v[84:85], -v[80:81]
	scratch_load_dwordx4 v[84:87], off, off offset:736
	v_accvgpr_read_b32 v5, a113
	s_waitcnt lgkmcnt(1)
	v_mul_f64 v[10:11], v[124:125], v[6:7]
	v_fmac_f64_e32 v[10:11], v[126:127], v[4:5]
	s_waitcnt vmcnt(13)
	v_accvgpr_read_b32 v4, a116
	v_accvgpr_read_b32 v6, a118
	v_accvgpr_read_b32 v7, a119
	v_add_f64 v[0:1], v[0:1], v[10:11]
	v_accvgpr_read_b32 v5, a117
	s_waitcnt lgkmcnt(0)
	v_mul_f64 v[10:11], v[120:121], v[6:7]
	v_fmac_f64_e32 v[10:11], v[122:123], v[4:5]
	v_accvgpr_write_b32 a135, v19
	scratch_load_dwordx4 v[80:83], off, off offset:752
	v_add_f64 v[0:1], v[0:1], v[10:11]
	v_mul_f64 v[10:11], v[130:131], v[94:95]
	v_accvgpr_write_b32 a131, v15
	v_accvgpr_write_b32 a134, v18
	;; [unrolled: 1-line block ×4, first 2 shown]
	v_fma_f64 v[16:17], v[128:129], v[92:93], -v[10:11]
	v_mul_f64 v[92:93], v[134:135], v[102:103]
	v_accvgpr_write_b32 a130, v14
	v_accvgpr_write_b32 a129, v13
	;; [unrolled: 1-line block ×3, first 2 shown]
	v_fma_f64 v[12:13], v[132:133], v[100:101], -v[92:93]
	scratch_load_dwordx4 v[92:95], off, off offset:768
	ds_read_b128 v[128:131], v2 offset:1408
	ds_read_b128 v[132:135], v2 offset:1424
	scratch_load_dwordx4 v[100:103], off, off offset:784
	v_mul_f64 v[14:15], v[150:151], v[110:111]
	v_fma_f64 v[14:15], v[148:149], v[108:109], -v[14:15]
	s_waitcnt vmcnt(15) lgkmcnt(1)
	v_mul_f64 v[108:109], v[128:129], v[34:35]
	v_fmac_f64_e32 v[108:109], v[130:131], v[32:33]
	v_add_f64 v[0:1], v[0:1], v[108:109]
	v_mul_f64 v[108:109], v[202:203], v[138:139]
	v_fma_f64 v[10:11], v[200:201], v[136:137], -v[108:109]
	scratch_load_dwordx4 v[108:111], off, off offset:800
	s_waitcnt vmcnt(15) lgkmcnt(0)
	v_mul_f64 v[18:19], v[132:133], v[38:39]
	v_fmac_f64_e32 v[18:19], v[134:135], v[36:37]
	ds_read_b128 v[136:139], v2 offset:1440
	v_add_f64 v[0:1], v[0:1], v[18:19]
	v_mul_f64 v[18:19], v[174:175], v[142:143]
	v_fma_f64 v[18:19], v[172:173], v[140:141], -v[18:19]
	ds_read_b128 v[140:143], v2 offset:1456
	v_mul_f64 v[146:147], v[218:219], v[146:147]
	v_fma_f64 v[8:9], v[216:217], v[144:145], -v[146:147]
	ds_read_b128 v[144:147], v2 offset:1472
	s_waitcnt vmcnt(14) lgkmcnt(2)
	v_mul_f64 v[148:149], v[136:137], v[42:43]
	v_fmac_f64_e32 v[148:149], v[138:139], v[40:41]
	s_waitcnt vmcnt(13) lgkmcnt(1)
	v_mul_f64 v[22:23], v[140:141], v[46:47]
	v_add_f64 v[0:1], v[0:1], v[148:149]
	v_fmac_f64_e32 v[22:23], v[142:143], v[44:45]
	ds_read_b128 v[148:151], v2 offset:1488
	v_add_f64 v[0:1], v[0:1], v[22:23]
	s_waitcnt vmcnt(12) lgkmcnt(1)
	v_mul_f64 v[22:23], v[144:145], v[50:51]
	v_fmac_f64_e32 v[22:23], v[146:147], v[48:49]
	v_add_f64 v[0:1], v[0:1], v[22:23]
	v_mul_f64 v[22:23], v[186:187], v[154:155]
	v_fma_f64 v[22:23], v[184:185], v[152:153], -v[22:23]
	ds_read_b128 v[152:155], v2 offset:1504
	v_mul_f64 v[158:159], v[162:163], v[158:159]
	v_fma_f64 v[6:7], v[160:161], v[156:157], -v[158:159]
	ds_read_b128 v[156:159], v2 offset:1520
	s_waitcnt vmcnt(11) lgkmcnt(2)
	v_mul_f64 v[172:173], v[148:149], v[54:55]
	v_fmac_f64_e32 v[172:173], v[150:151], v[52:53]
	s_waitcnt vmcnt(10) lgkmcnt(1)
	v_mul_f64 v[26:27], v[152:153], v[58:59]
	v_add_f64 v[0:1], v[0:1], v[172:173]
	v_fmac_f64_e32 v[26:27], v[154:155], v[56:57]
	v_add_f64 v[0:1], v[0:1], v[26:27]
	s_waitcnt vmcnt(9) lgkmcnt(0)
	v_mul_f64 v[26:27], v[156:157], v[62:63]
	v_fmac_f64_e32 v[26:27], v[158:159], v[60:61]
	ds_read_b128 v[160:163], v2 offset:1536
	v_add_f64 v[0:1], v[0:1], v[26:27]
	v_mul_f64 v[26:27], v[222:223], v[166:167]
	v_fma_f64 v[26:27], v[220:221], v[164:165], -v[26:27]
	ds_read_b128 v[164:167], v2 offset:1552
	v_mul_f64 v[170:171], v[226:227], v[170:171]
	v_fma_f64 v[4:5], v[224:225], v[168:169], -v[170:171]
	ds_read_b128 v[168:171], v2 offset:1568
	s_waitcnt vmcnt(8) lgkmcnt(2)
	v_mul_f64 v[172:173], v[160:161], v[66:67]
	v_fmac_f64_e32 v[172:173], v[162:163], v[64:65]
	s_waitcnt vmcnt(7) lgkmcnt(1)
	v_mul_f64 v[30:31], v[164:165], v[70:71]
	v_add_f64 v[0:1], v[0:1], v[172:173]
	v_fmac_f64_e32 v[30:31], v[166:167], v[68:69]
	v_add_f64 v[0:1], v[0:1], v[30:31]
	ds_read_b128 v[172:175], v2 offset:1584
	s_waitcnt vmcnt(6) lgkmcnt(1)
	v_mul_f64 v[30:31], v[168:169], v[74:75]
	v_fmac_f64_e32 v[30:31], v[170:171], v[72:73]
	v_add_f64 v[30:31], v[0:1], v[30:31]
	v_mul_f64 v[0:1], v[230:231], v[178:179]
	v_fma_f64 v[0:1], v[228:229], v[176:177], -v[0:1]
	ds_read_b128 v[176:179], v2 offset:1600
	v_mul_f64 v[182:183], v[234:235], v[182:183]
	s_waitcnt vmcnt(5) lgkmcnt(1)
	v_mul_f64 v[184:185], v[172:173], v[78:79]
	v_fma_f64 v[180:181], v[232:233], v[180:181], -v[182:183]
	v_fmac_f64_e32 v[184:185], v[174:175], v[76:77]
	v_accvgpr_write_b32 a140, v180
	v_mul_f64 v[190:191], v[238:239], v[190:191]
	v_accvgpr_write_b32 a141, v181
	ds_read_b128 v[180:183], v2 offset:1616
	v_add_f64 v[30:31], v[30:31], v[184:185]
	v_fma_f64 v[254:255], v[236:237], v[188:189], -v[190:191]
	scratch_load_dwordx4 v[236:239], off, off offset:48
	s_waitcnt vmcnt(5) lgkmcnt(1)
	v_mul_f64 v[184:185], v[176:177], v[86:87]
	v_fmac_f64_e32 v[184:185], v[178:179], v[84:85]
	v_add_f64 v[30:31], v[30:31], v[184:185]
	ds_read_b128 v[184:187], v2 offset:1632
	ds_read_b128 v[188:191], v2 offset:1648
	s_waitcnt vmcnt(4) lgkmcnt(2)
	v_mul_f64 v[192:193], v[180:181], v[82:83]
	v_fmac_f64_e32 v[192:193], v[182:183], v[80:81]
	v_add_f64 v[30:31], v[30:31], v[192:193]
	s_waitcnt vmcnt(3) lgkmcnt(1)
	v_mul_f64 v[192:193], v[184:185], v[94:95]
	v_fmac_f64_e32 v[192:193], v[186:187], v[92:93]
	v_add_f64 v[30:31], v[30:31], v[192:193]
	;; [unrolled: 4-line block ×3, first 2 shown]
	ds_read_b128 v[192:195], v2 offset:1664
	ds_read_b128 v[200:203], v2 offset:1680
	scratch_load_dwordx4 v[232:235], off, off offset:880
	ds_read_b128 v[208:211], v2 offset:1696
	ds_read_b128 v[216:219], v2 offset:1712
	s_waitcnt vmcnt(2) lgkmcnt(3)
	v_mul_f64 v[196:197], v[192:193], v[110:111]
	v_fmac_f64_e32 v[196:197], v[194:195], v[108:109]
	v_add_f64 v[30:31], v[30:31], v[196:197]
	scratch_load_dwordx4 v[196:199], off, off offset:816
	ds_read_b128 v[224:227], v2 offset:1728
	s_waitcnt vmcnt(0) lgkmcnt(3)
	v_mul_f64 v[204:205], v[200:201], v[198:199]
	v_fmac_f64_e32 v[204:205], v[202:203], v[196:197]
	v_add_f64 v[30:31], v[30:31], v[204:205]
	scratch_load_dwordx4 v[204:207], off, off offset:832
	s_waitcnt vmcnt(0) lgkmcnt(2)
	v_mul_f64 v[212:213], v[208:209], v[206:207]
	v_fmac_f64_e32 v[212:213], v[210:211], v[204:205]
	v_add_f64 v[30:31], v[30:31], v[212:213]
	scratch_load_dwordx4 v[212:215], off, off offset:848
	;; [unrolled: 5-line block ×3, first 2 shown]
	s_waitcnt vmcnt(0) lgkmcnt(0)
	v_mul_f64 v[228:229], v[224:225], v[222:223]
	v_fmac_f64_e32 v[228:229], v[226:227], v[220:221]
	v_add_f64 v[30:31], v[30:31], v[228:229]
	ds_read_b128 v[228:231], v2 offset:1744
	s_waitcnt lgkmcnt(0)
	v_mul_f64 v[2:3], v[228:229], v[234:235]
	v_fmac_f64_e32 v[2:3], v[230:231], v[232:233]
	v_add_f64 v[2:3], v[30:31], v[2:3]
	v_add_f64 v[30:31], v[240:241], 0
	v_add_f64 v[30:31], v[30:31], v[242:243]
	v_add_f64 v[30:31], v[30:31], v[244:245]
	v_add_f64 v[30:31], v[30:31], v[246:247]
	v_add_f64 v[30:31], v[30:31], v[248:249]
	v_add_f64 v[30:31], v[30:31], v[250:251]
	v_add_f64 v[30:31], v[30:31], v[252:253]
	v_add_f64 v[28:29], v[30:31], v[28:29]
	v_add_f64 v[24:25], v[28:29], v[24:25]
	v_add_f64 v[20:21], v[24:25], v[20:21]
	v_add_f64 v[16:17], v[20:21], v[16:17]
	v_add_f64 v[12:13], v[16:17], v[12:13]
	v_add_f64 v[12:13], v[12:13], v[14:15]
	v_add_f64 v[10:11], v[12:13], v[10:11]
	v_add_f64 v[10:11], v[10:11], v[18:19]
	v_add_f64 v[8:9], v[10:11], v[8:9]
	v_add_f64 v[8:9], v[8:9], v[22:23]
	v_add_f64 v[6:7], v[8:9], v[6:7]
	v_add_f64 v[6:7], v[6:7], v[26:27]
	v_add_f64 v[4:5], v[6:7], v[4:5]
	v_accvgpr_read_b32 v6, a120
	v_add_f64 v[242:243], v[4:5], v[0:1]
	v_accvgpr_read_b32 v0, a140
	v_accvgpr_read_b32 v8, a122
	;; [unrolled: 1-line block ×5, first 2 shown]
	v_mul_f64 v[4:5], v[90:91], v[8:9]
	v_add_f64 v[0:1], v[242:243], v[0:1]
	v_fma_f64 v[4:5], v[88:89], v[6:7], -v[4:5]
	v_accvgpr_read_b32 v6, a124
	v_add_f64 v[0:1], v[0:1], v[254:255]
	v_accvgpr_read_b32 v8, a126
	v_accvgpr_read_b32 v9, a127
	v_add_f64 v[0:1], v[0:1], v[4:5]
	v_accvgpr_read_b32 v7, a125
	v_mul_f64 v[4:5], v[98:99], v[8:9]
	v_fma_f64 v[4:5], v[96:97], v[6:7], -v[4:5]
	v_accvgpr_read_b32 v6, a128
	v_accvgpr_read_b32 v8, a130
	v_accvgpr_read_b32 v9, a131
	v_add_f64 v[0:1], v[0:1], v[4:5]
	v_accvgpr_read_b32 v7, a129
	v_mul_f64 v[4:5], v[106:107], v[8:9]
	v_fma_f64 v[4:5], v[104:105], v[6:7], -v[4:5]
	v_accvgpr_read_b32 v6, a132
	;; [unrolled: 7-line block ×5, first 2 shown]
	v_accvgpr_read_b32 v8, a118
	v_accvgpr_read_b32 v9, a119
	v_add_f64 v[0:1], v[0:1], v[4:5]
	v_accvgpr_read_b32 v7, a117
	v_mul_f64 v[4:5], v[122:123], v[8:9]
	v_fma_f64 v[4:5], v[120:121], v[6:7], -v[4:5]
	v_add_f64 v[0:1], v[0:1], v[4:5]
	v_mul_f64 v[4:5], v[130:131], v[34:35]
	v_fma_f64 v[4:5], v[128:129], v[32:33], -v[4:5]
	v_add_f64 v[0:1], v[0:1], v[4:5]
	;; [unrolled: 3-line block ×23, first 2 shown]
	v_add_f64 v[4:5], v[236:237], -v[0:1]
	v_accvgpr_read_b32 v0, a110
	v_add_f64 v[6:7], v[238:239], -v[2:3]
	v_cmp_lt_u32_e32 vcc, 1, v0
	scratch_store_dwordx4 off, v[4:7], off offset:48
	s_and_saveexec_b64 s[0:1], vcc
	s_cbranch_execz .LBB118_341
; %bb.340:
	scratch_load_dwordx4 v[2:5], off, s70
	v_mov_b32_e32 v6, 0
	v_mov_b32_e32 v7, v6
	;; [unrolled: 1-line block ×4, first 2 shown]
	v_accvgpr_read_b32 v0, a111
	scratch_store_dwordx4 off, v[6:9], off offset:32
	s_waitcnt vmcnt(1)
	ds_write_b128 v0, v[2:5]
.LBB118_341:
	s_or_b64 exec, exec, s[0:1]
	s_waitcnt lgkmcnt(0)
	; wave barrier
	scratch_load_dwordx4 v[40:43], off, off offset:48
	scratch_load_dwordx4 v[44:47], off, off offset:64
	;; [unrolled: 1-line block ×29, first 2 shown]
	v_mov_b32_e32 v2, 0
	ds_read_b128 v[80:83], v2 offset:912
	ds_read_b128 v[100:103], v2 offset:928
	;; [unrolled: 1-line block ×18, first 2 shown]
	scratch_load_dwordx4 a[112:115], off, off offset:512
	scratch_load_dwordx4 a[116:119], off, off offset:528
	;; [unrolled: 1-line block ×4, first 2 shown]
	ds_read_b128 v[228:231], v2 offset:1264
	ds_read_b128 v[242:245], v2 offset:1280
	;; [unrolled: 1-line block ×4, first 2 shown]
	s_waitcnt vmcnt(32) lgkmcnt(14)
	v_mul_f64 v[0:1], v[80:81], v[42:43]
	s_waitcnt vmcnt(31)
	v_mul_f64 v[20:21], v[100:101], v[46:47]
	v_fmac_f64_e32 v[0:1], v[82:83], v[40:41]
	s_waitcnt vmcnt(30)
	v_mul_f64 v[22:23], v[104:105], v[50:51]
	v_fmac_f64_e32 v[20:21], v[102:103], v[44:45]
	v_add_f64 v[0:1], v[0:1], 0
	s_waitcnt vmcnt(29)
	v_mul_f64 v[24:25], v[108:109], v[54:55]
	v_fmac_f64_e32 v[22:23], v[106:107], v[48:49]
	v_add_f64 v[0:1], v[0:1], v[20:21]
	;; [unrolled: 4-line block ×6, first 2 shown]
	s_waitcnt vmcnt(24) lgkmcnt(13)
	v_mul_f64 v[34:35], v[144:145], v[74:75]
	v_fmac_f64_e32 v[32:33], v[134:135], v[68:69]
	v_add_f64 v[0:1], v[0:1], v[30:31]
	s_waitcnt vmcnt(23) lgkmcnt(12)
	v_mul_f64 v[36:37], v[156:157], v[78:79]
	v_fmac_f64_e32 v[34:35], v[146:147], v[72:73]
	v_add_f64 v[0:1], v[0:1], v[32:33]
	;; [unrolled: 4-line block ×7, first 2 shown]
	v_fmac_f64_e32 v[218:219], v[198:199], v[124:125]
	v_add_f64 v[0:1], v[0:1], v[216:217]
	ds_read_b128 v[212:215], v2 offset:1200
	s_waitcnt vmcnt(17) lgkmcnt(7)
	v_mul_f64 v[220:221], v[200:201], v[130:131]
	v_add_f64 v[0:1], v[0:1], v[218:219]
	ds_read_b128 v[216:219], v2 offset:1216
	v_fmac_f64_e32 v[220:221], v[202:203], v[128:129]
	s_waitcnt vmcnt(16) lgkmcnt(7)
	v_mul_f64 v[20:21], v[204:205], v[138:139]
	v_add_f64 v[0:1], v[0:1], v[220:221]
	v_fmac_f64_e32 v[20:21], v[206:207], v[136:137]
	s_waitcnt vmcnt(15) lgkmcnt(6)
	v_mul_f64 v[24:25], v[208:209], v[142:143]
	ds_read_b128 v[220:223], v2 offset:1232
	v_add_f64 v[0:1], v[0:1], v[20:21]
	v_fmac_f64_e32 v[24:25], v[210:211], v[140:141]
	v_add_f64 v[0:1], v[0:1], v[24:25]
	s_waitcnt vmcnt(14) lgkmcnt(2)
	v_mul_f64 v[24:25], v[212:213], v[150:151]
	v_fmac_f64_e32 v[24:25], v[214:215], v[148:149]
	s_waitcnt vmcnt(13) lgkmcnt(1)
	v_mul_f64 v[28:29], v[216:217], v[154:155]
	v_add_f64 v[0:1], v[0:1], v[24:25]
	v_fmac_f64_e32 v[28:29], v[218:219], v[152:153]
	v_add_f64 v[0:1], v[0:1], v[28:29]
	s_waitcnt vmcnt(12) lgkmcnt(0)
	v_mul_f64 v[28:29], v[220:221], v[162:163]
	v_fmac_f64_e32 v[28:29], v[222:223], v[160:161]
	s_waitcnt vmcnt(11)
	v_mul_f64 v[32:33], v[224:225], v[166:167]
	v_add_f64 v[0:1], v[0:1], v[28:29]
	v_fmac_f64_e32 v[32:33], v[226:227], v[164:165]
	v_add_f64 v[0:1], v[0:1], v[32:33]
	s_waitcnt vmcnt(10)
	v_mul_f64 v[32:33], v[228:229], v[174:175]
	v_fmac_f64_e32 v[32:33], v[230:231], v[172:173]
	s_waitcnt vmcnt(9)
	v_mul_f64 v[36:37], v[242:243], v[178:179]
	v_add_f64 v[0:1], v[0:1], v[32:33]
	v_fmac_f64_e32 v[36:37], v[244:245], v[176:177]
	v_mul_f64 v[42:43], v[82:83], v[42:43]
	v_add_f64 v[0:1], v[0:1], v[36:37]
	scratch_load_dwordx4 v[36:39], off, off offset:576
	v_fma_f64 v[240:241], v[80:81], v[40:41], -v[42:43]
	ds_read_b128 v[80:83], v2 offset:1312
	s_waitcnt vmcnt(9)
	v_mul_f64 v[40:41], v[252:253], v[186:187]
	v_fmac_f64_e32 v[40:41], v[254:255], v[184:185]
	v_add_f64 v[0:1], v[0:1], v[40:41]
	v_mul_f64 v[40:41], v[102:103], v[46:47]
	v_fma_f64 v[246:247], v[100:101], v[44:45], -v[40:41]
	scratch_load_dwordx4 v[40:43], off, off offset:592
	s_waitcnt vmcnt(9) lgkmcnt(0)
	v_mul_f64 v[44:45], v[80:81], v[6:7]
	v_fmac_f64_e32 v[44:45], v[82:83], v[4:5]
	v_add_f64 v[0:1], v[0:1], v[44:45]
	scratch_load_dwordx4 v[44:47], off, off offset:608
	v_mul_f64 v[50:51], v[106:107], v[50:51]
	v_fma_f64 v[248:249], v[104:105], v[48:49], -v[50:51]
	ds_read_b128 v[100:103], v2 offset:1328
	v_mul_f64 v[48:49], v[110:111], v[54:55]
	v_fma_f64 v[250:251], v[108:109], v[52:53], -v[48:49]
	scratch_load_dwordx4 v[52:55], off, off offset:624
	scratch_load_dwordx4 v[48:51], off, off offset:640
	v_accvgpr_write_b32 a127, v7
	v_accvgpr_write_b32 a126, v6
	;; [unrolled: 1-line block ×4, first 2 shown]
	s_waitcnt vmcnt(11)
	v_mov_b64_e32 v[4:5], v[8:9]
	v_mul_f64 v[58:59], v[114:115], v[58:59]
	v_mov_b64_e32 v[6:7], v[10:11]
	v_fma_f64 v[232:233], v[112:113], v[56:57], -v[58:59]
	s_waitcnt lgkmcnt(0)
	v_mul_f64 v[56:57], v[100:101], v[6:7]
	v_fmac_f64_e32 v[56:57], v[102:103], v[4:5]
	v_add_f64 v[0:1], v[0:1], v[56:57]
	v_mul_f64 v[56:57], v[118:119], v[62:63]
	v_fma_f64 v[238:239], v[116:117], v[60:61], -v[56:57]
	scratch_load_dwordx4 v[56:59], off, off offset:656
	scratch_load_dwordx4 v[60:63], off, off offset:672
	ds_read_b128 v[104:107], v2 offset:1344
	ds_read_b128 v[112:115], v2 offset:1376
	v_mul_f64 v[66:67], v[122:123], v[66:67]
	v_fma_f64 v[32:33], v[120:121], v[64:65], -v[66:67]
	scratch_load_dwordx4 v[64:67], off, off offset:688
	s_waitcnt vmcnt(13)
	v_mov_b64_e32 v[4:5], v[12:13]
	v_mov_b64_e32 v[6:7], v[14:15]
	s_waitcnt lgkmcnt(1)
	v_mul_f64 v[108:109], v[104:105], v[6:7]
	v_fmac_f64_e32 v[108:109], v[106:107], v[4:5]
	v_mul_f64 v[6:7], v[134:135], v[70:71]
	v_add_f64 v[0:1], v[0:1], v[108:109]
	ds_read_b128 v[108:111], v2 offset:1360
	ds_read_b128 v[116:119], v2 offset:1392
	v_fma_f64 v[28:29], v[132:133], v[68:69], -v[6:7]
	scratch_load_dwordx4 v[68:71], off, off offset:704
	v_mul_f64 v[6:7], v[146:147], v[74:75]
	v_accvgpr_write_b32 a131, v11
	v_fma_f64 v[24:25], v[144:145], v[72:73], -v[6:7]
	scratch_load_dwordx4 v[72:75], off, off offset:720
	v_accvgpr_write_b32 a130, v10
	v_accvgpr_write_b32 a129, v9
	;; [unrolled: 1-line block ×3, first 2 shown]
	s_waitcnt vmcnt(14)
	v_mov_b64_e32 v[8:9], v[16:17]
	v_mov_b64_e32 v[10:11], v[18:19]
	s_waitcnt lgkmcnt(1)
	v_mul_f64 v[6:7], v[108:109], v[10:11]
	v_fmac_f64_e32 v[6:7], v[110:111], v[8:9]
	s_waitcnt vmcnt(13)
	v_accvgpr_read_b32 v8, a112
	v_add_f64 v[0:1], v[0:1], v[6:7]
	v_mul_f64 v[6:7], v[158:159], v[78:79]
	v_accvgpr_read_b32 v10, a114
	v_accvgpr_read_b32 v11, a115
	v_fma_f64 v[20:21], v[156:157], v[76:77], -v[6:7]
	v_accvgpr_read_b32 v9, a113
	v_mul_f64 v[6:7], v[112:113], v[10:11]
	scratch_load_dwordx4 v[76:79], off, off offset:736
	v_accvgpr_write_b32 a135, v15
	v_fmac_f64_e32 v[6:7], v[114:115], v[8:9]
	v_accvgpr_write_b32 a134, v14
	v_accvgpr_write_b32 a133, v13
	v_accvgpr_write_b32 a132, v12
	v_accvgpr_write_b32 a139, v19
	v_mul_f64 v[14:15], v[170:171], v[86:87]
	v_add_f64 v[0:1], v[0:1], v[6:7]
	v_mul_f64 v[6:7], v[182:183], v[90:91]
	v_accvgpr_write_b32 a138, v18
	v_accvgpr_write_b32 a137, v17
	;; [unrolled: 1-line block ×3, first 2 shown]
	v_fma_f64 v[16:17], v[168:169], v[84:85], -v[14:15]
	v_fma_f64 v[14:15], v[180:181], v[88:89], -v[6:7]
	ds_read_b128 v[120:123], v2 offset:1408
	scratch_load_dwordx4 v[88:91], off, off offset:752
	scratch_load_dwordx4 v[84:87], off, off offset:768
	s_waitcnt vmcnt(15)
	v_accvgpr_read_b32 v8, a116
	v_accvgpr_read_b32 v10, a118
	;; [unrolled: 1-line block ×3, first 2 shown]
	v_mul_f64 v[18:19], v[190:191], v[94:95]
	v_accvgpr_read_b32 v9, a117
	s_waitcnt lgkmcnt(1)
	v_mul_f64 v[6:7], v[116:117], v[10:11]
	v_fma_f64 v[18:19], v[188:189], v[92:93], -v[18:19]
	v_mul_f64 v[92:93], v[194:195], v[98:99]
	v_fmac_f64_e32 v[6:7], v[118:119], v[8:9]
	s_waitcnt vmcnt(14)
	v_accvgpr_read_b32 v8, a120
	v_fma_f64 v[12:13], v[192:193], v[96:97], -v[92:93]
	scratch_load_dwordx4 v[92:95], off, off offset:784
	v_accvgpr_read_b32 v10, a122
	v_accvgpr_read_b32 v11, a123
	v_mul_f64 v[96:97], v[202:203], v[130:131]
	v_add_f64 v[0:1], v[0:1], v[6:7]
	s_waitcnt lgkmcnt(0)
	v_mul_f64 v[6:7], v[120:121], v[10:11]
	v_fma_f64 v[10:11], v[200:201], v[128:129], -v[96:97]
	scratch_load_dwordx4 v[96:99], off, off offset:800
	v_mul_f64 v[22:23], v[198:199], v[126:127]
	v_fma_f64 v[22:23], v[196:197], v[124:125], -v[22:23]
	ds_read_b128 v[124:127], v2 offset:1424
	ds_read_b128 v[128:131], v2 offset:1440
	v_accvgpr_read_b32 v9, a121
	v_fmac_f64_e32 v[6:7], v[122:123], v[8:9]
	v_add_f64 v[0:1], v[0:1], v[6:7]
	s_waitcnt vmcnt(15) lgkmcnt(1)
	v_mul_f64 v[6:7], v[124:125], v[236:237]
	ds_read_b128 v[132:135], v2 offset:1456
	v_fmac_f64_e32 v[6:7], v[126:127], v[234:235]
	v_add_f64 v[0:1], v[0:1], v[6:7]
	s_waitcnt vmcnt(14) lgkmcnt(1)
	v_mul_f64 v[6:7], v[128:129], v[38:39]
	v_fmac_f64_e32 v[6:7], v[130:131], v[36:37]
	v_add_f64 v[0:1], v[0:1], v[6:7]
	v_mul_f64 v[6:7], v[206:207], v[138:139]
	v_fma_f64 v[26:27], v[204:205], v[136:137], -v[6:7]
	ds_read_b128 v[136:139], v2 offset:1472
	s_waitcnt vmcnt(13) lgkmcnt(1)
	v_mul_f64 v[6:7], v[132:133], v[42:43]
	v_fmac_f64_e32 v[6:7], v[134:135], v[40:41]
	v_add_f64 v[0:1], v[0:1], v[6:7]
	v_mul_f64 v[6:7], v[210:211], v[142:143]
	v_fma_f64 v[8:9], v[208:209], v[140:141], -v[6:7]
	ds_read_b128 v[140:143], v2 offset:1488
	ds_read_b128 v[144:147], v2 offset:1504
	s_waitcnt vmcnt(12) lgkmcnt(2)
	v_mul_f64 v[6:7], v[136:137], v[46:47]
	v_fmac_f64_e32 v[6:7], v[138:139], v[44:45]
	v_add_f64 v[0:1], v[0:1], v[6:7]
	s_waitcnt vmcnt(11) lgkmcnt(1)
	v_mul_f64 v[6:7], v[140:141], v[54:55]
	v_fmac_f64_e32 v[6:7], v[142:143], v[52:53]
	v_add_f64 v[0:1], v[0:1], v[6:7]
	v_mul_f64 v[6:7], v[214:215], v[150:151]
	v_fma_f64 v[30:31], v[212:213], v[148:149], -v[6:7]
	ds_read_b128 v[148:151], v2 offset:1520
	v_mul_f64 v[154:155], v[218:219], v[154:155]
	v_fma_f64 v[4:5], v[216:217], v[152:153], -v[154:155]
	ds_read_b128 v[152:155], v2 offset:1536
	s_waitcnt vmcnt(10) lgkmcnt(2)
	v_mul_f64 v[6:7], v[144:145], v[50:51]
	v_fmac_f64_e32 v[6:7], v[146:147], v[48:49]
	v_add_f64 v[0:1], v[0:1], v[6:7]
	s_waitcnt vmcnt(9) lgkmcnt(1)
	v_mul_f64 v[6:7], v[148:149], v[58:59]
	ds_read_b128 v[156:159], v2 offset:1552
	v_fmac_f64_e32 v[6:7], v[150:151], v[56:57]
	v_add_f64 v[0:1], v[0:1], v[6:7]
	s_waitcnt vmcnt(8) lgkmcnt(1)
	v_mul_f64 v[6:7], v[152:153], v[62:63]
	v_fmac_f64_e32 v[6:7], v[154:155], v[60:61]
	v_add_f64 v[0:1], v[0:1], v[6:7]
	v_mul_f64 v[6:7], v[222:223], v[162:163]
	v_fma_f64 v[34:35], v[220:221], v[160:161], -v[6:7]
	ds_read_b128 v[160:163], v2 offset:1568
	s_waitcnt vmcnt(7) lgkmcnt(1)
	v_mul_f64 v[6:7], v[156:157], v[66:67]
	v_fmac_f64_e32 v[6:7], v[158:159], v[64:65]
	v_add_f64 v[0:1], v[0:1], v[6:7]
	v_mul_f64 v[6:7], v[226:227], v[166:167]
	v_fma_f64 v[6:7], v[224:225], v[164:165], -v[6:7]
	ds_read_b128 v[164:167], v2 offset:1584
	s_waitcnt vmcnt(6) lgkmcnt(1)
	v_mul_f64 v[168:169], v[160:161], v[70:71]
	v_fmac_f64_e32 v[168:169], v[162:163], v[68:69]
	v_add_f64 v[0:1], v[0:1], v[168:169]
	ds_read_b128 v[168:171], v2 offset:1600
	s_waitcnt vmcnt(5) lgkmcnt(1)
	v_mul_f64 v[180:181], v[164:165], v[74:75]
	v_fmac_f64_e32 v[180:181], v[166:167], v[72:73]
	v_add_f64 v[180:181], v[0:1], v[180:181]
	v_mul_f64 v[0:1], v[230:231], v[174:175]
	v_fma_f64 v[0:1], v[228:229], v[172:173], -v[0:1]
	ds_read_b128 v[172:175], v2 offset:1616
	s_waitcnt vmcnt(4) lgkmcnt(1)
	v_mul_f64 v[182:183], v[168:169], v[78:79]
	v_fmac_f64_e32 v[182:183], v[170:171], v[76:77]
	v_mul_f64 v[178:179], v[244:245], v[178:179]
	v_fma_f64 v[242:243], v[242:243], v[176:177], -v[178:179]
	ds_read_b128 v[176:179], v2 offset:1632
	v_add_f64 v[180:181], v[180:181], v[182:183]
	s_waitcnt vmcnt(3) lgkmcnt(1)
	v_mul_f64 v[182:183], v[172:173], v[90:91]
	v_fmac_f64_e32 v[182:183], v[174:175], v[88:89]
	v_add_f64 v[188:189], v[180:181], v[182:183]
	ds_read_b128 v[180:183], v2 offset:1648
	v_mul_f64 v[186:187], v[254:255], v[186:187]
	v_fma_f64 v[252:253], v[252:253], v[184:185], -v[186:187]
	ds_read_b128 v[184:187], v2 offset:1664
	s_waitcnt vmcnt(2) lgkmcnt(2)
	v_mul_f64 v[190:191], v[176:177], v[86:87]
	v_fmac_f64_e32 v[190:191], v[178:179], v[84:85]
	v_add_f64 v[188:189], v[188:189], v[190:191]
	s_waitcnt vmcnt(1) lgkmcnt(1)
	v_mul_f64 v[190:191], v[180:181], v[94:95]
	v_fmac_f64_e32 v[190:191], v[182:183], v[92:93]
	v_add_f64 v[188:189], v[188:189], v[190:191]
	s_waitcnt vmcnt(0) lgkmcnt(0)
	v_mul_f64 v[190:191], v[184:185], v[98:99]
	v_fmac_f64_e32 v[190:191], v[186:187], v[96:97]
	v_add_f64 v[196:197], v[188:189], v[190:191]
	scratch_load_dwordx4 v[188:191], off, off offset:816
	ds_read_b128 v[192:195], v2 offset:1680
	ds_read_b128 v[200:203], v2 offset:1696
	;; [unrolled: 1-line block ×5, first 2 shown]
	s_waitcnt vmcnt(0) lgkmcnt(4)
	v_mul_f64 v[198:199], v[192:193], v[190:191]
	v_fmac_f64_e32 v[198:199], v[194:195], v[188:189]
	v_add_f64 v[204:205], v[196:197], v[198:199]
	scratch_load_dwordx4 v[196:199], off, off offset:832
	s_waitcnt vmcnt(0) lgkmcnt(3)
	v_mul_f64 v[206:207], v[200:201], v[198:199]
	v_fmac_f64_e32 v[206:207], v[202:203], v[196:197]
	v_add_f64 v[212:213], v[204:205], v[206:207]
	scratch_load_dwordx4 v[204:207], off, off offset:848
	;; [unrolled: 5-line block ×4, first 2 shown]
	s_waitcnt vmcnt(0) lgkmcnt(0)
	v_mul_f64 v[230:231], v[224:225], v[222:223]
	v_fmac_f64_e32 v[230:231], v[226:227], v[220:221]
	v_add_f64 v[244:245], v[228:229], v[230:231]
	v_add_f64 v[228:229], v[240:241], 0
	;; [unrolled: 1-line block ×8, first 2 shown]
	scratch_load_dwordx4 v[228:231], off, off offset:32
	v_add_f64 v[28:29], v[32:33], v[28:29]
	v_add_f64 v[24:25], v[28:29], v[24:25]
	;; [unrolled: 1-line block ×15, first 2 shown]
	v_accvgpr_read_b32 v6, a124
	v_accvgpr_read_b32 v8, a126
	;; [unrolled: 1-line block ×3, first 2 shown]
	v_add_f64 v[0:1], v[4:5], v[0:1]
	v_accvgpr_read_b32 v7, a125
	v_mul_f64 v[4:5], v[82:83], v[8:9]
	v_add_f64 v[0:1], v[0:1], v[242:243]
	v_fma_f64 v[4:5], v[80:81], v[6:7], -v[4:5]
	v_accvgpr_read_b32 v6, a128
	v_add_f64 v[0:1], v[0:1], v[252:253]
	v_accvgpr_read_b32 v8, a130
	v_accvgpr_read_b32 v9, a131
	v_add_f64 v[0:1], v[0:1], v[4:5]
	v_accvgpr_read_b32 v7, a129
	v_mul_f64 v[4:5], v[102:103], v[8:9]
	v_fma_f64 v[4:5], v[100:101], v[6:7], -v[4:5]
	v_accvgpr_read_b32 v6, a132
	v_accvgpr_read_b32 v8, a134
	v_accvgpr_read_b32 v9, a135
	v_add_f64 v[0:1], v[0:1], v[4:5]
	v_accvgpr_read_b32 v7, a133
	v_mul_f64 v[4:5], v[106:107], v[8:9]
	v_fma_f64 v[4:5], v[104:105], v[6:7], -v[4:5]
	v_accvgpr_read_b32 v6, a136
	;; [unrolled: 7-line block ×5, first 2 shown]
	v_accvgpr_read_b32 v8, a122
	v_accvgpr_read_b32 v9, a123
	v_add_f64 v[0:1], v[0:1], v[4:5]
	v_accvgpr_read_b32 v7, a121
	v_mul_f64 v[4:5], v[122:123], v[8:9]
	v_fma_f64 v[4:5], v[120:121], v[6:7], -v[4:5]
	v_add_f64 v[0:1], v[0:1], v[4:5]
	v_mul_f64 v[4:5], v[126:127], v[236:237]
	v_fma_f64 v[4:5], v[124:125], v[234:235], -v[4:5]
	v_add_f64 v[0:1], v[0:1], v[4:5]
	;; [unrolled: 3-line block ×22, first 2 shown]
	s_waitcnt vmcnt(0)
	v_add_f64 v[4:5], v[228:229], -v[0:1]
	v_accvgpr_read_b32 v0, a110
	v_add_f64 v[6:7], v[230:231], -v[244:245]
	v_cmp_ne_u32_e32 vcc, 0, v0
	scratch_store_dwordx4 off, v[4:7], off offset:32
	s_and_saveexec_b64 s[0:1], vcc
	s_cbranch_execz .LBB118_343
; %bb.342:
	scratch_load_dwordx4 v[6:9], off, off offset:16
	v_mov_b32_e32 v3, v2
	v_mov_b32_e32 v4, v2
	;; [unrolled: 1-line block ×3, first 2 shown]
	v_accvgpr_read_b32 v0, a111
	scratch_store_dwordx4 off, v[2:5], off offset:16
	s_waitcnt vmcnt(1)
	ds_write_b128 v0, v[6:9]
.LBB118_343:
	s_or_b64 exec, exec, s[0:1]
	s_waitcnt lgkmcnt(0)
	; wave barrier
	scratch_load_dwordx4 v[40:43], off, off offset:32
	scratch_load_dwordx4 v[44:47], off, off offset:48
	;; [unrolled: 1-line block ×17, first 2 shown]
	ds_read_b128 v[84:87], v2 offset:896
	ds_read_b128 v[104:107], v2 offset:912
	;; [unrolled: 1-line block ×3, first 2 shown]
	scratch_load_dwordx4 v[140:143], off, off offset:304
	ds_read_b128 v[188:191], v2 offset:944
	ds_read_b128 v[112:115], v2 offset:960
	;; [unrolled: 1-line block ×3, first 2 shown]
	scratch_load_dwordx4 v[148:151], off, off offset:320
	ds_read_b128 v[192:195], v2 offset:992
	ds_read_b128 v[116:119], v2 offset:1008
	scratch_load_dwordx4 v[152:155], off, off offset:336
	ds_read_b128 v[208:211], v2 offset:1024
	ds_read_b128 v[200:203], v2 offset:1040
	;; [unrolled: 1-line block ×5, first 2 shown]
	scratch_load_dwordx4 v[160:163], off, off offset:352
	ds_read_b128 v[204:207], v2 offset:1104
	ds_read_b128 v[168:171], v2 offset:1120
	ds_read_b128 v[156:159], v2 offset:1136
	ds_read_b128 v[144:147], v2 offset:1152
	scratch_load_dwordx4 v[164:167], off, off offset:368
	ds_read_b128 v[180:183], v2 offset:1168
	scratch_load_dwordx4 v[172:175], off, off offset:384
	scratch_load_dwordx4 v[176:179], off, off offset:400
	;; [unrolled: 1-line block ×9, first 2 shown]
	ds_read_b128 v[228:231], v2 offset:1248
	ds_read_b128 v[232:235], v2 offset:1264
	;; [unrolled: 1-line block ×3, first 2 shown]
	s_and_b64 vcc, exec, s[10:11]
	scratch_load_dwordx4 a[110:113], off, off offset:512
	ds_read_b128 v[224:227], v2 offset:1232
	s_waitcnt vmcnt(31) lgkmcnt(14)
	v_mul_f64 v[0:1], v[84:85], v[42:43]
	s_waitcnt vmcnt(30)
	v_mul_f64 v[20:21], v[104:105], v[46:47]
	v_fmac_f64_e32 v[0:1], v[86:87], v[40:41]
	s_waitcnt vmcnt(29)
	v_mul_f64 v[22:23], v[100:101], v[50:51]
	v_fmac_f64_e32 v[20:21], v[106:107], v[44:45]
	v_add_f64 v[0:1], v[0:1], 0
	v_fmac_f64_e32 v[22:23], v[102:103], v[48:49]
	v_add_f64 v[0:1], v[0:1], v[20:21]
	v_add_f64 v[0:1], v[0:1], v[22:23]
	scratch_load_dwordx4 v[20:23], off, off offset:496
	s_waitcnt vmcnt(29)
	v_mul_f64 v[24:25], v[188:189], v[54:55]
	s_waitcnt vmcnt(28)
	v_mul_f64 v[26:27], v[112:113], v[58:59]
	v_fmac_f64_e32 v[24:25], v[190:191], v[52:53]
	s_waitcnt vmcnt(27)
	v_mul_f64 v[28:29], v[108:109], v[62:63]
	v_fmac_f64_e32 v[26:27], v[114:115], v[56:57]
	v_add_f64 v[0:1], v[0:1], v[24:25]
	s_waitcnt vmcnt(26)
	v_mul_f64 v[30:31], v[192:193], v[66:67]
	v_fmac_f64_e32 v[28:29], v[110:111], v[60:61]
	v_add_f64 v[0:1], v[0:1], v[26:27]
	;; [unrolled: 4-line block ×3, first 2 shown]
	s_waitcnt vmcnt(24) lgkmcnt(13)
	v_mul_f64 v[34:35], v[208:209], v[74:75]
	v_fmac_f64_e32 v[32:33], v[118:119], v[68:69]
	v_add_f64 v[0:1], v[0:1], v[30:31]
	s_waitcnt vmcnt(23) lgkmcnt(12)
	v_mul_f64 v[36:37], v[200:201], v[78:79]
	v_fmac_f64_e32 v[34:35], v[210:211], v[72:73]
	v_add_f64 v[0:1], v[0:1], v[32:33]
	;; [unrolled: 4-line block ×8, first 2 shown]
	ds_read_b128 v[212:215], v2 offset:1184
	s_waitcnt vmcnt(16) lgkmcnt(6)
	v_mul_f64 v[222:223], v[144:145], v[138:139]
	v_fmac_f64_e32 v[220:221], v[158:159], v[132:133]
	v_add_f64 v[0:1], v[0:1], v[218:219]
	v_add_f64 v[0:1], v[0:1], v[220:221]
	v_fmac_f64_e32 v[222:223], v[146:147], v[136:137]
	ds_read_b128 v[216:219], v2 offset:1200
	v_add_f64 v[0:1], v[0:1], v[222:223]
	s_waitcnt vmcnt(15) lgkmcnt(6)
	v_mul_f64 v[24:25], v[180:181], v[142:143]
	ds_read_b128 v[220:223], v2 offset:1216
	v_fmac_f64_e32 v[24:25], v[182:183], v[140:141]
	v_add_f64 v[0:1], v[0:1], v[24:25]
	s_waitcnt vmcnt(14) lgkmcnt(2)
	v_mul_f64 v[24:25], v[212:213], v[150:151]
	v_fmac_f64_e32 v[24:25], v[214:215], v[148:149]
	v_add_f64 v[0:1], v[0:1], v[24:25]
	s_waitcnt vmcnt(13) lgkmcnt(1)
	v_mul_f64 v[24:25], v[216:217], v[154:155]
	v_fmac_f64_e32 v[24:25], v[218:219], v[152:153]
	s_waitcnt vmcnt(12) lgkmcnt(0)
	v_mul_f64 v[32:33], v[220:221], v[162:163]
	v_add_f64 v[0:1], v[0:1], v[24:25]
	v_fmac_f64_e32 v[32:33], v[222:223], v[160:161]
	v_add_f64 v[0:1], v[0:1], v[32:33]
	s_waitcnt vmcnt(11)
	v_mul_f64 v[32:33], v[224:225], v[166:167]
	v_fmac_f64_e32 v[32:33], v[226:227], v[164:165]
	v_add_f64 v[0:1], v[0:1], v[32:33]
	s_waitcnt vmcnt(10)
	v_mul_f64 v[32:33], v[228:229], v[174:175]
	v_fmac_f64_e32 v[32:33], v[230:231], v[172:173]
	s_waitcnt vmcnt(9)
	v_mul_f64 v[36:37], v[232:233], v[178:179]
	v_add_f64 v[0:1], v[0:1], v[32:33]
	v_fmac_f64_e32 v[36:37], v[234:235], v[176:177]
	v_mul_f64 v[42:43], v[86:87], v[42:43]
	v_add_f64 v[0:1], v[0:1], v[36:37]
	scratch_load_dwordx4 v[36:39], off, off offset:560
	v_fma_f64 v[240:241], v[84:85], v[40:41], -v[42:43]
	ds_read_b128 v[84:87], v2 offset:1296
	s_waitcnt vmcnt(9)
	v_mul_f64 v[40:41], v[242:243], v[186:187]
	v_fmac_f64_e32 v[40:41], v[244:245], v[184:185]
	v_add_f64 v[0:1], v[0:1], v[40:41]
	v_mul_f64 v[40:41], v[106:107], v[46:47]
	v_fma_f64 v[246:247], v[104:105], v[44:45], -v[40:41]
	scratch_load_dwordx4 v[44:47], off, off offset:576
	scratch_load_dwordx4 v[40:43], off, off offset:592
	v_mul_f64 v[50:51], v[102:103], v[50:51]
	v_fma_f64 v[248:249], v[100:101], v[48:49], -v[50:51]
	v_mul_f64 v[48:49], v[190:191], v[54:55]
	ds_read_b128 v[100:103], v2 offset:1312
	v_fma_f64 v[250:251], v[188:189], v[52:53], -v[48:49]
	scratch_load_dwordx4 v[48:51], off, off offset:608
	s_waitcnt vmcnt(11) lgkmcnt(1)
	v_mul_f64 v[104:105], v[84:85], v[6:7]
	v_fmac_f64_e32 v[104:105], v[86:87], v[4:5]
	v_accvgpr_write_b32 a125, v7
	v_accvgpr_write_b32 a124, v6
	v_accvgpr_write_b32 a123, v5
	v_accvgpr_write_b32 a122, v4
	v_add_f64 v[0:1], v[0:1], v[104:105]
	ds_read_b128 v[104:107], v2 offset:1328
	s_waitcnt vmcnt(10)
	v_mov_b64_e32 v[4:5], v[8:9]
	v_mul_f64 v[52:53], v[114:115], v[58:59]
	v_mov_b64_e32 v[6:7], v[10:11]
	v_fma_f64 v[254:255], v[112:113], v[56:57], -v[52:53]
	s_waitcnt lgkmcnt(1)
	v_mul_f64 v[56:57], v[100:101], v[6:7]
	v_fmac_f64_e32 v[56:57], v[102:103], v[4:5]
	s_waitcnt vmcnt(9)
	v_mov_b64_e32 v[4:5], v[12:13]
	scratch_load_dwordx4 v[52:55], off, off offset:624
	v_add_f64 v[0:1], v[0:1], v[56:57]
	v_mul_f64 v[56:57], v[110:111], v[62:63]
	v_mov_b64_e32 v[6:7], v[14:15]
	v_fma_f64 v[236:237], v[108:109], v[60:61], -v[56:57]
	scratch_load_dwordx4 v[56:59], off, off offset:640
	scratch_load_dwordx4 v[60:63], off, off offset:656
	s_waitcnt lgkmcnt(0)
	v_mul_f64 v[108:109], v[104:105], v[6:7]
	v_fmac_f64_e32 v[108:109], v[106:107], v[4:5]
	v_add_f64 v[0:1], v[0:1], v[108:109]
	ds_read_b128 v[108:111], v2 offset:1344
	ds_read_b128 v[112:115], v2 offset:1360
	v_mul_f64 v[6:7], v[210:211], v[74:75]
	v_mul_f64 v[66:67], v[194:195], v[66:67]
	v_fma_f64 v[28:29], v[208:209], v[72:73], -v[6:7]
	s_waitcnt vmcnt(11)
	v_mov_b64_e32 v[4:5], v[16:17]
	v_fma_f64 v[252:253], v[192:193], v[64:65], -v[66:67]
	v_mul_f64 v[64:65], v[118:119], v[70:71]
	v_mov_b64_e32 v[6:7], v[18:19]
	v_fma_f64 v[32:33], v[116:117], v[68:69], -v[64:65]
	scratch_load_dwordx4 v[64:67], off, off offset:672
	scratch_load_dwordx4 v[68:71], off, off offset:688
	s_waitcnt lgkmcnt(1)
	v_mul_f64 v[72:73], v[108:109], v[6:7]
	v_fmac_f64_e32 v[72:73], v[110:111], v[4:5]
	v_add_f64 v[0:1], v[0:1], v[72:73]
	v_mul_f64 v[72:73], v[202:203], v[78:79]
	v_fma_f64 v[24:25], v[200:201], v[76:77], -v[72:73]
	scratch_load_dwordx4 v[72:75], off, off offset:704
	scratch_load_dwordx4 v[76:79], off, off offset:720
	v_accvgpr_write_b32 a129, v11
	v_accvgpr_write_b32 a128, v10
	;; [unrolled: 1-line block ×4, first 2 shown]
	s_waitcnt vmcnt(11)
	v_mov_b64_e32 v[4:5], v[20:21]
	v_accvgpr_write_b32 a141, v23
	v_mul_f64 v[10:11], v[198:199], v[82:83]
	ds_read_b128 v[116:119], v2 offset:1376
	v_accvgpr_write_b32 a137, v19
	v_mov_b64_e32 v[6:7], v[22:23]
	v_accvgpr_write_b32 a140, v22
	v_accvgpr_write_b32 a139, v21
	;; [unrolled: 1-line block ×3, first 2 shown]
	v_fma_f64 v[20:21], v[196:197], v[80:81], -v[10:11]
	v_mul_f64 v[80:81], v[122:123], v[90:91]
	v_accvgpr_write_b32 a136, v18
	v_accvgpr_write_b32 a135, v17
	;; [unrolled: 1-line block ×3, first 2 shown]
	s_waitcnt lgkmcnt(1)
	v_mul_f64 v[188:189], v[112:113], v[6:7]
	v_fma_f64 v[16:17], v[120:121], v[88:89], -v[80:81]
	scratch_load_dwordx4 v[80:83], off, off offset:736
	scratch_load_dwordx4 v[88:91], off, off offset:752
	v_fmac_f64_e32 v[188:189], v[114:115], v[4:5]
	v_accvgpr_read_b32 v4, a110
	v_accvgpr_write_b32 a133, v15
	v_accvgpr_read_b32 v6, a112
	v_accvgpr_read_b32 v7, a113
	v_accvgpr_write_b32 a132, v14
	v_accvgpr_write_b32 a131, v13
	;; [unrolled: 1-line block ×3, first 2 shown]
	ds_read_b128 v[120:123], v2 offset:1392
	v_accvgpr_read_b32 v5, a111
	s_waitcnt lgkmcnt(1)
	v_mul_f64 v[14:15], v[116:117], v[6:7]
	v_add_f64 v[0:1], v[0:1], v[188:189]
	v_fmac_f64_e32 v[14:15], v[118:119], v[4:5]
	v_add_f64 v[0:1], v[0:1], v[14:15]
	v_mul_f64 v[14:15], v[126:127], v[94:95]
	v_fma_f64 v[14:15], v[124:125], v[92:93], -v[14:15]
	v_mul_f64 v[92:93], v[206:207], v[98:99]
	v_fma_f64 v[12:13], v[204:205], v[96:97], -v[92:93]
	scratch_load_dwordx4 v[92:95], off, off offset:768
	scratch_load_dwordx4 v[96:99], off, off offset:784
	v_accvgpr_read_b32 v4, a114
	ds_read_b128 v[124:127], v2 offset:1408
	v_accvgpr_read_b32 v6, a116
	v_accvgpr_read_b32 v7, a117
	;; [unrolled: 1-line block ×3, first 2 shown]
	s_waitcnt lgkmcnt(1)
	v_mul_f64 v[188:189], v[120:121], v[6:7]
	v_fmac_f64_e32 v[188:189], v[122:123], v[4:5]
	v_mul_f64 v[18:19], v[170:171], v[130:131]
	v_accvgpr_read_b32 v4, a118
	v_fma_f64 v[18:19], v[168:169], v[128:129], -v[18:19]
	v_mul_f64 v[128:129], v[158:159], v[134:135]
	v_accvgpr_read_b32 v6, a120
	v_accvgpr_read_b32 v7, a121
	v_fma_f64 v[10:11], v[156:157], v[132:133], -v[128:129]
	ds_read_b128 v[128:131], v2 offset:1424
	v_accvgpr_read_b32 v5, a119
	s_waitcnt lgkmcnt(1)
	v_mul_f64 v[22:23], v[124:125], v[6:7]
	v_add_f64 v[0:1], v[0:1], v[188:189]
	v_fmac_f64_e32 v[22:23], v[126:127], v[4:5]
	v_add_f64 v[0:1], v[0:1], v[22:23]
	ds_read_b128 v[132:135], v2 offset:1440
	v_mul_f64 v[22:23], v[146:147], v[138:139]
	v_fma_f64 v[22:23], v[144:145], v[136:137], -v[22:23]
	ds_read_b128 v[136:139], v2 offset:1456
	v_mul_f64 v[142:143], v[182:183], v[142:143]
	s_waitcnt vmcnt(14) lgkmcnt(2)
	v_mul_f64 v[144:145], v[128:129], v[38:39]
	v_fma_f64 v[8:9], v[180:181], v[140:141], -v[142:143]
	ds_read_b128 v[140:143], v2 offset:1472
	v_fmac_f64_e32 v[144:145], v[130:131], v[36:37]
	v_add_f64 v[0:1], v[0:1], v[144:145]
	s_waitcnt vmcnt(13) lgkmcnt(2)
	v_mul_f64 v[144:145], v[132:133], v[46:47]
	v_fmac_f64_e32 v[144:145], v[134:135], v[44:45]
	s_waitcnt vmcnt(12) lgkmcnt(1)
	v_mul_f64 v[26:27], v[136:137], v[42:43]
	v_add_f64 v[0:1], v[0:1], v[144:145]
	v_fmac_f64_e32 v[26:27], v[138:139], v[40:41]
	v_add_f64 v[0:1], v[0:1], v[26:27]
	ds_read_b128 v[144:147], v2 offset:1488
	s_waitcnt vmcnt(11) lgkmcnt(1)
	v_mul_f64 v[26:27], v[140:141], v[50:51]
	v_fmac_f64_e32 v[26:27], v[142:143], v[48:49]
	v_add_f64 v[0:1], v[0:1], v[26:27]
	v_mul_f64 v[26:27], v[214:215], v[150:151]
	v_fma_f64 v[26:27], v[212:213], v[148:149], -v[26:27]
	ds_read_b128 v[148:151], v2 offset:1504
	s_waitcnt vmcnt(10) lgkmcnt(1)
	v_mul_f64 v[156:157], v[144:145], v[54:55]
	v_mul_f64 v[154:155], v[218:219], v[154:155]
	v_fmac_f64_e32 v[156:157], v[146:147], v[52:53]
	v_fma_f64 v[6:7], v[216:217], v[152:153], -v[154:155]
	ds_read_b128 v[152:155], v2 offset:1520
	s_waitcnt vmcnt(9) lgkmcnt(1)
	v_mul_f64 v[30:31], v[148:149], v[58:59]
	v_add_f64 v[0:1], v[0:1], v[156:157]
	v_fmac_f64_e32 v[30:31], v[150:151], v[56:57]
	v_add_f64 v[0:1], v[0:1], v[30:31]
	ds_read_b128 v[156:159], v2 offset:1536
	v_mul_f64 v[30:31], v[222:223], v[162:163]
	v_fma_f64 v[30:31], v[220:221], v[160:161], -v[30:31]
	ds_read_b128 v[160:163], v2 offset:1552
	v_mul_f64 v[166:167], v[226:227], v[166:167]
	s_waitcnt vmcnt(8) lgkmcnt(2)
	v_mul_f64 v[168:169], v[152:153], v[62:63]
	v_fma_f64 v[4:5], v[224:225], v[164:165], -v[166:167]
	ds_read_b128 v[164:167], v2 offset:1568
	v_fmac_f64_e32 v[168:169], v[154:155], v[60:61]
	v_add_f64 v[0:1], v[0:1], v[168:169]
	s_waitcnt vmcnt(7) lgkmcnt(2)
	v_mul_f64 v[168:169], v[156:157], v[66:67]
	v_fmac_f64_e32 v[168:169], v[158:159], v[64:65]
	s_waitcnt vmcnt(6) lgkmcnt(1)
	v_mul_f64 v[34:35], v[160:161], v[70:71]
	v_add_f64 v[0:1], v[0:1], v[168:169]
	v_fmac_f64_e32 v[34:35], v[162:163], v[68:69]
	v_add_f64 v[0:1], v[0:1], v[34:35]
	ds_read_b128 v[168:171], v2 offset:1584
	s_waitcnt vmcnt(5) lgkmcnt(1)
	v_mul_f64 v[34:35], v[164:165], v[74:75]
	v_fmac_f64_e32 v[34:35], v[166:167], v[72:73]
	v_add_f64 v[0:1], v[0:1], v[34:35]
	v_mul_f64 v[34:35], v[230:231], v[174:175]
	v_fma_f64 v[34:35], v[228:229], v[172:173], -v[34:35]
	ds_read_b128 v[172:175], v2 offset:1600
	s_waitcnt vmcnt(4) lgkmcnt(1)
	v_mul_f64 v[180:181], v[168:169], v[78:79]
	v_fmac_f64_e32 v[180:181], v[170:171], v[76:77]
	v_mul_f64 v[178:179], v[234:235], v[178:179]
	v_add_f64 v[0:1], v[0:1], v[180:181]
	v_fma_f64 v[238:239], v[232:233], v[176:177], -v[178:179]
	ds_read_b128 v[176:179], v2 offset:1616
	s_waitcnt vmcnt(3) lgkmcnt(1)
	v_mul_f64 v[180:181], v[172:173], v[82:83]
	v_fmac_f64_e32 v[180:181], v[174:175], v[80:81]
	v_add_f64 v[0:1], v[0:1], v[180:181]
	ds_read_b128 v[180:183], v2 offset:1632
	v_mul_f64 v[186:187], v[244:245], v[186:187]
	v_fma_f64 v[244:245], v[242:243], v[184:185], -v[186:187]
	ds_read_b128 v[184:187], v2 offset:1648
	s_waitcnt vmcnt(2) lgkmcnt(2)
	v_mul_f64 v[188:189], v[176:177], v[90:91]
	v_fmac_f64_e32 v[188:189], v[178:179], v[88:89]
	v_add_f64 v[0:1], v[0:1], v[188:189]
	s_waitcnt vmcnt(1) lgkmcnt(1)
	v_mul_f64 v[188:189], v[180:181], v[94:95]
	v_fmac_f64_e32 v[188:189], v[182:183], v[92:93]
	v_add_f64 v[0:1], v[0:1], v[188:189]
	;; [unrolled: 4-line block ×3, first 2 shown]
	scratch_load_dwordx4 v[188:191], off, off offset:800
	ds_read_b128 v[192:195], v2 offset:1664
	ds_read_b128 v[200:203], v2 offset:1680
	;; [unrolled: 1-line block ×5, first 2 shown]
	s_waitcnt vmcnt(0) lgkmcnt(4)
	v_mul_f64 v[196:197], v[192:193], v[190:191]
	v_fmac_f64_e32 v[196:197], v[194:195], v[188:189]
	v_add_f64 v[0:1], v[0:1], v[196:197]
	scratch_load_dwordx4 v[196:199], off, off offset:816
	s_waitcnt vmcnt(0) lgkmcnt(3)
	v_mul_f64 v[204:205], v[200:201], v[198:199]
	v_fmac_f64_e32 v[204:205], v[202:203], v[196:197]
	v_add_f64 v[0:1], v[0:1], v[204:205]
	scratch_load_dwordx4 v[204:207], off, off offset:832
	s_waitcnt vmcnt(0) lgkmcnt(2)
	v_mul_f64 v[212:213], v[208:209], v[206:207]
	v_fmac_f64_e32 v[212:213], v[210:211], v[204:205]
	v_add_f64 v[0:1], v[0:1], v[212:213]
	scratch_load_dwordx4 v[212:215], off, off offset:848
	s_waitcnt vmcnt(0) lgkmcnt(1)
	v_mul_f64 v[220:221], v[216:217], v[214:215]
	v_fmac_f64_e32 v[220:221], v[218:219], v[212:213]
	v_add_f64 v[0:1], v[0:1], v[220:221]
	scratch_load_dwordx4 v[220:223], off, off offset:864
	s_waitcnt vmcnt(0) lgkmcnt(0)
	v_mul_f64 v[228:229], v[224:225], v[222:223]
	v_fmac_f64_e32 v[228:229], v[226:227], v[220:221]
	v_add_f64 v[232:233], v[0:1], v[228:229]
	scratch_load_dwordx4 v[228:231], off, off offset:880
	ds_read_b128 v[0:3], v2 offset:1744
	s_waitcnt vmcnt(0) lgkmcnt(0)
	v_mul_f64 v[234:235], v[0:1], v[230:231]
	v_fmac_f64_e32 v[234:235], v[2:3], v[228:229]
	v_add_f64 v[242:243], v[232:233], v[234:235]
	v_add_f64 v[232:233], v[240:241], 0
	v_add_f64 v[232:233], v[232:233], v[246:247]
	v_add_f64 v[232:233], v[232:233], v[248:249]
	v_add_f64 v[232:233], v[232:233], v[250:251]
	v_add_f64 v[232:233], v[232:233], v[254:255]
	v_add_f64 v[232:233], v[232:233], v[236:237]
	v_add_f64 v[232:233], v[232:233], v[252:253]
	v_add_f64 v[32:33], v[232:233], v[32:33]
	scratch_load_dwordx4 v[232:235], off, off offset:16
	v_add_f64 v[28:29], v[32:33], v[28:29]
	v_add_f64 v[24:25], v[28:29], v[24:25]
	;; [unrolled: 1-line block ×13, first 2 shown]
	v_accvgpr_read_b32 v8, a122
	v_add_f64 v[4:5], v[6:7], v[4:5]
	v_accvgpr_read_b32 v10, a124
	v_accvgpr_read_b32 v11, a125
	v_add_f64 v[254:255], v[4:5], v[34:35]
	v_accvgpr_read_b32 v9, a123
	v_mul_f64 v[6:7], v[86:87], v[10:11]
	v_add_f64 v[4:5], v[254:255], v[238:239]
	v_fma_f64 v[6:7], v[84:85], v[8:9], -v[6:7]
	v_accvgpr_read_b32 v8, a126
	v_add_f64 v[4:5], v[4:5], v[244:245]
	v_accvgpr_read_b32 v10, a128
	v_accvgpr_read_b32 v11, a129
	v_add_f64 v[4:5], v[4:5], v[6:7]
	v_accvgpr_read_b32 v9, a127
	v_mul_f64 v[6:7], v[102:103], v[10:11]
	v_fma_f64 v[6:7], v[100:101], v[8:9], -v[6:7]
	v_accvgpr_read_b32 v8, a130
	v_accvgpr_read_b32 v10, a132
	v_accvgpr_read_b32 v11, a133
	v_add_f64 v[4:5], v[4:5], v[6:7]
	v_accvgpr_read_b32 v9, a131
	v_mul_f64 v[6:7], v[106:107], v[10:11]
	v_fma_f64 v[6:7], v[104:105], v[8:9], -v[6:7]
	v_accvgpr_read_b32 v8, a134
	;; [unrolled: 7-line block ×6, first 2 shown]
	v_accvgpr_read_b32 v10, a120
	v_accvgpr_read_b32 v11, a121
	v_add_f64 v[4:5], v[4:5], v[6:7]
	v_accvgpr_read_b32 v9, a119
	v_mul_f64 v[6:7], v[126:127], v[10:11]
	v_fma_f64 v[6:7], v[124:125], v[8:9], -v[6:7]
	v_add_f64 v[4:5], v[4:5], v[6:7]
	v_mul_f64 v[6:7], v[130:131], v[38:39]
	v_fma_f64 v[6:7], v[128:129], v[36:37], -v[6:7]
	v_add_f64 v[4:5], v[4:5], v[6:7]
	;; [unrolled: 3-line block ×20, first 2 shown]
	v_mul_f64 v[6:7], v[226:227], v[222:223]
	v_fma_f64 v[6:7], v[224:225], v[220:221], -v[6:7]
	v_mul_f64 v[2:3], v[2:3], v[230:231]
	v_add_f64 v[4:5], v[4:5], v[6:7]
	v_fma_f64 v[0:1], v[0:1], v[228:229], -v[2:3]
	v_add_f64 v[0:1], v[4:5], v[0:1]
	s_waitcnt vmcnt(0)
	v_add_f64 v[0:1], v[232:233], -v[0:1]
	v_add_f64 v[2:3], v[234:235], -v[242:243]
	scratch_store_dwordx4 off, v[0:3], off offset:16
	s_cbranch_vccz .LBB118_452
; %bb.344:
	s_nop 0
	v_mov_b32_e32 v0, 0
	global_load_dword v1, v0, s[8:9] offset:212
	s_waitcnt vmcnt(0)
	v_readfirstlane_b32 s0, v1
	s_add_i32 s0, s0, -1
	s_cmp_lg_u32 s0, 53
	s_cbranch_scc0 .LBB118_346
; %bb.345:
	s_lshl_b32 s0, s0, 4
	s_add_i32 s0, s0, 16
	scratch_load_dwordx4 v[2:5], off, s0
	scratch_load_dwordx4 v[6:9], off, s17
	s_waitcnt vmcnt(1)
	scratch_store_dwordx4 off, v[2:5], s17
	s_waitcnt vmcnt(1)
	scratch_store_dwordx4 off, v[6:9], s0
.LBB118_346:
	global_load_dword v0, v0, s[8:9] offset:208
	s_waitcnt vmcnt(0)
	v_readfirstlane_b32 s0, v0
	s_add_i32 s0, s0, -1
	s_cmp_eq_u32 s0, 52
	s_cbranch_scc1 .LBB118_348
; %bb.347:
	s_lshl_b32 s0, s0, 4
	s_add_i32 s0, s0, 16
	scratch_load_dwordx4 v[0:3], off, s0
	scratch_load_dwordx4 v[4:7], off, s18
	s_waitcnt vmcnt(1)
	scratch_store_dwordx4 off, v[0:3], s18
	s_waitcnt vmcnt(1)
	scratch_store_dwordx4 off, v[4:7], s0
.LBB118_348:
	v_mov_b32_e32 v0, 0
	global_load_dword v1, v0, s[8:9] offset:204
	s_waitcnt vmcnt(0)
	v_readfirstlane_b32 s0, v1
	s_add_i32 s0, s0, -1
	s_cmp_eq_u32 s0, 51
	s_cbranch_scc1 .LBB118_350
; %bb.349:
	s_lshl_b32 s0, s0, 4
	s_add_i32 s0, s0, 16
	scratch_load_dwordx4 v[2:5], off, s0
	scratch_load_dwordx4 v[6:9], off, s19
	s_waitcnt vmcnt(1)
	scratch_store_dwordx4 off, v[2:5], s19
	s_waitcnt vmcnt(1)
	scratch_store_dwordx4 off, v[6:9], s0
.LBB118_350:
	global_load_dword v0, v0, s[8:9] offset:200
	s_waitcnt vmcnt(0)
	v_readfirstlane_b32 s0, v0
	s_add_i32 s0, s0, -1
	s_cmp_eq_u32 s0, 50
	s_cbranch_scc1 .LBB118_352
; %bb.351:
	s_lshl_b32 s0, s0, 4
	s_add_i32 s0, s0, 16
	scratch_load_dwordx4 v[0:3], off, s0
	scratch_load_dwordx4 v[4:7], off, s20
	s_waitcnt vmcnt(1)
	scratch_store_dwordx4 off, v[0:3], s20
	s_waitcnt vmcnt(1)
	scratch_store_dwordx4 off, v[4:7], s0
.LBB118_352:
	v_mov_b32_e32 v0, 0
	global_load_dword v1, v0, s[8:9] offset:196
	s_waitcnt vmcnt(0)
	v_readfirstlane_b32 s0, v1
	s_add_i32 s0, s0, -1
	s_cmp_eq_u32 s0, 49
	s_cbranch_scc1 .LBB118_354
; %bb.353:
	s_lshl_b32 s0, s0, 4
	s_add_i32 s0, s0, 16
	scratch_load_dwordx4 v[2:5], off, s0
	scratch_load_dwordx4 v[6:9], off, s21
	s_waitcnt vmcnt(1)
	scratch_store_dwordx4 off, v[2:5], s21
	s_waitcnt vmcnt(1)
	scratch_store_dwordx4 off, v[6:9], s0
.LBB118_354:
	;; [unrolled: 33-line block ×26, first 2 shown]
	global_load_dword v0, v0, s[8:9]
	s_waitcnt vmcnt(0)
	v_readfirstlane_b32 s0, v0
	s_add_i32 s0, s0, -1
	s_cmp_eq_u32 s0, 0
	s_cbranch_scc1 .LBB118_452
; %bb.451:
	s_lshl_b32 s0, s0, 4
	s_add_i32 s0, s0, 16
	scratch_load_dwordx4 v[0:3], off, s0
	scratch_load_dwordx4 v[4:7], off, off offset:16
	s_waitcnt vmcnt(1)
	scratch_store_dwordx4 off, v[0:3], off offset:16
	s_waitcnt vmcnt(1)
	scratch_store_dwordx4 off, v[4:7], s0
.LBB118_452:
	scratch_load_dwordx4 v[0:3], off, off offset:16
	s_nop 0
	v_accvgpr_read_b32 v5, a1
	v_accvgpr_read_b32 v4, a0
	s_waitcnt vmcnt(0)
	flat_store_dwordx4 v[4:5], v[0:3]
	scratch_load_dwordx4 v[0:3], off, s70
	v_accvgpr_read_b32 v5, a3
	v_accvgpr_read_b32 v4, a2
	s_waitcnt vmcnt(0)
	flat_store_dwordx4 v[4:5], v[0:3]
	scratch_load_dwordx4 v[0:3], off, s69
	;; [unrolled: 5-line block ×54, first 2 shown]
	v_accvgpr_read_b32 v4, a108
	v_accvgpr_read_b32 v5, a109
	s_waitcnt vmcnt(0)
	flat_store_dwordx4 v[4:5], v[0:3]
	s_endpgm
	.section	.rodata,"a",@progbits
	.p2align	6, 0x0
	.amdhsa_kernel _ZN9rocsolver6v33100L18getri_kernel_smallILi55E19rocblas_complex_numIdEPKPS3_EEvT1_iilPiilS8_bb
		.amdhsa_group_segment_fixed_size 1768
		.amdhsa_private_segment_fixed_size 912
		.amdhsa_kernarg_size 60
		.amdhsa_user_sgpr_count 2
		.amdhsa_user_sgpr_dispatch_ptr 0
		.amdhsa_user_sgpr_queue_ptr 0
		.amdhsa_user_sgpr_kernarg_segment_ptr 1
		.amdhsa_user_sgpr_dispatch_id 0
		.amdhsa_user_sgpr_kernarg_preload_length 0
		.amdhsa_user_sgpr_kernarg_preload_offset 0
		.amdhsa_user_sgpr_private_segment_size 0
		.amdhsa_uses_dynamic_stack 0
		.amdhsa_enable_private_segment 1
		.amdhsa_system_sgpr_workgroup_id_x 1
		.amdhsa_system_sgpr_workgroup_id_y 0
		.amdhsa_system_sgpr_workgroup_id_z 0
		.amdhsa_system_sgpr_workgroup_info 0
		.amdhsa_system_vgpr_workitem_id 0
		.amdhsa_next_free_vgpr 398
		.amdhsa_next_free_sgpr 92
		.amdhsa_accum_offset 256
		.amdhsa_reserve_vcc 1
		.amdhsa_float_round_mode_32 0
		.amdhsa_float_round_mode_16_64 0
		.amdhsa_float_denorm_mode_32 3
		.amdhsa_float_denorm_mode_16_64 3
		.amdhsa_dx10_clamp 1
		.amdhsa_ieee_mode 1
		.amdhsa_fp16_overflow 0
		.amdhsa_tg_split 0
		.amdhsa_exception_fp_ieee_invalid_op 0
		.amdhsa_exception_fp_denorm_src 0
		.amdhsa_exception_fp_ieee_div_zero 0
		.amdhsa_exception_fp_ieee_overflow 0
		.amdhsa_exception_fp_ieee_underflow 0
		.amdhsa_exception_fp_ieee_inexact 0
		.amdhsa_exception_int_div_zero 0
	.end_amdhsa_kernel
	.section	.text._ZN9rocsolver6v33100L18getri_kernel_smallILi55E19rocblas_complex_numIdEPKPS3_EEvT1_iilPiilS8_bb,"axG",@progbits,_ZN9rocsolver6v33100L18getri_kernel_smallILi55E19rocblas_complex_numIdEPKPS3_EEvT1_iilPiilS8_bb,comdat
.Lfunc_end118:
	.size	_ZN9rocsolver6v33100L18getri_kernel_smallILi55E19rocblas_complex_numIdEPKPS3_EEvT1_iilPiilS8_bb, .Lfunc_end118-_ZN9rocsolver6v33100L18getri_kernel_smallILi55E19rocblas_complex_numIdEPKPS3_EEvT1_iilPiilS8_bb
                                        ; -- End function
	.set _ZN9rocsolver6v33100L18getri_kernel_smallILi55E19rocblas_complex_numIdEPKPS3_EEvT1_iilPiilS8_bb.num_vgpr, 256
	.set _ZN9rocsolver6v33100L18getri_kernel_smallILi55E19rocblas_complex_numIdEPKPS3_EEvT1_iilPiilS8_bb.num_agpr, 142
	.set _ZN9rocsolver6v33100L18getri_kernel_smallILi55E19rocblas_complex_numIdEPKPS3_EEvT1_iilPiilS8_bb.numbered_sgpr, 92
	.set _ZN9rocsolver6v33100L18getri_kernel_smallILi55E19rocblas_complex_numIdEPKPS3_EEvT1_iilPiilS8_bb.num_named_barrier, 0
	.set _ZN9rocsolver6v33100L18getri_kernel_smallILi55E19rocblas_complex_numIdEPKPS3_EEvT1_iilPiilS8_bb.private_seg_size, 912
	.set _ZN9rocsolver6v33100L18getri_kernel_smallILi55E19rocblas_complex_numIdEPKPS3_EEvT1_iilPiilS8_bb.uses_vcc, 1
	.set _ZN9rocsolver6v33100L18getri_kernel_smallILi55E19rocblas_complex_numIdEPKPS3_EEvT1_iilPiilS8_bb.uses_flat_scratch, 0
	.set _ZN9rocsolver6v33100L18getri_kernel_smallILi55E19rocblas_complex_numIdEPKPS3_EEvT1_iilPiilS8_bb.has_dyn_sized_stack, 0
	.set _ZN9rocsolver6v33100L18getri_kernel_smallILi55E19rocblas_complex_numIdEPKPS3_EEvT1_iilPiilS8_bb.has_recursion, 0
	.set _ZN9rocsolver6v33100L18getri_kernel_smallILi55E19rocblas_complex_numIdEPKPS3_EEvT1_iilPiilS8_bb.has_indirect_call, 0
	.section	.AMDGPU.csdata,"",@progbits
; Kernel info:
; codeLenInByte = 127524
; TotalNumSgprs: 98
; NumVgprs: 256
; NumAgprs: 142
; TotalNumVgprs: 398
; ScratchSize: 912
; MemoryBound: 0
; FloatMode: 240
; IeeeMode: 1
; LDSByteSize: 1768 bytes/workgroup (compile time only)
; SGPRBlocks: 12
; VGPRBlocks: 49
; NumSGPRsForWavesPerEU: 98
; NumVGPRsForWavesPerEU: 398
; AccumOffset: 256
; Occupancy: 1
; WaveLimiterHint : 1
; COMPUTE_PGM_RSRC2:SCRATCH_EN: 1
; COMPUTE_PGM_RSRC2:USER_SGPR: 2
; COMPUTE_PGM_RSRC2:TRAP_HANDLER: 0
; COMPUTE_PGM_RSRC2:TGID_X_EN: 1
; COMPUTE_PGM_RSRC2:TGID_Y_EN: 0
; COMPUTE_PGM_RSRC2:TGID_Z_EN: 0
; COMPUTE_PGM_RSRC2:TIDIG_COMP_CNT: 0
; COMPUTE_PGM_RSRC3_GFX90A:ACCUM_OFFSET: 63
; COMPUTE_PGM_RSRC3_GFX90A:TG_SPLIT: 0
	.section	.text._ZN9rocsolver6v33100L18getri_kernel_smallILi56E19rocblas_complex_numIdEPKPS3_EEvT1_iilPiilS8_bb,"axG",@progbits,_ZN9rocsolver6v33100L18getri_kernel_smallILi56E19rocblas_complex_numIdEPKPS3_EEvT1_iilPiilS8_bb,comdat
	.globl	_ZN9rocsolver6v33100L18getri_kernel_smallILi56E19rocblas_complex_numIdEPKPS3_EEvT1_iilPiilS8_bb ; -- Begin function _ZN9rocsolver6v33100L18getri_kernel_smallILi56E19rocblas_complex_numIdEPKPS3_EEvT1_iilPiilS8_bb
	.p2align	8
	.type	_ZN9rocsolver6v33100L18getri_kernel_smallILi56E19rocblas_complex_numIdEPKPS3_EEvT1_iilPiilS8_bb,@function
_ZN9rocsolver6v33100L18getri_kernel_smallILi56E19rocblas_complex_numIdEPKPS3_EEvT1_iilPiilS8_bb: ; @_ZN9rocsolver6v33100L18getri_kernel_smallILi56E19rocblas_complex_numIdEPKPS3_EEvT1_iilPiilS8_bb
; %bb.0:
	v_mov_b32_e32 v240, v0
	v_cmp_gt_u32_e32 vcc, 56, v240
	s_and_saveexec_b64 s[4:5], vcc
	s_cbranch_execz .LBB119_238
; %bb.1:
	s_load_dword s14, s[0:1], 0x38
	s_load_dwordx2 s[8:9], s[0:1], 0x0
	s_load_dwordx4 s[4:7], s[0:1], 0x28
	s_waitcnt lgkmcnt(0)
	s_bitcmp1_b32 s14, 8
	s_cselect_b64 s[10:11], -1, 0
	s_ashr_i32 s3, s2, 31
	s_lshl_b64 s[12:13], s[2:3], 3
	s_add_u32 s8, s8, s12
	s_addc_u32 s9, s9, s13
	s_load_dwordx2 s[12:13], s[8:9], 0x0
	s_bfe_u32 s8, s14, 0x10008
	s_cmp_eq_u32 s8, 0
                                        ; implicit-def: $sgpr8_sgpr9
	s_cbranch_scc1 .LBB119_3
; %bb.2:
	s_load_dword s8, s[0:1], 0x20
	s_load_dwordx2 s[14:15], s[0:1], 0x18
	s_mul_i32 s9, s4, s3
	s_mul_hi_u32 s16, s4, s2
	s_add_i32 s16, s16, s9
	s_mul_i32 s5, s5, s2
	s_add_i32 s5, s16, s5
	s_mul_i32 s4, s4, s2
	s_waitcnt lgkmcnt(0)
	s_ashr_i32 s9, s8, 31
	s_lshl_b64 s[4:5], s[4:5], 2
	s_add_u32 s14, s14, s4
	s_addc_u32 s15, s15, s5
	s_lshl_b64 s[4:5], s[8:9], 2
	s_add_u32 s8, s14, s4
	s_addc_u32 s9, s15, s5
.LBB119_3:
	s_load_dwordx2 s[4:5], s[0:1], 0x8
	s_load_dword s14, s[0:1], 0x38
	v_lshlrev_b32_e32 v14, 4, v240
	v_mov_b32_e32 v15, 0
	s_movk_i32 s15, 0x80
	s_waitcnt lgkmcnt(0)
	s_ashr_i32 s1, s4, 31
	s_mov_b32 s0, s4
	s_lshl_b64 s[0:1], s[0:1], 4
	s_add_u32 s0, s12, s0
	s_addc_u32 s1, s13, s1
	v_lshl_add_u64 v[0:1], s[0:1], 0, v[14:15]
	flat_load_dwordx4 v[2:5], v[0:1]
	s_mov_b32 s12, s5
	s_ashr_i32 s13, s5, 31
	v_accvgpr_write_b32 a0, v0
	v_accvgpr_write_b32 a1, v1
	v_lshl_add_u64 v[0:1], s[12:13], 4, v[0:1]
	s_add_i32 s4, s5, s5
	v_add_u32_e32 v6, s4, v240
	v_accvgpr_write_b32 a3, v1
	v_ashrrev_i32_e32 v7, 31, v6
	v_accvgpr_write_b32 a2, v0
	s_movk_i32 s4, 0x50
	s_movk_i32 s12, 0x60
	;; [unrolled: 1-line block ×47, first 2 shown]
	s_add_i32 s67, s4, 16
	s_add_i32 s66, s12, 16
	;; [unrolled: 1-line block ×22, first 2 shown]
	s_waitcnt vmcnt(0) lgkmcnt(0)
	scratch_store_dwordx4 off, v[2:5], off offset:16
	flat_load_dwordx4 v[2:5], v[0:1]
	v_lshl_add_u64 v[0:1], v[6:7], 4, s[0:1]
	v_add_u32_e32 v6, s5, v6
	v_accvgpr_write_b32 a5, v1
	v_ashrrev_i32_e32 v7, 31, v6
	v_accvgpr_write_b32 a4, v0
	s_add_i32 s45, s35, 16
	s_add_i32 s44, s36, 16
	;; [unrolled: 1-line block ×26, first 2 shown]
	s_mov_b32 s71, 32
	s_mov_b32 s70, 48
	;; [unrolled: 1-line block ×3, first 2 shown]
	s_movk_i32 s68, 0x50
	s_waitcnt vmcnt(0) lgkmcnt(0)
	scratch_store_dwordx4 off, v[2:5], off offset:32
	flat_load_dwordx4 v[2:5], v[0:1]
	v_lshl_add_u64 v[0:1], v[6:7], 4, s[0:1]
	v_add_u32_e32 v6, s5, v6
	v_accvgpr_write_b32 a7, v1
	v_ashrrev_i32_e32 v7, 31, v6
	v_accvgpr_write_b32 a6, v0
	s_waitcnt vmcnt(0) lgkmcnt(0)
	scratch_store_dwordx4 off, v[2:5], off offset:48
	flat_load_dwordx4 v[2:5], v[0:1]
	v_lshl_add_u64 v[0:1], v[6:7], 4, s[0:1]
	v_add_u32_e32 v6, s5, v6
	v_accvgpr_write_b32 a9, v1
	v_ashrrev_i32_e32 v7, 31, v6
	v_accvgpr_write_b32 a8, v0
	;; [unrolled: 8-line block ×52, first 2 shown]
	s_movk_i32 s5, 0x230
	s_add_i32 s37, s5, 16
	s_mov_b64 s[4:5], -1
	s_waitcnt vmcnt(0) lgkmcnt(0)
	scratch_store_dwordx4 off, v[2:5], off offset:864
	flat_load_dwordx4 v[2:5], v[0:1]
	v_lshl_add_u64 v[0:1], v[6:7], 4, s[0:1]
	s_movk_i32 s0, 0x210
	s_movk_i32 s1, 0x220
	v_accvgpr_write_b32 a111, v1
	s_add_i32 s39, s0, 16
	s_add_i32 s38, s1, 16
	v_accvgpr_write_b32 a110, v0
	s_bitcmp0_b32 s14, 0
	s_waitcnt vmcnt(0) lgkmcnt(0)
	scratch_store_dwordx4 off, v[2:5], off offset:880
	flat_load_dwordx4 v[2:5], v[0:1]
	s_waitcnt vmcnt(0) lgkmcnt(0)
	scratch_store_dwordx4 off, v[2:5], off offset:896
	s_cbranch_scc1 .LBB119_236
; %bb.4:
	v_cmp_eq_u32_e64 s[0:1], 0, v240
	s_and_saveexec_b64 s[4:5], s[0:1]
; %bb.5:
	v_mov_b32_e32 v0, 0
	ds_write_b32 v0, v0 offset:1792
; %bb.6:
	s_or_b64 exec, exec, s[4:5]
	s_waitcnt lgkmcnt(0)
	; wave barrier
	scratch_load_dwordx4 v[2:5], v14, off offset:16
	s_waitcnt vmcnt(0)
	v_cmp_eq_f64_e32 vcc, 0, v[2:3]
	v_cmp_eq_f64_e64 s[4:5], 0, v[4:5]
	s_and_b64 s[4:5], vcc, s[4:5]
	s_and_saveexec_b64 s[12:13], s[4:5]
	s_cbranch_execz .LBB119_10
; %bb.7:
	v_mov_b32_e32 v1, 0
	ds_read_b32 v0, v1 offset:1792
	v_add_u32_e32 v2, 1, v240
	s_waitcnt lgkmcnt(0)
	v_readfirstlane_b32 s4, v0
	s_cmp_eq_u32 s4, 0
	s_cselect_b64 s[14:15], -1, 0
	v_cmp_gt_i32_e32 vcc, s4, v2
	s_or_b64 s[14:15], s[14:15], vcc
	s_and_b64 exec, exec, s[14:15]
	s_cbranch_execz .LBB119_10
; %bb.8:
	s_mov_b64 s[14:15], 0
	v_mov_b32_e32 v3, s4
.LBB119_9:                              ; =>This Inner Loop Header: Depth=1
	ds_cmpst_rtn_b32 v3, v1, v3, v2 offset:1792
	s_waitcnt lgkmcnt(0)
	v_cmp_ne_u32_e32 vcc, 0, v3
	v_cmp_le_i32_e64 s[4:5], v3, v2
	s_and_b64 s[4:5], vcc, s[4:5]
	s_and_b64 s[4:5], exec, s[4:5]
	s_or_b64 s[14:15], s[4:5], s[14:15]
	s_andn2_b64 exec, exec, s[14:15]
	s_cbranch_execnz .LBB119_9
.LBB119_10:
	s_or_b64 exec, exec, s[12:13]
	v_mov_b32_e32 v2, 0
	; wave barrier
	ds_read_b32 v1, v2 offset:1792
	s_and_saveexec_b64 s[4:5], s[0:1]
	s_cbranch_execz .LBB119_12
; %bb.11:
	s_lshl_b64 s[12:13], s[2:3], 2
	s_add_u32 s12, s6, s12
	s_addc_u32 s13, s7, s13
	s_waitcnt lgkmcnt(0)
	global_store_dword v2, v1, s[12:13]
.LBB119_12:
	s_or_b64 exec, exec, s[4:5]
	s_waitcnt lgkmcnt(0)
	v_cmp_ne_u32_e32 vcc, 0, v1
	s_mov_b64 s[4:5], 0
	s_cbranch_vccnz .LBB119_236
; %bb.13:
	v_add_u32_e32 v15, 16, v14
	scratch_load_dwordx4 v[2:5], v15, off
                                        ; implicit-def: $vgpr6_vgpr7
                                        ; implicit-def: $vgpr10_vgpr11
	s_waitcnt vmcnt(0)
	v_cmp_ngt_f64_e64 s[4:5], |v[2:3]|, |v[4:5]|
	s_and_saveexec_b64 s[12:13], s[4:5]
	s_xor_b64 s[4:5], exec, s[12:13]
	s_cbranch_execz .LBB119_15
; %bb.14:
	v_div_scale_f64 v[6:7], s[12:13], v[4:5], v[4:5], v[2:3]
	v_rcp_f64_e32 v[8:9], v[6:7]
	v_div_scale_f64 v[10:11], vcc, v[2:3], v[4:5], v[2:3]
	v_fma_f64 v[12:13], -v[6:7], v[8:9], 1.0
	v_fmac_f64_e32 v[8:9], v[8:9], v[12:13]
	v_fma_f64 v[12:13], -v[6:7], v[8:9], 1.0
	v_fmac_f64_e32 v[8:9], v[8:9], v[12:13]
	v_mul_f64 v[12:13], v[10:11], v[8:9]
	v_fma_f64 v[6:7], -v[6:7], v[12:13], v[10:11]
	v_div_fmas_f64 v[6:7], v[6:7], v[8:9], v[12:13]
	v_div_fixup_f64 v[6:7], v[6:7], v[4:5], v[2:3]
	v_fmac_f64_e32 v[4:5], v[2:3], v[6:7]
	v_div_scale_f64 v[2:3], s[12:13], v[4:5], v[4:5], 1.0
	v_rcp_f64_e32 v[8:9], v[2:3]
	s_nop 0
	v_fma_f64 v[10:11], -v[2:3], v[8:9], 1.0
	v_fmac_f64_e32 v[8:9], v[8:9], v[10:11]
	v_fma_f64 v[10:11], -v[2:3], v[8:9], 1.0
	v_fmac_f64_e32 v[8:9], v[8:9], v[10:11]
	v_div_scale_f64 v[10:11], vcc, 1.0, v[4:5], 1.0
	v_mul_f64 v[12:13], v[10:11], v[8:9]
	v_fma_f64 v[2:3], -v[2:3], v[12:13], v[10:11]
	s_nop 1
	v_div_fmas_f64 v[2:3], v[2:3], v[8:9], v[12:13]
	v_div_fixup_f64 v[8:9], v[2:3], v[4:5], 1.0
	v_mul_f64 v[6:7], v[6:7], v[8:9]
	v_xor_b32_e32 v9, 0x80000000, v9
	v_xor_b32_e32 v11, 0x80000000, v7
	v_mov_b32_e32 v10, v6
                                        ; implicit-def: $vgpr2_vgpr3
.LBB119_15:
	s_andn2_saveexec_b64 s[4:5], s[4:5]
	s_cbranch_execz .LBB119_17
; %bb.16:
	v_div_scale_f64 v[6:7], s[12:13], v[2:3], v[2:3], v[4:5]
	v_rcp_f64_e32 v[8:9], v[6:7]
	v_div_scale_f64 v[10:11], vcc, v[4:5], v[2:3], v[4:5]
	v_fma_f64 v[12:13], -v[6:7], v[8:9], 1.0
	v_fmac_f64_e32 v[8:9], v[8:9], v[12:13]
	v_fma_f64 v[12:13], -v[6:7], v[8:9], 1.0
	v_fmac_f64_e32 v[8:9], v[8:9], v[12:13]
	v_mul_f64 v[12:13], v[10:11], v[8:9]
	v_fma_f64 v[6:7], -v[6:7], v[12:13], v[10:11]
	v_div_fmas_f64 v[6:7], v[6:7], v[8:9], v[12:13]
	v_div_fixup_f64 v[8:9], v[6:7], v[2:3], v[4:5]
	v_fmac_f64_e32 v[2:3], v[4:5], v[8:9]
	v_div_scale_f64 v[4:5], s[12:13], v[2:3], v[2:3], 1.0
	v_rcp_f64_e32 v[6:7], v[4:5]
	s_nop 0
	v_fma_f64 v[10:11], -v[4:5], v[6:7], 1.0
	v_fmac_f64_e32 v[6:7], v[6:7], v[10:11]
	v_fma_f64 v[10:11], -v[4:5], v[6:7], 1.0
	v_fmac_f64_e32 v[6:7], v[6:7], v[10:11]
	v_div_scale_f64 v[10:11], vcc, 1.0, v[2:3], 1.0
	v_mul_f64 v[12:13], v[10:11], v[6:7]
	v_fma_f64 v[4:5], -v[4:5], v[12:13], v[10:11]
	s_nop 1
	v_div_fmas_f64 v[4:5], v[4:5], v[6:7], v[12:13]
	v_div_fixup_f64 v[6:7], v[4:5], v[2:3], 1.0
	v_xor_b32_e32 v11, 0x80000000, v7
	v_mov_b32_e32 v10, v6
	v_mul_f64 v[8:9], v[8:9], -v[6:7]
.LBB119_17:
	s_or_b64 exec, exec, s[4:5]
	scratch_store_dwordx4 v15, v[6:9], off
	scratch_load_dwordx4 v[2:5], off, s71
	v_xor_b32_e32 v13, 0x80000000, v9
	v_mov_b32_e32 v12, v8
	v_add_u32_e32 v1, 0x380, v14
	ds_write_b128 v14, v[10:13]
	s_waitcnt vmcnt(0)
	ds_write_b128 v14, v[2:5] offset:896
	s_waitcnt lgkmcnt(0)
	; wave barrier
	s_and_saveexec_b64 s[4:5], s[0:1]
	s_cbranch_execz .LBB119_19
; %bb.18:
	scratch_load_dwordx4 v[2:5], v15, off
	ds_read_b128 v[6:9], v1
	v_mov_b32_e32 v0, 0
	ds_read_b128 v[10:13], v0 offset:16
	s_waitcnt vmcnt(0) lgkmcnt(1)
	v_mul_f64 v[16:17], v[8:9], v[4:5]
	v_mul_f64 v[4:5], v[6:7], v[4:5]
	v_fma_f64 v[6:7], v[6:7], v[2:3], -v[16:17]
	v_fmac_f64_e32 v[4:5], v[8:9], v[2:3]
	v_add_f64 v[2:3], v[6:7], 0
	v_add_f64 v[6:7], v[4:5], 0
	s_waitcnt lgkmcnt(0)
	v_mul_f64 v[8:9], v[6:7], v[12:13]
	v_mul_f64 v[4:5], v[2:3], v[12:13]
	v_fma_f64 v[2:3], v[2:3], v[10:11], -v[8:9]
	v_fmac_f64_e32 v[4:5], v[6:7], v[10:11]
	scratch_store_dwordx4 off, v[2:5], off offset:32
.LBB119_19:
	s_or_b64 exec, exec, s[4:5]
	; wave barrier
	scratch_load_dwordx4 v[2:5], off, s70
	v_cmp_gt_u32_e32 vcc, 2, v240
	s_waitcnt vmcnt(0)
	ds_write_b128 v1, v[2:5]
	s_waitcnt lgkmcnt(0)
	; wave barrier
	s_and_saveexec_b64 s[4:5], vcc
	s_cbranch_execz .LBB119_23
; %bb.20:
	scratch_load_dwordx4 v[2:5], v15, off
	ds_read_b128 v[6:9], v1
	s_waitcnt vmcnt(0) lgkmcnt(0)
	v_mul_f64 v[10:11], v[8:9], v[4:5]
	v_mul_f64 v[12:13], v[6:7], v[4:5]
	v_fma_f64 v[4:5], v[6:7], v[2:3], -v[10:11]
	v_fmac_f64_e32 v[12:13], v[8:9], v[2:3]
	v_add_f64 v[4:5], v[4:5], 0
	v_add_f64 v[2:3], v[12:13], 0
	s_and_saveexec_b64 s[12:13], s[0:1]
	s_cbranch_execz .LBB119_22
; %bb.21:
	scratch_load_dwordx4 v[6:9], off, off offset:32
	v_mov_b32_e32 v0, 0
	ds_read_b128 v[10:13], v0 offset:912
	s_waitcnt vmcnt(0) lgkmcnt(0)
	v_mul_f64 v[16:17], v[10:11], v[8:9]
	v_mul_f64 v[8:9], v[12:13], v[8:9]
	v_fmac_f64_e32 v[16:17], v[12:13], v[6:7]
	v_fma_f64 v[6:7], v[10:11], v[6:7], -v[8:9]
	v_add_f64 v[2:3], v[2:3], v[16:17]
	v_add_f64 v[4:5], v[4:5], v[6:7]
.LBB119_22:
	s_or_b64 exec, exec, s[12:13]
	v_mov_b32_e32 v0, 0
	ds_read_b128 v[6:9], v0 offset:32
	s_waitcnt lgkmcnt(0)
	v_mul_f64 v[12:13], v[2:3], v[8:9]
	v_mul_f64 v[10:11], v[4:5], v[8:9]
	v_fma_f64 v[8:9], v[4:5], v[6:7], -v[12:13]
	v_fmac_f64_e32 v[10:11], v[2:3], v[6:7]
	scratch_store_dwordx4 off, v[8:11], off offset:48
.LBB119_23:
	s_or_b64 exec, exec, s[4:5]
	; wave barrier
	scratch_load_dwordx4 v[2:5], off, s69
	v_cmp_gt_u32_e32 vcc, 3, v240
	v_add_u32_e32 v6, -1, v240
	s_waitcnt vmcnt(0)
	ds_write_b128 v1, v[2:5]
	s_waitcnt lgkmcnt(0)
	; wave barrier
	s_and_saveexec_b64 s[0:1], vcc
	s_cbranch_execz .LBB119_27
; %bb.24:
	v_add_u32_e32 v7, -1, v240
	v_add_u32_e32 v8, 0x380, v14
	v_add_u32_e32 v9, 16, v14
	v_mov_b64_e32 v[2:3], 0
	s_mov_b64 s[4:5], 0
	v_mov_b64_e32 v[4:5], 0
.LBB119_25:                             ; =>This Inner Loop Header: Depth=1
	scratch_load_dwordx4 v[10:13], v9, off
	ds_read_b128 v[16:19], v8
	v_add_u32_e32 v7, 1, v7
	v_cmp_lt_u32_e32 vcc, 1, v7
	v_add_u32_e32 v8, 16, v8
	v_add_u32_e32 v9, 16, v9
	s_or_b64 s[4:5], vcc, s[4:5]
	s_waitcnt vmcnt(0) lgkmcnt(0)
	v_mul_f64 v[20:21], v[18:19], v[12:13]
	v_mul_f64 v[12:13], v[16:17], v[12:13]
	v_fma_f64 v[16:17], v[16:17], v[10:11], -v[20:21]
	v_fmac_f64_e32 v[12:13], v[18:19], v[10:11]
	v_add_f64 v[4:5], v[4:5], v[16:17]
	v_add_f64 v[2:3], v[2:3], v[12:13]
	s_andn2_b64 exec, exec, s[4:5]
	s_cbranch_execnz .LBB119_25
; %bb.26:
	s_or_b64 exec, exec, s[4:5]
	v_mov_b32_e32 v0, 0
	ds_read_b128 v[8:11], v0 offset:48
	s_waitcnt lgkmcnt(0)
	v_mul_f64 v[16:17], v[2:3], v[10:11]
	v_mul_f64 v[12:13], v[4:5], v[10:11]
	v_fma_f64 v[10:11], v[4:5], v[8:9], -v[16:17]
	v_fmac_f64_e32 v[12:13], v[2:3], v[8:9]
	scratch_store_dwordx4 off, v[10:13], off offset:64
.LBB119_27:
	s_or_b64 exec, exec, s[0:1]
	; wave barrier
	scratch_load_dwordx4 v[2:5], off, s68
	v_cmp_gt_u32_e32 vcc, 4, v240
	s_waitcnt vmcnt(0)
	ds_write_b128 v1, v[2:5]
	s_waitcnt lgkmcnt(0)
	; wave barrier
	s_and_saveexec_b64 s[0:1], vcc
	s_cbranch_execz .LBB119_31
; %bb.28:
	v_add_u32_e32 v7, -1, v240
	v_add_u32_e32 v8, 0x380, v14
	v_add_u32_e32 v9, 16, v14
	v_mov_b64_e32 v[2:3], 0
	s_mov_b64 s[4:5], 0
	v_mov_b64_e32 v[4:5], 0
.LBB119_29:                             ; =>This Inner Loop Header: Depth=1
	scratch_load_dwordx4 v[10:13], v9, off
	ds_read_b128 v[16:19], v8
	v_add_u32_e32 v7, 1, v7
	v_cmp_lt_u32_e32 vcc, 2, v7
	v_add_u32_e32 v8, 16, v8
	v_add_u32_e32 v9, 16, v9
	s_or_b64 s[4:5], vcc, s[4:5]
	s_waitcnt vmcnt(0) lgkmcnt(0)
	v_mul_f64 v[20:21], v[18:19], v[12:13]
	v_mul_f64 v[12:13], v[16:17], v[12:13]
	v_fma_f64 v[16:17], v[16:17], v[10:11], -v[20:21]
	v_fmac_f64_e32 v[12:13], v[18:19], v[10:11]
	v_add_f64 v[4:5], v[4:5], v[16:17]
	v_add_f64 v[2:3], v[2:3], v[12:13]
	s_andn2_b64 exec, exec, s[4:5]
	s_cbranch_execnz .LBB119_29
; %bb.30:
	s_or_b64 exec, exec, s[4:5]
	v_mov_b32_e32 v0, 0
	ds_read_b128 v[8:11], v0 offset:64
	s_waitcnt lgkmcnt(0)
	v_mul_f64 v[16:17], v[2:3], v[10:11]
	v_mul_f64 v[12:13], v[4:5], v[10:11]
	v_fma_f64 v[10:11], v[4:5], v[8:9], -v[16:17]
	v_fmac_f64_e32 v[12:13], v[2:3], v[8:9]
	scratch_store_dwordx4 off, v[10:13], off offset:80
.LBB119_31:
	s_or_b64 exec, exec, s[0:1]
	; wave barrier
	scratch_load_dwordx4 v[2:5], off, s67
	v_cmp_gt_u32_e32 vcc, 5, v240
	s_waitcnt vmcnt(0)
	ds_write_b128 v1, v[2:5]
	s_waitcnt lgkmcnt(0)
	; wave barrier
	s_and_saveexec_b64 s[0:1], vcc
	s_cbranch_execz .LBB119_35
; %bb.32:
	v_add_u32_e32 v7, -1, v240
	v_add_u32_e32 v8, 0x380, v14
	v_add_u32_e32 v9, 16, v14
	v_mov_b64_e32 v[2:3], 0
	s_mov_b64 s[4:5], 0
	v_mov_b64_e32 v[4:5], 0
.LBB119_33:                             ; =>This Inner Loop Header: Depth=1
	scratch_load_dwordx4 v[10:13], v9, off
	ds_read_b128 v[16:19], v8
	v_add_u32_e32 v7, 1, v7
	v_cmp_lt_u32_e32 vcc, 3, v7
	v_add_u32_e32 v8, 16, v8
	v_add_u32_e32 v9, 16, v9
	s_or_b64 s[4:5], vcc, s[4:5]
	s_waitcnt vmcnt(0) lgkmcnt(0)
	v_mul_f64 v[20:21], v[18:19], v[12:13]
	v_mul_f64 v[12:13], v[16:17], v[12:13]
	v_fma_f64 v[16:17], v[16:17], v[10:11], -v[20:21]
	v_fmac_f64_e32 v[12:13], v[18:19], v[10:11]
	v_add_f64 v[4:5], v[4:5], v[16:17]
	v_add_f64 v[2:3], v[2:3], v[12:13]
	s_andn2_b64 exec, exec, s[4:5]
	s_cbranch_execnz .LBB119_33
; %bb.34:
	s_or_b64 exec, exec, s[4:5]
	v_mov_b32_e32 v0, 0
	ds_read_b128 v[8:11], v0 offset:80
	s_waitcnt lgkmcnt(0)
	v_mul_f64 v[16:17], v[2:3], v[10:11]
	v_mul_f64 v[12:13], v[4:5], v[10:11]
	v_fma_f64 v[10:11], v[4:5], v[8:9], -v[16:17]
	v_fmac_f64_e32 v[12:13], v[2:3], v[8:9]
	scratch_store_dwordx4 off, v[10:13], off offset:96
.LBB119_35:
	s_or_b64 exec, exec, s[0:1]
	; wave barrier
	scratch_load_dwordx4 v[2:5], off, s66
	v_cmp_gt_u32_e32 vcc, 6, v240
	s_waitcnt vmcnt(0)
	ds_write_b128 v1, v[2:5]
	s_waitcnt lgkmcnt(0)
	; wave barrier
	s_and_saveexec_b64 s[0:1], vcc
	s_cbranch_execz .LBB119_39
; %bb.36:
	v_add_u32_e32 v7, -1, v240
	v_add_u32_e32 v8, 0x380, v14
	v_add_u32_e32 v9, 16, v14
	v_mov_b64_e32 v[2:3], 0
	s_mov_b64 s[4:5], 0
	v_mov_b64_e32 v[4:5], 0
.LBB119_37:                             ; =>This Inner Loop Header: Depth=1
	scratch_load_dwordx4 v[10:13], v9, off
	ds_read_b128 v[16:19], v8
	v_add_u32_e32 v7, 1, v7
	v_cmp_lt_u32_e32 vcc, 4, v7
	v_add_u32_e32 v8, 16, v8
	v_add_u32_e32 v9, 16, v9
	s_or_b64 s[4:5], vcc, s[4:5]
	s_waitcnt vmcnt(0) lgkmcnt(0)
	v_mul_f64 v[20:21], v[18:19], v[12:13]
	v_mul_f64 v[12:13], v[16:17], v[12:13]
	v_fma_f64 v[16:17], v[16:17], v[10:11], -v[20:21]
	v_fmac_f64_e32 v[12:13], v[18:19], v[10:11]
	v_add_f64 v[4:5], v[4:5], v[16:17]
	v_add_f64 v[2:3], v[2:3], v[12:13]
	s_andn2_b64 exec, exec, s[4:5]
	s_cbranch_execnz .LBB119_37
; %bb.38:
	s_or_b64 exec, exec, s[4:5]
	v_mov_b32_e32 v0, 0
	ds_read_b128 v[8:11], v0 offset:96
	s_waitcnt lgkmcnt(0)
	v_mul_f64 v[16:17], v[2:3], v[10:11]
	v_mul_f64 v[12:13], v[4:5], v[10:11]
	v_fma_f64 v[10:11], v[4:5], v[8:9], -v[16:17]
	v_fmac_f64_e32 v[12:13], v[2:3], v[8:9]
	scratch_store_dwordx4 off, v[10:13], off offset:112
.LBB119_39:
	s_or_b64 exec, exec, s[0:1]
	; wave barrier
	scratch_load_dwordx4 v[2:5], off, s65
	v_cmp_gt_u32_e32 vcc, 7, v240
	s_waitcnt vmcnt(0)
	ds_write_b128 v1, v[2:5]
	s_waitcnt lgkmcnt(0)
	; wave barrier
	s_and_saveexec_b64 s[0:1], vcc
	s_cbranch_execz .LBB119_43
; %bb.40:
	v_add_u32_e32 v7, -1, v240
	v_add_u32_e32 v8, 0x380, v14
	v_add_u32_e32 v9, 16, v14
	v_mov_b64_e32 v[2:3], 0
	s_mov_b64 s[4:5], 0
	v_mov_b64_e32 v[4:5], 0
.LBB119_41:                             ; =>This Inner Loop Header: Depth=1
	scratch_load_dwordx4 v[10:13], v9, off
	ds_read_b128 v[16:19], v8
	v_add_u32_e32 v7, 1, v7
	v_cmp_lt_u32_e32 vcc, 5, v7
	v_add_u32_e32 v8, 16, v8
	v_add_u32_e32 v9, 16, v9
	s_or_b64 s[4:5], vcc, s[4:5]
	s_waitcnt vmcnt(0) lgkmcnt(0)
	v_mul_f64 v[20:21], v[18:19], v[12:13]
	v_mul_f64 v[12:13], v[16:17], v[12:13]
	v_fma_f64 v[16:17], v[16:17], v[10:11], -v[20:21]
	v_fmac_f64_e32 v[12:13], v[18:19], v[10:11]
	v_add_f64 v[4:5], v[4:5], v[16:17]
	v_add_f64 v[2:3], v[2:3], v[12:13]
	s_andn2_b64 exec, exec, s[4:5]
	s_cbranch_execnz .LBB119_41
; %bb.42:
	s_or_b64 exec, exec, s[4:5]
	v_mov_b32_e32 v0, 0
	ds_read_b128 v[8:11], v0 offset:112
	s_waitcnt lgkmcnt(0)
	v_mul_f64 v[16:17], v[2:3], v[10:11]
	v_mul_f64 v[12:13], v[4:5], v[10:11]
	v_fma_f64 v[10:11], v[4:5], v[8:9], -v[16:17]
	v_fmac_f64_e32 v[12:13], v[2:3], v[8:9]
	scratch_store_dwordx4 off, v[10:13], off offset:128
.LBB119_43:
	s_or_b64 exec, exec, s[0:1]
	; wave barrier
	scratch_load_dwordx4 v[2:5], off, s64
	v_cmp_gt_u32_e32 vcc, 8, v240
	s_waitcnt vmcnt(0)
	ds_write_b128 v1, v[2:5]
	s_waitcnt lgkmcnt(0)
	; wave barrier
	s_and_saveexec_b64 s[0:1], vcc
	s_cbranch_execz .LBB119_47
; %bb.44:
	v_add_u32_e32 v7, -1, v240
	v_add_u32_e32 v8, 0x380, v14
	v_add_u32_e32 v9, 16, v14
	v_mov_b64_e32 v[2:3], 0
	s_mov_b64 s[4:5], 0
	v_mov_b64_e32 v[4:5], 0
.LBB119_45:                             ; =>This Inner Loop Header: Depth=1
	scratch_load_dwordx4 v[10:13], v9, off
	ds_read_b128 v[16:19], v8
	v_add_u32_e32 v7, 1, v7
	v_cmp_lt_u32_e32 vcc, 6, v7
	v_add_u32_e32 v8, 16, v8
	v_add_u32_e32 v9, 16, v9
	s_or_b64 s[4:5], vcc, s[4:5]
	s_waitcnt vmcnt(0) lgkmcnt(0)
	v_mul_f64 v[20:21], v[18:19], v[12:13]
	v_mul_f64 v[12:13], v[16:17], v[12:13]
	v_fma_f64 v[16:17], v[16:17], v[10:11], -v[20:21]
	v_fmac_f64_e32 v[12:13], v[18:19], v[10:11]
	v_add_f64 v[4:5], v[4:5], v[16:17]
	v_add_f64 v[2:3], v[2:3], v[12:13]
	s_andn2_b64 exec, exec, s[4:5]
	s_cbranch_execnz .LBB119_45
; %bb.46:
	s_or_b64 exec, exec, s[4:5]
	v_mov_b32_e32 v0, 0
	ds_read_b128 v[8:11], v0 offset:128
	s_waitcnt lgkmcnt(0)
	v_mul_f64 v[16:17], v[2:3], v[10:11]
	v_mul_f64 v[12:13], v[4:5], v[10:11]
	v_fma_f64 v[10:11], v[4:5], v[8:9], -v[16:17]
	v_fmac_f64_e32 v[12:13], v[2:3], v[8:9]
	scratch_store_dwordx4 off, v[10:13], off offset:144
.LBB119_47:
	s_or_b64 exec, exec, s[0:1]
	; wave barrier
	scratch_load_dwordx4 v[2:5], off, s63
	v_cmp_gt_u32_e32 vcc, 9, v240
	s_waitcnt vmcnt(0)
	ds_write_b128 v1, v[2:5]
	s_waitcnt lgkmcnt(0)
	; wave barrier
	s_and_saveexec_b64 s[0:1], vcc
	s_cbranch_execz .LBB119_51
; %bb.48:
	v_add_u32_e32 v7, -1, v240
	v_add_u32_e32 v8, 0x380, v14
	v_add_u32_e32 v9, 16, v14
	v_mov_b64_e32 v[2:3], 0
	s_mov_b64 s[4:5], 0
	v_mov_b64_e32 v[4:5], 0
.LBB119_49:                             ; =>This Inner Loop Header: Depth=1
	scratch_load_dwordx4 v[10:13], v9, off
	ds_read_b128 v[16:19], v8
	v_add_u32_e32 v7, 1, v7
	v_cmp_lt_u32_e32 vcc, 7, v7
	v_add_u32_e32 v8, 16, v8
	v_add_u32_e32 v9, 16, v9
	s_or_b64 s[4:5], vcc, s[4:5]
	s_waitcnt vmcnt(0) lgkmcnt(0)
	v_mul_f64 v[20:21], v[18:19], v[12:13]
	v_mul_f64 v[12:13], v[16:17], v[12:13]
	v_fma_f64 v[16:17], v[16:17], v[10:11], -v[20:21]
	v_fmac_f64_e32 v[12:13], v[18:19], v[10:11]
	v_add_f64 v[4:5], v[4:5], v[16:17]
	v_add_f64 v[2:3], v[2:3], v[12:13]
	s_andn2_b64 exec, exec, s[4:5]
	s_cbranch_execnz .LBB119_49
; %bb.50:
	s_or_b64 exec, exec, s[4:5]
	v_mov_b32_e32 v0, 0
	ds_read_b128 v[8:11], v0 offset:144
	s_waitcnt lgkmcnt(0)
	v_mul_f64 v[16:17], v[2:3], v[10:11]
	v_mul_f64 v[12:13], v[4:5], v[10:11]
	v_fma_f64 v[10:11], v[4:5], v[8:9], -v[16:17]
	v_fmac_f64_e32 v[12:13], v[2:3], v[8:9]
	scratch_store_dwordx4 off, v[10:13], off offset:160
.LBB119_51:
	s_or_b64 exec, exec, s[0:1]
	; wave barrier
	scratch_load_dwordx4 v[2:5], off, s62
	v_cmp_gt_u32_e32 vcc, 10, v240
	s_waitcnt vmcnt(0)
	ds_write_b128 v1, v[2:5]
	s_waitcnt lgkmcnt(0)
	; wave barrier
	s_and_saveexec_b64 s[0:1], vcc
	s_cbranch_execz .LBB119_55
; %bb.52:
	v_add_u32_e32 v7, -1, v240
	v_add_u32_e32 v8, 0x380, v14
	v_add_u32_e32 v9, 16, v14
	v_mov_b64_e32 v[2:3], 0
	s_mov_b64 s[4:5], 0
	v_mov_b64_e32 v[4:5], 0
.LBB119_53:                             ; =>This Inner Loop Header: Depth=1
	scratch_load_dwordx4 v[10:13], v9, off
	ds_read_b128 v[16:19], v8
	v_add_u32_e32 v7, 1, v7
	v_cmp_lt_u32_e32 vcc, 8, v7
	v_add_u32_e32 v8, 16, v8
	v_add_u32_e32 v9, 16, v9
	s_or_b64 s[4:5], vcc, s[4:5]
	s_waitcnt vmcnt(0) lgkmcnt(0)
	v_mul_f64 v[20:21], v[18:19], v[12:13]
	v_mul_f64 v[12:13], v[16:17], v[12:13]
	v_fma_f64 v[16:17], v[16:17], v[10:11], -v[20:21]
	v_fmac_f64_e32 v[12:13], v[18:19], v[10:11]
	v_add_f64 v[4:5], v[4:5], v[16:17]
	v_add_f64 v[2:3], v[2:3], v[12:13]
	s_andn2_b64 exec, exec, s[4:5]
	s_cbranch_execnz .LBB119_53
; %bb.54:
	s_or_b64 exec, exec, s[4:5]
	v_mov_b32_e32 v0, 0
	ds_read_b128 v[8:11], v0 offset:160
	s_waitcnt lgkmcnt(0)
	v_mul_f64 v[16:17], v[2:3], v[10:11]
	v_mul_f64 v[12:13], v[4:5], v[10:11]
	v_fma_f64 v[10:11], v[4:5], v[8:9], -v[16:17]
	v_fmac_f64_e32 v[12:13], v[2:3], v[8:9]
	scratch_store_dwordx4 off, v[10:13], off offset:176
.LBB119_55:
	s_or_b64 exec, exec, s[0:1]
	; wave barrier
	scratch_load_dwordx4 v[2:5], off, s61
	v_cmp_gt_u32_e32 vcc, 11, v240
	s_waitcnt vmcnt(0)
	ds_write_b128 v1, v[2:5]
	s_waitcnt lgkmcnt(0)
	; wave barrier
	s_and_saveexec_b64 s[0:1], vcc
	s_cbranch_execz .LBB119_59
; %bb.56:
	v_add_u32_e32 v7, -1, v240
	v_add_u32_e32 v8, 0x380, v14
	v_add_u32_e32 v9, 16, v14
	v_mov_b64_e32 v[2:3], 0
	s_mov_b64 s[4:5], 0
	v_mov_b64_e32 v[4:5], 0
.LBB119_57:                             ; =>This Inner Loop Header: Depth=1
	scratch_load_dwordx4 v[10:13], v9, off
	ds_read_b128 v[16:19], v8
	v_add_u32_e32 v7, 1, v7
	v_cmp_lt_u32_e32 vcc, 9, v7
	v_add_u32_e32 v8, 16, v8
	v_add_u32_e32 v9, 16, v9
	s_or_b64 s[4:5], vcc, s[4:5]
	s_waitcnt vmcnt(0) lgkmcnt(0)
	v_mul_f64 v[20:21], v[18:19], v[12:13]
	v_mul_f64 v[12:13], v[16:17], v[12:13]
	v_fma_f64 v[16:17], v[16:17], v[10:11], -v[20:21]
	v_fmac_f64_e32 v[12:13], v[18:19], v[10:11]
	v_add_f64 v[4:5], v[4:5], v[16:17]
	v_add_f64 v[2:3], v[2:3], v[12:13]
	s_andn2_b64 exec, exec, s[4:5]
	s_cbranch_execnz .LBB119_57
; %bb.58:
	s_or_b64 exec, exec, s[4:5]
	v_mov_b32_e32 v0, 0
	ds_read_b128 v[8:11], v0 offset:176
	s_waitcnt lgkmcnt(0)
	v_mul_f64 v[16:17], v[2:3], v[10:11]
	v_mul_f64 v[12:13], v[4:5], v[10:11]
	v_fma_f64 v[10:11], v[4:5], v[8:9], -v[16:17]
	v_fmac_f64_e32 v[12:13], v[2:3], v[8:9]
	scratch_store_dwordx4 off, v[10:13], off offset:192
.LBB119_59:
	s_or_b64 exec, exec, s[0:1]
	; wave barrier
	scratch_load_dwordx4 v[2:5], off, s60
	v_cmp_gt_u32_e32 vcc, 12, v240
	s_waitcnt vmcnt(0)
	ds_write_b128 v1, v[2:5]
	s_waitcnt lgkmcnt(0)
	; wave barrier
	s_and_saveexec_b64 s[0:1], vcc
	s_cbranch_execz .LBB119_63
; %bb.60:
	v_add_u32_e32 v7, -1, v240
	v_add_u32_e32 v8, 0x380, v14
	v_add_u32_e32 v9, 16, v14
	v_mov_b64_e32 v[2:3], 0
	s_mov_b64 s[4:5], 0
	v_mov_b64_e32 v[4:5], 0
.LBB119_61:                             ; =>This Inner Loop Header: Depth=1
	scratch_load_dwordx4 v[10:13], v9, off
	ds_read_b128 v[16:19], v8
	v_add_u32_e32 v7, 1, v7
	v_cmp_lt_u32_e32 vcc, 10, v7
	v_add_u32_e32 v8, 16, v8
	v_add_u32_e32 v9, 16, v9
	s_or_b64 s[4:5], vcc, s[4:5]
	s_waitcnt vmcnt(0) lgkmcnt(0)
	v_mul_f64 v[20:21], v[18:19], v[12:13]
	v_mul_f64 v[12:13], v[16:17], v[12:13]
	v_fma_f64 v[16:17], v[16:17], v[10:11], -v[20:21]
	v_fmac_f64_e32 v[12:13], v[18:19], v[10:11]
	v_add_f64 v[4:5], v[4:5], v[16:17]
	v_add_f64 v[2:3], v[2:3], v[12:13]
	s_andn2_b64 exec, exec, s[4:5]
	s_cbranch_execnz .LBB119_61
; %bb.62:
	s_or_b64 exec, exec, s[4:5]
	v_mov_b32_e32 v0, 0
	ds_read_b128 v[8:11], v0 offset:192
	s_waitcnt lgkmcnt(0)
	v_mul_f64 v[16:17], v[2:3], v[10:11]
	v_mul_f64 v[12:13], v[4:5], v[10:11]
	v_fma_f64 v[10:11], v[4:5], v[8:9], -v[16:17]
	v_fmac_f64_e32 v[12:13], v[2:3], v[8:9]
	scratch_store_dwordx4 off, v[10:13], off offset:208
.LBB119_63:
	s_or_b64 exec, exec, s[0:1]
	; wave barrier
	scratch_load_dwordx4 v[2:5], off, s59
	v_cmp_gt_u32_e32 vcc, 13, v240
	s_waitcnt vmcnt(0)
	ds_write_b128 v1, v[2:5]
	s_waitcnt lgkmcnt(0)
	; wave barrier
	s_and_saveexec_b64 s[0:1], vcc
	s_cbranch_execz .LBB119_67
; %bb.64:
	v_add_u32_e32 v7, -1, v240
	v_add_u32_e32 v8, 0x380, v14
	v_add_u32_e32 v9, 16, v14
	v_mov_b64_e32 v[2:3], 0
	s_mov_b64 s[4:5], 0
	v_mov_b64_e32 v[4:5], 0
.LBB119_65:                             ; =>This Inner Loop Header: Depth=1
	scratch_load_dwordx4 v[10:13], v9, off
	ds_read_b128 v[16:19], v8
	v_add_u32_e32 v7, 1, v7
	v_cmp_lt_u32_e32 vcc, 11, v7
	v_add_u32_e32 v8, 16, v8
	v_add_u32_e32 v9, 16, v9
	s_or_b64 s[4:5], vcc, s[4:5]
	s_waitcnt vmcnt(0) lgkmcnt(0)
	v_mul_f64 v[20:21], v[18:19], v[12:13]
	v_mul_f64 v[12:13], v[16:17], v[12:13]
	v_fma_f64 v[16:17], v[16:17], v[10:11], -v[20:21]
	v_fmac_f64_e32 v[12:13], v[18:19], v[10:11]
	v_add_f64 v[4:5], v[4:5], v[16:17]
	v_add_f64 v[2:3], v[2:3], v[12:13]
	s_andn2_b64 exec, exec, s[4:5]
	s_cbranch_execnz .LBB119_65
; %bb.66:
	s_or_b64 exec, exec, s[4:5]
	v_mov_b32_e32 v0, 0
	ds_read_b128 v[8:11], v0 offset:208
	s_waitcnt lgkmcnt(0)
	v_mul_f64 v[16:17], v[2:3], v[10:11]
	v_mul_f64 v[12:13], v[4:5], v[10:11]
	v_fma_f64 v[10:11], v[4:5], v[8:9], -v[16:17]
	v_fmac_f64_e32 v[12:13], v[2:3], v[8:9]
	scratch_store_dwordx4 off, v[10:13], off offset:224
.LBB119_67:
	s_or_b64 exec, exec, s[0:1]
	; wave barrier
	scratch_load_dwordx4 v[2:5], off, s58
	v_cmp_gt_u32_e32 vcc, 14, v240
	s_waitcnt vmcnt(0)
	ds_write_b128 v1, v[2:5]
	s_waitcnt lgkmcnt(0)
	; wave barrier
	s_and_saveexec_b64 s[0:1], vcc
	s_cbranch_execz .LBB119_71
; %bb.68:
	v_add_u32_e32 v7, -1, v240
	v_add_u32_e32 v8, 0x380, v14
	v_add_u32_e32 v9, 16, v14
	v_mov_b64_e32 v[2:3], 0
	s_mov_b64 s[4:5], 0
	v_mov_b64_e32 v[4:5], 0
.LBB119_69:                             ; =>This Inner Loop Header: Depth=1
	scratch_load_dwordx4 v[10:13], v9, off
	ds_read_b128 v[16:19], v8
	v_add_u32_e32 v7, 1, v7
	v_cmp_lt_u32_e32 vcc, 12, v7
	v_add_u32_e32 v8, 16, v8
	v_add_u32_e32 v9, 16, v9
	s_or_b64 s[4:5], vcc, s[4:5]
	s_waitcnt vmcnt(0) lgkmcnt(0)
	v_mul_f64 v[20:21], v[18:19], v[12:13]
	v_mul_f64 v[12:13], v[16:17], v[12:13]
	v_fma_f64 v[16:17], v[16:17], v[10:11], -v[20:21]
	v_fmac_f64_e32 v[12:13], v[18:19], v[10:11]
	v_add_f64 v[4:5], v[4:5], v[16:17]
	v_add_f64 v[2:3], v[2:3], v[12:13]
	s_andn2_b64 exec, exec, s[4:5]
	s_cbranch_execnz .LBB119_69
; %bb.70:
	s_or_b64 exec, exec, s[4:5]
	v_mov_b32_e32 v0, 0
	ds_read_b128 v[8:11], v0 offset:224
	s_waitcnt lgkmcnt(0)
	v_mul_f64 v[16:17], v[2:3], v[10:11]
	v_mul_f64 v[12:13], v[4:5], v[10:11]
	v_fma_f64 v[10:11], v[4:5], v[8:9], -v[16:17]
	v_fmac_f64_e32 v[12:13], v[2:3], v[8:9]
	scratch_store_dwordx4 off, v[10:13], off offset:240
.LBB119_71:
	s_or_b64 exec, exec, s[0:1]
	; wave barrier
	scratch_load_dwordx4 v[2:5], off, s57
	v_cmp_gt_u32_e32 vcc, 15, v240
	s_waitcnt vmcnt(0)
	ds_write_b128 v1, v[2:5]
	s_waitcnt lgkmcnt(0)
	; wave barrier
	s_and_saveexec_b64 s[0:1], vcc
	s_cbranch_execz .LBB119_75
; %bb.72:
	v_add_u32_e32 v7, -1, v240
	v_add_u32_e32 v8, 0x380, v14
	v_add_u32_e32 v9, 16, v14
	v_mov_b64_e32 v[2:3], 0
	s_mov_b64 s[4:5], 0
	v_mov_b64_e32 v[4:5], 0
.LBB119_73:                             ; =>This Inner Loop Header: Depth=1
	scratch_load_dwordx4 v[10:13], v9, off
	ds_read_b128 v[16:19], v8
	v_add_u32_e32 v7, 1, v7
	v_cmp_lt_u32_e32 vcc, 13, v7
	v_add_u32_e32 v8, 16, v8
	v_add_u32_e32 v9, 16, v9
	s_or_b64 s[4:5], vcc, s[4:5]
	s_waitcnt vmcnt(0) lgkmcnt(0)
	v_mul_f64 v[20:21], v[18:19], v[12:13]
	v_mul_f64 v[12:13], v[16:17], v[12:13]
	v_fma_f64 v[16:17], v[16:17], v[10:11], -v[20:21]
	v_fmac_f64_e32 v[12:13], v[18:19], v[10:11]
	v_add_f64 v[4:5], v[4:5], v[16:17]
	v_add_f64 v[2:3], v[2:3], v[12:13]
	s_andn2_b64 exec, exec, s[4:5]
	s_cbranch_execnz .LBB119_73
; %bb.74:
	s_or_b64 exec, exec, s[4:5]
	v_mov_b32_e32 v0, 0
	ds_read_b128 v[8:11], v0 offset:240
	s_waitcnt lgkmcnt(0)
	v_mul_f64 v[16:17], v[2:3], v[10:11]
	v_mul_f64 v[12:13], v[4:5], v[10:11]
	v_fma_f64 v[10:11], v[4:5], v[8:9], -v[16:17]
	v_fmac_f64_e32 v[12:13], v[2:3], v[8:9]
	scratch_store_dwordx4 off, v[10:13], off offset:256
.LBB119_75:
	s_or_b64 exec, exec, s[0:1]
	; wave barrier
	scratch_load_dwordx4 v[2:5], off, s56
	v_cmp_gt_u32_e32 vcc, 16, v240
	s_waitcnt vmcnt(0)
	ds_write_b128 v1, v[2:5]
	s_waitcnt lgkmcnt(0)
	; wave barrier
	s_and_saveexec_b64 s[0:1], vcc
	s_cbranch_execz .LBB119_79
; %bb.76:
	v_add_u32_e32 v7, -1, v240
	v_add_u32_e32 v8, 0x380, v14
	v_add_u32_e32 v9, 16, v14
	v_mov_b64_e32 v[2:3], 0
	s_mov_b64 s[4:5], 0
	v_mov_b64_e32 v[4:5], 0
.LBB119_77:                             ; =>This Inner Loop Header: Depth=1
	scratch_load_dwordx4 v[10:13], v9, off
	ds_read_b128 v[16:19], v8
	v_add_u32_e32 v7, 1, v7
	v_cmp_lt_u32_e32 vcc, 14, v7
	v_add_u32_e32 v8, 16, v8
	v_add_u32_e32 v9, 16, v9
	s_or_b64 s[4:5], vcc, s[4:5]
	s_waitcnt vmcnt(0) lgkmcnt(0)
	v_mul_f64 v[20:21], v[18:19], v[12:13]
	v_mul_f64 v[12:13], v[16:17], v[12:13]
	v_fma_f64 v[16:17], v[16:17], v[10:11], -v[20:21]
	v_fmac_f64_e32 v[12:13], v[18:19], v[10:11]
	v_add_f64 v[4:5], v[4:5], v[16:17]
	v_add_f64 v[2:3], v[2:3], v[12:13]
	s_andn2_b64 exec, exec, s[4:5]
	s_cbranch_execnz .LBB119_77
; %bb.78:
	s_or_b64 exec, exec, s[4:5]
	v_mov_b32_e32 v0, 0
	ds_read_b128 v[8:11], v0 offset:256
	s_waitcnt lgkmcnt(0)
	v_mul_f64 v[16:17], v[2:3], v[10:11]
	v_mul_f64 v[12:13], v[4:5], v[10:11]
	v_fma_f64 v[10:11], v[4:5], v[8:9], -v[16:17]
	v_fmac_f64_e32 v[12:13], v[2:3], v[8:9]
	scratch_store_dwordx4 off, v[10:13], off offset:272
.LBB119_79:
	s_or_b64 exec, exec, s[0:1]
	; wave barrier
	scratch_load_dwordx4 v[2:5], off, s55
	v_cmp_gt_u32_e32 vcc, 17, v240
	s_waitcnt vmcnt(0)
	ds_write_b128 v1, v[2:5]
	s_waitcnt lgkmcnt(0)
	; wave barrier
	s_and_saveexec_b64 s[0:1], vcc
	s_cbranch_execz .LBB119_83
; %bb.80:
	v_add_u32_e32 v7, -1, v240
	v_add_u32_e32 v8, 0x380, v14
	v_add_u32_e32 v9, 16, v14
	v_mov_b64_e32 v[2:3], 0
	s_mov_b64 s[4:5], 0
	v_mov_b64_e32 v[4:5], 0
.LBB119_81:                             ; =>This Inner Loop Header: Depth=1
	scratch_load_dwordx4 v[10:13], v9, off
	ds_read_b128 v[16:19], v8
	v_add_u32_e32 v7, 1, v7
	v_cmp_lt_u32_e32 vcc, 15, v7
	v_add_u32_e32 v8, 16, v8
	v_add_u32_e32 v9, 16, v9
	s_or_b64 s[4:5], vcc, s[4:5]
	s_waitcnt vmcnt(0) lgkmcnt(0)
	v_mul_f64 v[20:21], v[18:19], v[12:13]
	v_mul_f64 v[12:13], v[16:17], v[12:13]
	v_fma_f64 v[16:17], v[16:17], v[10:11], -v[20:21]
	v_fmac_f64_e32 v[12:13], v[18:19], v[10:11]
	v_add_f64 v[4:5], v[4:5], v[16:17]
	v_add_f64 v[2:3], v[2:3], v[12:13]
	s_andn2_b64 exec, exec, s[4:5]
	s_cbranch_execnz .LBB119_81
; %bb.82:
	s_or_b64 exec, exec, s[4:5]
	v_mov_b32_e32 v0, 0
	ds_read_b128 v[8:11], v0 offset:272
	s_waitcnt lgkmcnt(0)
	v_mul_f64 v[16:17], v[2:3], v[10:11]
	v_mul_f64 v[12:13], v[4:5], v[10:11]
	v_fma_f64 v[10:11], v[4:5], v[8:9], -v[16:17]
	v_fmac_f64_e32 v[12:13], v[2:3], v[8:9]
	scratch_store_dwordx4 off, v[10:13], off offset:288
.LBB119_83:
	s_or_b64 exec, exec, s[0:1]
	; wave barrier
	scratch_load_dwordx4 v[2:5], off, s54
	v_cmp_gt_u32_e32 vcc, 18, v240
	s_waitcnt vmcnt(0)
	ds_write_b128 v1, v[2:5]
	s_waitcnt lgkmcnt(0)
	; wave barrier
	s_and_saveexec_b64 s[0:1], vcc
	s_cbranch_execz .LBB119_87
; %bb.84:
	v_add_u32_e32 v7, -1, v240
	v_add_u32_e32 v8, 0x380, v14
	v_add_u32_e32 v9, 16, v14
	v_mov_b64_e32 v[2:3], 0
	s_mov_b64 s[4:5], 0
	v_mov_b64_e32 v[4:5], 0
.LBB119_85:                             ; =>This Inner Loop Header: Depth=1
	scratch_load_dwordx4 v[10:13], v9, off
	ds_read_b128 v[16:19], v8
	v_add_u32_e32 v7, 1, v7
	v_cmp_lt_u32_e32 vcc, 16, v7
	v_add_u32_e32 v8, 16, v8
	v_add_u32_e32 v9, 16, v9
	s_or_b64 s[4:5], vcc, s[4:5]
	s_waitcnt vmcnt(0) lgkmcnt(0)
	v_mul_f64 v[20:21], v[18:19], v[12:13]
	v_mul_f64 v[12:13], v[16:17], v[12:13]
	v_fma_f64 v[16:17], v[16:17], v[10:11], -v[20:21]
	v_fmac_f64_e32 v[12:13], v[18:19], v[10:11]
	v_add_f64 v[4:5], v[4:5], v[16:17]
	v_add_f64 v[2:3], v[2:3], v[12:13]
	s_andn2_b64 exec, exec, s[4:5]
	s_cbranch_execnz .LBB119_85
; %bb.86:
	s_or_b64 exec, exec, s[4:5]
	v_mov_b32_e32 v0, 0
	ds_read_b128 v[8:11], v0 offset:288
	s_waitcnt lgkmcnt(0)
	v_mul_f64 v[16:17], v[2:3], v[10:11]
	v_mul_f64 v[12:13], v[4:5], v[10:11]
	v_fma_f64 v[10:11], v[4:5], v[8:9], -v[16:17]
	v_fmac_f64_e32 v[12:13], v[2:3], v[8:9]
	scratch_store_dwordx4 off, v[10:13], off offset:304
.LBB119_87:
	s_or_b64 exec, exec, s[0:1]
	; wave barrier
	scratch_load_dwordx4 v[2:5], off, s53
	v_cmp_gt_u32_e32 vcc, 19, v240
	s_waitcnt vmcnt(0)
	ds_write_b128 v1, v[2:5]
	s_waitcnt lgkmcnt(0)
	; wave barrier
	s_and_saveexec_b64 s[0:1], vcc
	s_cbranch_execz .LBB119_91
; %bb.88:
	v_add_u32_e32 v7, -1, v240
	v_add_u32_e32 v8, 0x380, v14
	v_add_u32_e32 v9, 16, v14
	v_mov_b64_e32 v[2:3], 0
	s_mov_b64 s[4:5], 0
	v_mov_b64_e32 v[4:5], 0
.LBB119_89:                             ; =>This Inner Loop Header: Depth=1
	scratch_load_dwordx4 v[10:13], v9, off
	ds_read_b128 v[16:19], v8
	v_add_u32_e32 v7, 1, v7
	v_cmp_lt_u32_e32 vcc, 17, v7
	v_add_u32_e32 v8, 16, v8
	v_add_u32_e32 v9, 16, v9
	s_or_b64 s[4:5], vcc, s[4:5]
	s_waitcnt vmcnt(0) lgkmcnt(0)
	v_mul_f64 v[20:21], v[18:19], v[12:13]
	v_mul_f64 v[12:13], v[16:17], v[12:13]
	v_fma_f64 v[16:17], v[16:17], v[10:11], -v[20:21]
	v_fmac_f64_e32 v[12:13], v[18:19], v[10:11]
	v_add_f64 v[4:5], v[4:5], v[16:17]
	v_add_f64 v[2:3], v[2:3], v[12:13]
	s_andn2_b64 exec, exec, s[4:5]
	s_cbranch_execnz .LBB119_89
; %bb.90:
	s_or_b64 exec, exec, s[4:5]
	v_mov_b32_e32 v0, 0
	ds_read_b128 v[8:11], v0 offset:304
	s_waitcnt lgkmcnt(0)
	v_mul_f64 v[16:17], v[2:3], v[10:11]
	v_mul_f64 v[12:13], v[4:5], v[10:11]
	v_fma_f64 v[10:11], v[4:5], v[8:9], -v[16:17]
	v_fmac_f64_e32 v[12:13], v[2:3], v[8:9]
	scratch_store_dwordx4 off, v[10:13], off offset:320
.LBB119_91:
	s_or_b64 exec, exec, s[0:1]
	; wave barrier
	scratch_load_dwordx4 v[2:5], off, s52
	v_cmp_gt_u32_e32 vcc, 20, v240
	s_waitcnt vmcnt(0)
	ds_write_b128 v1, v[2:5]
	s_waitcnt lgkmcnt(0)
	; wave barrier
	s_and_saveexec_b64 s[0:1], vcc
	s_cbranch_execz .LBB119_95
; %bb.92:
	v_add_u32_e32 v7, -1, v240
	v_add_u32_e32 v8, 0x380, v14
	v_add_u32_e32 v9, 16, v14
	v_mov_b64_e32 v[2:3], 0
	s_mov_b64 s[4:5], 0
	v_mov_b64_e32 v[4:5], 0
.LBB119_93:                             ; =>This Inner Loop Header: Depth=1
	scratch_load_dwordx4 v[10:13], v9, off
	ds_read_b128 v[16:19], v8
	v_add_u32_e32 v7, 1, v7
	v_cmp_lt_u32_e32 vcc, 18, v7
	v_add_u32_e32 v8, 16, v8
	v_add_u32_e32 v9, 16, v9
	s_or_b64 s[4:5], vcc, s[4:5]
	s_waitcnt vmcnt(0) lgkmcnt(0)
	v_mul_f64 v[20:21], v[18:19], v[12:13]
	v_mul_f64 v[12:13], v[16:17], v[12:13]
	v_fma_f64 v[16:17], v[16:17], v[10:11], -v[20:21]
	v_fmac_f64_e32 v[12:13], v[18:19], v[10:11]
	v_add_f64 v[4:5], v[4:5], v[16:17]
	v_add_f64 v[2:3], v[2:3], v[12:13]
	s_andn2_b64 exec, exec, s[4:5]
	s_cbranch_execnz .LBB119_93
; %bb.94:
	s_or_b64 exec, exec, s[4:5]
	v_mov_b32_e32 v0, 0
	ds_read_b128 v[8:11], v0 offset:320
	s_waitcnt lgkmcnt(0)
	v_mul_f64 v[16:17], v[2:3], v[10:11]
	v_mul_f64 v[12:13], v[4:5], v[10:11]
	v_fma_f64 v[10:11], v[4:5], v[8:9], -v[16:17]
	v_fmac_f64_e32 v[12:13], v[2:3], v[8:9]
	scratch_store_dwordx4 off, v[10:13], off offset:336
.LBB119_95:
	s_or_b64 exec, exec, s[0:1]
	; wave barrier
	scratch_load_dwordx4 v[2:5], off, s51
	v_cmp_gt_u32_e32 vcc, 21, v240
	s_waitcnt vmcnt(0)
	ds_write_b128 v1, v[2:5]
	s_waitcnt lgkmcnt(0)
	; wave barrier
	s_and_saveexec_b64 s[0:1], vcc
	s_cbranch_execz .LBB119_99
; %bb.96:
	v_add_u32_e32 v7, -1, v240
	v_add_u32_e32 v8, 0x380, v14
	v_add_u32_e32 v9, 16, v14
	v_mov_b64_e32 v[2:3], 0
	s_mov_b64 s[4:5], 0
	v_mov_b64_e32 v[4:5], 0
.LBB119_97:                             ; =>This Inner Loop Header: Depth=1
	scratch_load_dwordx4 v[10:13], v9, off
	ds_read_b128 v[16:19], v8
	v_add_u32_e32 v7, 1, v7
	v_cmp_lt_u32_e32 vcc, 19, v7
	v_add_u32_e32 v8, 16, v8
	v_add_u32_e32 v9, 16, v9
	s_or_b64 s[4:5], vcc, s[4:5]
	s_waitcnt vmcnt(0) lgkmcnt(0)
	v_mul_f64 v[20:21], v[18:19], v[12:13]
	v_mul_f64 v[12:13], v[16:17], v[12:13]
	v_fma_f64 v[16:17], v[16:17], v[10:11], -v[20:21]
	v_fmac_f64_e32 v[12:13], v[18:19], v[10:11]
	v_add_f64 v[4:5], v[4:5], v[16:17]
	v_add_f64 v[2:3], v[2:3], v[12:13]
	s_andn2_b64 exec, exec, s[4:5]
	s_cbranch_execnz .LBB119_97
; %bb.98:
	s_or_b64 exec, exec, s[4:5]
	v_mov_b32_e32 v0, 0
	ds_read_b128 v[8:11], v0 offset:336
	s_waitcnt lgkmcnt(0)
	v_mul_f64 v[16:17], v[2:3], v[10:11]
	v_mul_f64 v[12:13], v[4:5], v[10:11]
	v_fma_f64 v[10:11], v[4:5], v[8:9], -v[16:17]
	v_fmac_f64_e32 v[12:13], v[2:3], v[8:9]
	scratch_store_dwordx4 off, v[10:13], off offset:352
.LBB119_99:
	s_or_b64 exec, exec, s[0:1]
	; wave barrier
	scratch_load_dwordx4 v[2:5], off, s50
	v_cmp_gt_u32_e32 vcc, 22, v240
	s_waitcnt vmcnt(0)
	ds_write_b128 v1, v[2:5]
	s_waitcnt lgkmcnt(0)
	; wave barrier
	s_and_saveexec_b64 s[0:1], vcc
	s_cbranch_execz .LBB119_103
; %bb.100:
	v_add_u32_e32 v7, -1, v240
	v_add_u32_e32 v8, 0x380, v14
	v_add_u32_e32 v9, 16, v14
	v_mov_b64_e32 v[2:3], 0
	s_mov_b64 s[4:5], 0
	v_mov_b64_e32 v[4:5], 0
.LBB119_101:                            ; =>This Inner Loop Header: Depth=1
	scratch_load_dwordx4 v[10:13], v9, off
	ds_read_b128 v[16:19], v8
	v_add_u32_e32 v7, 1, v7
	v_cmp_lt_u32_e32 vcc, 20, v7
	v_add_u32_e32 v8, 16, v8
	v_add_u32_e32 v9, 16, v9
	s_or_b64 s[4:5], vcc, s[4:5]
	s_waitcnt vmcnt(0) lgkmcnt(0)
	v_mul_f64 v[20:21], v[18:19], v[12:13]
	v_mul_f64 v[12:13], v[16:17], v[12:13]
	v_fma_f64 v[16:17], v[16:17], v[10:11], -v[20:21]
	v_fmac_f64_e32 v[12:13], v[18:19], v[10:11]
	v_add_f64 v[4:5], v[4:5], v[16:17]
	v_add_f64 v[2:3], v[2:3], v[12:13]
	s_andn2_b64 exec, exec, s[4:5]
	s_cbranch_execnz .LBB119_101
; %bb.102:
	s_or_b64 exec, exec, s[4:5]
	v_mov_b32_e32 v0, 0
	ds_read_b128 v[8:11], v0 offset:352
	s_waitcnt lgkmcnt(0)
	v_mul_f64 v[16:17], v[2:3], v[10:11]
	v_mul_f64 v[12:13], v[4:5], v[10:11]
	v_fma_f64 v[10:11], v[4:5], v[8:9], -v[16:17]
	v_fmac_f64_e32 v[12:13], v[2:3], v[8:9]
	scratch_store_dwordx4 off, v[10:13], off offset:368
.LBB119_103:
	s_or_b64 exec, exec, s[0:1]
	; wave barrier
	scratch_load_dwordx4 v[2:5], off, s49
	v_cmp_gt_u32_e32 vcc, 23, v240
	s_waitcnt vmcnt(0)
	ds_write_b128 v1, v[2:5]
	s_waitcnt lgkmcnt(0)
	; wave barrier
	s_and_saveexec_b64 s[0:1], vcc
	s_cbranch_execz .LBB119_107
; %bb.104:
	v_add_u32_e32 v7, -1, v240
	v_add_u32_e32 v8, 0x380, v14
	v_add_u32_e32 v9, 16, v14
	v_mov_b64_e32 v[2:3], 0
	s_mov_b64 s[4:5], 0
	v_mov_b64_e32 v[4:5], 0
.LBB119_105:                            ; =>This Inner Loop Header: Depth=1
	scratch_load_dwordx4 v[10:13], v9, off
	ds_read_b128 v[16:19], v8
	v_add_u32_e32 v7, 1, v7
	v_cmp_lt_u32_e32 vcc, 21, v7
	v_add_u32_e32 v8, 16, v8
	v_add_u32_e32 v9, 16, v9
	s_or_b64 s[4:5], vcc, s[4:5]
	s_waitcnt vmcnt(0) lgkmcnt(0)
	v_mul_f64 v[20:21], v[18:19], v[12:13]
	v_mul_f64 v[12:13], v[16:17], v[12:13]
	v_fma_f64 v[16:17], v[16:17], v[10:11], -v[20:21]
	v_fmac_f64_e32 v[12:13], v[18:19], v[10:11]
	v_add_f64 v[4:5], v[4:5], v[16:17]
	v_add_f64 v[2:3], v[2:3], v[12:13]
	s_andn2_b64 exec, exec, s[4:5]
	s_cbranch_execnz .LBB119_105
; %bb.106:
	s_or_b64 exec, exec, s[4:5]
	v_mov_b32_e32 v0, 0
	ds_read_b128 v[8:11], v0 offset:368
	s_waitcnt lgkmcnt(0)
	v_mul_f64 v[16:17], v[2:3], v[10:11]
	v_mul_f64 v[12:13], v[4:5], v[10:11]
	v_fma_f64 v[10:11], v[4:5], v[8:9], -v[16:17]
	v_fmac_f64_e32 v[12:13], v[2:3], v[8:9]
	scratch_store_dwordx4 off, v[10:13], off offset:384
.LBB119_107:
	s_or_b64 exec, exec, s[0:1]
	; wave barrier
	scratch_load_dwordx4 v[2:5], off, s48
	v_cmp_gt_u32_e32 vcc, 24, v240
	;; [unrolled: 45-line block ×32, first 2 shown]
	s_waitcnt vmcnt(0)
	ds_write_b128 v1, v[2:5]
	s_waitcnt lgkmcnt(0)
	; wave barrier
	s_and_saveexec_b64 s[0:1], vcc
	s_cbranch_execz .LBB119_231
; %bb.228:
	v_add_u32_e32 v7, -1, v240
	v_add_u32_e32 v8, 0x380, v14
	v_add_u32_e32 v9, 16, v14
	v_mov_b64_e32 v[2:3], 0
	s_mov_b64 s[4:5], 0
	v_mov_b64_e32 v[4:5], 0
.LBB119_229:                            ; =>This Inner Loop Header: Depth=1
	scratch_load_dwordx4 v[10:13], v9, off
	ds_read_b128 v[16:19], v8
	v_add_u32_e32 v7, 1, v7
	v_cmp_lt_u32_e32 vcc, 52, v7
	v_add_u32_e32 v8, 16, v8
	v_add_u32_e32 v9, 16, v9
	s_or_b64 s[4:5], vcc, s[4:5]
	s_waitcnt vmcnt(0) lgkmcnt(0)
	v_mul_f64 v[20:21], v[18:19], v[12:13]
	v_mul_f64 v[12:13], v[16:17], v[12:13]
	v_fma_f64 v[16:17], v[16:17], v[10:11], -v[20:21]
	v_fmac_f64_e32 v[12:13], v[18:19], v[10:11]
	v_add_f64 v[4:5], v[4:5], v[16:17]
	v_add_f64 v[2:3], v[2:3], v[12:13]
	s_andn2_b64 exec, exec, s[4:5]
	s_cbranch_execnz .LBB119_229
; %bb.230:
	s_or_b64 exec, exec, s[4:5]
	v_mov_b32_e32 v0, 0
	ds_read_b128 v[8:11], v0 offset:864
	s_waitcnt lgkmcnt(0)
	v_mul_f64 v[16:17], v[2:3], v[10:11]
	v_mul_f64 v[12:13], v[4:5], v[10:11]
	v_fma_f64 v[10:11], v[4:5], v[8:9], -v[16:17]
	v_fmac_f64_e32 v[12:13], v[2:3], v[8:9]
	scratch_store_dwordx4 off, v[10:13], off offset:880
.LBB119_231:
	s_or_b64 exec, exec, s[0:1]
	; wave barrier
	scratch_load_dwordx4 v[2:5], off, s16
	v_cmp_ne_u32_e32 vcc, 55, v240
	s_waitcnt vmcnt(0)
	ds_write_b128 v1, v[2:5]
	s_waitcnt lgkmcnt(0)
	; wave barrier
	s_and_saveexec_b64 s[0:1], vcc
	s_cbranch_execz .LBB119_235
; %bb.232:
	v_add_u32_e32 v1, 0x380, v14
	v_add_u32_e32 v7, 16, v14
	v_mov_b64_e32 v[2:3], 0
	s_mov_b64 s[4:5], 0
	v_mov_b64_e32 v[4:5], 0
.LBB119_233:                            ; =>This Inner Loop Header: Depth=1
	scratch_load_dwordx4 v[8:11], v7, off
	ds_read_b128 v[12:15], v1
	v_add_u32_e32 v6, 1, v6
	v_cmp_lt_u32_e32 vcc, 53, v6
	v_add_u32_e32 v1, 16, v1
	v_add_u32_e32 v7, 16, v7
	s_or_b64 s[4:5], vcc, s[4:5]
	s_waitcnt vmcnt(0) lgkmcnt(0)
	v_mul_f64 v[16:17], v[14:15], v[10:11]
	v_mul_f64 v[10:11], v[12:13], v[10:11]
	v_fma_f64 v[12:13], v[12:13], v[8:9], -v[16:17]
	v_fmac_f64_e32 v[10:11], v[14:15], v[8:9]
	v_add_f64 v[4:5], v[4:5], v[12:13]
	v_add_f64 v[2:3], v[2:3], v[10:11]
	s_andn2_b64 exec, exec, s[4:5]
	s_cbranch_execnz .LBB119_233
; %bb.234:
	s_or_b64 exec, exec, s[4:5]
	v_mov_b32_e32 v0, 0
	ds_read_b128 v[6:9], v0 offset:880
	s_waitcnt lgkmcnt(0)
	v_mul_f64 v[12:13], v[2:3], v[8:9]
	v_mul_f64 v[10:11], v[4:5], v[8:9]
	v_fma_f64 v[8:9], v[4:5], v[6:7], -v[12:13]
	v_fmac_f64_e32 v[10:11], v[2:3], v[6:7]
	scratch_store_dwordx4 off, v[8:11], off offset:896
.LBB119_235:
	s_or_b64 exec, exec, s[0:1]
	s_mov_b64 s[4:5], -1
	; wave barrier
.LBB119_236:
	s_and_b64 vcc, exec, s[4:5]
	s_cbranch_vccz .LBB119_238
; %bb.237:
	s_lshl_b64 s[0:1], s[2:3], 2
	s_add_u32 s0, s6, s0
	s_addc_u32 s1, s7, s1
	v_mov_b32_e32 v0, 0
	global_load_dword v0, v0, s[0:1]
	s_waitcnt vmcnt(0)
	v_cmp_ne_u32_e32 vcc, 0, v0
	s_cbranch_vccz .LBB119_239
.LBB119_238:
	s_endpgm
.LBB119_239:
	v_mov_b32_e32 v0, 0x380
	v_lshl_add_u32 v0, v240, 4, v0
	v_accvgpr_write_b32 a113, v0
	v_cmp_eq_u32_e32 vcc, 55, v240
	s_and_saveexec_b64 s[0:1], vcc
	s_cbranch_execz .LBB119_241
; %bb.240:
	scratch_load_dwordx4 v[2:5], off, s17
	v_mov_b32_e32 v6, 0
	v_mov_b32_e32 v7, v6
	;; [unrolled: 1-line block ×4, first 2 shown]
	v_accvgpr_read_b32 v0, a113
	scratch_store_dwordx4 off, v[6:9], off offset:880
	s_waitcnt vmcnt(1)
	ds_write_b128 v0, v[2:5]
.LBB119_241:
	s_or_b64 exec, exec, s[0:1]
	s_waitcnt lgkmcnt(0)
	; wave barrier
	scratch_load_dwordx4 v[4:7], off, off offset:896
	scratch_load_dwordx4 v[8:11], off, off offset:880
	v_mov_b32_e32 v2, 0
	ds_read_b128 v[12:15], v2 offset:1776
	v_cmp_lt_u32_e32 vcc, 53, v240
	s_waitcnt vmcnt(1) lgkmcnt(0)
	v_mul_f64 v[16:17], v[12:13], v[6:7]
	v_mul_f64 v[6:7], v[14:15], v[6:7]
	v_fmac_f64_e32 v[16:17], v[14:15], v[4:5]
	v_fma_f64 v[4:5], v[12:13], v[4:5], -v[6:7]
	v_add_f64 v[6:7], v[16:17], 0
	v_add_f64 v[4:5], v[4:5], 0
	s_waitcnt vmcnt(0)
	v_add_f64 v[4:5], v[8:9], -v[4:5]
	v_add_f64 v[6:7], v[10:11], -v[6:7]
	scratch_store_dwordx4 off, v[4:7], off offset:880
	s_and_saveexec_b64 s[0:1], vcc
	s_cbranch_execz .LBB119_243
; %bb.242:
	scratch_load_dwordx4 v[6:9], off, s18
	v_mov_b32_e32 v3, v2
	v_mov_b32_e32 v4, v2
	;; [unrolled: 1-line block ×3, first 2 shown]
	v_accvgpr_read_b32 v0, a113
	scratch_store_dwordx4 off, v[2:5], off offset:864
	s_waitcnt vmcnt(1)
	ds_write_b128 v0, v[6:9]
.LBB119_243:
	s_or_b64 exec, exec, s[0:1]
	s_waitcnt lgkmcnt(0)
	; wave barrier
	scratch_load_dwordx4 v[4:7], off, off offset:880
	scratch_load_dwordx4 v[8:11], off, off offset:896
	;; [unrolled: 1-line block ×3, first 2 shown]
	ds_read_b128 v[16:19], v2 offset:1760
	ds_read_b128 v[20:23], v2 offset:1776
	v_cmp_lt_u32_e32 vcc, 52, v240
	s_waitcnt vmcnt(2) lgkmcnt(1)
	v_mul_f64 v[2:3], v[16:17], v[6:7]
	v_mul_f64 v[6:7], v[18:19], v[6:7]
	s_waitcnt vmcnt(1) lgkmcnt(0)
	v_mul_f64 v[24:25], v[20:21], v[10:11]
	v_mul_f64 v[10:11], v[22:23], v[10:11]
	v_fmac_f64_e32 v[2:3], v[18:19], v[4:5]
	v_fma_f64 v[4:5], v[16:17], v[4:5], -v[6:7]
	v_fmac_f64_e32 v[24:25], v[22:23], v[8:9]
	v_fma_f64 v[6:7], v[20:21], v[8:9], -v[10:11]
	v_add_f64 v[2:3], v[2:3], 0
	v_add_f64 v[4:5], v[4:5], 0
	;; [unrolled: 1-line block ×4, first 2 shown]
	s_waitcnt vmcnt(0)
	v_add_f64 v[2:3], v[12:13], -v[2:3]
	v_add_f64 v[4:5], v[14:15], -v[8:9]
	scratch_store_dwordx4 off, v[2:5], off offset:864
	s_and_saveexec_b64 s[0:1], vcc
	s_cbranch_execz .LBB119_245
; %bb.244:
	scratch_load_dwordx4 v[2:5], off, s19
	v_mov_b32_e32 v6, 0
	v_mov_b32_e32 v7, v6
	;; [unrolled: 1-line block ×4, first 2 shown]
	v_accvgpr_read_b32 v0, a113
	scratch_store_dwordx4 off, v[6:9], off offset:848
	s_waitcnt vmcnt(1)
	ds_write_b128 v0, v[2:5]
.LBB119_245:
	s_or_b64 exec, exec, s[0:1]
	s_waitcnt lgkmcnt(0)
	; wave barrier
	scratch_load_dwordx4 v[4:7], off, off offset:864
	scratch_load_dwordx4 v[8:11], off, off offset:880
	;; [unrolled: 1-line block ×4, first 2 shown]
	v_mov_b32_e32 v2, 0
	ds_read_b128 v[20:23], v2 offset:1744
	ds_read_b128 v[24:27], v2 offset:1760
	;; [unrolled: 1-line block ×3, first 2 shown]
	v_cmp_lt_u32_e32 vcc, 51, v240
	s_waitcnt vmcnt(3) lgkmcnt(2)
	v_mul_f64 v[32:33], v[20:21], v[6:7]
	v_mul_f64 v[6:7], v[22:23], v[6:7]
	s_waitcnt vmcnt(2) lgkmcnt(1)
	v_mul_f64 v[34:35], v[24:25], v[10:11]
	v_mul_f64 v[10:11], v[26:27], v[10:11]
	v_fmac_f64_e32 v[32:33], v[22:23], v[4:5]
	v_fma_f64 v[4:5], v[20:21], v[4:5], -v[6:7]
	s_waitcnt vmcnt(1) lgkmcnt(0)
	v_mul_f64 v[36:37], v[28:29], v[14:15]
	v_mul_f64 v[14:15], v[30:31], v[14:15]
	v_fmac_f64_e32 v[34:35], v[26:27], v[8:9]
	v_fma_f64 v[6:7], v[24:25], v[8:9], -v[10:11]
	v_add_f64 v[10:11], v[32:33], 0
	v_add_f64 v[4:5], v[4:5], 0
	v_fmac_f64_e32 v[36:37], v[30:31], v[12:13]
	v_fma_f64 v[8:9], v[28:29], v[12:13], -v[14:15]
	v_add_f64 v[10:11], v[10:11], v[34:35]
	v_add_f64 v[4:5], v[4:5], v[6:7]
	;; [unrolled: 1-line block ×4, first 2 shown]
	s_waitcnt vmcnt(0)
	v_add_f64 v[4:5], v[16:17], -v[4:5]
	v_add_f64 v[6:7], v[18:19], -v[6:7]
	scratch_store_dwordx4 off, v[4:7], off offset:848
	s_and_saveexec_b64 s[0:1], vcc
	s_cbranch_execz .LBB119_247
; %bb.246:
	scratch_load_dwordx4 v[6:9], off, s20
	v_mov_b32_e32 v3, v2
	v_mov_b32_e32 v4, v2
	;; [unrolled: 1-line block ×3, first 2 shown]
	v_accvgpr_read_b32 v0, a113
	scratch_store_dwordx4 off, v[2:5], off offset:832
	s_waitcnt vmcnt(1)
	ds_write_b128 v0, v[6:9]
.LBB119_247:
	s_or_b64 exec, exec, s[0:1]
	s_waitcnt lgkmcnt(0)
	; wave barrier
	scratch_load_dwordx4 v[4:7], off, off offset:848
	scratch_load_dwordx4 v[8:11], off, off offset:864
	;; [unrolled: 1-line block ×5, first 2 shown]
	ds_read_b128 v[24:27], v2 offset:1728
	ds_read_b128 v[28:31], v2 offset:1744
	;; [unrolled: 1-line block ×4, first 2 shown]
	v_cmp_lt_u32_e32 vcc, 50, v240
	s_waitcnt vmcnt(4) lgkmcnt(3)
	v_mul_f64 v[2:3], v[24:25], v[6:7]
	v_mul_f64 v[6:7], v[26:27], v[6:7]
	s_waitcnt vmcnt(3) lgkmcnt(2)
	v_mul_f64 v[40:41], v[28:29], v[10:11]
	v_mul_f64 v[10:11], v[30:31], v[10:11]
	v_fmac_f64_e32 v[2:3], v[26:27], v[4:5]
	v_fma_f64 v[4:5], v[24:25], v[4:5], -v[6:7]
	s_waitcnt vmcnt(2) lgkmcnt(1)
	v_mul_f64 v[42:43], v[32:33], v[14:15]
	v_mul_f64 v[14:15], v[34:35], v[14:15]
	v_fmac_f64_e32 v[40:41], v[30:31], v[8:9]
	v_fma_f64 v[6:7], v[28:29], v[8:9], -v[10:11]
	v_add_f64 v[2:3], v[2:3], 0
	v_add_f64 v[4:5], v[4:5], 0
	s_waitcnt vmcnt(1) lgkmcnt(0)
	v_mul_f64 v[44:45], v[36:37], v[18:19]
	v_mul_f64 v[18:19], v[38:39], v[18:19]
	v_fmac_f64_e32 v[42:43], v[34:35], v[12:13]
	v_fma_f64 v[8:9], v[32:33], v[12:13], -v[14:15]
	v_add_f64 v[2:3], v[2:3], v[40:41]
	v_add_f64 v[4:5], v[4:5], v[6:7]
	v_fmac_f64_e32 v[44:45], v[38:39], v[16:17]
	v_fma_f64 v[10:11], v[36:37], v[16:17], -v[18:19]
	v_add_f64 v[2:3], v[2:3], v[42:43]
	v_add_f64 v[4:5], v[4:5], v[8:9]
	;; [unrolled: 1-line block ×4, first 2 shown]
	s_waitcnt vmcnt(0)
	v_add_f64 v[2:3], v[20:21], -v[2:3]
	v_add_f64 v[4:5], v[22:23], -v[6:7]
	scratch_store_dwordx4 off, v[2:5], off offset:832
	s_and_saveexec_b64 s[0:1], vcc
	s_cbranch_execz .LBB119_249
; %bb.248:
	scratch_load_dwordx4 v[2:5], off, s21
	v_mov_b32_e32 v6, 0
	v_mov_b32_e32 v7, v6
	;; [unrolled: 1-line block ×4, first 2 shown]
	v_accvgpr_read_b32 v0, a113
	scratch_store_dwordx4 off, v[6:9], off offset:816
	s_waitcnt vmcnt(1)
	ds_write_b128 v0, v[2:5]
.LBB119_249:
	s_or_b64 exec, exec, s[0:1]
	v_mov_b32_e32 v2, 0
	s_waitcnt lgkmcnt(0)
	; wave barrier
	ds_read_b128 v[4:7], v2 offset:1712
	ds_read_b128 v[8:11], v2 offset:1728
	;; [unrolled: 1-line block ×4, first 2 shown]
	scratch_load_dwordx4 v[20:23], off, off offset:832
	scratch_load_dwordx4 v[40:43], off, off offset:896
	v_cmp_lt_u32_e32 vcc, 49, v240
	s_waitcnt vmcnt(1) lgkmcnt(3)
	v_mul_f64 v[24:25], v[4:5], v[22:23]
	v_fmac_f64_e32 v[24:25], v[6:7], v[20:21]
	v_add_f64 v[28:29], v[24:25], 0
	scratch_load_dwordx4 v[24:27], off, off offset:848
	v_mul_f64 v[6:7], v[6:7], v[22:23]
	v_fma_f64 v[4:5], v[4:5], v[20:21], -v[6:7]
	v_add_f64 v[4:5], v[4:5], 0
	s_waitcnt vmcnt(0) lgkmcnt(2)
	v_mul_f64 v[30:31], v[8:9], v[26:27]
	v_fmac_f64_e32 v[30:31], v[10:11], v[24:25]
	v_add_f64 v[32:33], v[28:29], v[30:31]
	scratch_load_dwordx4 v[28:31], off, off offset:864
	v_mul_f64 v[6:7], v[10:11], v[26:27]
	v_fma_f64 v[6:7], v[8:9], v[24:25], -v[6:7]
	v_add_f64 v[4:5], v[4:5], v[6:7]
	;; [unrolled: 8-line block ×3, first 2 shown]
	s_waitcnt vmcnt(0) lgkmcnt(0)
	v_mul_f64 v[38:39], v[16:17], v[34:35]
	v_fmac_f64_e32 v[38:39], v[18:19], v[32:33]
	v_add_f64 v[44:45], v[36:37], v[38:39]
	ds_read_b128 v[36:39], v2 offset:1776
	v_mul_f64 v[6:7], v[18:19], v[34:35]
	v_fma_f64 v[6:7], v[16:17], v[32:33], -v[6:7]
	v_add_f64 v[4:5], v[4:5], v[6:7]
	s_waitcnt lgkmcnt(0)
	v_mul_f64 v[6:7], v[38:39], v[42:43]
	v_fma_f64 v[6:7], v[36:37], v[40:41], -v[6:7]
	v_add_f64 v[8:9], v[4:5], v[6:7]
	scratch_load_dwordx4 v[4:7], off, off offset:816
	v_mul_f64 v[46:47], v[36:37], v[42:43]
	v_fmac_f64_e32 v[46:47], v[38:39], v[40:41]
	v_add_f64 v[44:45], v[44:45], v[46:47]
	s_waitcnt vmcnt(0)
	v_add_f64 v[4:5], v[4:5], -v[8:9]
	v_add_f64 v[6:7], v[6:7], -v[44:45]
	scratch_store_dwordx4 off, v[4:7], off offset:816
	s_and_saveexec_b64 s[0:1], vcc
	s_cbranch_execz .LBB119_251
; %bb.250:
	scratch_load_dwordx4 v[6:9], off, s22
	v_mov_b32_e32 v3, v2
	v_mov_b32_e32 v4, v2
	;; [unrolled: 1-line block ×3, first 2 shown]
	v_accvgpr_read_b32 v0, a113
	scratch_store_dwordx4 off, v[2:5], off offset:800
	s_waitcnt vmcnt(1)
	ds_write_b128 v0, v[6:9]
.LBB119_251:
	s_or_b64 exec, exec, s[0:1]
	s_waitcnt lgkmcnt(0)
	; wave barrier
	ds_read_b128 v[4:7], v2 offset:1696
	ds_read_b128 v[8:11], v2 offset:1712
	;; [unrolled: 1-line block ×4, first 2 shown]
	scratch_load_dwordx4 v[20:23], off, off offset:816
	scratch_load_dwordx4 v[40:43], off, off offset:880
	v_cmp_lt_u32_e32 vcc, 48, v240
	scratch_load_dwordx4 v[48:51], off, off offset:896
	s_waitcnt vmcnt(2) lgkmcnt(3)
	v_mul_f64 v[24:25], v[4:5], v[22:23]
	v_fmac_f64_e32 v[24:25], v[6:7], v[20:21]
	v_add_f64 v[28:29], v[24:25], 0
	scratch_load_dwordx4 v[24:27], off, off offset:832
	s_waitcnt vmcnt(0) lgkmcnt(2)
	v_mul_f64 v[30:31], v[8:9], v[26:27]
	v_fmac_f64_e32 v[30:31], v[10:11], v[24:25]
	v_add_f64 v[32:33], v[28:29], v[30:31]
	scratch_load_dwordx4 v[28:31], off, off offset:848
	s_waitcnt vmcnt(0) lgkmcnt(1)
	v_mul_f64 v[34:35], v[12:13], v[30:31]
	v_fmac_f64_e32 v[34:35], v[14:15], v[28:29]
	v_add_f64 v[36:37], v[32:33], v[34:35]
	scratch_load_dwordx4 v[32:35], off, off offset:864
	s_waitcnt vmcnt(0) lgkmcnt(0)
	v_mul_f64 v[38:39], v[16:17], v[34:35]
	v_fmac_f64_e32 v[38:39], v[18:19], v[32:33]
	v_add_f64 v[44:45], v[36:37], v[38:39]
	ds_read_b128 v[36:39], v2 offset:1760
	s_waitcnt lgkmcnt(0)
	v_mul_f64 v[46:47], v[36:37], v[42:43]
	v_fmac_f64_e32 v[46:47], v[38:39], v[40:41]
	v_add_f64 v[52:53], v[44:45], v[46:47]
	ds_read_b128 v[44:47], v2 offset:1776
	s_waitcnt lgkmcnt(0)
	v_mul_f64 v[2:3], v[44:45], v[50:51]
	v_fmac_f64_e32 v[2:3], v[46:47], v[48:49]
	v_add_f64 v[52:53], v[52:53], v[2:3]
	v_mul_f64 v[2:3], v[6:7], v[22:23]
	v_fma_f64 v[2:3], v[4:5], v[20:21], -v[2:3]
	v_mul_f64 v[4:5], v[10:11], v[26:27]
	v_add_f64 v[2:3], v[2:3], 0
	v_fma_f64 v[4:5], v[8:9], v[24:25], -v[4:5]
	v_add_f64 v[2:3], v[2:3], v[4:5]
	v_mul_f64 v[4:5], v[14:15], v[30:31]
	v_fma_f64 v[4:5], v[12:13], v[28:29], -v[4:5]
	v_add_f64 v[2:3], v[2:3], v[4:5]
	v_mul_f64 v[4:5], v[18:19], v[34:35]
	v_fma_f64 v[4:5], v[16:17], v[32:33], -v[4:5]
	v_add_f64 v[2:3], v[2:3], v[4:5]
	v_mul_f64 v[4:5], v[38:39], v[42:43]
	v_fma_f64 v[4:5], v[36:37], v[40:41], -v[4:5]
	v_add_f64 v[2:3], v[2:3], v[4:5]
	v_mul_f64 v[4:5], v[46:47], v[50:51]
	v_fma_f64 v[4:5], v[44:45], v[48:49], -v[4:5]
	v_add_f64 v[6:7], v[2:3], v[4:5]
	scratch_load_dwordx4 v[2:5], off, off offset:800
	s_waitcnt vmcnt(0)
	v_add_f64 v[2:3], v[2:3], -v[6:7]
	v_add_f64 v[4:5], v[4:5], -v[52:53]
	scratch_store_dwordx4 off, v[2:5], off offset:800
	s_and_saveexec_b64 s[0:1], vcc
	s_cbranch_execz .LBB119_253
; %bb.252:
	scratch_load_dwordx4 v[2:5], off, s23
	v_mov_b32_e32 v6, 0
	v_mov_b32_e32 v7, v6
	;; [unrolled: 1-line block ×4, first 2 shown]
	v_accvgpr_read_b32 v0, a113
	scratch_store_dwordx4 off, v[6:9], off offset:784
	s_waitcnt vmcnt(1)
	ds_write_b128 v0, v[2:5]
.LBB119_253:
	s_or_b64 exec, exec, s[0:1]
	s_waitcnt lgkmcnt(0)
	; wave barrier
	scratch_load_dwordx4 v[4:7], off, off offset:800
	scratch_load_dwordx4 v[8:11], off, off offset:816
	;; [unrolled: 1-line block ×8, first 2 shown]
	v_mov_b32_e32 v2, 0
	ds_read_b128 v[36:39], v2 offset:1680
	ds_read_b128 v[40:43], v2 offset:1696
	;; [unrolled: 1-line block ×7, first 2 shown]
	v_cmp_lt_u32_e32 vcc, 47, v240
	s_waitcnt vmcnt(7) lgkmcnt(6)
	v_mul_f64 v[64:65], v[36:37], v[6:7]
	v_mul_f64 v[6:7], v[38:39], v[6:7]
	s_waitcnt vmcnt(6) lgkmcnt(5)
	v_mul_f64 v[66:67], v[40:41], v[10:11]
	s_waitcnt vmcnt(4) lgkmcnt(3)
	v_mul_f64 v[70:71], v[48:49], v[18:19]
	v_mul_f64 v[10:11], v[42:43], v[10:11]
	;; [unrolled: 1-line block ×3, first 2 shown]
	v_fmac_f64_e32 v[64:65], v[38:39], v[4:5]
	v_fma_f64 v[4:5], v[36:37], v[4:5], -v[6:7]
	v_mul_f64 v[68:69], v[44:45], v[14:15]
	v_mul_f64 v[14:15], v[46:47], v[14:15]
	v_fmac_f64_e32 v[66:67], v[42:43], v[8:9]
	v_fma_f64 v[6:7], v[40:41], v[8:9], -v[10:11]
	v_fma_f64 v[10:11], v[48:49], v[16:17], -v[18:19]
	v_add_f64 v[18:19], v[64:65], 0
	v_add_f64 v[4:5], v[4:5], 0
	v_fmac_f64_e32 v[68:69], v[46:47], v[12:13]
	v_fma_f64 v[8:9], v[44:45], v[12:13], -v[14:15]
	v_add_f64 v[18:19], v[18:19], v[66:67]
	v_add_f64 v[4:5], v[4:5], v[6:7]
	s_waitcnt vmcnt(3) lgkmcnt(2)
	v_mul_f64 v[72:73], v[52:53], v[22:23]
	v_mul_f64 v[22:23], v[54:55], v[22:23]
	v_fmac_f64_e32 v[70:71], v[50:51], v[16:17]
	v_add_f64 v[6:7], v[18:19], v[68:69]
	v_add_f64 v[4:5], v[4:5], v[8:9]
	s_waitcnt vmcnt(2) lgkmcnt(1)
	v_mul_f64 v[74:75], v[56:57], v[26:27]
	v_mul_f64 v[26:27], v[58:59], v[26:27]
	v_fmac_f64_e32 v[72:73], v[54:55], v[20:21]
	v_fma_f64 v[12:13], v[52:53], v[20:21], -v[22:23]
	v_add_f64 v[6:7], v[6:7], v[70:71]
	v_add_f64 v[4:5], v[4:5], v[10:11]
	s_waitcnt vmcnt(1) lgkmcnt(0)
	v_mul_f64 v[76:77], v[60:61], v[30:31]
	v_mul_f64 v[30:31], v[62:63], v[30:31]
	v_fmac_f64_e32 v[74:75], v[58:59], v[24:25]
	v_fma_f64 v[14:15], v[56:57], v[24:25], -v[26:27]
	v_add_f64 v[6:7], v[6:7], v[72:73]
	v_add_f64 v[4:5], v[4:5], v[12:13]
	v_fmac_f64_e32 v[76:77], v[62:63], v[28:29]
	v_fma_f64 v[16:17], v[60:61], v[28:29], -v[30:31]
	v_add_f64 v[6:7], v[6:7], v[74:75]
	v_add_f64 v[4:5], v[4:5], v[14:15]
	;; [unrolled: 1-line block ×4, first 2 shown]
	s_waitcnt vmcnt(0)
	v_add_f64 v[4:5], v[32:33], -v[4:5]
	v_add_f64 v[6:7], v[34:35], -v[6:7]
	scratch_store_dwordx4 off, v[4:7], off offset:784
	s_and_saveexec_b64 s[0:1], vcc
	s_cbranch_execz .LBB119_255
; %bb.254:
	scratch_load_dwordx4 v[6:9], off, s24
	v_mov_b32_e32 v3, v2
	v_mov_b32_e32 v4, v2
	;; [unrolled: 1-line block ×3, first 2 shown]
	v_accvgpr_read_b32 v0, a113
	scratch_store_dwordx4 off, v[2:5], off offset:768
	s_waitcnt vmcnt(1)
	ds_write_b128 v0, v[6:9]
.LBB119_255:
	s_or_b64 exec, exec, s[0:1]
	s_waitcnt lgkmcnt(0)
	; wave barrier
	scratch_load_dwordx4 v[4:7], off, off offset:784
	scratch_load_dwordx4 v[8:11], off, off offset:800
	;; [unrolled: 1-line block ×9, first 2 shown]
	ds_read_b128 v[40:43], v2 offset:1664
	ds_read_b128 v[44:47], v2 offset:1680
	ds_read_b128 v[48:51], v2 offset:1696
	ds_read_b128 v[52:55], v2 offset:1712
	ds_read_b128 v[56:59], v2 offset:1728
	ds_read_b128 v[60:63], v2 offset:1744
	ds_read_b128 v[64:67], v2 offset:1760
	ds_read_b128 v[68:71], v2 offset:1776
	v_cmp_lt_u32_e32 vcc, 46, v240
	s_waitcnt vmcnt(8) lgkmcnt(7)
	v_mul_f64 v[2:3], v[40:41], v[6:7]
	v_mul_f64 v[6:7], v[42:43], v[6:7]
	s_waitcnt vmcnt(7) lgkmcnt(6)
	v_mul_f64 v[72:73], v[44:45], v[10:11]
	v_mul_f64 v[10:11], v[46:47], v[10:11]
	v_fmac_f64_e32 v[2:3], v[42:43], v[4:5]
	v_fma_f64 v[4:5], v[40:41], v[4:5], -v[6:7]
	s_waitcnt vmcnt(6) lgkmcnt(5)
	v_mul_f64 v[74:75], v[48:49], v[14:15]
	v_mul_f64 v[14:15], v[50:51], v[14:15]
	v_fmac_f64_e32 v[72:73], v[46:47], v[8:9]
	v_fma_f64 v[6:7], v[44:45], v[8:9], -v[10:11]
	v_add_f64 v[2:3], v[2:3], 0
	v_add_f64 v[4:5], v[4:5], 0
	s_waitcnt vmcnt(5) lgkmcnt(4)
	v_mul_f64 v[76:77], v[52:53], v[18:19]
	v_mul_f64 v[18:19], v[54:55], v[18:19]
	v_fmac_f64_e32 v[74:75], v[50:51], v[12:13]
	v_fma_f64 v[8:9], v[48:49], v[12:13], -v[14:15]
	v_add_f64 v[2:3], v[2:3], v[72:73]
	v_add_f64 v[4:5], v[4:5], v[6:7]
	s_waitcnt vmcnt(4) lgkmcnt(3)
	v_mul_f64 v[78:79], v[56:57], v[22:23]
	v_mul_f64 v[22:23], v[58:59], v[22:23]
	v_fmac_f64_e32 v[76:77], v[54:55], v[16:17]
	v_fma_f64 v[10:11], v[52:53], v[16:17], -v[18:19]
	v_add_f64 v[2:3], v[2:3], v[74:75]
	v_add_f64 v[4:5], v[4:5], v[8:9]
	s_waitcnt vmcnt(3) lgkmcnt(2)
	v_mul_f64 v[80:81], v[60:61], v[26:27]
	v_mul_f64 v[26:27], v[62:63], v[26:27]
	v_fmac_f64_e32 v[78:79], v[58:59], v[20:21]
	v_fma_f64 v[12:13], v[56:57], v[20:21], -v[22:23]
	v_add_f64 v[2:3], v[2:3], v[76:77]
	v_add_f64 v[4:5], v[4:5], v[10:11]
	s_waitcnt vmcnt(2) lgkmcnt(1)
	v_mul_f64 v[82:83], v[64:65], v[30:31]
	v_mul_f64 v[30:31], v[66:67], v[30:31]
	v_fmac_f64_e32 v[80:81], v[62:63], v[24:25]
	v_fma_f64 v[14:15], v[60:61], v[24:25], -v[26:27]
	v_add_f64 v[2:3], v[2:3], v[78:79]
	v_add_f64 v[4:5], v[4:5], v[12:13]
	s_waitcnt vmcnt(1) lgkmcnt(0)
	v_mul_f64 v[84:85], v[68:69], v[34:35]
	v_mul_f64 v[34:35], v[70:71], v[34:35]
	v_fmac_f64_e32 v[82:83], v[66:67], v[28:29]
	v_fma_f64 v[16:17], v[64:65], v[28:29], -v[30:31]
	v_add_f64 v[2:3], v[2:3], v[80:81]
	v_add_f64 v[4:5], v[4:5], v[14:15]
	v_fmac_f64_e32 v[84:85], v[70:71], v[32:33]
	v_fma_f64 v[18:19], v[68:69], v[32:33], -v[34:35]
	v_add_f64 v[2:3], v[2:3], v[82:83]
	v_add_f64 v[4:5], v[4:5], v[16:17]
	;; [unrolled: 1-line block ×4, first 2 shown]
	s_waitcnt vmcnt(0)
	v_add_f64 v[2:3], v[36:37], -v[2:3]
	v_add_f64 v[4:5], v[38:39], -v[6:7]
	scratch_store_dwordx4 off, v[2:5], off offset:768
	s_and_saveexec_b64 s[0:1], vcc
	s_cbranch_execz .LBB119_257
; %bb.256:
	scratch_load_dwordx4 v[2:5], off, s25
	v_mov_b32_e32 v6, 0
	v_mov_b32_e32 v7, v6
	;; [unrolled: 1-line block ×4, first 2 shown]
	v_accvgpr_read_b32 v0, a113
	scratch_store_dwordx4 off, v[6:9], off offset:752
	s_waitcnt vmcnt(1)
	ds_write_b128 v0, v[2:5]
.LBB119_257:
	s_or_b64 exec, exec, s[0:1]
	s_waitcnt lgkmcnt(0)
	; wave barrier
	scratch_load_dwordx4 v[4:7], off, off offset:768
	scratch_load_dwordx4 v[8:11], off, off offset:784
	;; [unrolled: 1-line block ×10, first 2 shown]
	v_mov_b32_e32 v2, 0
	ds_read_b128 v[44:47], v2 offset:1648
	ds_read_b128 v[48:51], v2 offset:1664
	;; [unrolled: 1-line block ×9, first 2 shown]
	v_cmp_lt_u32_e32 vcc, 45, v240
	s_waitcnt vmcnt(9) lgkmcnt(8)
	v_mul_f64 v[80:81], v[44:45], v[6:7]
	v_mul_f64 v[6:7], v[46:47], v[6:7]
	s_waitcnt vmcnt(8) lgkmcnt(7)
	v_mul_f64 v[82:83], v[48:49], v[10:11]
	s_waitcnt vmcnt(7) lgkmcnt(6)
	;; [unrolled: 2-line block ×3, first 2 shown]
	v_mul_f64 v[88:89], v[60:61], v[22:23]
	v_mul_f64 v[10:11], v[50:51], v[10:11]
	;; [unrolled: 1-line block ×4, first 2 shown]
	v_fmac_f64_e32 v[80:81], v[46:47], v[4:5]
	v_fma_f64 v[4:5], v[44:45], v[4:5], -v[6:7]
	v_fmac_f64_e32 v[82:83], v[50:51], v[8:9]
	v_fmac_f64_e32 v[84:85], v[54:55], v[12:13]
	v_fma_f64 v[6:7], v[48:49], v[8:9], -v[10:11]
	v_fma_f64 v[8:9], v[52:53], v[12:13], -v[14:15]
	;; [unrolled: 1-line block ×3, first 2 shown]
	v_add_f64 v[22:23], v[80:81], 0
	v_add_f64 v[4:5], v[4:5], 0
	v_mul_f64 v[86:87], v[56:57], v[18:19]
	v_mul_f64 v[18:19], v[58:59], v[18:19]
	v_add_f64 v[22:23], v[22:23], v[82:83]
	v_add_f64 v[4:5], v[4:5], v[6:7]
	v_fmac_f64_e32 v[86:87], v[58:59], v[16:17]
	v_fma_f64 v[10:11], v[56:57], v[16:17], -v[18:19]
	v_add_f64 v[6:7], v[22:23], v[84:85]
	v_add_f64 v[4:5], v[4:5], v[8:9]
	s_waitcnt vmcnt(4) lgkmcnt(3)
	v_mul_f64 v[90:91], v[64:65], v[26:27]
	v_mul_f64 v[26:27], v[66:67], v[26:27]
	v_fmac_f64_e32 v[88:89], v[62:63], v[20:21]
	v_add_f64 v[6:7], v[6:7], v[86:87]
	v_add_f64 v[4:5], v[4:5], v[10:11]
	s_waitcnt vmcnt(3) lgkmcnt(2)
	v_mul_f64 v[92:93], v[68:69], v[30:31]
	v_mul_f64 v[30:31], v[70:71], v[30:31]
	v_fmac_f64_e32 v[90:91], v[66:67], v[24:25]
	v_fma_f64 v[14:15], v[64:65], v[24:25], -v[26:27]
	v_add_f64 v[6:7], v[6:7], v[88:89]
	v_add_f64 v[4:5], v[4:5], v[12:13]
	s_waitcnt vmcnt(2) lgkmcnt(1)
	v_mul_f64 v[94:95], v[72:73], v[34:35]
	v_mul_f64 v[34:35], v[74:75], v[34:35]
	v_fmac_f64_e32 v[92:93], v[70:71], v[28:29]
	v_fma_f64 v[16:17], v[68:69], v[28:29], -v[30:31]
	;; [unrolled: 7-line block ×3, first 2 shown]
	v_add_f64 v[6:7], v[6:7], v[92:93]
	v_add_f64 v[4:5], v[4:5], v[16:17]
	v_fmac_f64_e32 v[96:97], v[78:79], v[36:37]
	v_fma_f64 v[20:21], v[76:77], v[36:37], -v[38:39]
	v_add_f64 v[6:7], v[6:7], v[94:95]
	v_add_f64 v[4:5], v[4:5], v[18:19]
	;; [unrolled: 1-line block ×4, first 2 shown]
	s_waitcnt vmcnt(0)
	v_add_f64 v[4:5], v[40:41], -v[4:5]
	v_add_f64 v[6:7], v[42:43], -v[6:7]
	scratch_store_dwordx4 off, v[4:7], off offset:752
	s_and_saveexec_b64 s[0:1], vcc
	s_cbranch_execz .LBB119_259
; %bb.258:
	scratch_load_dwordx4 v[6:9], off, s26
	v_mov_b32_e32 v3, v2
	v_mov_b32_e32 v4, v2
	;; [unrolled: 1-line block ×3, first 2 shown]
	v_accvgpr_read_b32 v0, a113
	scratch_store_dwordx4 off, v[2:5], off offset:736
	s_waitcnt vmcnt(1)
	ds_write_b128 v0, v[6:9]
.LBB119_259:
	s_or_b64 exec, exec, s[0:1]
	s_waitcnt lgkmcnt(0)
	; wave barrier
	scratch_load_dwordx4 v[4:7], off, off offset:752
	scratch_load_dwordx4 v[8:11], off, off offset:768
	;; [unrolled: 1-line block ×11, first 2 shown]
	ds_read_b128 v[48:51], v2 offset:1632
	ds_read_b128 v[52:55], v2 offset:1648
	;; [unrolled: 1-line block ×10, first 2 shown]
	v_cmp_lt_u32_e32 vcc, 44, v240
	s_waitcnt vmcnt(10) lgkmcnt(9)
	v_mul_f64 v[2:3], v[48:49], v[6:7]
	v_mul_f64 v[6:7], v[50:51], v[6:7]
	s_waitcnt vmcnt(9) lgkmcnt(8)
	v_mul_f64 v[88:89], v[52:53], v[10:11]
	v_mul_f64 v[10:11], v[54:55], v[10:11]
	v_fmac_f64_e32 v[2:3], v[50:51], v[4:5]
	v_fma_f64 v[4:5], v[48:49], v[4:5], -v[6:7]
	s_waitcnt vmcnt(8) lgkmcnt(7)
	v_mul_f64 v[90:91], v[56:57], v[14:15]
	v_mul_f64 v[14:15], v[58:59], v[14:15]
	v_fmac_f64_e32 v[88:89], v[54:55], v[8:9]
	v_fma_f64 v[6:7], v[52:53], v[8:9], -v[10:11]
	v_add_f64 v[2:3], v[2:3], 0
	v_add_f64 v[4:5], v[4:5], 0
	s_waitcnt vmcnt(7) lgkmcnt(6)
	v_mul_f64 v[92:93], v[60:61], v[18:19]
	v_mul_f64 v[18:19], v[62:63], v[18:19]
	v_fmac_f64_e32 v[90:91], v[58:59], v[12:13]
	v_fma_f64 v[8:9], v[56:57], v[12:13], -v[14:15]
	v_add_f64 v[2:3], v[2:3], v[88:89]
	v_add_f64 v[4:5], v[4:5], v[6:7]
	;; [unrolled: 7-line block ×8, first 2 shown]
	v_fmac_f64_e32 v[104:105], v[86:87], v[40:41]
	v_fma_f64 v[22:23], v[84:85], v[40:41], -v[42:43]
	v_add_f64 v[2:3], v[2:3], v[102:103]
	v_add_f64 v[4:5], v[4:5], v[20:21]
	;; [unrolled: 1-line block ×4, first 2 shown]
	s_waitcnt vmcnt(0)
	v_add_f64 v[2:3], v[44:45], -v[2:3]
	v_add_f64 v[4:5], v[46:47], -v[6:7]
	scratch_store_dwordx4 off, v[2:5], off offset:736
	s_and_saveexec_b64 s[0:1], vcc
	s_cbranch_execz .LBB119_261
; %bb.260:
	scratch_load_dwordx4 v[2:5], off, s27
	v_mov_b32_e32 v6, 0
	v_mov_b32_e32 v7, v6
	;; [unrolled: 1-line block ×4, first 2 shown]
	v_accvgpr_read_b32 v0, a113
	scratch_store_dwordx4 off, v[6:9], off offset:720
	s_waitcnt vmcnt(1)
	ds_write_b128 v0, v[2:5]
.LBB119_261:
	s_or_b64 exec, exec, s[0:1]
	s_waitcnt lgkmcnt(0)
	; wave barrier
	scratch_load_dwordx4 v[4:7], off, off offset:736
	scratch_load_dwordx4 v[8:11], off, off offset:752
	;; [unrolled: 1-line block ×12, first 2 shown]
	v_mov_b32_e32 v2, 0
	ds_read_b128 v[52:55], v2 offset:1616
	ds_read_b128 v[56:59], v2 offset:1632
	;; [unrolled: 1-line block ×11, first 2 shown]
	v_cmp_lt_u32_e32 vcc, 43, v240
	s_waitcnt vmcnt(11) lgkmcnt(10)
	v_mul_f64 v[96:97], v[52:53], v[6:7]
	v_mul_f64 v[6:7], v[54:55], v[6:7]
	s_waitcnt vmcnt(10) lgkmcnt(9)
	v_mul_f64 v[98:99], v[56:57], v[10:11]
	s_waitcnt vmcnt(9) lgkmcnt(8)
	v_mul_f64 v[100:101], v[60:61], v[14:15]
	v_mul_f64 v[10:11], v[58:59], v[10:11]
	s_waitcnt vmcnt(6) lgkmcnt(5)
	v_mul_f64 v[106:107], v[72:73], v[26:27]
	v_mul_f64 v[14:15], v[62:63], v[14:15]
	;; [unrolled: 1-line block ×3, first 2 shown]
	v_fmac_f64_e32 v[96:97], v[54:55], v[4:5]
	v_fma_f64 v[4:5], v[52:53], v[4:5], -v[6:7]
	v_fmac_f64_e32 v[98:99], v[58:59], v[8:9]
	v_fma_f64 v[6:7], v[56:57], v[8:9], -v[10:11]
	v_fma_f64 v[8:9], v[60:61], v[12:13], -v[14:15]
	;; [unrolled: 1-line block ×3, first 2 shown]
	v_add_f64 v[26:27], v[96:97], 0
	v_add_f64 v[4:5], v[4:5], 0
	v_mul_f64 v[102:103], v[64:65], v[18:19]
	v_mul_f64 v[18:19], v[66:67], v[18:19]
	v_fmac_f64_e32 v[100:101], v[62:63], v[12:13]
	v_add_f64 v[26:27], v[26:27], v[98:99]
	v_add_f64 v[4:5], v[4:5], v[6:7]
	v_mul_f64 v[104:105], v[68:69], v[22:23]
	v_mul_f64 v[22:23], v[70:71], v[22:23]
	v_fmac_f64_e32 v[102:103], v[66:67], v[16:17]
	v_fma_f64 v[10:11], v[64:65], v[16:17], -v[18:19]
	v_add_f64 v[6:7], v[26:27], v[100:101]
	v_add_f64 v[4:5], v[4:5], v[8:9]
	v_fmac_f64_e32 v[104:105], v[70:71], v[20:21]
	v_fma_f64 v[12:13], v[68:69], v[20:21], -v[22:23]
	v_add_f64 v[6:7], v[6:7], v[102:103]
	v_add_f64 v[4:5], v[4:5], v[10:11]
	s_waitcnt vmcnt(5) lgkmcnt(4)
	v_mul_f64 v[108:109], v[76:77], v[30:31]
	v_mul_f64 v[30:31], v[78:79], v[30:31]
	v_fmac_f64_e32 v[106:107], v[74:75], v[24:25]
	v_add_f64 v[6:7], v[6:7], v[104:105]
	v_add_f64 v[4:5], v[4:5], v[12:13]
	s_waitcnt vmcnt(4) lgkmcnt(3)
	v_mul_f64 v[110:111], v[80:81], v[34:35]
	v_mul_f64 v[34:35], v[82:83], v[34:35]
	v_fmac_f64_e32 v[108:109], v[78:79], v[28:29]
	v_fma_f64 v[16:17], v[76:77], v[28:29], -v[30:31]
	v_add_f64 v[6:7], v[6:7], v[106:107]
	v_add_f64 v[4:5], v[4:5], v[14:15]
	s_waitcnt vmcnt(3) lgkmcnt(2)
	v_mul_f64 v[112:113], v[84:85], v[38:39]
	v_mul_f64 v[38:39], v[86:87], v[38:39]
	v_fmac_f64_e32 v[110:111], v[82:83], v[32:33]
	v_fma_f64 v[18:19], v[80:81], v[32:33], -v[34:35]
	;; [unrolled: 7-line block ×4, first 2 shown]
	v_add_f64 v[6:7], v[6:7], v[112:113]
	v_add_f64 v[4:5], v[4:5], v[20:21]
	v_fmac_f64_e32 v[116:117], v[94:95], v[44:45]
	v_fma_f64 v[24:25], v[92:93], v[44:45], -v[46:47]
	v_add_f64 v[6:7], v[6:7], v[114:115]
	v_add_f64 v[4:5], v[4:5], v[22:23]
	;; [unrolled: 1-line block ×4, first 2 shown]
	s_waitcnt vmcnt(0)
	v_add_f64 v[4:5], v[48:49], -v[4:5]
	v_add_f64 v[6:7], v[50:51], -v[6:7]
	scratch_store_dwordx4 off, v[4:7], off offset:720
	s_and_saveexec_b64 s[0:1], vcc
	s_cbranch_execz .LBB119_263
; %bb.262:
	scratch_load_dwordx4 v[6:9], off, s28
	v_mov_b32_e32 v3, v2
	v_mov_b32_e32 v4, v2
	;; [unrolled: 1-line block ×3, first 2 shown]
	v_accvgpr_read_b32 v0, a113
	scratch_store_dwordx4 off, v[2:5], off offset:704
	s_waitcnt vmcnt(1)
	ds_write_b128 v0, v[6:9]
.LBB119_263:
	s_or_b64 exec, exec, s[0:1]
	s_waitcnt lgkmcnt(0)
	; wave barrier
	scratch_load_dwordx4 v[4:7], off, off offset:720
	scratch_load_dwordx4 v[8:11], off, off offset:736
	;; [unrolled: 1-line block ×12, first 2 shown]
	ds_read_b128 v[52:55], v2 offset:1600
	ds_read_b128 v[56:59], v2 offset:1616
	;; [unrolled: 1-line block ×4, first 2 shown]
	scratch_load_dwordx4 v[68:71], off, off offset:704
	ds_read_b128 v[72:75], v2 offset:1664
	ds_read_b128 v[76:79], v2 offset:1680
	;; [unrolled: 1-line block ×8, first 2 shown]
	v_cmp_lt_u32_e32 vcc, 42, v240
	s_waitcnt vmcnt(12) lgkmcnt(11)
	v_mul_f64 v[2:3], v[52:53], v[6:7]
	s_waitcnt vmcnt(11) lgkmcnt(10)
	v_mul_f64 v[104:105], v[56:57], v[10:11]
	v_fmac_f64_e32 v[2:3], v[54:55], v[4:5]
	s_waitcnt vmcnt(10) lgkmcnt(9)
	v_mul_f64 v[106:107], v[60:61], v[14:15]
	v_mul_f64 v[6:7], v[54:55], v[6:7]
	v_fmac_f64_e32 v[104:105], v[58:59], v[8:9]
	v_add_f64 v[2:3], v[2:3], 0
	s_waitcnt vmcnt(9) lgkmcnt(8)
	v_mul_f64 v[108:109], v[64:65], v[18:19]
	v_mul_f64 v[10:11], v[58:59], v[10:11]
	v_fmac_f64_e32 v[106:107], v[62:63], v[12:13]
	v_fma_f64 v[4:5], v[52:53], v[4:5], -v[6:7]
	v_add_f64 v[2:3], v[2:3], v[104:105]
	s_waitcnt vmcnt(8) lgkmcnt(7)
	v_mul_f64 v[110:111], v[72:73], v[22:23]
	v_mul_f64 v[14:15], v[62:63], v[14:15]
	v_fmac_f64_e32 v[108:109], v[66:67], v[16:17]
	v_fma_f64 v[6:7], v[56:57], v[8:9], -v[10:11]
	v_add_f64 v[4:5], v[4:5], 0
	v_add_f64 v[2:3], v[2:3], v[106:107]
	s_waitcnt vmcnt(7) lgkmcnt(6)
	v_mul_f64 v[112:113], v[76:77], v[26:27]
	v_mul_f64 v[18:19], v[66:67], v[18:19]
	v_fmac_f64_e32 v[110:111], v[74:75], v[20:21]
	v_fma_f64 v[8:9], v[60:61], v[12:13], -v[14:15]
	v_add_f64 v[4:5], v[4:5], v[6:7]
	;; [unrolled: 7-line block ×8, first 2 shown]
	v_add_f64 v[2:3], v[2:3], v[120:121]
	v_mul_f64 v[46:47], v[98:99], v[46:47]
	v_fmac_f64_e32 v[124:125], v[102:103], v[48:49]
	v_fma_f64 v[22:23], v[92:93], v[40:41], -v[42:43]
	v_add_f64 v[4:5], v[4:5], v[20:21]
	v_add_f64 v[2:3], v[2:3], v[122:123]
	;; [unrolled: 1-line block ×4, first 2 shown]
	v_fma_f64 v[2:3], v[96:97], v[44:45], -v[46:47]
	v_add_f64 v[2:3], v[4:5], v[2:3]
	v_mul_f64 v[4:5], v[102:103], v[50:51]
	v_fma_f64 v[4:5], v[100:101], v[48:49], -v[4:5]
	v_add_f64 v[2:3], v[2:3], v[4:5]
	s_waitcnt vmcnt(0)
	v_add_f64 v[2:3], v[68:69], -v[2:3]
	v_add_f64 v[4:5], v[70:71], -v[6:7]
	scratch_store_dwordx4 off, v[2:5], off offset:704
	s_and_saveexec_b64 s[0:1], vcc
	s_cbranch_execz .LBB119_265
; %bb.264:
	scratch_load_dwordx4 v[2:5], off, s29
	v_mov_b32_e32 v6, 0
	v_mov_b32_e32 v7, v6
	v_mov_b32_e32 v8, v6
	v_mov_b32_e32 v9, v6
	v_accvgpr_read_b32 v0, a113
	scratch_store_dwordx4 off, v[6:9], off offset:688
	s_waitcnt vmcnt(1)
	ds_write_b128 v0, v[2:5]
.LBB119_265:
	s_or_b64 exec, exec, s[0:1]
	s_waitcnt lgkmcnt(0)
	; wave barrier
	scratch_load_dwordx4 v[4:7], off, off offset:704
	scratch_load_dwordx4 v[8:11], off, off offset:720
	;; [unrolled: 1-line block ×14, first 2 shown]
	v_mov_b32_e32 v2, 0
	ds_read_b128 v[60:63], v2 offset:1584
	ds_read_b128 v[64:67], v2 offset:1600
	;; [unrolled: 1-line block ×13, first 2 shown]
	v_cmp_lt_u32_e32 vcc, 41, v240
	s_waitcnt vmcnt(13) lgkmcnt(12)
	v_mul_f64 v[112:113], v[60:61], v[6:7]
	v_mul_f64 v[6:7], v[62:63], v[6:7]
	s_waitcnt vmcnt(12) lgkmcnt(11)
	v_mul_f64 v[114:115], v[64:65], v[10:11]
	v_mul_f64 v[10:11], v[66:67], v[10:11]
	v_fmac_f64_e32 v[112:113], v[62:63], v[4:5]
	v_fma_f64 v[4:5], v[60:61], v[4:5], -v[6:7]
	s_waitcnt vmcnt(11) lgkmcnt(10)
	v_mul_f64 v[116:117], v[68:69], v[14:15]
	v_mul_f64 v[14:15], v[70:71], v[14:15]
	v_fma_f64 v[6:7], v[64:65], v[8:9], -v[10:11]
	v_add_f64 v[4:5], v[4:5], 0
	s_waitcnt vmcnt(10) lgkmcnt(9)
	v_mul_f64 v[118:119], v[72:73], v[18:19]
	v_mul_f64 v[18:19], v[74:75], v[18:19]
	v_fmac_f64_e32 v[114:115], v[66:67], v[8:9]
	v_fma_f64 v[8:9], v[68:69], v[12:13], -v[14:15]
	v_add_f64 v[4:5], v[4:5], v[6:7]
	s_waitcnt vmcnt(9) lgkmcnt(8)
	v_mul_f64 v[120:121], v[76:77], v[22:23]
	v_mul_f64 v[22:23], v[78:79], v[22:23]
	v_fma_f64 v[10:11], v[72:73], v[16:17], -v[18:19]
	v_add_f64 v[4:5], v[4:5], v[8:9]
	s_waitcnt vmcnt(8) lgkmcnt(7)
	v_mul_f64 v[122:123], v[80:81], v[26:27]
	v_mul_f64 v[26:27], v[82:83], v[26:27]
	v_fmac_f64_e32 v[116:117], v[70:71], v[12:13]
	v_fma_f64 v[12:13], v[76:77], v[20:21], -v[22:23]
	v_add_f64 v[22:23], v[112:113], 0
	v_add_f64 v[4:5], v[4:5], v[10:11]
	s_waitcnt vmcnt(7) lgkmcnt(6)
	v_mul_f64 v[124:125], v[84:85], v[30:31]
	v_mul_f64 v[30:31], v[86:87], v[30:31]
	v_fma_f64 v[14:15], v[80:81], v[24:25], -v[26:27]
	v_add_f64 v[22:23], v[22:23], v[114:115]
	v_add_f64 v[4:5], v[4:5], v[12:13]
	s_waitcnt vmcnt(6) lgkmcnt(5)
	v_mul_f64 v[126:127], v[88:89], v[34:35]
	v_mul_f64 v[34:35], v[90:91], v[34:35]
	v_fmac_f64_e32 v[118:119], v[74:75], v[16:17]
	v_fma_f64 v[16:17], v[84:85], v[28:29], -v[30:31]
	v_add_f64 v[6:7], v[22:23], v[116:117]
	v_add_f64 v[4:5], v[4:5], v[14:15]
	s_waitcnt vmcnt(5) lgkmcnt(4)
	v_mul_f64 v[128:129], v[92:93], v[38:39]
	v_mul_f64 v[38:39], v[94:95], v[38:39]
	v_fmac_f64_e32 v[120:121], v[78:79], v[20:21]
	v_fma_f64 v[18:19], v[88:89], v[32:33], -v[34:35]
	v_add_f64 v[6:7], v[6:7], v[118:119]
	v_add_f64 v[4:5], v[4:5], v[16:17]
	v_fmac_f64_e32 v[122:123], v[82:83], v[24:25]
	v_fma_f64 v[20:21], v[92:93], v[36:37], -v[38:39]
	v_add_f64 v[6:7], v[6:7], v[120:121]
	v_add_f64 v[4:5], v[4:5], v[18:19]
	s_waitcnt vmcnt(4) lgkmcnt(3)
	v_mul_f64 v[8:9], v[98:99], v[42:43]
	v_fmac_f64_e32 v[124:125], v[86:87], v[28:29]
	v_add_f64 v[6:7], v[6:7], v[122:123]
	v_add_f64 v[4:5], v[4:5], v[20:21]
	v_fma_f64 v[8:9], v[96:97], v[40:41], -v[8:9]
	v_fmac_f64_e32 v[126:127], v[90:91], v[32:33]
	v_add_f64 v[6:7], v[6:7], v[124:125]
	v_add_f64 v[4:5], v[4:5], v[8:9]
	s_waitcnt vmcnt(3) lgkmcnt(2)
	v_mul_f64 v[8:9], v[102:103], v[46:47]
	v_mul_f64 v[130:131], v[96:97], v[42:43]
	v_fmac_f64_e32 v[128:129], v[94:95], v[36:37]
	v_add_f64 v[6:7], v[6:7], v[126:127]
	v_fma_f64 v[8:9], v[100:101], v[44:45], -v[8:9]
	v_mul_f64 v[132:133], v[100:101], v[46:47]
	v_fmac_f64_e32 v[130:131], v[98:99], v[40:41]
	v_add_f64 v[6:7], v[6:7], v[128:129]
	v_add_f64 v[4:5], v[4:5], v[8:9]
	s_waitcnt vmcnt(2) lgkmcnt(1)
	v_mul_f64 v[8:9], v[106:107], v[50:51]
	v_mul_f64 v[134:135], v[104:105], v[50:51]
	v_fmac_f64_e32 v[132:133], v[102:103], v[44:45]
	v_add_f64 v[6:7], v[6:7], v[130:131]
	v_fma_f64 v[8:9], v[104:105], v[48:49], -v[8:9]
	s_waitcnt vmcnt(1) lgkmcnt(0)
	v_mul_f64 v[136:137], v[108:109], v[54:55]
	v_fmac_f64_e32 v[134:135], v[106:107], v[48:49]
	v_add_f64 v[6:7], v[6:7], v[132:133]
	v_add_f64 v[4:5], v[4:5], v[8:9]
	v_mul_f64 v[8:9], v[110:111], v[54:55]
	v_fmac_f64_e32 v[136:137], v[110:111], v[52:53]
	v_add_f64 v[6:7], v[6:7], v[134:135]
	v_fma_f64 v[8:9], v[108:109], v[52:53], -v[8:9]
	v_add_f64 v[6:7], v[6:7], v[136:137]
	v_add_f64 v[4:5], v[4:5], v[8:9]
	s_waitcnt vmcnt(0)
	v_add_f64 v[4:5], v[56:57], -v[4:5]
	v_add_f64 v[6:7], v[58:59], -v[6:7]
	scratch_store_dwordx4 off, v[4:7], off offset:688
	s_and_saveexec_b64 s[0:1], vcc
	s_cbranch_execz .LBB119_267
; %bb.266:
	scratch_load_dwordx4 v[6:9], off, s30
	v_mov_b32_e32 v3, v2
	v_mov_b32_e32 v4, v2
	;; [unrolled: 1-line block ×3, first 2 shown]
	v_accvgpr_read_b32 v0, a113
	scratch_store_dwordx4 off, v[2:5], off offset:672
	s_waitcnt vmcnt(1)
	ds_write_b128 v0, v[6:9]
.LBB119_267:
	s_or_b64 exec, exec, s[0:1]
	s_waitcnt lgkmcnt(0)
	; wave barrier
	ds_read_b128 v[16:19], v2 offset:1568
	ds_read_b128 v[12:15], v2 offset:1584
	;; [unrolled: 1-line block ×4, first 2 shown]
	scratch_load_dwordx4 v[20:23], off, off offset:688
	scratch_load_dwordx4 v[42:45], off, off offset:752
	;; [unrolled: 1-line block ×8, first 2 shown]
	v_cmp_lt_u32_e32 vcc, 40, v240
	scratch_load_dwordx4 v[50:53], off, off offset:768
	scratch_load_dwordx4 v[58:61], off, off offset:784
	;; [unrolled: 1-line block ×3, first 2 shown]
	s_waitcnt vmcnt(10) lgkmcnt(3)
	v_mul_f64 v[24:25], v[16:17], v[22:23]
	v_fmac_f64_e32 v[24:25], v[18:19], v[20:21]
	v_add_f64 v[28:29], v[24:25], 0
	scratch_load_dwordx4 v[24:27], off, off offset:704
	s_waitcnt vmcnt(0) lgkmcnt(2)
	v_mul_f64 v[30:31], v[12:13], v[26:27]
	v_fmac_f64_e32 v[30:31], v[14:15], v[24:25]
	v_add_f64 v[32:33], v[28:29], v[30:31]
	scratch_load_dwordx4 v[28:31], off, off offset:720
	v_mul_f64 v[14:15], v[14:15], v[26:27]
	v_fma_f64 v[12:13], v[12:13], v[24:25], -v[14:15]
	s_waitcnt vmcnt(0) lgkmcnt(1)
	v_mul_f64 v[34:35], v[8:9], v[30:31]
	v_fmac_f64_e32 v[34:35], v[10:11], v[28:29]
	v_add_f64 v[36:37], v[32:33], v[34:35]
	scratch_load_dwordx4 v[32:35], off, off offset:736
	v_mul_f64 v[10:11], v[10:11], v[30:31]
	v_fma_f64 v[8:9], v[8:9], v[28:29], -v[10:11]
	s_waitcnt vmcnt(0) lgkmcnt(0)
	v_mul_f64 v[38:39], v[4:5], v[34:35]
	v_fmac_f64_e32 v[38:39], v[6:7], v[32:33]
	v_add_f64 v[40:41], v[36:37], v[38:39]
	ds_read_b128 v[36:39], v2 offset:1632
	v_mul_f64 v[6:7], v[6:7], v[34:35]
	v_fma_f64 v[4:5], v[4:5], v[32:33], -v[6:7]
	s_waitcnt lgkmcnt(0)
	v_mul_f64 v[46:47], v[36:37], v[44:45]
	v_fmac_f64_e32 v[46:47], v[38:39], v[42:43]
	v_add_f64 v[40:41], v[40:41], v[46:47]
	ds_read_b128 v[46:49], v2 offset:1648
	s_waitcnt lgkmcnt(0)
	v_mul_f64 v[54:55], v[46:47], v[52:53]
	v_fmac_f64_e32 v[54:55], v[48:49], v[50:51]
	v_add_f64 v[40:41], v[40:41], v[54:55]
	ds_read_b128 v[54:57], v2 offset:1664
	;; [unrolled: 5-line block ×9, first 2 shown]
	s_waitcnt lgkmcnt(0)
	v_mul_f64 v[2:3], v[110:111], v[116:117]
	v_fmac_f64_e32 v[2:3], v[112:113], v[114:115]
	v_add_f64 v[40:41], v[40:41], v[2:3]
	v_mul_f64 v[2:3], v[18:19], v[22:23]
	v_fma_f64 v[2:3], v[16:17], v[20:21], -v[2:3]
	v_add_f64 v[2:3], v[2:3], 0
	v_add_f64 v[2:3], v[2:3], v[12:13]
	;; [unrolled: 1-line block ×4, first 2 shown]
	v_mul_f64 v[4:5], v[38:39], v[44:45]
	v_fma_f64 v[4:5], v[36:37], v[42:43], -v[4:5]
	v_add_f64 v[2:3], v[2:3], v[4:5]
	v_mul_f64 v[4:5], v[48:49], v[52:53]
	v_fma_f64 v[4:5], v[46:47], v[50:51], -v[4:5]
	v_add_f64 v[2:3], v[2:3], v[4:5]
	;; [unrolled: 3-line block ×10, first 2 shown]
	scratch_load_dwordx4 v[2:5], off, off offset:672
	s_waitcnt vmcnt(0)
	v_add_f64 v[2:3], v[2:3], -v[6:7]
	v_add_f64 v[4:5], v[4:5], -v[40:41]
	scratch_store_dwordx4 off, v[2:5], off offset:672
	s_and_saveexec_b64 s[0:1], vcc
	s_cbranch_execz .LBB119_269
; %bb.268:
	scratch_load_dwordx4 v[2:5], off, s31
	v_mov_b32_e32 v6, 0
	v_mov_b32_e32 v7, v6
	;; [unrolled: 1-line block ×4, first 2 shown]
	v_accvgpr_read_b32 v0, a113
	scratch_store_dwordx4 off, v[6:9], off offset:656
	s_waitcnt vmcnt(1)
	ds_write_b128 v0, v[2:5]
.LBB119_269:
	s_or_b64 exec, exec, s[0:1]
	v_mov_b32_e32 v2, 0
	s_waitcnt lgkmcnt(0)
	; wave barrier
	ds_read_b128 v[16:19], v2 offset:1552
	ds_read_b128 v[12:15], v2 offset:1568
	;; [unrolled: 1-line block ×4, first 2 shown]
	scratch_load_dwordx4 v[20:23], off, off offset:672
	scratch_load_dwordx4 v[40:43], off, off offset:736
	;; [unrolled: 1-line block ×9, first 2 shown]
	v_cmp_lt_u32_e32 vcc, 39, v240
	scratch_load_dwordx4 v[50:53], off, off offset:752
	scratch_load_dwordx4 v[58:61], off, off offset:768
	;; [unrolled: 1-line block ×3, first 2 shown]
	s_waitcnt vmcnt(11) lgkmcnt(3)
	v_mul_f64 v[24:25], v[16:17], v[22:23]
	v_fmac_f64_e32 v[24:25], v[18:19], v[20:21]
	v_add_f64 v[28:29], v[24:25], 0
	scratch_load_dwordx4 v[24:27], off, off offset:688
	v_mul_f64 v[18:19], v[18:19], v[22:23]
	v_fma_f64 v[16:17], v[16:17], v[20:21], -v[18:19]
	v_add_f64 v[16:17], v[16:17], 0
	s_waitcnt vmcnt(0) lgkmcnt(2)
	v_mul_f64 v[30:31], v[12:13], v[26:27]
	v_fmac_f64_e32 v[30:31], v[14:15], v[24:25]
	v_add_f64 v[32:33], v[28:29], v[30:31]
	scratch_load_dwordx4 v[28:31], off, off offset:704
	v_mul_f64 v[14:15], v[14:15], v[26:27]
	v_fma_f64 v[12:13], v[12:13], v[24:25], -v[14:15]
	v_add_f64 v[12:13], v[16:17], v[12:13]
	;; [unrolled: 8-line block ×3, first 2 shown]
	s_waitcnt vmcnt(0) lgkmcnt(0)
	v_mul_f64 v[38:39], v[4:5], v[34:35]
	v_fmac_f64_e32 v[38:39], v[6:7], v[32:33]
	v_add_f64 v[44:45], v[36:37], v[38:39]
	ds_read_b128 v[36:39], v2 offset:1616
	v_mul_f64 v[6:7], v[6:7], v[34:35]
	v_fma_f64 v[4:5], v[4:5], v[32:33], -v[6:7]
	v_add_f64 v[4:5], v[8:9], v[4:5]
	s_waitcnt lgkmcnt(0)
	v_mul_f64 v[46:47], v[36:37], v[42:43]
	v_fmac_f64_e32 v[46:47], v[38:39], v[40:41]
	v_add_f64 v[48:49], v[44:45], v[46:47]
	ds_read_b128 v[44:47], v2 offset:1632
	v_mul_f64 v[6:7], v[38:39], v[42:43]
	v_fma_f64 v[6:7], v[36:37], v[40:41], -v[6:7]
	v_add_f64 v[4:5], v[4:5], v[6:7]
	s_waitcnt lgkmcnt(0)
	;; [unrolled: 8-line block ×11, first 2 shown]
	v_mul_f64 v[6:7], v[120:121], v[124:125]
	v_fma_f64 v[6:7], v[118:119], v[122:123], -v[6:7]
	v_add_f64 v[8:9], v[4:5], v[6:7]
	scratch_load_dwordx4 v[4:7], off, off offset:656
	v_mul_f64 v[126:127], v[118:119], v[124:125]
	v_fmac_f64_e32 v[126:127], v[120:121], v[122:123]
	v_add_f64 v[48:49], v[48:49], v[126:127]
	s_waitcnt vmcnt(0)
	v_add_f64 v[4:5], v[4:5], -v[8:9]
	v_add_f64 v[6:7], v[6:7], -v[48:49]
	scratch_store_dwordx4 off, v[4:7], off offset:656
	s_and_saveexec_b64 s[0:1], vcc
	s_cbranch_execz .LBB119_271
; %bb.270:
	scratch_load_dwordx4 v[6:9], off, s33
	v_mov_b32_e32 v3, v2
	v_mov_b32_e32 v4, v2
	;; [unrolled: 1-line block ×3, first 2 shown]
	v_accvgpr_read_b32 v0, a113
	scratch_store_dwordx4 off, v[2:5], off offset:640
	s_waitcnt vmcnt(1)
	ds_write_b128 v0, v[6:9]
.LBB119_271:
	s_or_b64 exec, exec, s[0:1]
	s_waitcnt lgkmcnt(0)
	; wave barrier
	ds_read_b128 v[16:19], v2 offset:1536
	ds_read_b128 v[12:15], v2 offset:1552
	;; [unrolled: 1-line block ×4, first 2 shown]
	scratch_load_dwordx4 v[20:23], off, off offset:656
	scratch_load_dwordx4 v[40:43], off, off offset:720
	;; [unrolled: 1-line block ×10, first 2 shown]
	v_cmp_lt_u32_e32 vcc, 38, v240
	scratch_load_dwordx4 v[48:51], off, off offset:736
	scratch_load_dwordx4 v[56:59], off, off offset:752
	;; [unrolled: 1-line block ×3, first 2 shown]
	s_waitcnt vmcnt(12) lgkmcnt(3)
	v_mul_f64 v[24:25], v[16:17], v[22:23]
	v_fmac_f64_e32 v[24:25], v[18:19], v[20:21]
	v_add_f64 v[28:29], v[24:25], 0
	scratch_load_dwordx4 v[24:27], off, off offset:672
	s_waitcnt vmcnt(0) lgkmcnt(2)
	v_mul_f64 v[30:31], v[12:13], v[26:27]
	v_fmac_f64_e32 v[30:31], v[14:15], v[24:25]
	v_add_f64 v[32:33], v[28:29], v[30:31]
	scratch_load_dwordx4 v[28:31], off, off offset:688
	v_mul_f64 v[14:15], v[14:15], v[26:27]
	v_fma_f64 v[12:13], v[12:13], v[24:25], -v[14:15]
	s_waitcnt vmcnt(0) lgkmcnt(1)
	v_mul_f64 v[34:35], v[8:9], v[30:31]
	v_fmac_f64_e32 v[34:35], v[10:11], v[28:29]
	v_add_f64 v[36:37], v[32:33], v[34:35]
	scratch_load_dwordx4 v[32:35], off, off offset:704
	v_mul_f64 v[10:11], v[10:11], v[30:31]
	v_fma_f64 v[8:9], v[8:9], v[28:29], -v[10:11]
	s_waitcnt vmcnt(0) lgkmcnt(0)
	v_mul_f64 v[38:39], v[4:5], v[34:35]
	v_fmac_f64_e32 v[38:39], v[6:7], v[32:33]
	v_add_f64 v[44:45], v[36:37], v[38:39]
	ds_read_b128 v[36:39], v2 offset:1600
	v_mul_f64 v[6:7], v[6:7], v[34:35]
	v_fma_f64 v[4:5], v[4:5], v[32:33], -v[6:7]
	s_waitcnt lgkmcnt(0)
	v_mul_f64 v[46:47], v[36:37], v[42:43]
	v_fmac_f64_e32 v[46:47], v[38:39], v[40:41]
	v_add_f64 v[52:53], v[44:45], v[46:47]
	ds_read_b128 v[44:47], v2 offset:1616
	s_waitcnt lgkmcnt(0)
	v_mul_f64 v[54:55], v[44:45], v[50:51]
	v_fmac_f64_e32 v[54:55], v[46:47], v[48:49]
	v_add_f64 v[60:61], v[52:53], v[54:55]
	ds_read_b128 v[52:55], v2 offset:1632
	;; [unrolled: 5-line block ×11, first 2 shown]
	s_waitcnt lgkmcnt(0)
	v_mul_f64 v[2:3], v[126:127], v[132:133]
	v_fmac_f64_e32 v[2:3], v[128:129], v[130:131]
	v_add_f64 v[64:65], v[64:65], v[2:3]
	v_mul_f64 v[2:3], v[18:19], v[22:23]
	v_fma_f64 v[2:3], v[16:17], v[20:21], -v[2:3]
	v_add_f64 v[2:3], v[2:3], 0
	v_add_f64 v[2:3], v[2:3], v[12:13]
	;; [unrolled: 1-line block ×4, first 2 shown]
	v_mul_f64 v[4:5], v[38:39], v[42:43]
	v_fma_f64 v[4:5], v[36:37], v[40:41], -v[4:5]
	v_add_f64 v[2:3], v[2:3], v[4:5]
	v_mul_f64 v[4:5], v[46:47], v[50:51]
	v_fma_f64 v[4:5], v[44:45], v[48:49], -v[4:5]
	v_add_f64 v[2:3], v[2:3], v[4:5]
	;; [unrolled: 3-line block ×12, first 2 shown]
	scratch_load_dwordx4 v[2:5], off, off offset:640
	s_waitcnt vmcnt(0)
	v_add_f64 v[2:3], v[2:3], -v[6:7]
	v_add_f64 v[4:5], v[4:5], -v[64:65]
	scratch_store_dwordx4 off, v[2:5], off offset:640
	s_and_saveexec_b64 s[0:1], vcc
	s_cbranch_execz .LBB119_273
; %bb.272:
	scratch_load_dwordx4 v[2:5], off, s34
	v_mov_b32_e32 v6, 0
	v_mov_b32_e32 v7, v6
	v_mov_b32_e32 v8, v6
	v_mov_b32_e32 v9, v6
	v_accvgpr_read_b32 v0, a113
	scratch_store_dwordx4 off, v[6:9], off offset:624
	s_waitcnt vmcnt(1)
	ds_write_b128 v0, v[2:5]
.LBB119_273:
	s_or_b64 exec, exec, s[0:1]
	v_mov_b32_e32 v2, 0
	s_waitcnt lgkmcnt(0)
	; wave barrier
	ds_read_b128 v[16:19], v2 offset:1520
	ds_read_b128 v[12:15], v2 offset:1536
	;; [unrolled: 1-line block ×4, first 2 shown]
	scratch_load_dwordx4 v[20:23], off, off offset:640
	scratch_load_dwordx4 v[40:43], off, off offset:704
	;; [unrolled: 1-line block ×11, first 2 shown]
	v_cmp_lt_u32_e32 vcc, 37, v240
	scratch_load_dwordx4 v[48:51], off, off offset:720
	scratch_load_dwordx4 v[56:59], off, off offset:736
	;; [unrolled: 1-line block ×3, first 2 shown]
	s_waitcnt vmcnt(13) lgkmcnt(3)
	v_mul_f64 v[24:25], v[16:17], v[22:23]
	v_fmac_f64_e32 v[24:25], v[18:19], v[20:21]
	v_add_f64 v[28:29], v[24:25], 0
	scratch_load_dwordx4 v[24:27], off, off offset:656
	v_mul_f64 v[18:19], v[18:19], v[22:23]
	v_fma_f64 v[16:17], v[16:17], v[20:21], -v[18:19]
	v_add_f64 v[16:17], v[16:17], 0
	s_waitcnt vmcnt(0) lgkmcnt(2)
	v_mul_f64 v[30:31], v[12:13], v[26:27]
	v_fmac_f64_e32 v[30:31], v[14:15], v[24:25]
	v_add_f64 v[32:33], v[28:29], v[30:31]
	scratch_load_dwordx4 v[28:31], off, off offset:672
	v_mul_f64 v[14:15], v[14:15], v[26:27]
	v_fma_f64 v[12:13], v[12:13], v[24:25], -v[14:15]
	v_add_f64 v[12:13], v[16:17], v[12:13]
	;; [unrolled: 8-line block ×3, first 2 shown]
	s_waitcnt vmcnt(0) lgkmcnt(0)
	v_mul_f64 v[38:39], v[4:5], v[34:35]
	v_fmac_f64_e32 v[38:39], v[6:7], v[32:33]
	v_add_f64 v[44:45], v[36:37], v[38:39]
	ds_read_b128 v[36:39], v2 offset:1584
	v_mul_f64 v[6:7], v[6:7], v[34:35]
	v_fma_f64 v[4:5], v[4:5], v[32:33], -v[6:7]
	v_add_f64 v[4:5], v[8:9], v[4:5]
	s_waitcnt lgkmcnt(0)
	v_mul_f64 v[46:47], v[36:37], v[42:43]
	v_fmac_f64_e32 v[46:47], v[38:39], v[40:41]
	v_add_f64 v[52:53], v[44:45], v[46:47]
	ds_read_b128 v[44:47], v2 offset:1600
	v_mul_f64 v[6:7], v[38:39], v[42:43]
	v_fma_f64 v[6:7], v[36:37], v[40:41], -v[6:7]
	v_add_f64 v[4:5], v[4:5], v[6:7]
	s_waitcnt lgkmcnt(0)
	;; [unrolled: 8-line block ×13, first 2 shown]
	v_mul_f64 v[6:7], v[136:137], v[140:141]
	v_fma_f64 v[6:7], v[134:135], v[138:139], -v[6:7]
	v_add_f64 v[8:9], v[4:5], v[6:7]
	scratch_load_dwordx4 v[4:7], off, off offset:624
	v_mul_f64 v[142:143], v[134:135], v[140:141]
	v_fmac_f64_e32 v[142:143], v[136:137], v[138:139]
	v_add_f64 v[72:73], v[72:73], v[142:143]
	s_waitcnt vmcnt(0)
	v_add_f64 v[4:5], v[4:5], -v[8:9]
	v_add_f64 v[6:7], v[6:7], -v[72:73]
	scratch_store_dwordx4 off, v[4:7], off offset:624
	s_and_saveexec_b64 s[0:1], vcc
	s_cbranch_execz .LBB119_275
; %bb.274:
	scratch_load_dwordx4 v[6:9], off, s35
	v_mov_b32_e32 v3, v2
	v_mov_b32_e32 v4, v2
	;; [unrolled: 1-line block ×3, first 2 shown]
	v_accvgpr_read_b32 v0, a113
	scratch_store_dwordx4 off, v[2:5], off offset:608
	s_waitcnt vmcnt(1)
	ds_write_b128 v0, v[6:9]
.LBB119_275:
	s_or_b64 exec, exec, s[0:1]
	s_waitcnt lgkmcnt(0)
	; wave barrier
	ds_read_b128 v[16:19], v2 offset:1504
	ds_read_b128 v[12:15], v2 offset:1520
	;; [unrolled: 1-line block ×4, first 2 shown]
	scratch_load_dwordx4 v[20:23], off, off offset:624
	scratch_load_dwordx4 v[40:43], off, off offset:688
	;; [unrolled: 1-line block ×12, first 2 shown]
	v_cmp_lt_u32_e32 vcc, 36, v240
	scratch_load_dwordx4 v[48:51], off, off offset:704
	scratch_load_dwordx4 v[56:59], off, off offset:720
	;; [unrolled: 1-line block ×3, first 2 shown]
	s_waitcnt vmcnt(14) lgkmcnt(3)
	v_mul_f64 v[24:25], v[16:17], v[22:23]
	v_fmac_f64_e32 v[24:25], v[18:19], v[20:21]
	v_add_f64 v[28:29], v[24:25], 0
	scratch_load_dwordx4 v[24:27], off, off offset:640
	s_waitcnt vmcnt(0) lgkmcnt(2)
	v_mul_f64 v[30:31], v[12:13], v[26:27]
	v_fmac_f64_e32 v[30:31], v[14:15], v[24:25]
	v_add_f64 v[32:33], v[28:29], v[30:31]
	scratch_load_dwordx4 v[28:31], off, off offset:656
	v_mul_f64 v[14:15], v[14:15], v[26:27]
	v_fma_f64 v[12:13], v[12:13], v[24:25], -v[14:15]
	s_waitcnt vmcnt(0) lgkmcnt(1)
	v_mul_f64 v[34:35], v[8:9], v[30:31]
	v_fmac_f64_e32 v[34:35], v[10:11], v[28:29]
	v_add_f64 v[36:37], v[32:33], v[34:35]
	scratch_load_dwordx4 v[32:35], off, off offset:672
	v_mul_f64 v[10:11], v[10:11], v[30:31]
	v_fma_f64 v[8:9], v[8:9], v[28:29], -v[10:11]
	s_waitcnt vmcnt(0) lgkmcnt(0)
	v_mul_f64 v[38:39], v[4:5], v[34:35]
	v_fmac_f64_e32 v[38:39], v[6:7], v[32:33]
	v_add_f64 v[44:45], v[36:37], v[38:39]
	ds_read_b128 v[36:39], v2 offset:1568
	v_mul_f64 v[6:7], v[6:7], v[34:35]
	v_fma_f64 v[4:5], v[4:5], v[32:33], -v[6:7]
	s_waitcnt lgkmcnt(0)
	v_mul_f64 v[46:47], v[36:37], v[42:43]
	v_fmac_f64_e32 v[46:47], v[38:39], v[40:41]
	v_add_f64 v[52:53], v[44:45], v[46:47]
	ds_read_b128 v[44:47], v2 offset:1584
	s_waitcnt lgkmcnt(0)
	v_mul_f64 v[54:55], v[44:45], v[50:51]
	v_fmac_f64_e32 v[54:55], v[46:47], v[48:49]
	v_add_f64 v[60:61], v[52:53], v[54:55]
	ds_read_b128 v[52:55], v2 offset:1600
	;; [unrolled: 5-line block ×13, first 2 shown]
	s_waitcnt lgkmcnt(0)
	v_mul_f64 v[2:3], v[142:143], v[148:149]
	v_fmac_f64_e32 v[2:3], v[144:145], v[146:147]
	v_add_f64 v[80:81], v[80:81], v[2:3]
	v_mul_f64 v[2:3], v[18:19], v[22:23]
	v_fma_f64 v[2:3], v[16:17], v[20:21], -v[2:3]
	v_add_f64 v[2:3], v[2:3], 0
	v_add_f64 v[2:3], v[2:3], v[12:13]
	;; [unrolled: 1-line block ×4, first 2 shown]
	v_mul_f64 v[4:5], v[38:39], v[42:43]
	v_fma_f64 v[4:5], v[36:37], v[40:41], -v[4:5]
	v_add_f64 v[2:3], v[2:3], v[4:5]
	v_mul_f64 v[4:5], v[46:47], v[50:51]
	v_fma_f64 v[4:5], v[44:45], v[48:49], -v[4:5]
	v_add_f64 v[2:3], v[2:3], v[4:5]
	;; [unrolled: 3-line block ×14, first 2 shown]
	scratch_load_dwordx4 v[2:5], off, off offset:608
	s_waitcnt vmcnt(0)
	v_add_f64 v[2:3], v[2:3], -v[6:7]
	v_add_f64 v[4:5], v[4:5], -v[80:81]
	scratch_store_dwordx4 off, v[2:5], off offset:608
	s_and_saveexec_b64 s[0:1], vcc
	s_cbranch_execz .LBB119_277
; %bb.276:
	scratch_load_dwordx4 v[2:5], off, s36
	v_mov_b32_e32 v6, 0
	v_mov_b32_e32 v7, v6
	v_mov_b32_e32 v8, v6
	v_mov_b32_e32 v9, v6
	v_accvgpr_read_b32 v0, a113
	scratch_store_dwordx4 off, v[6:9], off offset:592
	s_waitcnt vmcnt(1)
	ds_write_b128 v0, v[2:5]
.LBB119_277:
	s_or_b64 exec, exec, s[0:1]
	v_mov_b32_e32 v2, 0
	s_waitcnt lgkmcnt(0)
	; wave barrier
	ds_read_b128 v[16:19], v2 offset:1488
	ds_read_b128 v[12:15], v2 offset:1504
	;; [unrolled: 1-line block ×4, first 2 shown]
	scratch_load_dwordx4 v[20:23], off, off offset:608
	scratch_load_dwordx4 v[40:43], off, off offset:672
	;; [unrolled: 1-line block ×13, first 2 shown]
	v_cmp_lt_u32_e32 vcc, 35, v240
	scratch_load_dwordx4 v[48:51], off, off offset:688
	scratch_load_dwordx4 v[56:59], off, off offset:704
	;; [unrolled: 1-line block ×3, first 2 shown]
	s_waitcnt vmcnt(15) lgkmcnt(3)
	v_mul_f64 v[24:25], v[16:17], v[22:23]
	v_fmac_f64_e32 v[24:25], v[18:19], v[20:21]
	v_add_f64 v[28:29], v[24:25], 0
	scratch_load_dwordx4 v[24:27], off, off offset:624
	v_mul_f64 v[18:19], v[18:19], v[22:23]
	v_fma_f64 v[16:17], v[16:17], v[20:21], -v[18:19]
	v_add_f64 v[16:17], v[16:17], 0
	s_waitcnt vmcnt(0) lgkmcnt(2)
	v_mul_f64 v[30:31], v[12:13], v[26:27]
	v_fmac_f64_e32 v[30:31], v[14:15], v[24:25]
	v_add_f64 v[32:33], v[28:29], v[30:31]
	scratch_load_dwordx4 v[28:31], off, off offset:640
	v_mul_f64 v[14:15], v[14:15], v[26:27]
	v_fma_f64 v[12:13], v[12:13], v[24:25], -v[14:15]
	v_add_f64 v[12:13], v[16:17], v[12:13]
	s_waitcnt vmcnt(0) lgkmcnt(1)
	v_mul_f64 v[34:35], v[8:9], v[30:31]
	v_fmac_f64_e32 v[34:35], v[10:11], v[28:29]
	v_add_f64 v[36:37], v[32:33], v[34:35]
	scratch_load_dwordx4 v[32:35], off, off offset:656
	v_mul_f64 v[10:11], v[10:11], v[30:31]
	v_fma_f64 v[8:9], v[8:9], v[28:29], -v[10:11]
	v_add_f64 v[8:9], v[12:13], v[8:9]
	s_waitcnt vmcnt(0) lgkmcnt(0)
	v_mul_f64 v[38:39], v[4:5], v[34:35]
	v_fmac_f64_e32 v[38:39], v[6:7], v[32:33]
	v_add_f64 v[44:45], v[36:37], v[38:39]
	ds_read_b128 v[36:39], v2 offset:1552
	v_mul_f64 v[6:7], v[6:7], v[34:35]
	v_fma_f64 v[4:5], v[4:5], v[32:33], -v[6:7]
	v_add_f64 v[4:5], v[8:9], v[4:5]
	s_waitcnt lgkmcnt(0)
	v_mul_f64 v[46:47], v[36:37], v[42:43]
	v_fmac_f64_e32 v[46:47], v[38:39], v[40:41]
	v_add_f64 v[52:53], v[44:45], v[46:47]
	ds_read_b128 v[44:47], v2 offset:1568
	v_mul_f64 v[6:7], v[38:39], v[42:43]
	v_fma_f64 v[6:7], v[36:37], v[40:41], -v[6:7]
	v_add_f64 v[4:5], v[4:5], v[6:7]
	s_waitcnt lgkmcnt(0)
	v_mul_f64 v[54:55], v[44:45], v[50:51]
	v_fmac_f64_e32 v[54:55], v[46:47], v[48:49]
	v_add_f64 v[60:61], v[52:53], v[54:55]
	ds_read_b128 v[52:55], v2 offset:1584
	v_mul_f64 v[6:7], v[46:47], v[50:51]
	v_fma_f64 v[6:7], v[44:45], v[48:49], -v[6:7]
	v_add_f64 v[4:5], v[4:5], v[6:7]
	s_waitcnt lgkmcnt(0)
	v_mul_f64 v[62:63], v[52:53], v[58:59]
	v_fmac_f64_e32 v[62:63], v[54:55], v[56:57]
	v_add_f64 v[68:69], v[60:61], v[62:63]
	ds_read_b128 v[60:63], v2 offset:1600
	v_mul_f64 v[6:7], v[54:55], v[58:59]
	v_fma_f64 v[6:7], v[52:53], v[56:57], -v[6:7]
	v_add_f64 v[4:5], v[4:5], v[6:7]
	s_waitcnt lgkmcnt(0)
	v_mul_f64 v[70:71], v[60:61], v[66:67]
	v_fmac_f64_e32 v[70:71], v[62:63], v[64:65]
	v_add_f64 v[76:77], v[68:69], v[70:71]
	ds_read_b128 v[68:71], v2 offset:1616
	v_mul_f64 v[6:7], v[62:63], v[66:67]
	v_fma_f64 v[6:7], v[60:61], v[64:65], -v[6:7]
	v_add_f64 v[4:5], v[4:5], v[6:7]
	s_waitcnt lgkmcnt(0)
	v_mul_f64 v[78:79], v[68:69], v[74:75]
	v_fmac_f64_e32 v[78:79], v[70:71], v[72:73]
	v_add_f64 v[84:85], v[76:77], v[78:79]
	ds_read_b128 v[76:79], v2 offset:1632
	v_mul_f64 v[6:7], v[70:71], v[74:75]
	v_fma_f64 v[6:7], v[68:69], v[72:73], -v[6:7]
	v_add_f64 v[4:5], v[4:5], v[6:7]
	s_waitcnt lgkmcnt(0)
	v_mul_f64 v[86:87], v[76:77], v[82:83]
	v_fmac_f64_e32 v[86:87], v[78:79], v[80:81]
	v_add_f64 v[88:89], v[84:85], v[86:87]
	ds_read_b128 v[84:87], v2 offset:1648
	v_mul_f64 v[6:7], v[78:79], v[82:83]
	v_fma_f64 v[6:7], v[76:77], v[80:81], -v[6:7]
	v_add_f64 v[4:5], v[4:5], v[6:7]
	s_waitcnt lgkmcnt(0)
	v_mul_f64 v[94:95], v[84:85], v[92:93]
	v_fmac_f64_e32 v[94:95], v[86:87], v[90:91]
	v_add_f64 v[88:89], v[88:89], v[94:95]
	ds_read_b128 v[94:97], v2 offset:1664
	v_mul_f64 v[6:7], v[86:87], v[92:93]
	v_fma_f64 v[6:7], v[84:85], v[90:91], -v[6:7]
	v_add_f64 v[4:5], v[4:5], v[6:7]
	s_waitcnt lgkmcnt(0)
	v_mul_f64 v[102:103], v[94:95], v[100:101]
	v_fmac_f64_e32 v[102:103], v[96:97], v[98:99]
	v_add_f64 v[88:89], v[88:89], v[102:103]
	ds_read_b128 v[102:105], v2 offset:1680
	v_mul_f64 v[6:7], v[96:97], v[100:101]
	v_fma_f64 v[6:7], v[94:95], v[98:99], -v[6:7]
	v_add_f64 v[4:5], v[4:5], v[6:7]
	s_waitcnt lgkmcnt(0)
	v_mul_f64 v[110:111], v[102:103], v[108:109]
	v_fmac_f64_e32 v[110:111], v[104:105], v[106:107]
	v_add_f64 v[88:89], v[88:89], v[110:111]
	ds_read_b128 v[110:113], v2 offset:1696
	v_mul_f64 v[6:7], v[104:105], v[108:109]
	v_fma_f64 v[6:7], v[102:103], v[106:107], -v[6:7]
	v_add_f64 v[4:5], v[4:5], v[6:7]
	s_waitcnt lgkmcnt(0)
	v_mul_f64 v[118:119], v[110:111], v[116:117]
	v_fmac_f64_e32 v[118:119], v[112:113], v[114:115]
	v_add_f64 v[88:89], v[88:89], v[118:119]
	ds_read_b128 v[118:121], v2 offset:1712
	v_mul_f64 v[6:7], v[112:113], v[116:117]
	v_fma_f64 v[6:7], v[110:111], v[114:115], -v[6:7]
	v_add_f64 v[4:5], v[4:5], v[6:7]
	s_waitcnt lgkmcnt(0)
	v_mul_f64 v[126:127], v[118:119], v[124:125]
	v_fmac_f64_e32 v[126:127], v[120:121], v[122:123]
	v_add_f64 v[88:89], v[88:89], v[126:127]
	ds_read_b128 v[126:129], v2 offset:1728
	v_mul_f64 v[6:7], v[120:121], v[124:125]
	v_fma_f64 v[6:7], v[118:119], v[122:123], -v[6:7]
	v_add_f64 v[4:5], v[4:5], v[6:7]
	s_waitcnt lgkmcnt(0)
	v_mul_f64 v[134:135], v[126:127], v[132:133]
	v_fmac_f64_e32 v[134:135], v[128:129], v[130:131]
	v_add_f64 v[88:89], v[88:89], v[134:135]
	ds_read_b128 v[134:137], v2 offset:1744
	v_mul_f64 v[6:7], v[128:129], v[132:133]
	v_fma_f64 v[6:7], v[126:127], v[130:131], -v[6:7]
	v_add_f64 v[4:5], v[4:5], v[6:7]
	s_waitcnt lgkmcnt(0)
	v_mul_f64 v[142:143], v[134:135], v[140:141]
	v_fmac_f64_e32 v[142:143], v[136:137], v[138:139]
	v_add_f64 v[88:89], v[88:89], v[142:143]
	ds_read_b128 v[142:145], v2 offset:1760
	v_mul_f64 v[6:7], v[136:137], v[140:141]
	v_fma_f64 v[6:7], v[134:135], v[138:139], -v[6:7]
	v_add_f64 v[4:5], v[4:5], v[6:7]
	s_waitcnt lgkmcnt(0)
	v_mul_f64 v[150:151], v[142:143], v[148:149]
	v_fmac_f64_e32 v[150:151], v[144:145], v[146:147]
	v_add_f64 v[88:89], v[88:89], v[150:151]
	ds_read_b128 v[150:153], v2 offset:1776
	v_mul_f64 v[6:7], v[144:145], v[148:149]
	v_fma_f64 v[6:7], v[142:143], v[146:147], -v[6:7]
	v_add_f64 v[4:5], v[4:5], v[6:7]
	s_waitcnt lgkmcnt(0)
	v_mul_f64 v[6:7], v[152:153], v[156:157]
	v_fma_f64 v[6:7], v[150:151], v[154:155], -v[6:7]
	v_add_f64 v[8:9], v[4:5], v[6:7]
	scratch_load_dwordx4 v[4:7], off, off offset:592
	v_mul_f64 v[158:159], v[150:151], v[156:157]
	v_fmac_f64_e32 v[158:159], v[152:153], v[154:155]
	v_add_f64 v[88:89], v[88:89], v[158:159]
	s_waitcnt vmcnt(0)
	v_add_f64 v[4:5], v[4:5], -v[8:9]
	v_add_f64 v[6:7], v[6:7], -v[88:89]
	scratch_store_dwordx4 off, v[4:7], off offset:592
	s_and_saveexec_b64 s[0:1], vcc
	s_cbranch_execz .LBB119_279
; %bb.278:
	scratch_load_dwordx4 v[6:9], off, s37
	v_mov_b32_e32 v3, v2
	v_mov_b32_e32 v4, v2
	;; [unrolled: 1-line block ×3, first 2 shown]
	v_accvgpr_read_b32 v0, a113
	scratch_store_dwordx4 off, v[2:5], off offset:576
	s_waitcnt vmcnt(1)
	ds_write_b128 v0, v[6:9]
.LBB119_279:
	s_or_b64 exec, exec, s[0:1]
	s_waitcnt lgkmcnt(0)
	; wave barrier
	ds_read_b128 v[16:19], v2 offset:1472
	ds_read_b128 v[12:15], v2 offset:1488
	;; [unrolled: 1-line block ×4, first 2 shown]
	scratch_load_dwordx4 v[20:23], off, off offset:592
	scratch_load_dwordx4 v[40:43], off, off offset:656
	;; [unrolled: 1-line block ×14, first 2 shown]
	v_cmp_lt_u32_e32 vcc, 34, v240
	scratch_load_dwordx4 v[48:51], off, off offset:672
	scratch_load_dwordx4 v[56:59], off, off offset:688
	;; [unrolled: 1-line block ×3, first 2 shown]
	s_waitcnt vmcnt(16) lgkmcnt(3)
	v_mul_f64 v[24:25], v[16:17], v[22:23]
	v_fmac_f64_e32 v[24:25], v[18:19], v[20:21]
	v_add_f64 v[28:29], v[24:25], 0
	scratch_load_dwordx4 v[24:27], off, off offset:608
	s_waitcnt vmcnt(0) lgkmcnt(2)
	v_mul_f64 v[30:31], v[12:13], v[26:27]
	v_fmac_f64_e32 v[30:31], v[14:15], v[24:25]
	v_add_f64 v[32:33], v[28:29], v[30:31]
	scratch_load_dwordx4 v[28:31], off, off offset:624
	v_mul_f64 v[14:15], v[14:15], v[26:27]
	v_fma_f64 v[12:13], v[12:13], v[24:25], -v[14:15]
	s_waitcnt vmcnt(0) lgkmcnt(1)
	v_mul_f64 v[34:35], v[8:9], v[30:31]
	v_fmac_f64_e32 v[34:35], v[10:11], v[28:29]
	v_add_f64 v[36:37], v[32:33], v[34:35]
	scratch_load_dwordx4 v[32:35], off, off offset:640
	v_mul_f64 v[10:11], v[10:11], v[30:31]
	v_fma_f64 v[8:9], v[8:9], v[28:29], -v[10:11]
	s_waitcnt vmcnt(0) lgkmcnt(0)
	v_mul_f64 v[38:39], v[4:5], v[34:35]
	v_fmac_f64_e32 v[38:39], v[6:7], v[32:33]
	v_add_f64 v[44:45], v[36:37], v[38:39]
	ds_read_b128 v[36:39], v2 offset:1536
	v_mul_f64 v[6:7], v[6:7], v[34:35]
	v_fma_f64 v[4:5], v[4:5], v[32:33], -v[6:7]
	s_waitcnt lgkmcnt(0)
	v_mul_f64 v[46:47], v[36:37], v[42:43]
	v_fmac_f64_e32 v[46:47], v[38:39], v[40:41]
	v_add_f64 v[52:53], v[44:45], v[46:47]
	ds_read_b128 v[44:47], v2 offset:1552
	s_waitcnt lgkmcnt(0)
	v_mul_f64 v[54:55], v[44:45], v[50:51]
	v_fmac_f64_e32 v[54:55], v[46:47], v[48:49]
	v_add_f64 v[60:61], v[52:53], v[54:55]
	ds_read_b128 v[52:55], v2 offset:1568
	;; [unrolled: 5-line block ×15, first 2 shown]
	s_waitcnt lgkmcnt(0)
	v_mul_f64 v[2:3], v[158:159], v[164:165]
	v_fmac_f64_e32 v[2:3], v[160:161], v[162:163]
	v_add_f64 v[96:97], v[96:97], v[2:3]
	v_mul_f64 v[2:3], v[18:19], v[22:23]
	v_fma_f64 v[2:3], v[16:17], v[20:21], -v[2:3]
	v_add_f64 v[2:3], v[2:3], 0
	v_add_f64 v[2:3], v[2:3], v[12:13]
	;; [unrolled: 1-line block ×4, first 2 shown]
	v_mul_f64 v[4:5], v[38:39], v[42:43]
	v_fma_f64 v[4:5], v[36:37], v[40:41], -v[4:5]
	v_add_f64 v[2:3], v[2:3], v[4:5]
	v_mul_f64 v[4:5], v[46:47], v[50:51]
	v_fma_f64 v[4:5], v[44:45], v[48:49], -v[4:5]
	v_add_f64 v[2:3], v[2:3], v[4:5]
	;; [unrolled: 3-line block ×16, first 2 shown]
	scratch_load_dwordx4 v[2:5], off, off offset:576
	s_waitcnt vmcnt(0)
	v_add_f64 v[2:3], v[2:3], -v[6:7]
	v_add_f64 v[4:5], v[4:5], -v[96:97]
	scratch_store_dwordx4 off, v[2:5], off offset:576
	s_and_saveexec_b64 s[0:1], vcc
	s_cbranch_execz .LBB119_281
; %bb.280:
	scratch_load_dwordx4 v[2:5], off, s38
	v_mov_b32_e32 v6, 0
	v_mov_b32_e32 v7, v6
	;; [unrolled: 1-line block ×4, first 2 shown]
	v_accvgpr_read_b32 v0, a113
	scratch_store_dwordx4 off, v[6:9], off offset:560
	s_waitcnt vmcnt(1)
	ds_write_b128 v0, v[2:5]
.LBB119_281:
	s_or_b64 exec, exec, s[0:1]
	v_mov_b32_e32 v2, 0
	s_waitcnt lgkmcnt(0)
	; wave barrier
	ds_read_b128 v[16:19], v2 offset:1456
	ds_read_b128 v[12:15], v2 offset:1472
	;; [unrolled: 1-line block ×4, first 2 shown]
	scratch_load_dwordx4 v[20:23], off, off offset:576
	scratch_load_dwordx4 v[40:43], off, off offset:640
	scratch_load_dwordx4 v[72:75], off, off offset:704
	scratch_load_dwordx4 v[80:83], off, off offset:720
	scratch_load_dwordx4 v[88:91], off, off offset:736
	scratch_load_dwordx4 v[96:99], off, off offset:752
	scratch_load_dwordx4 v[106:109], off, off offset:768
	scratch_load_dwordx4 v[114:117], off, off offset:784
	scratch_load_dwordx4 v[122:125], off, off offset:800
	scratch_load_dwordx4 v[130:133], off, off offset:816
	scratch_load_dwordx4 v[138:141], off, off offset:832
	scratch_load_dwordx4 v[146:149], off, off offset:848
	scratch_load_dwordx4 v[154:157], off, off offset:864
	scratch_load_dwordx4 v[162:165], off, off offset:880
	scratch_load_dwordx4 v[170:173], off, off offset:896
	v_cmp_lt_u32_e32 vcc, 33, v240
	scratch_load_dwordx4 v[48:51], off, off offset:656
	scratch_load_dwordx4 v[56:59], off, off offset:672
	;; [unrolled: 1-line block ×3, first 2 shown]
	s_waitcnt vmcnt(17) lgkmcnt(3)
	v_mul_f64 v[24:25], v[16:17], v[22:23]
	v_fmac_f64_e32 v[24:25], v[18:19], v[20:21]
	v_add_f64 v[28:29], v[24:25], 0
	scratch_load_dwordx4 v[24:27], off, off offset:592
	v_mul_f64 v[18:19], v[18:19], v[22:23]
	v_fma_f64 v[16:17], v[16:17], v[20:21], -v[18:19]
	v_add_f64 v[16:17], v[16:17], 0
	s_waitcnt vmcnt(0) lgkmcnt(2)
	v_mul_f64 v[30:31], v[12:13], v[26:27]
	v_fmac_f64_e32 v[30:31], v[14:15], v[24:25]
	v_add_f64 v[32:33], v[28:29], v[30:31]
	scratch_load_dwordx4 v[28:31], off, off offset:608
	v_mul_f64 v[14:15], v[14:15], v[26:27]
	v_fma_f64 v[12:13], v[12:13], v[24:25], -v[14:15]
	v_add_f64 v[12:13], v[16:17], v[12:13]
	;; [unrolled: 8-line block ×3, first 2 shown]
	s_waitcnt vmcnt(0) lgkmcnt(0)
	v_mul_f64 v[38:39], v[4:5], v[34:35]
	v_fmac_f64_e32 v[38:39], v[6:7], v[32:33]
	v_add_f64 v[44:45], v[36:37], v[38:39]
	ds_read_b128 v[36:39], v2 offset:1520
	v_mul_f64 v[6:7], v[6:7], v[34:35]
	v_fma_f64 v[4:5], v[4:5], v[32:33], -v[6:7]
	v_add_f64 v[4:5], v[8:9], v[4:5]
	s_waitcnt lgkmcnt(0)
	v_mul_f64 v[46:47], v[36:37], v[42:43]
	v_fmac_f64_e32 v[46:47], v[38:39], v[40:41]
	v_add_f64 v[52:53], v[44:45], v[46:47]
	ds_read_b128 v[44:47], v2 offset:1536
	v_mul_f64 v[6:7], v[38:39], v[42:43]
	v_fma_f64 v[6:7], v[36:37], v[40:41], -v[6:7]
	v_add_f64 v[4:5], v[4:5], v[6:7]
	s_waitcnt lgkmcnt(0)
	;; [unrolled: 8-line block ×17, first 2 shown]
	v_mul_f64 v[6:7], v[168:169], v[172:173]
	v_fma_f64 v[6:7], v[166:167], v[170:171], -v[6:7]
	v_add_f64 v[8:9], v[4:5], v[6:7]
	scratch_load_dwordx4 v[4:7], off, off offset:560
	v_mul_f64 v[174:175], v[166:167], v[172:173]
	v_fmac_f64_e32 v[174:175], v[168:169], v[170:171]
	v_add_f64 v[104:105], v[104:105], v[174:175]
	s_waitcnt vmcnt(0)
	v_add_f64 v[4:5], v[4:5], -v[8:9]
	v_add_f64 v[6:7], v[6:7], -v[104:105]
	scratch_store_dwordx4 off, v[4:7], off offset:560
	s_and_saveexec_b64 s[0:1], vcc
	s_cbranch_execz .LBB119_283
; %bb.282:
	scratch_load_dwordx4 v[6:9], off, s39
	v_mov_b32_e32 v3, v2
	v_mov_b32_e32 v4, v2
	;; [unrolled: 1-line block ×3, first 2 shown]
	v_accvgpr_read_b32 v0, a113
	scratch_store_dwordx4 off, v[2:5], off offset:544
	s_waitcnt vmcnt(1)
	ds_write_b128 v0, v[6:9]
.LBB119_283:
	s_or_b64 exec, exec, s[0:1]
	s_waitcnt lgkmcnt(0)
	; wave barrier
	ds_read_b128 v[16:19], v2 offset:1440
	ds_read_b128 v[12:15], v2 offset:1456
	;; [unrolled: 1-line block ×4, first 2 shown]
	scratch_load_dwordx4 v[20:23], off, off offset:560
	scratch_load_dwordx4 v[40:43], off, off offset:624
	;; [unrolled: 1-line block ×16, first 2 shown]
	v_cmp_lt_u32_e32 vcc, 32, v240
	scratch_load_dwordx4 v[48:51], off, off offset:640
	scratch_load_dwordx4 v[56:59], off, off offset:656
	;; [unrolled: 1-line block ×3, first 2 shown]
	s_waitcnt vmcnt(18) lgkmcnt(3)
	v_mul_f64 v[24:25], v[16:17], v[22:23]
	v_fmac_f64_e32 v[24:25], v[18:19], v[20:21]
	v_add_f64 v[28:29], v[24:25], 0
	scratch_load_dwordx4 v[24:27], off, off offset:576
	s_waitcnt vmcnt(0) lgkmcnt(2)
	v_mul_f64 v[30:31], v[12:13], v[26:27]
	v_fmac_f64_e32 v[30:31], v[14:15], v[24:25]
	v_add_f64 v[32:33], v[28:29], v[30:31]
	scratch_load_dwordx4 v[28:31], off, off offset:592
	v_mul_f64 v[14:15], v[14:15], v[26:27]
	v_fma_f64 v[12:13], v[12:13], v[24:25], -v[14:15]
	s_waitcnt vmcnt(0) lgkmcnt(1)
	v_mul_f64 v[34:35], v[8:9], v[30:31]
	v_fmac_f64_e32 v[34:35], v[10:11], v[28:29]
	v_add_f64 v[36:37], v[32:33], v[34:35]
	scratch_load_dwordx4 v[32:35], off, off offset:608
	v_mul_f64 v[10:11], v[10:11], v[30:31]
	v_fma_f64 v[8:9], v[8:9], v[28:29], -v[10:11]
	s_waitcnt vmcnt(0) lgkmcnt(0)
	v_mul_f64 v[38:39], v[4:5], v[34:35]
	v_fmac_f64_e32 v[38:39], v[6:7], v[32:33]
	v_add_f64 v[44:45], v[36:37], v[38:39]
	ds_read_b128 v[36:39], v2 offset:1504
	v_mul_f64 v[6:7], v[6:7], v[34:35]
	v_fma_f64 v[4:5], v[4:5], v[32:33], -v[6:7]
	s_waitcnt lgkmcnt(0)
	v_mul_f64 v[46:47], v[36:37], v[42:43]
	v_fmac_f64_e32 v[46:47], v[38:39], v[40:41]
	v_add_f64 v[52:53], v[44:45], v[46:47]
	ds_read_b128 v[44:47], v2 offset:1520
	s_waitcnt lgkmcnt(0)
	v_mul_f64 v[54:55], v[44:45], v[50:51]
	v_fmac_f64_e32 v[54:55], v[46:47], v[48:49]
	v_add_f64 v[60:61], v[52:53], v[54:55]
	ds_read_b128 v[52:55], v2 offset:1536
	s_waitcnt lgkmcnt(0)
	v_mul_f64 v[62:63], v[52:53], v[58:59]
	v_fmac_f64_e32 v[62:63], v[54:55], v[56:57]
	v_add_f64 v[68:69], v[60:61], v[62:63]
	ds_read_b128 v[60:63], v2 offset:1552
	s_waitcnt lgkmcnt(0)
	v_mul_f64 v[70:71], v[60:61], v[66:67]
	v_fmac_f64_e32 v[70:71], v[62:63], v[64:65]
	v_add_f64 v[76:77], v[68:69], v[70:71]
	ds_read_b128 v[68:71], v2 offset:1568
	s_waitcnt lgkmcnt(0)
	v_mul_f64 v[78:79], v[68:69], v[74:75]
	v_fmac_f64_e32 v[78:79], v[70:71], v[72:73]
	v_add_f64 v[84:85], v[76:77], v[78:79]
	ds_read_b128 v[76:79], v2 offset:1584
	s_waitcnt lgkmcnt(0)
	v_mul_f64 v[86:87], v[76:77], v[82:83]
	v_fmac_f64_e32 v[86:87], v[78:79], v[80:81]
	v_add_f64 v[92:93], v[84:85], v[86:87]
	ds_read_b128 v[84:87], v2 offset:1600
	s_waitcnt lgkmcnt(0)
	v_mul_f64 v[94:95], v[84:85], v[90:91]
	v_fmac_f64_e32 v[94:95], v[86:87], v[88:89]
	v_add_f64 v[100:101], v[92:93], v[94:95]
	ds_read_b128 v[92:95], v2 offset:1616
	s_waitcnt lgkmcnt(0)
	v_mul_f64 v[102:103], v[92:93], v[98:99]
	v_fmac_f64_e32 v[102:103], v[94:95], v[96:97]
	v_add_f64 v[108:109], v[100:101], v[102:103]
	ds_read_b128 v[100:103], v2 offset:1632
	s_waitcnt lgkmcnt(0)
	v_mul_f64 v[110:111], v[100:101], v[106:107]
	v_fmac_f64_e32 v[110:111], v[102:103], v[104:105]
	v_add_f64 v[116:117], v[108:109], v[110:111]
	ds_read_b128 v[108:111], v2 offset:1648
	s_waitcnt lgkmcnt(0)
	v_mul_f64 v[118:119], v[108:109], v[114:115]
	v_fmac_f64_e32 v[118:119], v[110:111], v[112:113]
	v_add_f64 v[120:121], v[116:117], v[118:119]
	ds_read_b128 v[116:119], v2 offset:1664
	s_waitcnt lgkmcnt(0)
	v_mul_f64 v[126:127], v[116:117], v[124:125]
	v_fmac_f64_e32 v[126:127], v[118:119], v[122:123]
	v_add_f64 v[120:121], v[120:121], v[126:127]
	ds_read_b128 v[126:129], v2 offset:1680
	s_waitcnt lgkmcnt(0)
	v_mul_f64 v[134:135], v[126:127], v[132:133]
	v_fmac_f64_e32 v[134:135], v[128:129], v[130:131]
	v_add_f64 v[120:121], v[120:121], v[134:135]
	ds_read_b128 v[134:137], v2 offset:1696
	s_waitcnt lgkmcnt(0)
	v_mul_f64 v[142:143], v[134:135], v[140:141]
	v_fmac_f64_e32 v[142:143], v[136:137], v[138:139]
	v_add_f64 v[120:121], v[120:121], v[142:143]
	ds_read_b128 v[142:145], v2 offset:1712
	s_waitcnt lgkmcnt(0)
	v_mul_f64 v[150:151], v[142:143], v[148:149]
	v_fmac_f64_e32 v[150:151], v[144:145], v[146:147]
	v_add_f64 v[120:121], v[120:121], v[150:151]
	ds_read_b128 v[150:153], v2 offset:1728
	s_waitcnt lgkmcnt(0)
	v_mul_f64 v[158:159], v[150:151], v[156:157]
	v_fmac_f64_e32 v[158:159], v[152:153], v[154:155]
	v_add_f64 v[120:121], v[120:121], v[158:159]
	ds_read_b128 v[158:161], v2 offset:1744
	s_waitcnt lgkmcnt(0)
	v_mul_f64 v[166:167], v[158:159], v[164:165]
	v_fmac_f64_e32 v[166:167], v[160:161], v[162:163]
	v_add_f64 v[120:121], v[120:121], v[166:167]
	ds_read_b128 v[166:169], v2 offset:1760
	s_waitcnt lgkmcnt(0)
	v_mul_f64 v[174:175], v[166:167], v[172:173]
	v_fmac_f64_e32 v[174:175], v[168:169], v[170:171]
	v_add_f64 v[120:121], v[120:121], v[174:175]
	ds_read_b128 v[174:177], v2 offset:1776
	s_waitcnt lgkmcnt(0)
	v_mul_f64 v[2:3], v[174:175], v[180:181]
	v_fmac_f64_e32 v[2:3], v[176:177], v[178:179]
	v_add_f64 v[120:121], v[120:121], v[2:3]
	v_mul_f64 v[2:3], v[18:19], v[22:23]
	v_fma_f64 v[2:3], v[16:17], v[20:21], -v[2:3]
	v_add_f64 v[2:3], v[2:3], 0
	v_add_f64 v[2:3], v[2:3], v[12:13]
	;; [unrolled: 1-line block ×4, first 2 shown]
	v_mul_f64 v[4:5], v[38:39], v[42:43]
	v_fma_f64 v[4:5], v[36:37], v[40:41], -v[4:5]
	v_add_f64 v[2:3], v[2:3], v[4:5]
	v_mul_f64 v[4:5], v[46:47], v[50:51]
	v_fma_f64 v[4:5], v[44:45], v[48:49], -v[4:5]
	v_add_f64 v[2:3], v[2:3], v[4:5]
	;; [unrolled: 3-line block ×18, first 2 shown]
	scratch_load_dwordx4 v[2:5], off, off offset:544
	s_waitcnt vmcnt(0)
	v_add_f64 v[2:3], v[2:3], -v[6:7]
	v_add_f64 v[4:5], v[4:5], -v[120:121]
	scratch_store_dwordx4 off, v[2:5], off offset:544
	s_and_saveexec_b64 s[0:1], vcc
	s_cbranch_execz .LBB119_285
; %bb.284:
	scratch_load_dwordx4 v[2:5], off, s40
	v_mov_b32_e32 v6, 0
	v_mov_b32_e32 v7, v6
	;; [unrolled: 1-line block ×4, first 2 shown]
	v_accvgpr_read_b32 v0, a113
	scratch_store_dwordx4 off, v[6:9], off offset:528
	s_waitcnt vmcnt(1)
	ds_write_b128 v0, v[2:5]
.LBB119_285:
	s_or_b64 exec, exec, s[0:1]
	v_mov_b32_e32 v2, 0
	s_waitcnt lgkmcnt(0)
	; wave barrier
	ds_read_b128 v[16:19], v2 offset:1424
	ds_read_b128 v[12:15], v2 offset:1440
	;; [unrolled: 1-line block ×4, first 2 shown]
	scratch_load_dwordx4 v[20:23], off, off offset:544
	scratch_load_dwordx4 v[40:43], off, off offset:608
	;; [unrolled: 1-line block ×17, first 2 shown]
	v_cmp_lt_u32_e32 vcc, 31, v240
	scratch_load_dwordx4 v[48:51], off, off offset:624
	scratch_load_dwordx4 v[56:59], off, off offset:640
	;; [unrolled: 1-line block ×3, first 2 shown]
	s_waitcnt vmcnt(19) lgkmcnt(3)
	v_mul_f64 v[24:25], v[16:17], v[22:23]
	v_fmac_f64_e32 v[24:25], v[18:19], v[20:21]
	v_add_f64 v[28:29], v[24:25], 0
	scratch_load_dwordx4 v[24:27], off, off offset:560
	v_mul_f64 v[18:19], v[18:19], v[22:23]
	v_fma_f64 v[16:17], v[16:17], v[20:21], -v[18:19]
	v_add_f64 v[16:17], v[16:17], 0
	s_waitcnt vmcnt(0) lgkmcnt(2)
	v_mul_f64 v[30:31], v[12:13], v[26:27]
	v_fmac_f64_e32 v[30:31], v[14:15], v[24:25]
	v_add_f64 v[32:33], v[28:29], v[30:31]
	scratch_load_dwordx4 v[28:31], off, off offset:576
	v_mul_f64 v[14:15], v[14:15], v[26:27]
	v_fma_f64 v[12:13], v[12:13], v[24:25], -v[14:15]
	v_add_f64 v[12:13], v[16:17], v[12:13]
	;; [unrolled: 8-line block ×3, first 2 shown]
	s_waitcnt vmcnt(0) lgkmcnt(0)
	v_mul_f64 v[38:39], v[4:5], v[34:35]
	v_fmac_f64_e32 v[38:39], v[6:7], v[32:33]
	v_add_f64 v[44:45], v[36:37], v[38:39]
	ds_read_b128 v[36:39], v2 offset:1488
	v_mul_f64 v[6:7], v[6:7], v[34:35]
	v_fma_f64 v[4:5], v[4:5], v[32:33], -v[6:7]
	v_add_f64 v[4:5], v[8:9], v[4:5]
	s_waitcnt lgkmcnt(0)
	v_mul_f64 v[46:47], v[36:37], v[42:43]
	v_fmac_f64_e32 v[46:47], v[38:39], v[40:41]
	v_add_f64 v[52:53], v[44:45], v[46:47]
	ds_read_b128 v[44:47], v2 offset:1504
	v_mul_f64 v[6:7], v[38:39], v[42:43]
	v_fma_f64 v[6:7], v[36:37], v[40:41], -v[6:7]
	v_add_f64 v[4:5], v[4:5], v[6:7]
	s_waitcnt lgkmcnt(0)
	;; [unrolled: 8-line block ×19, first 2 shown]
	v_mul_f64 v[6:7], v[184:185], v[188:189]
	v_fma_f64 v[6:7], v[182:183], v[186:187], -v[6:7]
	v_add_f64 v[8:9], v[4:5], v[6:7]
	scratch_load_dwordx4 v[4:7], off, off offset:528
	v_mul_f64 v[190:191], v[182:183], v[188:189]
	v_fmac_f64_e32 v[190:191], v[184:185], v[186:187]
	v_add_f64 v[128:129], v[128:129], v[190:191]
	s_waitcnt vmcnt(0)
	v_add_f64 v[4:5], v[4:5], -v[8:9]
	v_add_f64 v[6:7], v[6:7], -v[128:129]
	scratch_store_dwordx4 off, v[4:7], off offset:528
	s_and_saveexec_b64 s[0:1], vcc
	s_cbranch_execz .LBB119_287
; %bb.286:
	scratch_load_dwordx4 v[6:9], off, s41
	v_mov_b32_e32 v3, v2
	v_mov_b32_e32 v4, v2
	;; [unrolled: 1-line block ×3, first 2 shown]
	v_accvgpr_read_b32 v0, a113
	scratch_store_dwordx4 off, v[2:5], off offset:512
	s_waitcnt vmcnt(1)
	ds_write_b128 v0, v[6:9]
.LBB119_287:
	s_or_b64 exec, exec, s[0:1]
	s_waitcnt lgkmcnt(0)
	; wave barrier
	ds_read_b128 v[16:19], v2 offset:1408
	ds_read_b128 v[12:15], v2 offset:1424
	;; [unrolled: 1-line block ×4, first 2 shown]
	scratch_load_dwordx4 v[20:23], off, off offset:528
	scratch_load_dwordx4 v[40:43], off, off offset:592
	;; [unrolled: 1-line block ×18, first 2 shown]
	v_cmp_lt_u32_e32 vcc, 30, v240
	scratch_load_dwordx4 v[48:51], off, off offset:608
	scratch_load_dwordx4 v[56:59], off, off offset:624
	scratch_load_dwordx4 v[64:67], off, off offset:640
	s_waitcnt vmcnt(20) lgkmcnt(3)
	v_mul_f64 v[24:25], v[16:17], v[22:23]
	v_fmac_f64_e32 v[24:25], v[18:19], v[20:21]
	v_add_f64 v[28:29], v[24:25], 0
	scratch_load_dwordx4 v[24:27], off, off offset:544
	s_waitcnt vmcnt(0) lgkmcnt(2)
	v_mul_f64 v[30:31], v[12:13], v[26:27]
	v_fmac_f64_e32 v[30:31], v[14:15], v[24:25]
	v_add_f64 v[32:33], v[28:29], v[30:31]
	scratch_load_dwordx4 v[28:31], off, off offset:560
	v_mul_f64 v[14:15], v[14:15], v[26:27]
	v_fma_f64 v[12:13], v[12:13], v[24:25], -v[14:15]
	s_waitcnt vmcnt(0) lgkmcnt(1)
	v_mul_f64 v[34:35], v[8:9], v[30:31]
	v_fmac_f64_e32 v[34:35], v[10:11], v[28:29]
	v_add_f64 v[36:37], v[32:33], v[34:35]
	scratch_load_dwordx4 v[32:35], off, off offset:576
	v_mul_f64 v[10:11], v[10:11], v[30:31]
	v_fma_f64 v[8:9], v[8:9], v[28:29], -v[10:11]
	s_waitcnt vmcnt(0) lgkmcnt(0)
	v_mul_f64 v[38:39], v[4:5], v[34:35]
	v_fmac_f64_e32 v[38:39], v[6:7], v[32:33]
	v_add_f64 v[44:45], v[36:37], v[38:39]
	ds_read_b128 v[36:39], v2 offset:1472
	v_mul_f64 v[6:7], v[6:7], v[34:35]
	v_fma_f64 v[4:5], v[4:5], v[32:33], -v[6:7]
	s_waitcnt lgkmcnt(0)
	v_mul_f64 v[46:47], v[36:37], v[42:43]
	v_fmac_f64_e32 v[46:47], v[38:39], v[40:41]
	v_add_f64 v[52:53], v[44:45], v[46:47]
	ds_read_b128 v[44:47], v2 offset:1488
	s_waitcnt lgkmcnt(0)
	v_mul_f64 v[54:55], v[44:45], v[50:51]
	v_fmac_f64_e32 v[54:55], v[46:47], v[48:49]
	v_add_f64 v[60:61], v[52:53], v[54:55]
	ds_read_b128 v[52:55], v2 offset:1504
	s_waitcnt lgkmcnt(0)
	v_mul_f64 v[62:63], v[52:53], v[58:59]
	v_fmac_f64_e32 v[62:63], v[54:55], v[56:57]
	v_add_f64 v[68:69], v[60:61], v[62:63]
	ds_read_b128 v[60:63], v2 offset:1520
	s_waitcnt lgkmcnt(0)
	v_mul_f64 v[70:71], v[60:61], v[66:67]
	v_fmac_f64_e32 v[70:71], v[62:63], v[64:65]
	v_add_f64 v[76:77], v[68:69], v[70:71]
	ds_read_b128 v[68:71], v2 offset:1536
	s_waitcnt lgkmcnt(0)
	v_mul_f64 v[78:79], v[68:69], v[74:75]
	v_fmac_f64_e32 v[78:79], v[70:71], v[72:73]
	v_add_f64 v[84:85], v[76:77], v[78:79]
	ds_read_b128 v[76:79], v2 offset:1552
	s_waitcnt lgkmcnt(0)
	v_mul_f64 v[86:87], v[76:77], v[82:83]
	v_fmac_f64_e32 v[86:87], v[78:79], v[80:81]
	v_add_f64 v[92:93], v[84:85], v[86:87]
	ds_read_b128 v[84:87], v2 offset:1568
	s_waitcnt lgkmcnt(0)
	v_mul_f64 v[94:95], v[84:85], v[90:91]
	v_fmac_f64_e32 v[94:95], v[86:87], v[88:89]
	v_add_f64 v[100:101], v[92:93], v[94:95]
	ds_read_b128 v[92:95], v2 offset:1584
	s_waitcnt lgkmcnt(0)
	v_mul_f64 v[102:103], v[92:93], v[98:99]
	v_fmac_f64_e32 v[102:103], v[94:95], v[96:97]
	v_add_f64 v[108:109], v[100:101], v[102:103]
	ds_read_b128 v[100:103], v2 offset:1600
	s_waitcnt lgkmcnt(0)
	v_mul_f64 v[110:111], v[100:101], v[106:107]
	v_fmac_f64_e32 v[110:111], v[102:103], v[104:105]
	v_add_f64 v[116:117], v[108:109], v[110:111]
	ds_read_b128 v[108:111], v2 offset:1616
	s_waitcnt lgkmcnt(0)
	v_mul_f64 v[118:119], v[108:109], v[114:115]
	v_fmac_f64_e32 v[118:119], v[110:111], v[112:113]
	v_add_f64 v[124:125], v[116:117], v[118:119]
	ds_read_b128 v[116:119], v2 offset:1632
	s_waitcnt lgkmcnt(0)
	v_mul_f64 v[126:127], v[116:117], v[122:123]
	v_fmac_f64_e32 v[126:127], v[118:119], v[120:121]
	v_add_f64 v[132:133], v[124:125], v[126:127]
	ds_read_b128 v[124:127], v2 offset:1648
	s_waitcnt lgkmcnt(0)
	v_mul_f64 v[134:135], v[124:125], v[130:131]
	v_fmac_f64_e32 v[134:135], v[126:127], v[128:129]
	v_add_f64 v[140:141], v[132:133], v[134:135]
	ds_read_b128 v[132:135], v2 offset:1664
	s_waitcnt lgkmcnt(0)
	v_mul_f64 v[142:143], v[132:133], v[138:139]
	v_fmac_f64_e32 v[142:143], v[134:135], v[136:137]
	v_add_f64 v[148:149], v[140:141], v[142:143]
	ds_read_b128 v[140:143], v2 offset:1680
	s_waitcnt lgkmcnt(0)
	v_mul_f64 v[150:151], v[140:141], v[146:147]
	v_fmac_f64_e32 v[150:151], v[142:143], v[144:145]
	v_add_f64 v[148:149], v[148:149], v[150:151]
	ds_read_b128 v[150:153], v2 offset:1696
	s_waitcnt lgkmcnt(0)
	v_mul_f64 v[158:159], v[150:151], v[156:157]
	v_fmac_f64_e32 v[158:159], v[152:153], v[154:155]
	v_add_f64 v[148:149], v[148:149], v[158:159]
	ds_read_b128 v[158:161], v2 offset:1712
	s_waitcnt lgkmcnt(0)
	v_mul_f64 v[166:167], v[158:159], v[164:165]
	v_fmac_f64_e32 v[166:167], v[160:161], v[162:163]
	v_add_f64 v[148:149], v[148:149], v[166:167]
	ds_read_b128 v[166:169], v2 offset:1728
	s_waitcnt lgkmcnt(0)
	v_mul_f64 v[174:175], v[166:167], v[172:173]
	v_fmac_f64_e32 v[174:175], v[168:169], v[170:171]
	v_add_f64 v[148:149], v[148:149], v[174:175]
	ds_read_b128 v[174:177], v2 offset:1744
	s_waitcnt lgkmcnt(0)
	v_mul_f64 v[182:183], v[174:175], v[180:181]
	v_fmac_f64_e32 v[182:183], v[176:177], v[178:179]
	v_add_f64 v[148:149], v[148:149], v[182:183]
	ds_read_b128 v[182:185], v2 offset:1760
	s_waitcnt lgkmcnt(0)
	v_mul_f64 v[190:191], v[182:183], v[188:189]
	v_fmac_f64_e32 v[190:191], v[184:185], v[186:187]
	v_add_f64 v[148:149], v[148:149], v[190:191]
	ds_read_b128 v[190:193], v2 offset:1776
	s_waitcnt lgkmcnt(0)
	v_mul_f64 v[2:3], v[190:191], v[196:197]
	v_fmac_f64_e32 v[2:3], v[192:193], v[194:195]
	v_add_f64 v[148:149], v[148:149], v[2:3]
	v_mul_f64 v[2:3], v[18:19], v[22:23]
	v_fma_f64 v[2:3], v[16:17], v[20:21], -v[2:3]
	v_add_f64 v[2:3], v[2:3], 0
	v_add_f64 v[2:3], v[2:3], v[12:13]
	;; [unrolled: 1-line block ×4, first 2 shown]
	v_mul_f64 v[4:5], v[38:39], v[42:43]
	v_fma_f64 v[4:5], v[36:37], v[40:41], -v[4:5]
	v_add_f64 v[2:3], v[2:3], v[4:5]
	v_mul_f64 v[4:5], v[46:47], v[50:51]
	v_fma_f64 v[4:5], v[44:45], v[48:49], -v[4:5]
	v_add_f64 v[2:3], v[2:3], v[4:5]
	;; [unrolled: 3-line block ×20, first 2 shown]
	scratch_load_dwordx4 v[2:5], off, off offset:512
	s_waitcnt vmcnt(0)
	v_add_f64 v[2:3], v[2:3], -v[6:7]
	v_add_f64 v[4:5], v[4:5], -v[148:149]
	scratch_store_dwordx4 off, v[2:5], off offset:512
	s_and_saveexec_b64 s[0:1], vcc
	s_cbranch_execz .LBB119_289
; %bb.288:
	scratch_load_dwordx4 v[2:5], off, s42
	v_mov_b32_e32 v6, 0
	v_mov_b32_e32 v7, v6
	;; [unrolled: 1-line block ×4, first 2 shown]
	v_accvgpr_read_b32 v0, a113
	scratch_store_dwordx4 off, v[6:9], off offset:496
	s_waitcnt vmcnt(1)
	ds_write_b128 v0, v[2:5]
.LBB119_289:
	s_or_b64 exec, exec, s[0:1]
	v_mov_b32_e32 v2, 0
	s_waitcnt lgkmcnt(0)
	; wave barrier
	ds_read_b128 v[16:19], v2 offset:1392
	ds_read_b128 v[12:15], v2 offset:1408
	;; [unrolled: 1-line block ×4, first 2 shown]
	scratch_load_dwordx4 v[20:23], off, off offset:512
	scratch_load_dwordx4 v[40:43], off, off offset:576
	;; [unrolled: 1-line block ×19, first 2 shown]
	v_cmp_lt_u32_e32 vcc, 29, v240
	scratch_load_dwordx4 v[48:51], off, off offset:592
	scratch_load_dwordx4 v[56:59], off, off offset:608
	;; [unrolled: 1-line block ×3, first 2 shown]
	s_waitcnt vmcnt(21) lgkmcnt(3)
	v_mul_f64 v[24:25], v[16:17], v[22:23]
	v_fmac_f64_e32 v[24:25], v[18:19], v[20:21]
	v_add_f64 v[28:29], v[24:25], 0
	scratch_load_dwordx4 v[24:27], off, off offset:528
	v_mul_f64 v[18:19], v[18:19], v[22:23]
	v_fma_f64 v[16:17], v[16:17], v[20:21], -v[18:19]
	v_add_f64 v[16:17], v[16:17], 0
	s_waitcnt vmcnt(0) lgkmcnt(2)
	v_mul_f64 v[30:31], v[12:13], v[26:27]
	v_fmac_f64_e32 v[30:31], v[14:15], v[24:25]
	v_add_f64 v[32:33], v[28:29], v[30:31]
	scratch_load_dwordx4 v[28:31], off, off offset:544
	v_mul_f64 v[14:15], v[14:15], v[26:27]
	v_fma_f64 v[12:13], v[12:13], v[24:25], -v[14:15]
	v_add_f64 v[12:13], v[16:17], v[12:13]
	;; [unrolled: 8-line block ×3, first 2 shown]
	s_waitcnt vmcnt(0) lgkmcnt(0)
	v_mul_f64 v[38:39], v[4:5], v[34:35]
	v_fmac_f64_e32 v[38:39], v[6:7], v[32:33]
	v_add_f64 v[44:45], v[36:37], v[38:39]
	ds_read_b128 v[36:39], v2 offset:1456
	v_mul_f64 v[6:7], v[6:7], v[34:35]
	v_fma_f64 v[4:5], v[4:5], v[32:33], -v[6:7]
	v_add_f64 v[4:5], v[8:9], v[4:5]
	s_waitcnt lgkmcnt(0)
	v_mul_f64 v[46:47], v[36:37], v[42:43]
	v_fmac_f64_e32 v[46:47], v[38:39], v[40:41]
	v_add_f64 v[52:53], v[44:45], v[46:47]
	ds_read_b128 v[44:47], v2 offset:1472
	v_mul_f64 v[6:7], v[38:39], v[42:43]
	v_fma_f64 v[6:7], v[36:37], v[40:41], -v[6:7]
	v_add_f64 v[4:5], v[4:5], v[6:7]
	s_waitcnt lgkmcnt(0)
	;; [unrolled: 8-line block ×21, first 2 shown]
	v_mul_f64 v[6:7], v[200:201], v[204:205]
	v_fma_f64 v[6:7], v[198:199], v[202:203], -v[6:7]
	v_add_f64 v[8:9], v[4:5], v[6:7]
	scratch_load_dwordx4 v[4:7], off, off offset:496
	v_mul_f64 v[206:207], v[198:199], v[204:205]
	v_fmac_f64_e32 v[206:207], v[200:201], v[202:203]
	v_add_f64 v[144:145], v[144:145], v[206:207]
	s_waitcnt vmcnt(0)
	v_add_f64 v[4:5], v[4:5], -v[8:9]
	v_add_f64 v[6:7], v[6:7], -v[144:145]
	scratch_store_dwordx4 off, v[4:7], off offset:496
	s_and_saveexec_b64 s[0:1], vcc
	s_cbranch_execz .LBB119_291
; %bb.290:
	scratch_load_dwordx4 v[6:9], off, s43
	v_mov_b32_e32 v3, v2
	v_mov_b32_e32 v4, v2
	v_mov_b32_e32 v5, v2
	v_accvgpr_read_b32 v0, a113
	scratch_store_dwordx4 off, v[2:5], off offset:480
	s_waitcnt vmcnt(1)
	ds_write_b128 v0, v[6:9]
.LBB119_291:
	s_or_b64 exec, exec, s[0:1]
	s_waitcnt lgkmcnt(0)
	; wave barrier
	ds_read_b128 v[16:19], v2 offset:1376
	ds_read_b128 v[12:15], v2 offset:1392
	ds_read_b128 v[8:11], v2 offset:1408
	ds_read_b128 v[4:7], v2 offset:1424
	scratch_load_dwordx4 v[20:23], off, off offset:496
	scratch_load_dwordx4 v[40:43], off, off offset:560
	scratch_load_dwordx4 v[72:75], off, off offset:624
	scratch_load_dwordx4 v[80:83], off, off offset:640
	scratch_load_dwordx4 v[88:91], off, off offset:656
	scratch_load_dwordx4 v[96:99], off, off offset:672
	scratch_load_dwordx4 v[104:107], off, off offset:688
	scratch_load_dwordx4 v[112:115], off, off offset:704
	scratch_load_dwordx4 v[120:123], off, off offset:720
	scratch_load_dwordx4 v[128:131], off, off offset:736
	scratch_load_dwordx4 v[136:139], off, off offset:752
	scratch_load_dwordx4 v[144:147], off, off offset:768
	scratch_load_dwordx4 v[152:155], off, off offset:784
	scratch_load_dwordx4 v[160:163], off, off offset:800
	scratch_load_dwordx4 v[170:173], off, off offset:816
	scratch_load_dwordx4 v[178:181], off, off offset:832
	scratch_load_dwordx4 v[186:189], off, off offset:848
	scratch_load_dwordx4 v[194:197], off, off offset:864
	scratch_load_dwordx4 v[202:205], off, off offset:880
	scratch_load_dwordx4 v[210:213], off, off offset:896
	v_cmp_lt_u32_e32 vcc, 28, v240
	scratch_load_dwordx4 v[48:51], off, off offset:576
	scratch_load_dwordx4 v[56:59], off, off offset:592
	;; [unrolled: 1-line block ×3, first 2 shown]
	s_waitcnt vmcnt(22) lgkmcnt(3)
	v_mul_f64 v[24:25], v[16:17], v[22:23]
	v_fmac_f64_e32 v[24:25], v[18:19], v[20:21]
	v_add_f64 v[28:29], v[24:25], 0
	scratch_load_dwordx4 v[24:27], off, off offset:512
	s_waitcnt vmcnt(0) lgkmcnt(2)
	v_mul_f64 v[30:31], v[12:13], v[26:27]
	v_fmac_f64_e32 v[30:31], v[14:15], v[24:25]
	v_add_f64 v[32:33], v[28:29], v[30:31]
	scratch_load_dwordx4 v[28:31], off, off offset:528
	v_mul_f64 v[14:15], v[14:15], v[26:27]
	v_fma_f64 v[12:13], v[12:13], v[24:25], -v[14:15]
	s_waitcnt vmcnt(0) lgkmcnt(1)
	v_mul_f64 v[34:35], v[8:9], v[30:31]
	v_fmac_f64_e32 v[34:35], v[10:11], v[28:29]
	v_add_f64 v[36:37], v[32:33], v[34:35]
	scratch_load_dwordx4 v[32:35], off, off offset:544
	v_mul_f64 v[10:11], v[10:11], v[30:31]
	v_fma_f64 v[8:9], v[8:9], v[28:29], -v[10:11]
	s_waitcnt vmcnt(0) lgkmcnt(0)
	v_mul_f64 v[38:39], v[4:5], v[34:35]
	v_fmac_f64_e32 v[38:39], v[6:7], v[32:33]
	v_add_f64 v[44:45], v[36:37], v[38:39]
	ds_read_b128 v[36:39], v2 offset:1440
	v_mul_f64 v[6:7], v[6:7], v[34:35]
	v_fma_f64 v[4:5], v[4:5], v[32:33], -v[6:7]
	s_waitcnt lgkmcnt(0)
	v_mul_f64 v[46:47], v[36:37], v[42:43]
	v_fmac_f64_e32 v[46:47], v[38:39], v[40:41]
	v_add_f64 v[52:53], v[44:45], v[46:47]
	ds_read_b128 v[44:47], v2 offset:1456
	s_waitcnt lgkmcnt(0)
	v_mul_f64 v[54:55], v[44:45], v[50:51]
	v_fmac_f64_e32 v[54:55], v[46:47], v[48:49]
	v_add_f64 v[60:61], v[52:53], v[54:55]
	ds_read_b128 v[52:55], v2 offset:1472
	;; [unrolled: 5-line block ×21, first 2 shown]
	s_waitcnt lgkmcnt(0)
	v_mul_f64 v[2:3], v[206:207], v[212:213]
	v_fmac_f64_e32 v[2:3], v[208:209], v[210:211]
	v_add_f64 v[168:169], v[168:169], v[2:3]
	v_mul_f64 v[2:3], v[18:19], v[22:23]
	v_fma_f64 v[2:3], v[16:17], v[20:21], -v[2:3]
	v_add_f64 v[2:3], v[2:3], 0
	v_add_f64 v[2:3], v[2:3], v[12:13]
	v_add_f64 v[2:3], v[2:3], v[8:9]
	v_add_f64 v[2:3], v[2:3], v[4:5]
	v_mul_f64 v[4:5], v[38:39], v[42:43]
	v_fma_f64 v[4:5], v[36:37], v[40:41], -v[4:5]
	v_add_f64 v[2:3], v[2:3], v[4:5]
	v_mul_f64 v[4:5], v[46:47], v[50:51]
	v_fma_f64 v[4:5], v[44:45], v[48:49], -v[4:5]
	v_add_f64 v[2:3], v[2:3], v[4:5]
	;; [unrolled: 3-line block ×22, first 2 shown]
	scratch_load_dwordx4 v[2:5], off, off offset:480
	s_waitcnt vmcnt(0)
	v_add_f64 v[2:3], v[2:3], -v[6:7]
	v_add_f64 v[4:5], v[4:5], -v[168:169]
	scratch_store_dwordx4 off, v[2:5], off offset:480
	s_and_saveexec_b64 s[0:1], vcc
	s_cbranch_execz .LBB119_293
; %bb.292:
	scratch_load_dwordx4 v[2:5], off, s44
	v_mov_b32_e32 v6, 0
	v_mov_b32_e32 v7, v6
	;; [unrolled: 1-line block ×4, first 2 shown]
	v_accvgpr_read_b32 v0, a113
	scratch_store_dwordx4 off, v[6:9], off offset:464
	s_waitcnt vmcnt(1)
	ds_write_b128 v0, v[2:5]
.LBB119_293:
	s_or_b64 exec, exec, s[0:1]
	v_mov_b32_e32 v2, 0
	s_waitcnt lgkmcnt(0)
	; wave barrier
	ds_read_b128 v[16:19], v2 offset:1360
	ds_read_b128 v[12:15], v2 offset:1376
	;; [unrolled: 1-line block ×4, first 2 shown]
	scratch_load_dwordx4 v[20:23], off, off offset:480
	scratch_load_dwordx4 v[40:43], off, off offset:544
	;; [unrolled: 1-line block ×21, first 2 shown]
	v_cmp_lt_u32_e32 vcc, 27, v240
	scratch_load_dwordx4 v[48:51], off, off offset:560
	scratch_load_dwordx4 v[56:59], off, off offset:576
	;; [unrolled: 1-line block ×3, first 2 shown]
	s_waitcnt vmcnt(23) lgkmcnt(3)
	v_mul_f64 v[24:25], v[16:17], v[22:23]
	v_fmac_f64_e32 v[24:25], v[18:19], v[20:21]
	v_add_f64 v[28:29], v[24:25], 0
	scratch_load_dwordx4 v[24:27], off, off offset:496
	v_mul_f64 v[18:19], v[18:19], v[22:23]
	v_fma_f64 v[16:17], v[16:17], v[20:21], -v[18:19]
	v_add_f64 v[16:17], v[16:17], 0
	s_waitcnt vmcnt(0) lgkmcnt(2)
	v_mul_f64 v[30:31], v[12:13], v[26:27]
	v_fmac_f64_e32 v[30:31], v[14:15], v[24:25]
	v_add_f64 v[32:33], v[28:29], v[30:31]
	scratch_load_dwordx4 v[28:31], off, off offset:512
	v_mul_f64 v[14:15], v[14:15], v[26:27]
	v_fma_f64 v[12:13], v[12:13], v[24:25], -v[14:15]
	v_add_f64 v[12:13], v[16:17], v[12:13]
	;; [unrolled: 8-line block ×3, first 2 shown]
	s_waitcnt vmcnt(0) lgkmcnt(0)
	v_mul_f64 v[38:39], v[4:5], v[34:35]
	v_fmac_f64_e32 v[38:39], v[6:7], v[32:33]
	v_add_f64 v[44:45], v[36:37], v[38:39]
	ds_read_b128 v[36:39], v2 offset:1424
	v_mul_f64 v[6:7], v[6:7], v[34:35]
	v_fma_f64 v[4:5], v[4:5], v[32:33], -v[6:7]
	v_add_f64 v[4:5], v[8:9], v[4:5]
	s_waitcnt lgkmcnt(0)
	v_mul_f64 v[46:47], v[36:37], v[42:43]
	v_fmac_f64_e32 v[46:47], v[38:39], v[40:41]
	v_add_f64 v[52:53], v[44:45], v[46:47]
	ds_read_b128 v[44:47], v2 offset:1440
	v_mul_f64 v[6:7], v[38:39], v[42:43]
	v_fma_f64 v[6:7], v[36:37], v[40:41], -v[6:7]
	v_add_f64 v[4:5], v[4:5], v[6:7]
	s_waitcnt lgkmcnt(0)
	;; [unrolled: 8-line block ×23, first 2 shown]
	v_mul_f64 v[6:7], v[216:217], v[220:221]
	v_fma_f64 v[6:7], v[214:215], v[218:219], -v[6:7]
	v_add_f64 v[8:9], v[4:5], v[6:7]
	scratch_load_dwordx4 v[4:7], off, off offset:464
	v_mul_f64 v[222:223], v[214:215], v[220:221]
	v_fmac_f64_e32 v[222:223], v[216:217], v[218:219]
	v_add_f64 v[160:161], v[160:161], v[222:223]
	s_waitcnt vmcnt(0)
	v_add_f64 v[4:5], v[4:5], -v[8:9]
	v_add_f64 v[6:7], v[6:7], -v[160:161]
	scratch_store_dwordx4 off, v[4:7], off offset:464
	s_and_saveexec_b64 s[0:1], vcc
	s_cbranch_execz .LBB119_295
; %bb.294:
	scratch_load_dwordx4 v[6:9], off, s45
	v_mov_b32_e32 v3, v2
	v_mov_b32_e32 v4, v2
	;; [unrolled: 1-line block ×3, first 2 shown]
	v_accvgpr_read_b32 v0, a113
	scratch_store_dwordx4 off, v[2:5], off offset:448
	s_waitcnt vmcnt(1)
	ds_write_b128 v0, v[6:9]
.LBB119_295:
	s_or_b64 exec, exec, s[0:1]
	s_waitcnt lgkmcnt(0)
	; wave barrier
	ds_read_b128 v[16:19], v2 offset:1344
	ds_read_b128 v[12:15], v2 offset:1360
	;; [unrolled: 1-line block ×4, first 2 shown]
	scratch_load_dwordx4 v[20:23], off, off offset:464
	scratch_load_dwordx4 v[40:43], off, off offset:528
	;; [unrolled: 1-line block ×22, first 2 shown]
	v_cmp_lt_u32_e32 vcc, 26, v240
	scratch_load_dwordx4 v[48:51], off, off offset:544
	scratch_load_dwordx4 v[56:59], off, off offset:560
	scratch_load_dwordx4 v[64:67], off, off offset:576
	s_waitcnt vmcnt(24) lgkmcnt(3)
	v_mul_f64 v[24:25], v[16:17], v[22:23]
	v_fmac_f64_e32 v[24:25], v[18:19], v[20:21]
	v_add_f64 v[28:29], v[24:25], 0
	scratch_load_dwordx4 v[24:27], off, off offset:480
	s_waitcnt vmcnt(0) lgkmcnt(2)
	v_mul_f64 v[30:31], v[12:13], v[26:27]
	v_fmac_f64_e32 v[30:31], v[14:15], v[24:25]
	v_add_f64 v[32:33], v[28:29], v[30:31]
	scratch_load_dwordx4 v[28:31], off, off offset:496
	v_mul_f64 v[14:15], v[14:15], v[26:27]
	v_fma_f64 v[12:13], v[12:13], v[24:25], -v[14:15]
	s_waitcnt vmcnt(0) lgkmcnt(1)
	v_mul_f64 v[34:35], v[8:9], v[30:31]
	v_fmac_f64_e32 v[34:35], v[10:11], v[28:29]
	v_add_f64 v[36:37], v[32:33], v[34:35]
	scratch_load_dwordx4 v[32:35], off, off offset:512
	v_mul_f64 v[10:11], v[10:11], v[30:31]
	v_fma_f64 v[8:9], v[8:9], v[28:29], -v[10:11]
	s_waitcnt vmcnt(0) lgkmcnt(0)
	v_mul_f64 v[38:39], v[4:5], v[34:35]
	v_fmac_f64_e32 v[38:39], v[6:7], v[32:33]
	v_add_f64 v[44:45], v[36:37], v[38:39]
	ds_read_b128 v[36:39], v2 offset:1408
	v_mul_f64 v[6:7], v[6:7], v[34:35]
	v_fma_f64 v[4:5], v[4:5], v[32:33], -v[6:7]
	s_waitcnt lgkmcnt(0)
	v_mul_f64 v[46:47], v[36:37], v[42:43]
	v_fmac_f64_e32 v[46:47], v[38:39], v[40:41]
	v_add_f64 v[52:53], v[44:45], v[46:47]
	ds_read_b128 v[44:47], v2 offset:1424
	s_waitcnt lgkmcnt(0)
	v_mul_f64 v[54:55], v[44:45], v[50:51]
	v_fmac_f64_e32 v[54:55], v[46:47], v[48:49]
	v_add_f64 v[60:61], v[52:53], v[54:55]
	ds_read_b128 v[52:55], v2 offset:1440
	;; [unrolled: 5-line block ×23, first 2 shown]
	s_waitcnt lgkmcnt(0)
	v_mul_f64 v[2:3], v[222:223], v[228:229]
	v_fmac_f64_e32 v[2:3], v[224:225], v[226:227]
	v_add_f64 v[176:177], v[176:177], v[2:3]
	v_mul_f64 v[2:3], v[18:19], v[22:23]
	v_fma_f64 v[2:3], v[16:17], v[20:21], -v[2:3]
	v_add_f64 v[2:3], v[2:3], 0
	v_add_f64 v[2:3], v[2:3], v[12:13]
	;; [unrolled: 1-line block ×4, first 2 shown]
	v_mul_f64 v[4:5], v[38:39], v[42:43]
	v_fma_f64 v[4:5], v[36:37], v[40:41], -v[4:5]
	v_add_f64 v[2:3], v[2:3], v[4:5]
	v_mul_f64 v[4:5], v[46:47], v[50:51]
	v_fma_f64 v[4:5], v[44:45], v[48:49], -v[4:5]
	v_add_f64 v[2:3], v[2:3], v[4:5]
	;; [unrolled: 3-line block ×24, first 2 shown]
	scratch_load_dwordx4 v[2:5], off, off offset:448
	s_waitcnt vmcnt(0)
	v_add_f64 v[2:3], v[2:3], -v[6:7]
	v_add_f64 v[4:5], v[4:5], -v[176:177]
	scratch_store_dwordx4 off, v[2:5], off offset:448
	s_and_saveexec_b64 s[0:1], vcc
	s_cbranch_execz .LBB119_297
; %bb.296:
	scratch_load_dwordx4 v[2:5], off, s46
	v_mov_b32_e32 v6, 0
	v_mov_b32_e32 v7, v6
	;; [unrolled: 1-line block ×4, first 2 shown]
	v_accvgpr_read_b32 v0, a113
	scratch_store_dwordx4 off, v[6:9], off offset:432
	s_waitcnt vmcnt(1)
	ds_write_b128 v0, v[2:5]
.LBB119_297:
	s_or_b64 exec, exec, s[0:1]
	v_mov_b32_e32 v2, 0
	s_waitcnt lgkmcnt(0)
	; wave barrier
	ds_read_b128 v[16:19], v2 offset:1328
	ds_read_b128 v[12:15], v2 offset:1344
	;; [unrolled: 1-line block ×4, first 2 shown]
	scratch_load_dwordx4 v[20:23], off, off offset:448
	scratch_load_dwordx4 v[40:43], off, off offset:512
	;; [unrolled: 1-line block ×23, first 2 shown]
	v_cmp_lt_u32_e32 vcc, 25, v240
	scratch_load_dwordx4 v[48:51], off, off offset:528
	scratch_load_dwordx4 v[56:59], off, off offset:544
	;; [unrolled: 1-line block ×3, first 2 shown]
	s_waitcnt vmcnt(25) lgkmcnt(3)
	v_mul_f64 v[24:25], v[16:17], v[22:23]
	v_fmac_f64_e32 v[24:25], v[18:19], v[20:21]
	v_add_f64 v[28:29], v[24:25], 0
	scratch_load_dwordx4 v[24:27], off, off offset:464
	v_mul_f64 v[18:19], v[18:19], v[22:23]
	v_fma_f64 v[16:17], v[16:17], v[20:21], -v[18:19]
	v_add_f64 v[16:17], v[16:17], 0
	s_waitcnt vmcnt(0) lgkmcnt(2)
	v_mul_f64 v[30:31], v[12:13], v[26:27]
	v_fmac_f64_e32 v[30:31], v[14:15], v[24:25]
	v_add_f64 v[32:33], v[28:29], v[30:31]
	scratch_load_dwordx4 v[28:31], off, off offset:480
	v_mul_f64 v[14:15], v[14:15], v[26:27]
	v_fma_f64 v[12:13], v[12:13], v[24:25], -v[14:15]
	v_add_f64 v[12:13], v[16:17], v[12:13]
	;; [unrolled: 8-line block ×3, first 2 shown]
	s_waitcnt vmcnt(0) lgkmcnt(0)
	v_mul_f64 v[38:39], v[4:5], v[34:35]
	v_fmac_f64_e32 v[38:39], v[6:7], v[32:33]
	v_add_f64 v[44:45], v[36:37], v[38:39]
	ds_read_b128 v[36:39], v2 offset:1392
	v_mul_f64 v[6:7], v[6:7], v[34:35]
	v_fma_f64 v[4:5], v[4:5], v[32:33], -v[6:7]
	v_add_f64 v[4:5], v[8:9], v[4:5]
	s_waitcnt lgkmcnt(0)
	v_mul_f64 v[46:47], v[36:37], v[42:43]
	v_fmac_f64_e32 v[46:47], v[38:39], v[40:41]
	v_add_f64 v[52:53], v[44:45], v[46:47]
	ds_read_b128 v[44:47], v2 offset:1408
	v_mul_f64 v[6:7], v[38:39], v[42:43]
	v_fma_f64 v[6:7], v[36:37], v[40:41], -v[6:7]
	v_add_f64 v[4:5], v[4:5], v[6:7]
	s_waitcnt lgkmcnt(0)
	;; [unrolled: 8-line block ×25, first 2 shown]
	v_mul_f64 v[6:7], v[232:233], v[236:237]
	v_fma_f64 v[6:7], v[230:231], v[234:235], -v[6:7]
	v_add_f64 v[8:9], v[4:5], v[6:7]
	scratch_load_dwordx4 v[4:7], off, off offset:432
	v_mul_f64 v[238:239], v[230:231], v[236:237]
	v_fmac_f64_e32 v[238:239], v[232:233], v[234:235]
	v_add_f64 v[176:177], v[176:177], v[238:239]
	s_waitcnt vmcnt(0)
	v_add_f64 v[4:5], v[4:5], -v[8:9]
	v_add_f64 v[6:7], v[6:7], -v[176:177]
	scratch_store_dwordx4 off, v[4:7], off offset:432
	s_and_saveexec_b64 s[0:1], vcc
	s_cbranch_execz .LBB119_299
; %bb.298:
	scratch_load_dwordx4 v[6:9], off, s47
	v_mov_b32_e32 v3, v2
	v_mov_b32_e32 v4, v2
	;; [unrolled: 1-line block ×3, first 2 shown]
	v_accvgpr_read_b32 v0, a113
	scratch_store_dwordx4 off, v[2:5], off offset:416
	s_waitcnt vmcnt(1)
	ds_write_b128 v0, v[6:9]
.LBB119_299:
	s_or_b64 exec, exec, s[0:1]
	s_waitcnt lgkmcnt(0)
	; wave barrier
	ds_read_b128 v[16:19], v2 offset:1312
	ds_read_b128 v[12:15], v2 offset:1328
	;; [unrolled: 1-line block ×4, first 2 shown]
	scratch_load_dwordx4 v[20:23], off, off offset:432
	scratch_load_dwordx4 v[40:43], off, off offset:496
	;; [unrolled: 1-line block ×24, first 2 shown]
	v_cmp_lt_u32_e32 vcc, 24, v240
	scratch_load_dwordx4 v[48:51], off, off offset:512
	scratch_load_dwordx4 v[56:59], off, off offset:528
	scratch_load_dwordx4 v[64:67], off, off offset:544
	ds_read_b128 v[242:245], v2 offset:1776
	s_waitcnt vmcnt(26) lgkmcnt(4)
	v_mul_f64 v[24:25], v[16:17], v[22:23]
	v_fmac_f64_e32 v[24:25], v[18:19], v[20:21]
	v_add_f64 v[28:29], v[24:25], 0
	scratch_load_dwordx4 v[24:27], off, off offset:448
	s_waitcnt vmcnt(0) lgkmcnt(3)
	v_mul_f64 v[30:31], v[12:13], v[26:27]
	v_fmac_f64_e32 v[30:31], v[14:15], v[24:25]
	v_add_f64 v[32:33], v[28:29], v[30:31]
	scratch_load_dwordx4 v[28:31], off, off offset:464
	v_mul_f64 v[14:15], v[14:15], v[26:27]
	v_fma_f64 v[12:13], v[12:13], v[24:25], -v[14:15]
	s_waitcnt vmcnt(0) lgkmcnt(2)
	v_mul_f64 v[34:35], v[8:9], v[30:31]
	v_fmac_f64_e32 v[34:35], v[10:11], v[28:29]
	v_add_f64 v[36:37], v[32:33], v[34:35]
	scratch_load_dwordx4 v[32:35], off, off offset:480
	v_mul_f64 v[10:11], v[10:11], v[30:31]
	v_fma_f64 v[8:9], v[8:9], v[28:29], -v[10:11]
	s_waitcnt vmcnt(0) lgkmcnt(1)
	v_mul_f64 v[38:39], v[4:5], v[34:35]
	v_fmac_f64_e32 v[38:39], v[6:7], v[32:33]
	v_add_f64 v[44:45], v[36:37], v[38:39]
	ds_read_b128 v[36:39], v2 offset:1376
	v_mul_f64 v[6:7], v[6:7], v[34:35]
	v_fma_f64 v[4:5], v[4:5], v[32:33], -v[6:7]
	s_waitcnt lgkmcnt(0)
	v_mul_f64 v[46:47], v[36:37], v[42:43]
	v_fmac_f64_e32 v[46:47], v[38:39], v[40:41]
	v_add_f64 v[52:53], v[44:45], v[46:47]
	ds_read_b128 v[44:47], v2 offset:1392
	s_waitcnt lgkmcnt(0)
	v_mul_f64 v[54:55], v[44:45], v[50:51]
	v_fmac_f64_e32 v[54:55], v[46:47], v[48:49]
	v_add_f64 v[60:61], v[52:53], v[54:55]
	ds_read_b128 v[52:55], v2 offset:1408
	;; [unrolled: 5-line block ×24, first 2 shown]
	v_mul_f64 v[2:3], v[242:243], v[248:249]
	v_fmac_f64_e32 v[2:3], v[244:245], v[246:247]
	s_waitcnt lgkmcnt(0)
	v_mul_f64 v[238:239], v[230:231], v[236:237]
	v_fmac_f64_e32 v[238:239], v[232:233], v[234:235]
	v_add_f64 v[184:185], v[184:185], v[238:239]
	v_add_f64 v[184:185], v[184:185], v[2:3]
	v_mul_f64 v[2:3], v[18:19], v[22:23]
	v_fma_f64 v[2:3], v[16:17], v[20:21], -v[2:3]
	v_add_f64 v[2:3], v[2:3], 0
	v_add_f64 v[2:3], v[2:3], v[12:13]
	;; [unrolled: 1-line block ×4, first 2 shown]
	v_mul_f64 v[4:5], v[38:39], v[42:43]
	v_fma_f64 v[4:5], v[36:37], v[40:41], -v[4:5]
	v_add_f64 v[2:3], v[2:3], v[4:5]
	v_mul_f64 v[4:5], v[46:47], v[50:51]
	v_fma_f64 v[4:5], v[44:45], v[48:49], -v[4:5]
	v_add_f64 v[2:3], v[2:3], v[4:5]
	;; [unrolled: 3-line block ×26, first 2 shown]
	scratch_load_dwordx4 v[2:5], off, off offset:416
	s_waitcnt vmcnt(0)
	v_add_f64 v[2:3], v[2:3], -v[6:7]
	v_add_f64 v[4:5], v[4:5], -v[184:185]
	scratch_store_dwordx4 off, v[2:5], off offset:416
	s_and_saveexec_b64 s[0:1], vcc
	s_cbranch_execz .LBB119_301
; %bb.300:
	scratch_load_dwordx4 v[2:5], off, s48
	v_mov_b32_e32 v6, 0
	v_mov_b32_e32 v7, v6
	;; [unrolled: 1-line block ×4, first 2 shown]
	v_accvgpr_read_b32 v0, a113
	scratch_store_dwordx4 off, v[6:9], off offset:400
	s_waitcnt vmcnt(1)
	ds_write_b128 v0, v[2:5]
.LBB119_301:
	s_or_b64 exec, exec, s[0:1]
	s_waitcnt lgkmcnt(0)
	; wave barrier
	scratch_load_dwordx4 v[16:19], off, off offset:416
	scratch_load_dwordx4 v[12:15], off, off offset:432
	;; [unrolled: 1-line block ×32, first 2 shown]
	v_mov_b32_e32 v2, 0
	ds_read_b128 v[132:135], v2 offset:1296
	ds_read_b128 v[136:139], v2 offset:1312
	ds_read_b128 v[140:143], v2 offset:1328
	ds_read_b128 v[144:147], v2 offset:1344
	ds_read_b128 v[148:151], v2 offset:1360
	ds_read_b128 v[152:155], v2 offset:1376
	ds_read_b128 v[156:159], v2 offset:1392
	ds_read_b128 v[160:163], v2 offset:1408
	ds_read_b128 v[164:167], v2 offset:1424
	ds_read_b128 v[168:171], v2 offset:1440
	ds_read_b128 v[172:175], v2 offset:1456
	ds_read_b128 v[176:179], v2 offset:1472
	ds_read_b128 v[180:183], v2 offset:1488
	ds_read_b128 v[184:187], v2 offset:1504
	ds_read_b128 v[188:191], v2 offset:1520
	ds_read_b128 v[192:195], v2 offset:1536
	ds_read_b128 v[196:199], v2 offset:1552
	v_cmp_lt_u32_e32 vcc, 23, v240
	s_waitcnt vmcnt(31) lgkmcnt(14)
	v_mul_f64 v[200:201], v[132:133], v[18:19]
	s_waitcnt vmcnt(30)
	v_mul_f64 v[202:203], v[136:137], v[14:15]
	v_fmac_f64_e32 v[200:201], v[134:135], v[16:17]
	s_waitcnt vmcnt(29)
	v_mul_f64 v[204:205], v[140:141], v[10:11]
	v_fmac_f64_e32 v[202:203], v[138:139], v[12:13]
	v_add_f64 v[200:201], v[200:201], 0
	s_waitcnt vmcnt(28) lgkmcnt(13)
	v_mul_f64 v[206:207], v[144:145], v[6:7]
	v_fmac_f64_e32 v[204:205], v[142:143], v[8:9]
	v_add_f64 v[200:201], v[200:201], v[202:203]
	s_waitcnt vmcnt(27) lgkmcnt(12)
	;; [unrolled: 4-line block ×12, first 2 shown]
	v_mul_f64 v[228:229], v[188:189], v[62:63]
	v_fmac_f64_e32 v[226:227], v[186:187], v[56:57]
	v_add_f64 v[200:201], v[200:201], v[224:225]
	v_fmac_f64_e32 v[228:229], v[190:191], v[60:61]
	v_add_f64 v[200:201], v[200:201], v[226:227]
	s_waitcnt vmcnt(16) lgkmcnt(1)
	v_mul_f64 v[202:203], v[192:193], v[66:67]
	v_add_f64 v[200:201], v[200:201], v[228:229]
	v_fmac_f64_e32 v[202:203], v[194:195], v[64:65]
	s_waitcnt vmcnt(15) lgkmcnt(0)
	v_mul_f64 v[206:207], v[196:197], v[70:71]
	v_add_f64 v[204:205], v[200:201], v[202:203]
	ds_read_b128 v[200:203], v2 offset:1568
	v_fmac_f64_e32 v[206:207], v[198:199], v[68:69]
	v_add_f64 v[208:209], v[204:205], v[206:207]
	ds_read_b128 v[204:207], v2 offset:1584
	v_mul_f64 v[18:19], v[134:135], v[18:19]
	s_waitcnt vmcnt(14) lgkmcnt(1)
	v_mul_f64 v[210:211], v[200:201], v[74:75]
	v_fmac_f64_e32 v[210:211], v[202:203], v[72:73]
	v_add_f64 v[212:213], v[208:209], v[210:211]
	s_waitcnt vmcnt(13) lgkmcnt(0)
	v_mul_f64 v[214:215], v[204:205], v[78:79]
	ds_read_b128 v[208:211], v2 offset:1600
	v_fmac_f64_e32 v[214:215], v[206:207], v[76:77]
	v_add_f64 v[216:217], v[212:213], v[214:215]
	ds_read_b128 v[212:215], v2 offset:1616
	v_fma_f64 v[244:245], v[132:133], v[16:17], -v[18:19]
	s_waitcnt vmcnt(12) lgkmcnt(1)
	v_mul_f64 v[218:219], v[208:209], v[82:83]
	v_fmac_f64_e32 v[218:219], v[210:211], v[80:81]
	v_add_f64 v[220:221], v[216:217], v[218:219]
	s_waitcnt vmcnt(11) lgkmcnt(0)
	v_mul_f64 v[222:223], v[212:213], v[86:87]
	ds_read_b128 v[216:219], v2 offset:1632
	v_fmac_f64_e32 v[222:223], v[214:215], v[84:85]
	v_add_f64 v[224:225], v[220:221], v[222:223]
	ds_read_b128 v[220:223], v2 offset:1648
	ds_read_b128 v[16:19], v2 offset:1728
	s_waitcnt vmcnt(10) lgkmcnt(2)
	v_mul_f64 v[226:227], v[216:217], v[90:91]
	v_fmac_f64_e32 v[226:227], v[218:219], v[88:89]
	v_add_f64 v[228:229], v[224:225], v[226:227]
	s_waitcnt vmcnt(9) lgkmcnt(1)
	v_mul_f64 v[230:231], v[220:221], v[94:95]
	ds_read_b128 v[224:227], v2 offset:1664
	v_fmac_f64_e32 v[230:231], v[222:223], v[92:93]
	v_add_f64 v[232:233], v[228:229], v[230:231]
	ds_read_b128 v[228:231], v2 offset:1680
	v_mul_f64 v[14:15], v[138:139], v[14:15]
	s_waitcnt vmcnt(8) lgkmcnt(1)
	v_mul_f64 v[234:235], v[224:225], v[98:99]
	v_fmac_f64_e32 v[234:235], v[226:227], v[96:97]
	v_add_f64 v[236:237], v[232:233], v[234:235]
	s_waitcnt vmcnt(7) lgkmcnt(0)
	v_mul_f64 v[238:239], v[228:229], v[102:103]
	ds_read_b128 v[232:235], v2 offset:1696
	v_fmac_f64_e32 v[238:239], v[230:231], v[100:101]
	v_add_f64 v[242:243], v[236:237], v[238:239]
	ds_read_b128 v[236:239], v2 offset:1712
	v_fma_f64 v[136:137], v[136:137], v[12:13], -v[14:15]
	s_waitcnt vmcnt(6) lgkmcnt(1)
	v_mul_f64 v[132:133], v[232:233], v[106:107]
	v_fmac_f64_e32 v[132:133], v[234:235], v[104:105]
	v_add_f64 v[132:133], v[242:243], v[132:133]
	s_waitcnt vmcnt(5) lgkmcnt(0)
	v_mul_f64 v[134:135], v[236:237], v[110:111]
	v_fmac_f64_e32 v[134:135], v[238:239], v[108:109]
	v_add_f64 v[132:133], v[132:133], v[134:135]
	ds_read_b128 v[12:15], v2 offset:1744
	s_waitcnt vmcnt(4)
	v_mul_f64 v[134:135], v[16:17], v[114:115]
	v_fmac_f64_e32 v[134:135], v[18:19], v[112:113]
	v_add_f64 v[138:139], v[132:133], v[134:135]
	ds_read_b128 v[132:135], v2 offset:1760
	v_mul_f64 v[10:11], v[142:143], v[10:11]
	v_fma_f64 v[140:141], v[140:141], v[8:9], -v[10:11]
	ds_read_b128 v[8:11], v2 offset:1776
	s_waitcnt vmcnt(3) lgkmcnt(2)
	v_mul_f64 v[142:143], v[12:13], v[118:119]
	v_fmac_f64_e32 v[142:143], v[14:15], v[116:117]
	v_add_f64 v[138:139], v[138:139], v[142:143]
	s_waitcnt vmcnt(2) lgkmcnt(1)
	v_mul_f64 v[142:143], v[132:133], v[122:123]
	v_fmac_f64_e32 v[142:143], v[134:135], v[120:121]
	v_add_f64 v[138:139], v[138:139], v[142:143]
	s_waitcnt vmcnt(1) lgkmcnt(0)
	v_mul_f64 v[142:143], v[8:9], v[126:127]
	v_fmac_f64_e32 v[142:143], v[10:11], v[124:125]
	v_add_f64 v[138:139], v[138:139], v[142:143]
	v_add_f64 v[142:143], v[244:245], 0
	v_add_f64 v[136:137], v[142:143], v[136:137]
	v_mul_f64 v[6:7], v[146:147], v[6:7]
	v_add_f64 v[136:137], v[136:137], v[140:141]
	v_fma_f64 v[4:5], v[144:145], v[4:5], -v[6:7]
	v_mul_f64 v[6:7], v[150:151], v[22:23]
	v_add_f64 v[4:5], v[136:137], v[4:5]
	v_fma_f64 v[6:7], v[148:149], v[20:21], -v[6:7]
	v_add_f64 v[4:5], v[4:5], v[6:7]
	v_mul_f64 v[6:7], v[154:155], v[26:27]
	v_fma_f64 v[6:7], v[152:153], v[24:25], -v[6:7]
	v_add_f64 v[4:5], v[4:5], v[6:7]
	v_mul_f64 v[6:7], v[158:159], v[30:31]
	;; [unrolled: 3-line block ×26, first 2 shown]
	v_fma_f64 v[6:7], v[8:9], v[124:125], -v[6:7]
	v_add_f64 v[4:5], v[4:5], v[6:7]
	s_waitcnt vmcnt(0)
	v_add_f64 v[4:5], v[128:129], -v[4:5]
	v_add_f64 v[6:7], v[130:131], -v[138:139]
	scratch_store_dwordx4 off, v[4:7], off offset:400
	s_and_saveexec_b64 s[0:1], vcc
	s_cbranch_execz .LBB119_303
; %bb.302:
	scratch_load_dwordx4 v[6:9], off, s49
	v_mov_b32_e32 v3, v2
	v_mov_b32_e32 v4, v2
	;; [unrolled: 1-line block ×3, first 2 shown]
	v_accvgpr_read_b32 v0, a113
	scratch_store_dwordx4 off, v[2:5], off offset:384
	s_waitcnt vmcnt(1)
	ds_write_b128 v0, v[6:9]
.LBB119_303:
	s_or_b64 exec, exec, s[0:1]
	s_waitcnt lgkmcnt(0)
	; wave barrier
	scratch_load_dwordx4 v[140:143], off, off offset:400
	scratch_load_dwordx4 v[148:151], off, off offset:416
	;; [unrolled: 1-line block ×16, first 2 shown]
	ds_read_b128 v[188:191], v2 offset:1280
	ds_read_b128 v[184:187], v2 offset:1296
	scratch_load_dwordx4 v[56:59], off, off offset:656
	ds_read_b128 v[192:195], v2 offset:1312
	ds_read_b128 v[68:71], v2 offset:1328
	scratch_load_dwordx4 v[60:63], off, off offset:672
	ds_read_b128 v[88:91], v2 offset:1344
	ds_read_b128 v[84:87], v2 offset:1360
	;; [unrolled: 1-line block ×4, first 2 shown]
	scratch_load_dwordx4 v[64:67], off, off offset:688
	ds_read_b128 v[100:103], v2 offset:1408
	ds_read_b128 v[96:99], v2 offset:1424
	scratch_load_dwordx4 v[72:75], off, off offset:704
	ds_read_b128 v[116:119], v2 offset:1440
	ds_read_b128 v[112:115], v2 offset:1456
	;; [unrolled: 1-line block ×4, first 2 shown]
	scratch_load_dwordx4 v[92:95], off, off offset:720
	ds_read_b128 v[132:135], v2 offset:1504
	ds_read_b128 v[128:131], v2 offset:1520
	;; [unrolled: 1-line block ×3, first 2 shown]
	scratch_load_dwordx4 v[120:123], off, off offset:736
	scratch_load_dwordx4 v[136:139], off, off offset:752
	;; [unrolled: 1-line block ×11, first 2 shown]
	v_cmp_lt_u32_e32 vcc, 22, v240
	s_waitcnt vmcnt(31) lgkmcnt(14)
	v_mul_f64 v[200:201], v[188:189], v[142:143]
	s_waitcnt vmcnt(30)
	v_mul_f64 v[202:203], v[184:185], v[150:151]
	v_fmac_f64_e32 v[200:201], v[190:191], v[140:141]
	s_waitcnt vmcnt(29)
	v_mul_f64 v[204:205], v[192:193], v[154:155]
	v_fmac_f64_e32 v[202:203], v[186:187], v[148:149]
	v_add_f64 v[200:201], v[200:201], 0
	s_waitcnt vmcnt(28) lgkmcnt(13)
	v_mul_f64 v[206:207], v[68:69], v[6:7]
	v_fmac_f64_e32 v[204:205], v[194:195], v[152:153]
	v_add_f64 v[200:201], v[200:201], v[202:203]
	s_waitcnt vmcnt(27) lgkmcnt(12)
	;; [unrolled: 4-line block ×13, first 2 shown]
	v_mul_f64 v[230:231], v[128:129], v[54:55]
	v_fmac_f64_e32 v[228:229], v[134:135], v[48:49]
	v_add_f64 v[200:201], v[200:201], v[226:227]
	v_add_f64 v[200:201], v[200:201], v[228:229]
	v_fmac_f64_e32 v[230:231], v[130:131], v[52:53]
	v_add_f64 v[204:205], v[200:201], v[230:231]
	ds_read_b128 v[200:203], v2 offset:1552
	s_waitcnt vmcnt(15) lgkmcnt(1)
	v_mul_f64 v[206:207], v[124:125], v[58:59]
	v_fmac_f64_e32 v[206:207], v[126:127], v[56:57]
	v_add_f64 v[208:209], v[204:205], v[206:207]
	ds_read_b128 v[204:207], v2 offset:1568
	s_waitcnt vmcnt(14) lgkmcnt(1)
	v_mul_f64 v[210:211], v[200:201], v[62:63]
	;; [unrolled: 5-line block ×10, first 2 shown]
	v_fmac_f64_e32 v[244:245], v[234:235], v[160:161]
	v_mul_f64 v[142:143], v[190:191], v[142:143]
	v_add_f64 v[244:245], v[242:243], v[244:245]
	v_fma_f64 v[242:243], v[188:189], v[140:141], -v[142:143]
	ds_read_b128 v[140:143], v2 offset:1712
	s_waitcnt vmcnt(5) lgkmcnt(1)
	v_mul_f64 v[188:189], v[236:237], v[166:167]
	v_fmac_f64_e32 v[188:189], v[238:239], v[164:165]
	v_mul_f64 v[150:151], v[186:187], v[150:151]
	v_add_f64 v[188:189], v[244:245], v[188:189]
	v_fma_f64 v[244:245], v[184:185], v[148:149], -v[150:151]
	ds_read_b128 v[148:151], v2 offset:1728
	s_waitcnt vmcnt(4) lgkmcnt(1)
	v_mul_f64 v[184:185], v[140:141], v[170:171]
	v_fmac_f64_e32 v[184:185], v[142:143], v[168:169]
	v_add_f64 v[188:189], v[188:189], v[184:185]
	ds_read_b128 v[184:187], v2 offset:1744
	v_mul_f64 v[154:155], v[194:195], v[154:155]
	s_waitcnt vmcnt(3) lgkmcnt(1)
	v_mul_f64 v[190:191], v[148:149], v[174:175]
	v_fma_f64 v[248:249], v[192:193], v[152:153], -v[154:155]
	ds_read_b128 v[152:155], v2 offset:1760
	v_fmac_f64_e32 v[190:191], v[150:151], v[172:173]
	v_add_f64 v[246:247], v[188:189], v[190:191]
	ds_read_b128 v[188:191], v2 offset:1776
	s_waitcnt vmcnt(2) lgkmcnt(2)
	v_mul_f64 v[192:193], v[184:185], v[178:179]
	v_fmac_f64_e32 v[192:193], v[186:187], v[176:177]
	v_add_f64 v[2:3], v[246:247], v[192:193]
	s_waitcnt vmcnt(1) lgkmcnt(1)
	v_mul_f64 v[192:193], v[152:153], v[182:183]
	v_fmac_f64_e32 v[192:193], v[154:155], v[180:181]
	v_add_f64 v[2:3], v[2:3], v[192:193]
	;; [unrolled: 4-line block ×3, first 2 shown]
	scratch_load_dwordx4 v[192:195], off, off offset:384
	v_add_f64 v[242:243], v[242:243], 0
	v_add_f64 v[242:243], v[242:243], v[244:245]
	v_mul_f64 v[6:7], v[70:71], v[6:7]
	v_add_f64 v[242:243], v[242:243], v[248:249]
	v_fma_f64 v[4:5], v[68:69], v[4:5], -v[6:7]
	v_mul_f64 v[6:7], v[90:91], v[10:11]
	v_add_f64 v[4:5], v[242:243], v[4:5]
	v_fma_f64 v[6:7], v[88:89], v[8:9], -v[6:7]
	v_add_f64 v[4:5], v[4:5], v[6:7]
	v_mul_f64 v[6:7], v[86:87], v[14:15]
	v_fma_f64 v[6:7], v[84:85], v[12:13], -v[6:7]
	v_add_f64 v[4:5], v[4:5], v[6:7]
	v_mul_f64 v[6:7], v[82:83], v[18:19]
	;; [unrolled: 3-line block ×27, first 2 shown]
	v_fma_f64 v[6:7], v[188:189], v[196:197], -v[6:7]
	v_add_f64 v[4:5], v[4:5], v[6:7]
	s_waitcnt vmcnt(0)
	v_add_f64 v[4:5], v[192:193], -v[4:5]
	v_add_f64 v[6:7], v[194:195], -v[2:3]
	scratch_store_dwordx4 off, v[4:7], off offset:384
	s_and_saveexec_b64 s[0:1], vcc
	s_cbranch_execz .LBB119_305
; %bb.304:
	scratch_load_dwordx4 v[2:5], off, s50
	v_mov_b32_e32 v6, 0
	v_mov_b32_e32 v7, v6
	;; [unrolled: 1-line block ×4, first 2 shown]
	v_accvgpr_read_b32 v0, a113
	scratch_store_dwordx4 off, v[6:9], off offset:368
	s_waitcnt vmcnt(1)
	ds_write_b128 v0, v[2:5]
.LBB119_305:
	s_or_b64 exec, exec, s[0:1]
	s_waitcnt lgkmcnt(0)
	; wave barrier
	scratch_load_dwordx4 v[108:111], off, off offset:384
	scratch_load_dwordx4 v[116:119], off, off offset:400
	;; [unrolled: 1-line block ×33, first 2 shown]
	v_mov_b32_e32 v2, 0
	ds_read_b128 v[220:223], v2 offset:1264
	ds_read_b128 v[224:227], v2 offset:1280
	;; [unrolled: 1-line block ×16, first 2 shown]
	v_cmp_lt_u32_e32 vcc, 21, v240
	s_waitcnt vmcnt(32) lgkmcnt(14)
	v_mul_f64 v[180:181], v[220:221], v[110:111]
	s_waitcnt vmcnt(31)
	v_mul_f64 v[182:183], v[224:225], v[118:119]
	v_fmac_f64_e32 v[180:181], v[222:223], v[108:109]
	s_waitcnt vmcnt(30) lgkmcnt(13)
	v_mul_f64 v[184:185], v[234:235], v[122:123]
	v_fmac_f64_e32 v[182:183], v[226:227], v[116:117]
	v_add_f64 v[180:181], v[180:181], 0
	s_waitcnt vmcnt(29) lgkmcnt(12)
	v_mul_f64 v[186:187], v[242:243], v[126:127]
	v_fmac_f64_e32 v[184:185], v[236:237], v[120:121]
	v_add_f64 v[180:181], v[180:181], v[182:183]
	;; [unrolled: 4-line block ×13, first 2 shown]
	v_fmac_f64_e32 v[208:209], v[142:143], v[40:41]
	v_add_f64 v[180:181], v[180:181], v[206:207]
	v_add_f64 v[184:185], v[180:181], v[208:209]
	ds_read_b128 v[180:183], v2 offset:1520
	s_waitcnt vmcnt(17) lgkmcnt(1)
	v_mul_f64 v[186:187], v[136:137], v[46:47]
	v_fmac_f64_e32 v[186:187], v[138:139], v[44:45]
	v_add_f64 v[188:189], v[184:185], v[186:187]
	ds_read_b128 v[184:187], v2 offset:1536
	s_waitcnt vmcnt(16) lgkmcnt(1)
	v_mul_f64 v[190:191], v[180:181], v[50:51]
	v_fmac_f64_e32 v[190:191], v[182:183], v[48:49]
	;; [unrolled: 5-line block ×10, first 2 shown]
	v_mul_f64 v[110:111], v[222:223], v[110:111]
	v_add_f64 v[228:229], v[228:229], v[230:231]
	v_fma_f64 v[230:231], v[220:221], v[108:109], -v[110:111]
	ds_read_b128 v[108:111], v2 offset:1680
	s_waitcnt vmcnt(7) lgkmcnt(1)
	v_mul_f64 v[220:221], v[216:217], v[86:87]
	v_mul_f64 v[118:119], v[226:227], v[118:119]
	v_fmac_f64_e32 v[220:221], v[218:219], v[84:85]
	v_fma_f64 v[232:233], v[224:225], v[116:117], -v[118:119]
	ds_read_b128 v[116:119], v2 offset:1696
	s_waitcnt vmcnt(6) lgkmcnt(1)
	v_mul_f64 v[222:223], v[108:109], v[90:91]
	v_add_f64 v[220:221], v[228:229], v[220:221]
	v_fmac_f64_e32 v[222:223], v[110:111], v[88:89]
	v_add_f64 v[224:225], v[220:221], v[222:223]
	ds_read_b128 v[220:223], v2 offset:1712
	v_mul_f64 v[122:123], v[236:237], v[122:123]
	v_fma_f64 v[234:235], v[234:235], v[120:121], -v[122:123]
	ds_read_b128 v[120:123], v2 offset:1728
	s_waitcnt vmcnt(5) lgkmcnt(2)
	v_mul_f64 v[226:227], v[116:117], v[94:95]
	v_fmac_f64_e32 v[226:227], v[118:119], v[92:93]
	v_mul_f64 v[126:127], v[244:245], v[126:127]
	v_add_f64 v[224:225], v[224:225], v[226:227]
	s_waitcnt vmcnt(4) lgkmcnt(1)
	v_mul_f64 v[226:227], v[220:221], v[98:99]
	v_fma_f64 v[236:237], v[242:243], v[124:125], -v[126:127]
	ds_read_b128 v[124:127], v2 offset:1744
	v_fmac_f64_e32 v[226:227], v[222:223], v[96:97]
	v_add_f64 v[228:229], v[224:225], v[226:227]
	s_waitcnt vmcnt(3) lgkmcnt(1)
	v_mul_f64 v[238:239], v[120:121], v[102:103]
	ds_read_b128 v[224:227], v2 offset:1760
	v_fmac_f64_e32 v[238:239], v[122:123], v[100:101]
	v_mul_f64 v[130:131], v[248:249], v[130:131]
	v_add_f64 v[228:229], v[228:229], v[238:239]
	v_fma_f64 v[238:239], v[246:247], v[128:129], -v[130:131]
	ds_read_b128 v[128:131], v2 offset:1776
	s_waitcnt vmcnt(2) lgkmcnt(2)
	v_mul_f64 v[242:243], v[124:125], v[106:107]
	v_fmac_f64_e32 v[242:243], v[126:127], v[104:105]
	v_add_f64 v[228:229], v[228:229], v[242:243]
	s_waitcnt vmcnt(1) lgkmcnt(1)
	v_mul_f64 v[242:243], v[224:225], v[114:115]
	v_fmac_f64_e32 v[242:243], v[226:227], v[112:113]
	v_add_f64 v[228:229], v[228:229], v[242:243]
	;; [unrolled: 4-line block ×3, first 2 shown]
	scratch_load_dwordx4 v[242:245], off, off offset:368
	v_add_f64 v[230:231], v[230:231], 0
	v_add_f64 v[230:231], v[230:231], v[232:233]
	;; [unrolled: 1-line block ×4, first 2 shown]
	v_mul_f64 v[6:7], v[178:179], v[6:7]
	v_add_f64 v[230:231], v[230:231], v[238:239]
	v_fma_f64 v[4:5], v[176:177], v[4:5], -v[6:7]
	v_mul_f64 v[6:7], v[174:175], v[10:11]
	v_add_f64 v[4:5], v[230:231], v[4:5]
	v_fma_f64 v[6:7], v[172:173], v[8:9], -v[6:7]
	v_add_f64 v[4:5], v[4:5], v[6:7]
	v_mul_f64 v[6:7], v[170:171], v[14:15]
	v_fma_f64 v[6:7], v[168:169], v[12:13], -v[6:7]
	v_add_f64 v[4:5], v[4:5], v[6:7]
	v_mul_f64 v[6:7], v[166:167], v[18:19]
	;; [unrolled: 3-line block ×26, first 2 shown]
	v_fma_f64 v[6:7], v[128:129], v[132:133], -v[6:7]
	v_add_f64 v[4:5], v[4:5], v[6:7]
	s_waitcnt vmcnt(0)
	v_add_f64 v[4:5], v[242:243], -v[4:5]
	v_add_f64 v[6:7], v[244:245], -v[228:229]
	scratch_store_dwordx4 off, v[4:7], off offset:368
	s_and_saveexec_b64 s[0:1], vcc
	s_cbranch_execz .LBB119_307
; %bb.306:
	scratch_load_dwordx4 v[6:9], off, s51
	v_mov_b32_e32 v3, v2
	v_mov_b32_e32 v4, v2
	;; [unrolled: 1-line block ×3, first 2 shown]
	v_accvgpr_read_b32 v0, a113
	scratch_store_dwordx4 off, v[2:5], off offset:352
	s_waitcnt vmcnt(1)
	ds_write_b128 v0, v[6:9]
.LBB119_307:
	s_or_b64 exec, exec, s[0:1]
	s_waitcnt lgkmcnt(0)
	; wave barrier
	scratch_load_dwordx4 v[144:147], off, off offset:368
	scratch_load_dwordx4 v[152:155], off, off offset:384
	scratch_load_dwordx4 v[156:159], off, off offset:400
	scratch_load_dwordx4 v[160:163], off, off offset:416
	scratch_load_dwordx4 v[168:171], off, off offset:432
	scratch_load_dwordx4 v[4:7], off, off offset:448
	scratch_load_dwordx4 v[8:11], off, off offset:464
	scratch_load_dwordx4 v[12:15], off, off offset:480
	scratch_load_dwordx4 v[16:19], off, off offset:496
	scratch_load_dwordx4 v[20:23], off, off offset:512
	scratch_load_dwordx4 v[24:27], off, off offset:528
	scratch_load_dwordx4 v[28:31], off, off offset:544
	scratch_load_dwordx4 v[32:35], off, off offset:560
	scratch_load_dwordx4 v[36:39], off, off offset:576
	scratch_load_dwordx4 v[40:43], off, off offset:592
	scratch_load_dwordx4 v[44:47], off, off offset:608
	ds_read_b128 v[196:199], v2 offset:1248
	ds_read_b128 v[188:191], v2 offset:1264
	ds_read_b128 v[180:183], v2 offset:1280
	scratch_load_dwordx4 v[48:51], off, off offset:624
	ds_read_b128 v[192:195], v2 offset:1296
	ds_read_b128 v[184:187], v2 offset:1312
	ds_read_b128 v[64:67], v2 offset:1328
	scratch_load_dwordx4 v[52:55], off, off offset:640
	;; [unrolled: 4-line block ×5, first 2 shown]
	ds_read_b128 v[116:119], v2 offset:1488
	ds_read_b128 v[112:115], v2 offset:1504
	scratch_load_dwordx4 v[108:111], off, off offset:704
	scratch_load_dwordx4 v[120:123], off, off offset:720
	;; [unrolled: 1-line block ×12, first 2 shown]
	v_cmp_lt_u32_e32 vcc, 20, v240
	s_waitcnt vmcnt(32) lgkmcnt(14)
	v_mul_f64 v[204:205], v[196:197], v[146:147]
	s_waitcnt vmcnt(31)
	v_mul_f64 v[206:207], v[188:189], v[154:155]
	v_fmac_f64_e32 v[204:205], v[198:199], v[144:145]
	s_waitcnt vmcnt(30)
	v_mul_f64 v[208:209], v[180:181], v[158:159]
	v_fmac_f64_e32 v[206:207], v[190:191], v[152:153]
	v_add_f64 v[204:205], v[204:205], 0
	s_waitcnt vmcnt(29) lgkmcnt(13)
	v_mul_f64 v[210:211], v[192:193], v[162:163]
	v_fmac_f64_e32 v[208:209], v[182:183], v[156:157]
	v_add_f64 v[204:205], v[204:205], v[206:207]
	s_waitcnt vmcnt(28) lgkmcnt(12)
	;; [unrolled: 4-line block ×12, first 2 shown]
	v_mul_f64 v[232:233], v[96:97], v[42:43]
	v_fmac_f64_e32 v[230:231], v[102:103], v[36:37]
	v_add_f64 v[204:205], v[204:205], v[228:229]
	v_fmac_f64_e32 v[232:233], v[98:99], v[40:41]
	v_add_f64 v[204:205], v[204:205], v[230:231]
	s_waitcnt vmcnt(17) lgkmcnt(1)
	v_mul_f64 v[206:207], v[116:117], v[46:47]
	v_add_f64 v[204:205], v[204:205], v[232:233]
	v_fmac_f64_e32 v[206:207], v[118:119], v[44:45]
	s_waitcnt vmcnt(16) lgkmcnt(0)
	v_mul_f64 v[210:211], v[112:113], v[50:51]
	v_add_f64 v[208:209], v[204:205], v[206:207]
	ds_read_b128 v[204:207], v2 offset:1520
	v_fmac_f64_e32 v[210:211], v[114:115], v[48:49]
	v_add_f64 v[212:213], v[208:209], v[210:211]
	ds_read_b128 v[208:211], v2 offset:1536
	v_mul_f64 v[146:147], v[198:199], v[146:147]
	s_waitcnt vmcnt(15) lgkmcnt(1)
	v_mul_f64 v[214:215], v[204:205], v[54:55]
	v_fmac_f64_e32 v[214:215], v[206:207], v[52:53]
	v_add_f64 v[216:217], v[212:213], v[214:215]
	s_waitcnt vmcnt(14) lgkmcnt(0)
	v_mul_f64 v[218:219], v[208:209], v[58:59]
	ds_read_b128 v[212:215], v2 offset:1552
	v_fmac_f64_e32 v[218:219], v[210:211], v[56:57]
	v_add_f64 v[220:221], v[216:217], v[218:219]
	ds_read_b128 v[216:219], v2 offset:1568
	v_mul_f64 v[154:155], v[190:191], v[154:155]
	s_waitcnt vmcnt(13) lgkmcnt(1)
	v_mul_f64 v[222:223], v[212:213], v[62:63]
	v_fmac_f64_e32 v[222:223], v[214:215], v[60:61]
	v_add_f64 v[224:225], v[220:221], v[222:223]
	s_waitcnt vmcnt(12) lgkmcnt(0)
	v_mul_f64 v[226:227], v[216:217], v[94:95]
	ds_read_b128 v[220:223], v2 offset:1584
	v_fmac_f64_e32 v[226:227], v[218:219], v[92:93]
	v_add_f64 v[228:229], v[224:225], v[226:227]
	ds_read_b128 v[224:227], v2 offset:1600
	v_fma_f64 v[246:247], v[188:189], v[152:153], -v[154:155]
	s_waitcnt vmcnt(11) lgkmcnt(1)
	v_mul_f64 v[230:231], v[220:221], v[110:111]
	v_fmac_f64_e32 v[230:231], v[222:223], v[108:109]
	v_add_f64 v[232:233], v[228:229], v[230:231]
	s_waitcnt vmcnt(10) lgkmcnt(0)
	v_mul_f64 v[234:235], v[224:225], v[122:123]
	ds_read_b128 v[228:231], v2 offset:1616
	v_fmac_f64_e32 v[234:235], v[226:227], v[120:121]
	v_add_f64 v[236:237], v[232:233], v[234:235]
	ds_read_b128 v[232:235], v2 offset:1632
	ds_read_b128 v[152:155], v2 offset:1680
	s_waitcnt vmcnt(9) lgkmcnt(2)
	v_mul_f64 v[238:239], v[228:229], v[126:127]
	v_fmac_f64_e32 v[238:239], v[230:231], v[124:125]
	v_add_f64 v[242:243], v[236:237], v[238:239]
	s_waitcnt vmcnt(8) lgkmcnt(1)
	v_mul_f64 v[244:245], v[232:233], v[130:131]
	ds_read_b128 v[236:239], v2 offset:1648
	v_fmac_f64_e32 v[244:245], v[234:235], v[128:129]
	v_add_f64 v[242:243], v[242:243], v[244:245]
	v_fma_f64 v[244:245], v[196:197], v[144:145], -v[146:147]
	ds_read_b128 v[144:147], v2 offset:1664
	s_waitcnt vmcnt(7) lgkmcnt(1)
	v_mul_f64 v[196:197], v[236:237], v[134:135]
	v_fmac_f64_e32 v[196:197], v[238:239], v[132:133]
	v_add_f64 v[188:189], v[242:243], v[196:197]
	v_mul_f64 v[158:159], v[182:183], v[158:159]
	s_waitcnt vmcnt(6) lgkmcnt(0)
	v_mul_f64 v[190:191], v[144:145], v[138:139]
	v_fmac_f64_e32 v[190:191], v[146:147], v[136:137]
	v_add_f64 v[196:197], v[188:189], v[190:191]
	ds_read_b128 v[188:191], v2 offset:1696
	v_fma_f64 v[242:243], v[180:181], v[156:157], -v[158:159]
	ds_read_b128 v[156:159], v2 offset:1712
	s_waitcnt vmcnt(5)
	v_mul_f64 v[198:199], v[152:153], v[142:143]
	v_fmac_f64_e32 v[198:199], v[154:155], v[140:141]
	s_waitcnt vmcnt(4) lgkmcnt(1)
	v_mul_f64 v[180:181], v[188:189], v[150:151]
	v_add_f64 v[196:197], v[196:197], v[198:199]
	v_fmac_f64_e32 v[180:181], v[190:191], v[148:149]
	v_mul_f64 v[162:163], v[194:195], v[162:163]
	v_add_f64 v[198:199], v[196:197], v[180:181]
	v_fma_f64 v[196:197], v[192:193], v[160:161], -v[162:163]
	ds_read_b128 v[160:163], v2 offset:1728
	s_waitcnt vmcnt(3) lgkmcnt(1)
	v_mul_f64 v[192:193], v[156:157], v[166:167]
	ds_read_b128 v[180:183], v2 offset:1744
	v_fmac_f64_e32 v[192:193], v[158:159], v[164:165]
	v_mul_f64 v[170:171], v[186:187], v[170:171]
	v_add_f64 v[192:193], v[198:199], v[192:193]
	v_fma_f64 v[198:199], v[184:185], v[168:169], -v[170:171]
	ds_read_b128 v[168:171], v2 offset:1760
	s_waitcnt vmcnt(2) lgkmcnt(2)
	v_mul_f64 v[184:185], v[160:161], v[174:175]
	v_fmac_f64_e32 v[184:185], v[162:163], v[172:173]
	s_waitcnt vmcnt(1) lgkmcnt(1)
	v_mul_f64 v[186:187], v[180:181], v[178:179]
	v_add_f64 v[184:185], v[192:193], v[184:185]
	v_fmac_f64_e32 v[186:187], v[182:183], v[176:177]
	v_add_f64 v[184:185], v[184:185], v[186:187]
	s_waitcnt vmcnt(0) lgkmcnt(0)
	v_mul_f64 v[186:187], v[168:169], v[202:203]
	v_fmac_f64_e32 v[186:187], v[170:171], v[200:201]
	v_add_f64 v[248:249], v[184:185], v[186:187]
	scratch_load_dwordx4 v[184:187], off, off offset:896
	v_add_f64 v[244:245], v[244:245], 0
	v_add_f64 v[244:245], v[244:245], v[246:247]
	;; [unrolled: 1-line block ×3, first 2 shown]
	scratch_load_dwordx4 v[244:247], off, off offset:352
	v_add_f64 v[196:197], v[242:243], v[196:197]
	v_mul_f64 v[6:7], v[66:67], v[6:7]
	v_add_f64 v[196:197], v[196:197], v[198:199]
	v_fma_f64 v[4:5], v[64:65], v[4:5], -v[6:7]
	v_mul_f64 v[6:7], v[78:79], v[10:11]
	v_add_f64 v[4:5], v[196:197], v[4:5]
	v_fma_f64 v[6:7], v[76:77], v[8:9], -v[6:7]
	v_add_f64 v[4:5], v[4:5], v[6:7]
	v_mul_f64 v[6:7], v[74:75], v[14:15]
	v_fma_f64 v[6:7], v[72:73], v[12:13], -v[6:7]
	v_add_f64 v[4:5], v[4:5], v[6:7]
	v_mul_f64 v[6:7], v[70:71], v[18:19]
	;; [unrolled: 3-line block ×24, first 2 shown]
	ds_read_b128 v[192:195], v2 offset:1776
	v_fma_f64 v[6:7], v[160:161], v[172:173], -v[6:7]
	v_add_f64 v[4:5], v[4:5], v[6:7]
	v_mul_f64 v[6:7], v[182:183], v[178:179]
	v_fma_f64 v[6:7], v[180:181], v[176:177], -v[6:7]
	v_add_f64 v[4:5], v[4:5], v[6:7]
	v_mul_f64 v[6:7], v[170:171], v[202:203]
	v_fma_f64 v[6:7], v[168:169], v[200:201], -v[6:7]
	s_waitcnt vmcnt(1) lgkmcnt(0)
	v_mul_f64 v[2:3], v[192:193], v[186:187]
	v_add_f64 v[4:5], v[4:5], v[6:7]
	v_mul_f64 v[6:7], v[194:195], v[186:187]
	v_fmac_f64_e32 v[2:3], v[194:195], v[184:185]
	v_fma_f64 v[6:7], v[192:193], v[184:185], -v[6:7]
	v_add_f64 v[2:3], v[248:249], v[2:3]
	v_add_f64 v[4:5], v[4:5], v[6:7]
	s_waitcnt vmcnt(0)
	v_add_f64 v[4:5], v[244:245], -v[4:5]
	v_add_f64 v[6:7], v[246:247], -v[2:3]
	scratch_store_dwordx4 off, v[4:7], off offset:352
	s_and_saveexec_b64 s[0:1], vcc
	s_cbranch_execz .LBB119_309
; %bb.308:
	scratch_load_dwordx4 v[2:5], off, s52
	v_mov_b32_e32 v6, 0
	v_mov_b32_e32 v7, v6
	;; [unrolled: 1-line block ×4, first 2 shown]
	v_accvgpr_read_b32 v0, a113
	scratch_store_dwordx4 off, v[6:9], off offset:336
	s_waitcnt vmcnt(1)
	ds_write_b128 v0, v[2:5]
.LBB119_309:
	s_or_b64 exec, exec, s[0:1]
	s_waitcnt lgkmcnt(0)
	; wave barrier
	scratch_load_dwordx4 v[184:187], off, off offset:352
	scratch_load_dwordx4 v[188:191], off, off offset:368
	;; [unrolled: 1-line block ×32, first 2 shown]
	v_mov_b32_e32 v2, 0
	ds_read_b128 v[192:195], v2 offset:1232
	ds_read_b128 v[204:207], v2 offset:1248
	;; [unrolled: 1-line block ×16, first 2 shown]
	v_cmp_lt_u32_e32 vcc, 19, v240
	s_waitcnt vmcnt(31) lgkmcnt(14)
	v_mul_f64 v[104:105], v[192:193], v[186:187]
	s_waitcnt vmcnt(30)
	v_mul_f64 v[106:107], v[204:205], v[190:191]
	v_fmac_f64_e32 v[104:105], v[194:195], v[184:185]
	s_waitcnt vmcnt(29) lgkmcnt(13)
	v_mul_f64 v[112:113], v[216:217], v[198:199]
	v_fmac_f64_e32 v[106:107], v[206:207], v[188:189]
	v_add_f64 v[104:105], v[104:105], 0
	s_waitcnt vmcnt(28) lgkmcnt(12)
	v_mul_f64 v[114:115], v[224:225], v[202:203]
	v_fmac_f64_e32 v[112:113], v[218:219], v[196:197]
	v_add_f64 v[104:105], v[104:105], v[106:107]
	;; [unrolled: 4-line block ×10, first 2 shown]
	ds_read_b128 v[152:155], v2 offset:1488
	ds_read_b128 v[156:159], v2 offset:1504
	s_waitcnt vmcnt(19) lgkmcnt(5)
	v_mul_f64 v[164:165], v[124:125], v[26:27]
	v_fmac_f64_e32 v[162:163], v[134:135], v[20:21]
	v_add_f64 v[104:105], v[104:105], v[160:161]
	s_waitcnt vmcnt(18) lgkmcnt(4)
	v_mul_f64 v[166:167], v[120:121], v[30:31]
	v_fmac_f64_e32 v[164:165], v[126:127], v[24:25]
	v_add_f64 v[104:105], v[104:105], v[162:163]
	;; [unrolled: 4-line block ×4, first 2 shown]
	v_add_f64 v[112:113], v[104:105], v[168:169]
	v_fmac_f64_e32 v[170:171], v[110:111], v[36:37]
	scratch_load_dwordx4 v[104:107], off, off offset:864
	s_waitcnt vmcnt(16) lgkmcnt(1)
	v_mul_f64 v[114:115], v[152:153], v[42:43]
	v_add_f64 v[112:113], v[112:113], v[170:171]
	v_fmac_f64_e32 v[114:115], v[154:155], v[40:41]
	v_add_f64 v[128:129], v[112:113], v[114:115]
	scratch_load_dwordx4 v[112:115], off, off offset:880
	s_waitcnt vmcnt(16) lgkmcnt(0)
	v_mul_f64 v[130:131], v[156:157], v[46:47]
	v_fmac_f64_e32 v[130:131], v[158:159], v[44:45]
	v_add_f64 v[168:169], v[128:129], v[130:131]
	scratch_load_dwordx4 v[128:131], off, off offset:896
	ds_read_b128 v[160:163], v2 offset:1520
	ds_read_b128 v[164:167], v2 offset:1536
	v_mul_f64 v[186:187], v[194:195], v[186:187]
	v_fma_f64 v[254:255], v[192:193], v[184:185], -v[186:187]
	ds_read_b128 v[184:187], v2 offset:1616
	s_waitcnt vmcnt(16) lgkmcnt(2)
	v_mul_f64 v[170:171], v[160:161], v[50:51]
	v_fmac_f64_e32 v[170:171], v[162:163], v[48:49]
	s_waitcnt vmcnt(15) lgkmcnt(1)
	v_mul_f64 v[174:175], v[164:165], v[54:55]
	v_add_f64 v[172:173], v[168:169], v[170:171]
	ds_read_b128 v[168:171], v2 offset:1552
	v_fmac_f64_e32 v[174:175], v[166:167], v[52:53]
	v_add_f64 v[176:177], v[172:173], v[174:175]
	ds_read_b128 v[172:175], v2 offset:1568
	v_mul_f64 v[190:191], v[206:207], v[190:191]
	s_waitcnt vmcnt(14) lgkmcnt(1)
	v_mul_f64 v[178:179], v[168:169], v[58:59]
	v_fmac_f64_e32 v[178:179], v[170:171], v[56:57]
	v_add_f64 v[180:181], v[176:177], v[178:179]
	s_waitcnt vmcnt(13) lgkmcnt(0)
	v_mul_f64 v[182:183], v[172:173], v[62:63]
	ds_read_b128 v[176:179], v2 offset:1584
	v_fmac_f64_e32 v[182:183], v[174:175], v[60:61]
	v_add_f64 v[232:233], v[180:181], v[182:183]
	ds_read_b128 v[180:183], v2 offset:1600
	v_fma_f64 v[250:251], v[204:205], v[188:189], -v[190:191]
	s_waitcnt vmcnt(12) lgkmcnt(1)
	v_mul_f64 v[234:235], v[176:177], v[66:67]
	v_fmac_f64_e32 v[234:235], v[178:179], v[64:65]
	v_add_f64 v[232:233], v[232:233], v[234:235]
	s_waitcnt vmcnt(11) lgkmcnt(0)
	v_mul_f64 v[192:193], v[180:181], v[70:71]
	v_fmac_f64_e32 v[192:193], v[182:183], v[68:69]
	ds_read_b128 v[188:191], v2 offset:1632
	s_waitcnt vmcnt(10)
	v_mul_f64 v[194:195], v[184:185], v[74:75]
	v_add_f64 v[192:193], v[232:233], v[192:193]
	v_fmac_f64_e32 v[194:195], v[186:187], v[72:73]
	v_add_f64 v[204:205], v[192:193], v[194:195]
	ds_read_b128 v[192:195], v2 offset:1648
	v_mul_f64 v[198:199], v[218:219], v[198:199]
	v_fma_f64 v[252:253], v[216:217], v[196:197], -v[198:199]
	ds_read_b128 v[196:199], v2 offset:1664
	s_waitcnt vmcnt(9) lgkmcnt(2)
	v_mul_f64 v[206:207], v[188:189], v[78:79]
	v_fmac_f64_e32 v[206:207], v[190:191], v[76:77]
	v_add_f64 v[204:205], v[204:205], v[206:207]
	s_waitcnt vmcnt(8) lgkmcnt(1)
	v_mul_f64 v[206:207], v[192:193], v[82:83]
	v_fmac_f64_e32 v[206:207], v[194:195], v[80:81]
	v_mul_f64 v[202:203], v[226:227], v[202:203]
	v_add_f64 v[204:205], v[204:205], v[206:207]
	v_fma_f64 v[234:235], v[224:225], v[200:201], -v[202:203]
	ds_read_b128 v[200:203], v2 offset:1680
	s_waitcnt vmcnt(7) lgkmcnt(1)
	v_mul_f64 v[206:207], v[196:197], v[86:87]
	v_fmac_f64_e32 v[206:207], v[198:199], v[84:85]
	v_add_f64 v[216:217], v[204:205], v[206:207]
	ds_read_b128 v[204:207], v2 offset:1696
	v_mul_f64 v[210:211], v[230:231], v[210:211]
	v_fma_f64 v[236:237], v[228:229], v[208:209], -v[210:211]
	ds_read_b128 v[208:211], v2 offset:1712
	s_waitcnt vmcnt(6) lgkmcnt(2)
	v_mul_f64 v[218:219], v[200:201], v[90:91]
	v_fmac_f64_e32 v[218:219], v[202:203], v[88:89]
	v_add_f64 v[216:217], v[216:217], v[218:219]
	s_waitcnt vmcnt(5) lgkmcnt(1)
	v_mul_f64 v[218:219], v[204:205], v[94:95]
	v_fmac_f64_e32 v[218:219], v[206:207], v[92:93]
	v_mul_f64 v[214:215], v[244:245], v[214:215]
	v_fma_f64 v[238:239], v[242:243], v[212:213], -v[214:215]
	ds_read_b128 v[212:215], v2 offset:1728
	v_add_f64 v[216:217], v[216:217], v[218:219]
	s_waitcnt vmcnt(4) lgkmcnt(1)
	v_mul_f64 v[218:219], v[208:209], v[102:103]
	v_fmac_f64_e32 v[218:219], v[210:211], v[100:101]
	v_add_f64 v[224:225], v[216:217], v[218:219]
	ds_read_b128 v[216:219], v2 offset:1744
	v_mul_f64 v[222:223], v[248:249], v[222:223]
	v_fma_f64 v[242:243], v[246:247], v[220:221], -v[222:223]
	ds_read_b128 v[220:223], v2 offset:1760
	s_waitcnt vmcnt(3) lgkmcnt(2)
	v_mul_f64 v[226:227], v[212:213], v[98:99]
	v_fmac_f64_e32 v[226:227], v[214:215], v[96:97]
	v_add_f64 v[224:225], v[224:225], v[226:227]
	s_waitcnt vmcnt(2) lgkmcnt(1)
	v_mul_f64 v[226:227], v[216:217], v[106:107]
	v_fmac_f64_e32 v[226:227], v[218:219], v[104:105]
	v_add_f64 v[224:225], v[224:225], v[226:227]
	;; [unrolled: 4-line block ×3, first 2 shown]
	ds_read_b128 v[224:227], v2 offset:1776
	v_mul_f64 v[6:7], v[150:151], v[6:7]
	v_fma_f64 v[4:5], v[148:149], v[4:5], -v[6:7]
	v_mul_f64 v[6:7], v[146:147], v[10:11]
	v_fma_f64 v[6:7], v[144:145], v[8:9], -v[6:7]
	s_waitcnt vmcnt(0) lgkmcnt(0)
	v_mul_f64 v[230:231], v[224:225], v[130:131]
	v_fmac_f64_e32 v[230:231], v[226:227], v[128:129]
	v_add_f64 v[232:233], v[228:229], v[230:231]
	v_add_f64 v[228:229], v[254:255], 0
	;; [unrolled: 1-line block ×4, first 2 shown]
	scratch_load_dwordx4 v[228:231], off, off offset:336
	v_add_f64 v[234:235], v[244:245], v[234:235]
	v_add_f64 v[234:235], v[234:235], v[236:237]
	;; [unrolled: 1-line block ×6, first 2 shown]
	v_mul_f64 v[6:7], v[142:143], v[14:15]
	v_fma_f64 v[6:7], v[140:141], v[12:13], -v[6:7]
	v_add_f64 v[4:5], v[4:5], v[6:7]
	v_mul_f64 v[6:7], v[138:139], v[18:19]
	v_fma_f64 v[6:7], v[136:137], v[16:17], -v[6:7]
	v_add_f64 v[4:5], v[4:5], v[6:7]
	;; [unrolled: 3-line block ×26, first 2 shown]
	s_waitcnt vmcnt(0)
	v_add_f64 v[4:5], v[228:229], -v[4:5]
	v_add_f64 v[6:7], v[230:231], -v[232:233]
	scratch_store_dwordx4 off, v[4:7], off offset:336
	s_and_saveexec_b64 s[0:1], vcc
	s_cbranch_execz .LBB119_311
; %bb.310:
	scratch_load_dwordx4 v[6:9], off, s53
	v_mov_b32_e32 v3, v2
	v_mov_b32_e32 v4, v2
	;; [unrolled: 1-line block ×3, first 2 shown]
	v_accvgpr_read_b32 v0, a113
	scratch_store_dwordx4 off, v[2:5], off offset:320
	s_waitcnt vmcnt(1)
	ds_write_b128 v0, v[6:9]
.LBB119_311:
	s_or_b64 exec, exec, s[0:1]
	s_waitcnt lgkmcnt(0)
	; wave barrier
	scratch_load_dwordx4 v[140:143], off, off offset:336
	scratch_load_dwordx4 v[144:147], off, off offset:352
	;; [unrolled: 1-line block ×16, first 2 shown]
	ds_read_b128 v[208:211], v2 offset:1216
	ds_read_b128 v[200:203], v2 offset:1232
	;; [unrolled: 1-line block ×3, first 2 shown]
	scratch_load_dwordx4 v[40:43], off, off offset:592
	ds_read_b128 v[204:207], v2 offset:1264
	ds_read_b128 v[192:195], v2 offset:1280
	;; [unrolled: 1-line block ×3, first 2 shown]
	scratch_load_dwordx4 v[44:47], off, off offset:608
	ds_read_b128 v[196:199], v2 offset:1312
	ds_read_b128 v[64:67], v2 offset:1328
	;; [unrolled: 1-line block ×4, first 2 shown]
	scratch_load_dwordx4 v[48:51], off, off offset:624
	ds_read_b128 v[72:75], v2 offset:1376
	ds_read_b128 v[68:71], v2 offset:1392
	scratch_load_dwordx4 v[56:59], off, off offset:640
	ds_read_b128 v[92:95], v2 offset:1408
	ds_read_b128 v[88:91], v2 offset:1424
	ds_read_b128 v[84:87], v2 offset:1440
	ds_read_b128 v[80:83], v2 offset:1456
	scratch_load_dwordx4 v[76:79], off, off offset:656
	scratch_load_dwordx4 v[96:99], off, off offset:672
	scratch_load_dwordx4 v[100:103], off, off offset:688
	scratch_load_dwordx4 v[104:107], off, off offset:704
	scratch_load_dwordx4 v[108:111], off, off offset:720
	scratch_load_dwordx4 v[112:115], off, off offset:736
	scratch_load_dwordx4 v[116:119], off, off offset:752
	scratch_load_dwordx4 v[120:123], off, off offset:768
	scratch_load_dwordx4 v[124:127], off, off offset:784
	scratch_load_dwordx4 v[128:131], off, off offset:800
	scratch_load_dwordx4 v[136:139], off, off offset:816
	scratch_load_dwordx4 v[132:135], off, off offset:832
	ds_read_b128 v[168:171], v2 offset:1472
	v_accvgpr_write_b32 a112, v240
	v_cmp_lt_u32_e32 vcc, 18, v240
	s_waitcnt vmcnt(31) lgkmcnt(14)
	v_mul_f64 v[172:173], v[208:209], v[142:143]
	s_waitcnt vmcnt(30)
	v_mul_f64 v[174:175], v[200:201], v[146:147]
	v_fmac_f64_e32 v[172:173], v[210:211], v[140:141]
	s_waitcnt vmcnt(29)
	v_mul_f64 v[176:177], v[188:189], v[150:151]
	v_fmac_f64_e32 v[174:175], v[202:203], v[144:145]
	v_add_f64 v[172:173], v[172:173], 0
	s_waitcnt vmcnt(28) lgkmcnt(13)
	v_mul_f64 v[178:179], v[204:205], v[154:155]
	v_fmac_f64_e32 v[176:177], v[190:191], v[148:149]
	v_add_f64 v[172:173], v[172:173], v[174:175]
	s_waitcnt vmcnt(27) lgkmcnt(12)
	;; [unrolled: 4-line block ×10, first 2 shown]
	v_mul_f64 v[224:225], v[92:93], v[26:27]
	v_fmac_f64_e32 v[222:223], v[70:71], v[20:21]
	v_add_f64 v[172:173], v[172:173], v[220:221]
	ds_read_b128 v[212:215], v2 offset:1488
	s_waitcnt vmcnt(18) lgkmcnt(4)
	v_mul_f64 v[226:227], v[88:89], v[30:31]
	v_fmac_f64_e32 v[224:225], v[94:95], v[24:25]
	v_add_f64 v[172:173], v[172:173], v[222:223]
	ds_read_b128 v[216:219], v2 offset:1504
	ds_read_b128 v[220:223], v2 offset:1520
	s_waitcnt vmcnt(17) lgkmcnt(5)
	v_mul_f64 v[228:229], v[84:85], v[34:35]
	v_fmac_f64_e32 v[226:227], v[90:91], v[28:29]
	v_add_f64 v[172:173], v[172:173], v[224:225]
	s_waitcnt vmcnt(16) lgkmcnt(4)
	v_mul_f64 v[230:231], v[80:81], v[38:39]
	v_fmac_f64_e32 v[228:229], v[86:87], v[32:33]
	v_add_f64 v[172:173], v[172:173], v[226:227]
	v_add_f64 v[176:177], v[172:173], v[228:229]
	v_fmac_f64_e32 v[230:231], v[82:83], v[36:37]
	s_waitcnt vmcnt(15) lgkmcnt(3)
	v_mul_f64 v[178:179], v[168:169], v[42:43]
	v_add_f64 v[176:177], v[176:177], v[230:231]
	v_fmac_f64_e32 v[178:179], v[170:171], v[40:41]
	s_waitcnt vmcnt(14) lgkmcnt(2)
	v_mul_f64 v[182:183], v[212:213], v[46:47]
	;; [unrolled: 4-line block ×3, first 2 shown]
	v_add_f64 v[224:225], v[180:181], v[182:183]
	v_fmac_f64_e32 v[226:227], v[218:219], v[48:49]
	v_add_f64 v[228:229], v[224:225], v[226:227]
	ds_read_b128 v[224:227], v2 offset:1536
	s_waitcnt vmcnt(12) lgkmcnt(1)
	v_mul_f64 v[230:231], v[220:221], v[58:59]
	v_fmac_f64_e32 v[230:231], v[222:223], v[56:57]
	v_add_f64 v[232:233], v[228:229], v[230:231]
	ds_read_b128 v[228:231], v2 offset:1552
	s_waitcnt vmcnt(11) lgkmcnt(1)
	v_mul_f64 v[234:235], v[224:225], v[78:79]
	;; [unrolled: 5-line block ×4, first 2 shown]
	v_fmac_f64_e32 v[244:245], v[234:235], v[100:101]
	v_mul_f64 v[142:143], v[210:211], v[142:143]
	v_add_f64 v[242:243], v[242:243], v[244:245]
	v_fma_f64 v[244:245], v[208:209], v[140:141], -v[142:143]
	ds_read_b128 v[140:143], v2 offset:1600
	s_waitcnt vmcnt(8) lgkmcnt(1)
	v_mul_f64 v[208:209], v[236:237], v[106:107]
	v_fmac_f64_e32 v[208:209], v[238:239], v[104:105]
	v_mul_f64 v[146:147], v[202:203], v[146:147]
	v_add_f64 v[208:209], v[242:243], v[208:209]
	v_fma_f64 v[242:243], v[200:201], v[144:145], -v[146:147]
	ds_read_b128 v[144:147], v2 offset:1616
	s_waitcnt vmcnt(7) lgkmcnt(1)
	v_mul_f64 v[200:201], v[140:141], v[110:111]
	scratch_load_dwordx4 v[172:175], off, off offset:848
	v_fmac_f64_e32 v[200:201], v[142:143], v[108:109]
	v_add_f64 v[208:209], v[208:209], v[200:201]
	ds_read_b128 v[200:203], v2 offset:1632
	v_mul_f64 v[150:151], v[190:191], v[150:151]
	scratch_load_dwordx4 v[176:179], off, off offset:864
	scratch_load_dwordx4 v[180:183], off, off offset:880
	v_fma_f64 v[246:247], v[188:189], v[148:149], -v[150:151]
	ds_read_b128 v[148:151], v2 offset:1648
	s_waitcnt vmcnt(9) lgkmcnt(2)
	v_mul_f64 v[210:211], v[144:145], v[114:115]
	v_fmac_f64_e32 v[210:211], v[146:147], v[112:113]
	s_waitcnt vmcnt(8) lgkmcnt(1)
	v_mul_f64 v[188:189], v[200:201], v[118:119]
	v_add_f64 v[208:209], v[208:209], v[210:211]
	v_fmac_f64_e32 v[188:189], v[202:203], v[116:117]
	v_mul_f64 v[154:155], v[206:207], v[154:155]
	s_waitcnt vmcnt(7) lgkmcnt(0)
	v_mul_f64 v[190:191], v[148:149], v[122:123]
	v_add_f64 v[188:189], v[208:209], v[188:189]
	v_fma_f64 v[248:249], v[204:205], v[152:153], -v[154:155]
	ds_read_b128 v[152:155], v2 offset:1664
	v_fmac_f64_e32 v[190:191], v[150:151], v[120:121]
	v_add_f64 v[204:205], v[188:189], v[190:191]
	ds_read_b128 v[188:191], v2 offset:1680
	v_mul_f64 v[158:159], v[194:195], v[158:159]
	s_waitcnt vmcnt(6) lgkmcnt(1)
	v_mul_f64 v[206:207], v[152:153], v[126:127]
	v_fmac_f64_e32 v[206:207], v[154:155], v[124:125]
	v_fma_f64 v[250:251], v[192:193], v[156:157], -v[158:159]
	s_waitcnt vmcnt(5) lgkmcnt(0)
	v_mul_f64 v[192:193], v[188:189], v[130:131]
	v_add_f64 v[204:205], v[204:205], v[206:207]
	v_fmac_f64_e32 v[192:193], v[190:191], v[128:129]
	v_mul_f64 v[162:163], v[186:187], v[162:163]
	v_fma_f64 v[208:209], v[184:185], v[160:161], -v[162:163]
	v_add_f64 v[184:185], v[204:205], v[192:193]
	scratch_load_dwordx4 v[204:207], off, off offset:896
	v_add_f64 v[244:245], v[244:245], 0
	v_add_f64 v[242:243], v[244:245], v[242:243]
	;; [unrolled: 1-line block ×3, first 2 shown]
	scratch_load_dwordx4 v[244:247], off, off offset:320
	v_add_f64 v[242:243], v[242:243], v[248:249]
	v_mul_f64 v[166:167], v[198:199], v[166:167]
	v_add_f64 v[242:243], v[242:243], v[250:251]
	v_fma_f64 v[210:211], v[196:197], v[164:165], -v[166:167]
	v_add_f64 v[208:209], v[242:243], v[208:209]
	v_mul_f64 v[6:7], v[66:67], v[6:7]
	v_add_f64 v[208:209], v[208:209], v[210:211]
	v_fma_f64 v[4:5], v[64:65], v[4:5], -v[6:7]
	v_mul_f64 v[6:7], v[62:63], v[10:11]
	v_add_f64 v[4:5], v[208:209], v[4:5]
	v_fma_f64 v[6:7], v[60:61], v[8:9], -v[6:7]
	v_add_f64 v[4:5], v[4:5], v[6:7]
	v_mul_f64 v[6:7], v[54:55], v[14:15]
	v_fma_f64 v[6:7], v[52:53], v[12:13], -v[6:7]
	v_add_f64 v[4:5], v[4:5], v[6:7]
	v_mul_f64 v[6:7], v[74:75], v[18:19]
	;; [unrolled: 3-line block ×12, first 2 shown]
	v_fma_f64 v[6:7], v[224:225], v[76:77], -v[6:7]
	ds_read_b128 v[156:159], v2 offset:1696
	ds_read_b128 v[160:163], v2 offset:1712
	v_add_f64 v[4:5], v[4:5], v[6:7]
	v_mul_f64 v[6:7], v[230:231], v[98:99]
	v_fma_f64 v[6:7], v[228:229], v[96:97], -v[6:7]
	v_add_f64 v[4:5], v[4:5], v[6:7]
	v_mul_f64 v[6:7], v[234:235], v[102:103]
	v_fma_f64 v[6:7], v[232:233], v[100:101], -v[6:7]
	v_add_f64 v[4:5], v[4:5], v[6:7]
	v_mul_f64 v[6:7], v[238:239], v[106:107]
	s_waitcnt vmcnt(6) lgkmcnt(1)
	v_mul_f64 v[186:187], v[156:157], v[138:139]
	v_fma_f64 v[6:7], v[236:237], v[104:105], -v[6:7]
	v_fmac_f64_e32 v[186:187], v[158:159], v[136:137]
	v_add_f64 v[4:5], v[4:5], v[6:7]
	v_mul_f64 v[6:7], v[142:143], v[110:111]
	v_add_f64 v[192:193], v[184:185], v[186:187]
	ds_read_b128 v[184:187], v2 offset:1728
	ds_read_b128 v[164:167], v2 offset:1744
	v_fma_f64 v[6:7], v[140:141], v[108:109], -v[6:7]
	v_add_f64 v[4:5], v[4:5], v[6:7]
	v_mul_f64 v[6:7], v[146:147], v[114:115]
	v_fma_f64 v[6:7], v[144:145], v[112:113], -v[6:7]
	s_waitcnt vmcnt(5) lgkmcnt(2)
	v_mul_f64 v[194:195], v[160:161], v[134:135]
	v_add_f64 v[4:5], v[4:5], v[6:7]
	v_mul_f64 v[6:7], v[202:203], v[118:119]
	v_fmac_f64_e32 v[194:195], v[162:163], v[132:133]
	v_fma_f64 v[6:7], v[200:201], v[116:117], -v[6:7]
	v_add_f64 v[192:193], v[192:193], v[194:195]
	s_waitcnt vmcnt(4) lgkmcnt(1)
	v_mul_f64 v[194:195], v[184:185], v[174:175]
	v_add_f64 v[4:5], v[4:5], v[6:7]
	v_mul_f64 v[6:7], v[150:151], v[122:123]
	v_fmac_f64_e32 v[194:195], v[186:187], v[172:173]
	v_fma_f64 v[6:7], v[148:149], v[120:121], -v[6:7]
	v_add_f64 v[192:193], v[192:193], v[194:195]
	;; [unrolled: 7-line block ×3, first 2 shown]
	ds_read_b128 v[192:195], v2 offset:1760
	v_add_f64 v[4:5], v[4:5], v[6:7]
	v_mul_f64 v[6:7], v[190:191], v[130:131]
	v_fma_f64 v[6:7], v[188:189], v[128:129], -v[6:7]
	v_add_f64 v[4:5], v[4:5], v[6:7]
	v_mul_f64 v[6:7], v[158:159], v[138:139]
	v_fma_f64 v[6:7], v[156:157], v[136:137], -v[6:7]
	v_add_f64 v[4:5], v[4:5], v[6:7]
	v_mul_f64 v[6:7], v[162:163], v[134:135]
	s_waitcnt vmcnt(2) lgkmcnt(0)
	v_mul_f64 v[198:199], v[192:193], v[182:183]
	v_fma_f64 v[6:7], v[160:161], v[132:133], -v[6:7]
	v_fmac_f64_e32 v[198:199], v[194:195], v[180:181]
	v_add_f64 v[4:5], v[4:5], v[6:7]
	v_mul_f64 v[6:7], v[186:187], v[174:175]
	v_add_f64 v[252:253], v[196:197], v[198:199]
	ds_read_b128 v[196:199], v2 offset:1776
	v_fma_f64 v[6:7], v[184:185], v[172:173], -v[6:7]
	v_add_f64 v[4:5], v[4:5], v[6:7]
	v_mul_f64 v[6:7], v[166:167], v[178:179]
	v_fma_f64 v[6:7], v[164:165], v[176:177], -v[6:7]
	v_add_f64 v[4:5], v[4:5], v[6:7]
	v_mul_f64 v[6:7], v[194:195], v[182:183]
	v_fma_f64 v[6:7], v[192:193], v[180:181], -v[6:7]
	s_waitcnt vmcnt(1) lgkmcnt(0)
	v_mul_f64 v[2:3], v[196:197], v[206:207]
	v_add_f64 v[4:5], v[4:5], v[6:7]
	v_mul_f64 v[6:7], v[198:199], v[206:207]
	v_fmac_f64_e32 v[2:3], v[198:199], v[204:205]
	v_fma_f64 v[6:7], v[196:197], v[204:205], -v[6:7]
	v_add_f64 v[2:3], v[252:253], v[2:3]
	v_add_f64 v[4:5], v[4:5], v[6:7]
	s_waitcnt vmcnt(0)
	v_add_f64 v[4:5], v[244:245], -v[4:5]
	v_add_f64 v[6:7], v[246:247], -v[2:3]
	scratch_store_dwordx4 off, v[4:7], off offset:320
	s_and_saveexec_b64 s[0:1], vcc
	s_cbranch_execz .LBB119_313
; %bb.312:
	scratch_load_dwordx4 v[2:5], off, s54
	v_mov_b32_e32 v6, 0
	v_mov_b32_e32 v7, v6
	;; [unrolled: 1-line block ×4, first 2 shown]
	v_accvgpr_read_b32 v0, a113
	scratch_store_dwordx4 off, v[6:9], off offset:304
	s_waitcnt vmcnt(1)
	ds_write_b128 v0, v[2:5]
.LBB119_313:
	s_or_b64 exec, exec, s[0:1]
	s_waitcnt lgkmcnt(0)
	; wave barrier
	scratch_load_dwordx4 v[168:171], off, off offset:320
	scratch_load_dwordx4 v[172:175], off, off offset:336
	;; [unrolled: 1-line block ×32, first 2 shown]
	v_mov_b32_e32 v2, 0
	ds_read_b128 v[176:179], v2 offset:1200
	ds_read_b128 v[188:191], v2 offset:1216
	;; [unrolled: 1-line block ×17, first 2 shown]
	v_accvgpr_read_b32 v0, a112
	v_cmp_lt_u32_e32 vcc, 17, v0
	s_waitcnt vmcnt(31) lgkmcnt(14)
	v_mul_f64 v[104:105], v[176:177], v[170:171]
	s_waitcnt vmcnt(30)
	v_mul_f64 v[106:107], v[188:189], v[174:175]
	v_fmac_f64_e32 v[104:105], v[178:179], v[168:169]
	s_waitcnt vmcnt(29)
	v_mul_f64 v[108:109], v[200:201], v[182:183]
	v_fmac_f64_e32 v[106:107], v[190:191], v[172:173]
	v_add_f64 v[104:105], v[104:105], 0
	s_waitcnt vmcnt(28) lgkmcnt(13)
	v_mul_f64 v[110:111], v[212:213], v[186:187]
	v_fmac_f64_e32 v[108:109], v[202:203], v[180:181]
	v_add_f64 v[104:105], v[104:105], v[106:107]
	s_waitcnt vmcnt(27) lgkmcnt(12)
	;; [unrolled: 4-line block ×12, first 2 shown]
	v_mul_f64 v[156:157], v[112:113], v[26:27]
	v_fmac_f64_e32 v[154:155], v[118:119], v[20:21]
	v_add_f64 v[104:105], v[104:105], v[152:153]
	v_fmac_f64_e32 v[156:157], v[114:115], v[24:25]
	v_add_f64 v[104:105], v[104:105], v[154:155]
	s_waitcnt vmcnt(16) lgkmcnt(1)
	v_mul_f64 v[106:107], v[100:101], v[30:31]
	v_add_f64 v[104:105], v[104:105], v[156:157]
	v_fmac_f64_e32 v[106:107], v[102:103], v[28:29]
	v_add_f64 v[108:109], v[104:105], v[106:107]
	ds_read_b128 v[144:147], v2 offset:1472
	ds_read_b128 v[148:151], v2 offset:1488
	scratch_load_dwordx4 v[104:107], off, off offset:832
	s_waitcnt vmcnt(16) lgkmcnt(2)
	v_mul_f64 v[110:111], v[96:97], v[34:35]
	v_fmac_f64_e32 v[110:111], v[98:99], v[32:33]
	v_add_f64 v[120:121], v[108:109], v[110:111]
	scratch_load_dwordx4 v[108:111], off, off offset:848
	s_waitcnt vmcnt(16) lgkmcnt(1)
	v_mul_f64 v[122:123], v[144:145], v[38:39]
	v_fmac_f64_e32 v[122:123], v[146:147], v[36:37]
	v_add_f64 v[132:133], v[120:121], v[122:123]
	s_waitcnt vmcnt(15) lgkmcnt(0)
	v_mul_f64 v[134:135], v[148:149], v[42:43]
	scratch_load_dwordx4 v[120:123], off, off offset:864
	v_fmac_f64_e32 v[134:135], v[150:151], v[40:41]
	v_add_f64 v[160:161], v[132:133], v[134:135]
	scratch_load_dwordx4 v[132:135], off, off offset:880
	ds_read_b128 v[152:155], v2 offset:1504
	ds_read_b128 v[156:159], v2 offset:1520
	v_mul_f64 v[170:171], v[178:179], v[170:171]
	v_fma_f64 v[250:251], v[176:177], v[168:169], -v[170:171]
	ds_read_b128 v[168:171], v2 offset:1568
	s_waitcnt vmcnt(16) lgkmcnt(2)
	v_mul_f64 v[162:163], v[152:153], v[46:47]
	v_fmac_f64_e32 v[162:163], v[154:155], v[44:45]
	s_waitcnt vmcnt(15) lgkmcnt(1)
	v_mul_f64 v[166:167], v[156:157], v[50:51]
	v_add_f64 v[164:165], v[160:161], v[162:163]
	ds_read_b128 v[160:163], v2 offset:1536
	v_fmac_f64_e32 v[166:167], v[158:159], v[48:49]
	v_add_f64 v[232:233], v[164:165], v[166:167]
	ds_read_b128 v[164:167], v2 offset:1552
	v_mul_f64 v[174:175], v[190:191], v[174:175]
	s_waitcnt vmcnt(14) lgkmcnt(1)
	v_mul_f64 v[234:235], v[160:161], v[54:55]
	v_fmac_f64_e32 v[234:235], v[162:163], v[52:53]
	v_add_f64 v[232:233], v[232:233], v[234:235]
	s_waitcnt vmcnt(13) lgkmcnt(0)
	v_mul_f64 v[176:177], v[164:165], v[58:59]
	v_fmac_f64_e32 v[176:177], v[166:167], v[56:57]
	v_fma_f64 v[252:253], v[188:189], v[172:173], -v[174:175]
	ds_read_b128 v[172:175], v2 offset:1584
	s_waitcnt vmcnt(12)
	v_mul_f64 v[178:179], v[168:169], v[62:63]
	v_add_f64 v[176:177], v[232:233], v[176:177]
	v_fmac_f64_e32 v[178:179], v[170:171], v[60:61]
	v_add_f64 v[188:189], v[176:177], v[178:179]
	ds_read_b128 v[176:179], v2 offset:1600
	v_mul_f64 v[182:183], v[202:203], v[182:183]
	v_fma_f64 v[254:255], v[200:201], v[180:181], -v[182:183]
	ds_read_b128 v[180:183], v2 offset:1616
	s_waitcnt vmcnt(11) lgkmcnt(2)
	v_mul_f64 v[190:191], v[172:173], v[66:67]
	v_fmac_f64_e32 v[190:191], v[174:175], v[64:65]
	v_add_f64 v[188:189], v[188:189], v[190:191]
	s_waitcnt vmcnt(10) lgkmcnt(1)
	v_mul_f64 v[190:191], v[176:177], v[70:71]
	v_fmac_f64_e32 v[190:191], v[178:179], v[68:69]
	v_mul_f64 v[186:187], v[214:215], v[186:187]
	v_fma_f64 v[240:241], v[212:213], v[184:185], -v[186:187]
	ds_read_b128 v[184:187], v2 offset:1632
	v_add_f64 v[188:189], v[188:189], v[190:191]
	s_waitcnt vmcnt(9) lgkmcnt(1)
	v_mul_f64 v[190:191], v[180:181], v[74:75]
	v_fmac_f64_e32 v[190:191], v[182:183], v[72:73]
	v_add_f64 v[200:201], v[188:189], v[190:191]
	ds_read_b128 v[188:191], v2 offset:1648
	v_mul_f64 v[194:195], v[222:223], v[194:195]
	v_fma_f64 v[232:233], v[220:221], v[192:193], -v[194:195]
	ds_read_b128 v[192:195], v2 offset:1664
	s_waitcnt vmcnt(8) lgkmcnt(2)
	v_mul_f64 v[202:203], v[184:185], v[78:79]
	v_fmac_f64_e32 v[202:203], v[186:187], v[76:77]
	v_add_f64 v[200:201], v[200:201], v[202:203]
	s_waitcnt vmcnt(7) lgkmcnt(1)
	v_mul_f64 v[202:203], v[188:189], v[82:83]
	v_fmac_f64_e32 v[202:203], v[190:191], v[80:81]
	v_mul_f64 v[198:199], v[226:227], v[198:199]
	v_add_f64 v[200:201], v[200:201], v[202:203]
	v_fma_f64 v[234:235], v[224:225], v[196:197], -v[198:199]
	ds_read_b128 v[196:199], v2 offset:1680
	s_waitcnt vmcnt(6) lgkmcnt(1)
	v_mul_f64 v[202:203], v[192:193], v[86:87]
	v_fmac_f64_e32 v[202:203], v[194:195], v[84:85]
	v_add_f64 v[212:213], v[200:201], v[202:203]
	ds_read_b128 v[200:203], v2 offset:1696
	v_mul_f64 v[206:207], v[230:231], v[206:207]
	v_fma_f64 v[236:237], v[228:229], v[204:205], -v[206:207]
	ds_read_b128 v[204:207], v2 offset:1712
	s_waitcnt vmcnt(5) lgkmcnt(2)
	v_mul_f64 v[214:215], v[196:197], v[94:95]
	v_fmac_f64_e32 v[214:215], v[198:199], v[92:93]
	v_add_f64 v[212:213], v[212:213], v[214:215]
	s_waitcnt vmcnt(4) lgkmcnt(1)
	v_mul_f64 v[214:215], v[200:201], v[90:91]
	v_fmac_f64_e32 v[214:215], v[202:203], v[88:89]
	v_mul_f64 v[210:211], v[244:245], v[210:211]
	v_fma_f64 v[238:239], v[242:243], v[208:209], -v[210:211]
	ds_read_b128 v[208:211], v2 offset:1728
	v_add_f64 v[212:213], v[212:213], v[214:215]
	s_waitcnt vmcnt(3) lgkmcnt(1)
	v_mul_f64 v[214:215], v[204:205], v[106:107]
	v_fmac_f64_e32 v[214:215], v[206:207], v[104:105]
	v_add_f64 v[220:221], v[212:213], v[214:215]
	ds_read_b128 v[212:215], v2 offset:1744
	v_mul_f64 v[218:219], v[248:249], v[218:219]
	v_fma_f64 v[242:243], v[246:247], v[216:217], -v[218:219]
	ds_read_b128 v[216:219], v2 offset:1760
	ds_read_b128 v[224:227], v2 offset:1776
	s_waitcnt vmcnt(2) lgkmcnt(3)
	v_mul_f64 v[222:223], v[208:209], v[110:111]
	v_fmac_f64_e32 v[222:223], v[210:211], v[108:109]
	v_add_f64 v[220:221], v[220:221], v[222:223]
	s_waitcnt vmcnt(1) lgkmcnt(2)
	v_mul_f64 v[222:223], v[212:213], v[122:123]
	v_fmac_f64_e32 v[222:223], v[214:215], v[120:121]
	v_add_f64 v[220:221], v[220:221], v[222:223]
	;; [unrolled: 4-line block ×3, first 2 shown]
	scratch_load_dwordx4 v[220:223], off, off offset:896
	v_mul_f64 v[6:7], v[142:143], v[6:7]
	v_fma_f64 v[4:5], v[140:141], v[4:5], -v[6:7]
	v_mul_f64 v[6:7], v[138:139], v[10:11]
	v_fma_f64 v[6:7], v[136:137], v[8:9], -v[6:7]
	s_waitcnt vmcnt(0) lgkmcnt(0)
	v_mul_f64 v[230:231], v[224:225], v[222:223]
	v_fmac_f64_e32 v[230:231], v[226:227], v[220:221]
	v_add_f64 v[246:247], v[228:229], v[230:231]
	v_add_f64 v[228:229], v[250:251], 0
	;; [unrolled: 1-line block ×6, first 2 shown]
	scratch_load_dwordx4 v[228:231], off, off offset:304
	v_add_f64 v[232:233], v[244:245], v[234:235]
	v_add_f64 v[232:233], v[232:233], v[236:237]
	;; [unrolled: 1-line block ×6, first 2 shown]
	v_mul_f64 v[6:7], v[130:131], v[14:15]
	v_fma_f64 v[6:7], v[128:129], v[12:13], -v[6:7]
	v_add_f64 v[4:5], v[4:5], v[6:7]
	v_mul_f64 v[6:7], v[126:127], v[18:19]
	v_fma_f64 v[6:7], v[124:125], v[16:17], -v[6:7]
	v_add_f64 v[4:5], v[4:5], v[6:7]
	;; [unrolled: 3-line block ×26, first 2 shown]
	s_waitcnt vmcnt(0)
	v_add_f64 v[4:5], v[228:229], -v[4:5]
	v_add_f64 v[6:7], v[230:231], -v[246:247]
	scratch_store_dwordx4 off, v[4:7], off offset:304
	s_and_saveexec_b64 s[0:1], vcc
	s_cbranch_execz .LBB119_315
; %bb.314:
	scratch_load_dwordx4 v[6:9], off, s55
	v_mov_b32_e32 v3, v2
	v_mov_b32_e32 v4, v2
	;; [unrolled: 1-line block ×3, first 2 shown]
	v_accvgpr_read_b32 v0, a113
	scratch_store_dwordx4 off, v[2:5], off offset:288
	s_waitcnt vmcnt(1)
	ds_write_b128 v0, v[6:9]
.LBB119_315:
	s_or_b64 exec, exec, s[0:1]
	s_waitcnt lgkmcnt(0)
	; wave barrier
	scratch_load_dwordx4 v[168:171], off, off offset:304
	scratch_load_dwordx4 v[172:175], off, off offset:320
	;; [unrolled: 1-line block ×16, first 2 shown]
	ds_read_b128 v[232:235], v2 offset:1184
	ds_read_b128 v[176:179], v2 offset:1200
	scratch_load_dwordx4 v[32:35], off, off offset:560
	ds_read_b128 v[236:239], v2 offset:1216
	ds_read_b128 v[188:191], v2 offset:1232
	;; [unrolled: 1-line block ×5, first 2 shown]
	scratch_load_dwordx4 v[36:39], off, off offset:576
	ds_read_b128 v[224:227], v2 offset:1296
	ds_read_b128 v[220:223], v2 offset:1312
	;; [unrolled: 1-line block ×3, first 2 shown]
	scratch_load_dwordx4 v[40:43], off, off offset:592
	ds_read_b128 v[64:67], v2 offset:1344
	ds_read_b128 v[60:63], v2 offset:1360
	;; [unrolled: 1-line block ×4, first 2 shown]
	scratch_load_dwordx4 v[48:51], off, off offset:608
	ds_read_b128 v[80:83], v2 offset:1408
	ds_read_b128 v[72:75], v2 offset:1424
	;; [unrolled: 1-line block ×3, first 2 shown]
	scratch_load_dwordx4 v[76:79], off, off offset:624
	scratch_load_dwordx4 v[84:87], off, off offset:640
	;; [unrolled: 1-line block ×12, first 2 shown]
	v_accvgpr_read_b32 v0, a112
	v_cmp_lt_u32_e32 vcc, 16, v0
	s_waitcnt vmcnt(31) lgkmcnt(14)
	v_mul_f64 v[128:129], v[232:233], v[170:171]
	s_waitcnt vmcnt(30)
	v_mul_f64 v[130:131], v[176:177], v[174:175]
	v_fmac_f64_e32 v[128:129], v[234:235], v[168:169]
	s_waitcnt vmcnt(29)
	v_mul_f64 v[132:133], v[236:237], v[182:183]
	v_fmac_f64_e32 v[130:131], v[178:179], v[172:173]
	v_add_f64 v[128:129], v[128:129], 0
	s_waitcnt vmcnt(28) lgkmcnt(13)
	v_mul_f64 v[134:135], v[188:189], v[186:187]
	v_fmac_f64_e32 v[132:133], v[238:239], v[180:181]
	v_add_f64 v[128:129], v[128:129], v[130:131]
	s_waitcnt vmcnt(27) lgkmcnt(12)
	;; [unrolled: 4-line block ×13, first 2 shown]
	v_mul_f64 v[158:159], v[72:73], v[30:31]
	v_fmac_f64_e32 v[156:157], v[82:83], v[24:25]
	v_add_f64 v[128:129], v[128:129], v[154:155]
	v_add_f64 v[128:129], v[128:129], v[156:157]
	v_fmac_f64_e32 v[158:159], v[74:75], v[28:29]
	v_add_f64 v[132:133], v[128:129], v[158:159]
	ds_read_b128 v[144:147], v2 offset:1456
	ds_read_b128 v[148:151], v2 offset:1472
	scratch_load_dwordx4 v[128:131], off, off offset:816
	s_waitcnt vmcnt(16) lgkmcnt(2)
	v_mul_f64 v[134:135], v[68:69], v[34:35]
	v_fmac_f64_e32 v[134:135], v[70:71], v[32:33]
	s_waitcnt vmcnt(15) lgkmcnt(1)
	v_mul_f64 v[138:139], v[144:145], v[38:39]
	v_add_f64 v[136:137], v[132:133], v[134:135]
	scratch_load_dwordx4 v[132:135], off, off offset:832
	v_fmac_f64_e32 v[138:139], v[146:147], v[36:37]
	v_add_f64 v[140:141], v[136:137], v[138:139]
	s_waitcnt vmcnt(15) lgkmcnt(0)
	v_mul_f64 v[142:143], v[148:149], v[42:43]
	scratch_load_dwordx4 v[136:139], off, off offset:848
	v_fmac_f64_e32 v[142:143], v[150:151], v[40:41]
	v_add_f64 v[160:161], v[140:141], v[142:143]
	scratch_load_dwordx4 v[140:143], off, off offset:864
	ds_read_b128 v[152:155], v2 offset:1488
	ds_read_b128 v[156:159], v2 offset:1504
	v_mul_f64 v[170:171], v[234:235], v[170:171]
	v_fma_f64 v[246:247], v[232:233], v[168:169], -v[170:171]
	ds_read_b128 v[168:171], v2 offset:1552
	s_waitcnt vmcnt(16) lgkmcnt(2)
	v_mul_f64 v[162:163], v[152:153], v[50:51]
	v_fmac_f64_e32 v[162:163], v[154:155], v[48:49]
	s_waitcnt vmcnt(15) lgkmcnt(1)
	v_mul_f64 v[166:167], v[156:157], v[78:79]
	v_add_f64 v[164:165], v[160:161], v[162:163]
	ds_read_b128 v[160:163], v2 offset:1520
	v_fmac_f64_e32 v[166:167], v[158:159], v[76:77]
	v_add_f64 v[240:241], v[164:165], v[166:167]
	ds_read_b128 v[164:167], v2 offset:1536
	v_mul_f64 v[174:175], v[178:179], v[174:175]
	s_waitcnt vmcnt(14) lgkmcnt(1)
	v_mul_f64 v[242:243], v[160:161], v[86:87]
	v_fmac_f64_e32 v[242:243], v[162:163], v[84:85]
	v_add_f64 v[240:241], v[240:241], v[242:243]
	s_waitcnt vmcnt(13) lgkmcnt(0)
	v_mul_f64 v[232:233], v[164:165], v[90:91]
	v_fmac_f64_e32 v[232:233], v[166:167], v[88:89]
	v_add_f64 v[232:233], v[240:241], v[232:233]
	v_fma_f64 v[240:241], v[176:177], v[172:173], -v[174:175]
	ds_read_b128 v[172:175], v2 offset:1568
	s_waitcnt vmcnt(12)
	v_mul_f64 v[176:177], v[168:169], v[94:95]
	v_fmac_f64_e32 v[176:177], v[170:171], v[92:93]
	v_add_f64 v[232:233], v[232:233], v[176:177]
	ds_read_b128 v[176:179], v2 offset:1584
	v_mul_f64 v[182:183], v[238:239], v[182:183]
	v_fma_f64 v[236:237], v[236:237], v[180:181], -v[182:183]
	ds_read_b128 v[180:183], v2 offset:1600
	s_waitcnt vmcnt(11) lgkmcnt(2)
	v_mul_f64 v[234:235], v[172:173], v[98:99]
	v_fmac_f64_e32 v[234:235], v[174:175], v[96:97]
	v_add_f64 v[232:233], v[232:233], v[234:235]
	s_waitcnt vmcnt(10) lgkmcnt(1)
	v_mul_f64 v[234:235], v[176:177], v[102:103]
	v_fmac_f64_e32 v[234:235], v[178:179], v[100:101]
	v_mul_f64 v[186:187], v[190:191], v[186:187]
	s_waitcnt vmcnt(9) lgkmcnt(0)
	v_mul_f64 v[190:191], v[180:181], v[106:107]
	v_fma_f64 v[238:239], v[188:189], v[184:185], -v[186:187]
	ds_read_b128 v[184:187], v2 offset:1616
	v_add_f64 v[188:189], v[232:233], v[234:235]
	v_fmac_f64_e32 v[190:191], v[182:183], v[104:105]
	v_add_f64 v[232:233], v[188:189], v[190:191]
	ds_read_b128 v[188:191], v2 offset:1632
	v_mul_f64 v[194:195], v[230:231], v[194:195]
	v_fma_f64 v[248:249], v[228:229], v[192:193], -v[194:195]
	ds_read_b128 v[192:195], v2 offset:1648
	s_waitcnt vmcnt(8) lgkmcnt(2)
	v_mul_f64 v[234:235], v[184:185], v[110:111]
	v_fmac_f64_e32 v[234:235], v[186:187], v[108:109]
	s_waitcnt vmcnt(7) lgkmcnt(1)
	v_mul_f64 v[228:229], v[188:189], v[114:115]
	v_mul_f64 v[198:199], v[202:203], v[198:199]
	v_add_f64 v[232:233], v[232:233], v[234:235]
	v_fmac_f64_e32 v[228:229], v[190:191], v[112:113]
	v_fma_f64 v[250:251], v[200:201], v[196:197], -v[198:199]
	ds_read_b128 v[196:199], v2 offset:1664
	s_waitcnt vmcnt(6) lgkmcnt(1)
	v_mul_f64 v[200:201], v[192:193], v[118:119]
	v_add_f64 v[228:229], v[232:233], v[228:229]
	v_fmac_f64_e32 v[200:201], v[194:195], v[116:117]
	v_add_f64 v[228:229], v[228:229], v[200:201]
	ds_read_b128 v[200:203], v2 offset:1680
	v_mul_f64 v[206:207], v[214:215], v[206:207]
	v_fma_f64 v[252:253], v[212:213], v[204:205], -v[206:207]
	ds_read_b128 v[204:207], v2 offset:1696
	s_waitcnt vmcnt(5) lgkmcnt(2)
	v_mul_f64 v[230:231], v[196:197], v[126:127]
	v_fmac_f64_e32 v[230:231], v[198:199], v[124:125]
	s_waitcnt vmcnt(4) lgkmcnt(1)
	v_mul_f64 v[212:213], v[200:201], v[122:123]
	v_add_f64 v[228:229], v[228:229], v[230:231]
	v_fmac_f64_e32 v[212:213], v[202:203], v[120:121]
	v_mul_f64 v[210:211], v[226:227], v[210:211]
	s_waitcnt vmcnt(3) lgkmcnt(0)
	v_mul_f64 v[214:215], v[204:205], v[130:131]
	v_fma_f64 v[242:243], v[224:225], v[208:209], -v[210:211]
	ds_read_b128 v[208:211], v2 offset:1712
	v_add_f64 v[212:213], v[228:229], v[212:213]
	v_fmac_f64_e32 v[214:215], v[206:207], v[128:129]
	v_add_f64 v[224:225], v[212:213], v[214:215]
	ds_read_b128 v[212:215], v2 offset:1728
	v_mul_f64 v[218:219], v[222:223], v[218:219]
	v_fma_f64 v[244:245], v[220:221], v[216:217], -v[218:219]
	ds_read_b128 v[216:219], v2 offset:1744
	s_waitcnt vmcnt(2) lgkmcnt(2)
	v_mul_f64 v[220:221], v[208:209], v[134:135]
	v_fmac_f64_e32 v[220:221], v[210:211], v[132:133]
	s_waitcnt vmcnt(1) lgkmcnt(1)
	v_mul_f64 v[222:223], v[212:213], v[138:139]
	v_add_f64 v[220:221], v[224:225], v[220:221]
	v_fmac_f64_e32 v[222:223], v[214:215], v[136:137]
	v_add_f64 v[220:221], v[220:221], v[222:223]
	ds_read_b128 v[224:227], v2 offset:1760
	s_waitcnt vmcnt(0) lgkmcnt(1)
	v_mul_f64 v[222:223], v[216:217], v[142:143]
	v_fmac_f64_e32 v[222:223], v[218:219], v[140:141]
	v_add_f64 v[228:229], v[220:221], v[222:223]
	scratch_load_dwordx4 v[220:223], off, off offset:880
	scratch_load_dwordx4 v[232:235], off, off offset:896
	v_add_f64 v[246:247], v[246:247], 0
	v_add_f64 v[240:241], v[246:247], v[240:241]
	;; [unrolled: 1-line block ×6, first 2 shown]
	v_mul_f64 v[6:7], v[46:47], v[6:7]
	v_fma_f64 v[4:5], v[44:45], v[4:5], -v[6:7]
	v_mul_f64 v[6:7], v[66:67], v[10:11]
	v_fma_f64 v[6:7], v[64:65], v[8:9], -v[6:7]
	s_waitcnt vmcnt(1) lgkmcnt(0)
	v_mul_f64 v[230:231], v[224:225], v[222:223]
	v_fmac_f64_e32 v[230:231], v[226:227], v[220:221]
	v_add_f64 v[254:255], v[228:229], v[230:231]
	ds_read_b128 v[228:231], v2 offset:1776
	s_waitcnt vmcnt(0) lgkmcnt(0)
	v_mul_f64 v[2:3], v[228:229], v[234:235]
	v_fmac_f64_e32 v[2:3], v[230:231], v[232:233]
	v_add_f64 v[2:3], v[254:255], v[2:3]
	v_add_f64 v[254:255], v[236:237], v[252:253]
	scratch_load_dwordx4 v[236:239], off, off offset:288
	v_add_f64 v[240:241], v[254:255], v[242:243]
	v_add_f64 v[240:241], v[240:241], v[244:245]
	;; [unrolled: 1-line block ×4, first 2 shown]
	v_mul_f64 v[6:7], v[62:63], v[14:15]
	v_fma_f64 v[6:7], v[60:61], v[12:13], -v[6:7]
	v_add_f64 v[4:5], v[4:5], v[6:7]
	v_mul_f64 v[6:7], v[58:59], v[18:19]
	v_fma_f64 v[6:7], v[56:57], v[16:17], -v[6:7]
	v_add_f64 v[4:5], v[4:5], v[6:7]
	;; [unrolled: 3-line block ×27, first 2 shown]
	s_waitcnt vmcnt(0)
	v_add_f64 v[4:5], v[236:237], -v[4:5]
	v_add_f64 v[6:7], v[238:239], -v[2:3]
	scratch_store_dwordx4 off, v[4:7], off offset:288
	s_and_saveexec_b64 s[0:1], vcc
	s_cbranch_execz .LBB119_317
; %bb.316:
	scratch_load_dwordx4 v[2:5], off, s56
	v_mov_b32_e32 v6, 0
	v_mov_b32_e32 v7, v6
	;; [unrolled: 1-line block ×4, first 2 shown]
	v_accvgpr_read_b32 v0, a113
	scratch_store_dwordx4 off, v[6:9], off offset:272
	s_waitcnt vmcnt(1)
	ds_write_b128 v0, v[2:5]
.LBB119_317:
	s_or_b64 exec, exec, s[0:1]
	s_waitcnt lgkmcnt(0)
	; wave barrier
	scratch_load_dwordx4 v[80:83], off, off offset:288
	scratch_load_dwordx4 v[84:87], off, off offset:304
	scratch_load_dwordx4 v[88:91], off, off offset:320
	scratch_load_dwordx4 v[92:95], off, off offset:336
	scratch_load_dwordx4 v[96:99], off, off offset:352
	scratch_load_dwordx4 v[100:103], off, off offset:368
	scratch_load_dwordx4 v[104:107], off, off offset:384
	scratch_load_dwordx4 v[108:111], off, off offset:400
	scratch_load_dwordx4 v[112:115], off, off offset:416
	scratch_load_dwordx4 v[116:119], off, off offset:432
	scratch_load_dwordx4 v[120:123], off, off offset:448
	scratch_load_dwordx4 v[234:237], off, off offset:464
	scratch_load_dwordx4 v[8:11], off, off offset:480
	scratch_load_dwordx4 v[12:15], off, off offset:496
	scratch_load_dwordx4 v[16:19], off, off offset:512
	scratch_load_dwordx4 v[20:23], off, off offset:528
	scratch_load_dwordx4 v[24:27], off, off offset:544
	scratch_load_dwordx4 v[28:31], off, off offset:560
	scratch_load_dwordx4 v[32:35], off, off offset:576
	scratch_load_dwordx4 v[36:39], off, off offset:592
	scratch_load_dwordx4 v[40:43], off, off offset:608
	scratch_load_dwordx4 v[44:47], off, off offset:624
	scratch_load_dwordx4 v[48:51], off, off offset:640
	scratch_load_dwordx4 v[52:55], off, off offset:656
	scratch_load_dwordx4 v[56:59], off, off offset:672
	scratch_load_dwordx4 v[60:63], off, off offset:688
	scratch_load_dwordx4 v[64:67], off, off offset:704
	scratch_load_dwordx4 v[68:71], off, off offset:720
	scratch_load_dwordx4 v[72:75], off, off offset:736
	scratch_load_dwordx4 v[76:79], off, off offset:752
	scratch_load_dwordx4 v[124:127], off, off offset:768
	v_mov_b32_e32 v2, 0
	ds_read_b128 v[196:199], v2 offset:1168
	ds_read_b128 v[200:203], v2 offset:1184
	;; [unrolled: 1-line block ×20, first 2 shown]
	s_waitcnt vmcnt(30) lgkmcnt(14)
	v_mul_f64 v[140:141], v[196:197], v[82:83]
	s_waitcnt vmcnt(29)
	v_mul_f64 v[142:143], v[200:201], v[86:87]
	v_fmac_f64_e32 v[140:141], v[198:199], v[80:81]
	s_waitcnt vmcnt(28)
	v_mul_f64 v[152:153], v[204:205], v[90:91]
	v_fmac_f64_e32 v[142:143], v[202:203], v[84:85]
	v_add_f64 v[140:141], v[140:141], 0
	s_waitcnt vmcnt(27)
	v_mul_f64 v[154:155], v[208:209], v[94:95]
	v_fmac_f64_e32 v[152:153], v[206:207], v[88:89]
	v_add_f64 v[140:141], v[140:141], v[142:143]
	;; [unrolled: 4-line block ×4, first 2 shown]
	s_waitcnt vmcnt(24) lgkmcnt(13)
	v_mul_f64 v[164:165], v[220:221], v[106:107]
	v_fmac_f64_e32 v[162:163], v[218:219], v[100:101]
	v_add_f64 v[140:141], v[140:141], v[160:161]
	s_waitcnt vmcnt(23) lgkmcnt(12)
	v_mul_f64 v[166:167], v[224:225], v[110:111]
	v_fmac_f64_e32 v[164:165], v[222:223], v[104:105]
	v_add_f64 v[140:141], v[140:141], v[162:163]
	;; [unrolled: 4-line block ×8, first 2 shown]
	v_fmac_f64_e32 v[178:179], v[146:147], v[12:13]
	v_add_f64 v[140:141], v[140:141], v[176:177]
	v_add_f64 v[140:141], v[140:141], v[178:179]
	ds_read_b128 v[176:179], v2 offset:1440
	s_waitcnt vmcnt(16) lgkmcnt(6)
	v_mul_f64 v[180:181], v[136:137], v[18:19]
	s_waitcnt vmcnt(15) lgkmcnt(5)
	v_mul_f64 v[182:183], v[132:133], v[22:23]
	v_fmac_f64_e32 v[180:181], v[138:139], v[16:17]
	v_add_f64 v[152:153], v[140:141], v[180:181]
	v_fmac_f64_e32 v[182:183], v[134:135], v[20:21]
	scratch_load_dwordx4 v[140:143], off, off offset:784
	s_waitcnt vmcnt(15) lgkmcnt(4)
	v_mul_f64 v[154:155], v[128:129], v[26:27]
	v_add_f64 v[152:153], v[152:153], v[182:183]
	v_fmac_f64_e32 v[154:155], v[130:131], v[24:25]
	v_add_f64 v[160:161], v[152:153], v[154:155]
	ds_read_b128 v[180:183], v2 offset:1456
	s_waitcnt vmcnt(14) lgkmcnt(1)
	v_mul_f64 v[162:163], v[176:177], v[30:31]
	scratch_load_dwordx4 v[152:155], off, off offset:800
	v_fmac_f64_e32 v[162:163], v[178:179], v[28:29]
	v_add_f64 v[164:165], v[160:161], v[162:163]
	scratch_load_dwordx4 v[160:163], off, off offset:816
	s_waitcnt vmcnt(15) lgkmcnt(0)
	v_mul_f64 v[166:167], v[180:181], v[34:35]
	v_fmac_f64_e32 v[166:167], v[182:183], v[32:33]
	v_add_f64 v[168:169], v[164:165], v[166:167]
	s_waitcnt vmcnt(14)
	v_mul_f64 v[170:171], v[184:185], v[38:39]
	scratch_load_dwordx4 v[164:167], off, off offset:832
	v_fmac_f64_e32 v[170:171], v[186:187], v[36:37]
	v_add_f64 v[168:169], v[168:169], v[170:171]
	s_waitcnt vmcnt(14)
	v_mul_f64 v[170:171], v[188:189], v[42:43]
	scratch_load_dwordx4 v[172:175], off, off offset:848
	v_fmac_f64_e32 v[170:171], v[190:191], v[40:41]
	v_add_f64 v[232:233], v[168:169], v[170:171]
	scratch_load_dwordx4 v[168:171], off, off offset:864
	v_mul_f64 v[82:83], v[198:199], v[82:83]
	v_fma_f64 v[240:241], v[196:197], v[80:81], -v[82:83]
	ds_read_b128 v[196:199], v2 offset:1520
	s_waitcnt vmcnt(15)
	v_mul_f64 v[80:81], v[192:193], v[46:47]
	v_fmac_f64_e32 v[80:81], v[194:195], v[44:45]
	v_add_f64 v[232:233], v[232:233], v[80:81]
	v_mul_f64 v[80:81], v[202:203], v[86:87]
	v_fma_f64 v[250:251], v[200:201], v[84:85], -v[80:81]
	scratch_load_dwordx4 v[80:83], off, off offset:880
	ds_read_b128 v[84:87], v2 offset:1536
	v_mul_f64 v[90:91], v[206:207], v[90:91]
	v_fma_f64 v[252:253], v[204:205], v[88:89], -v[90:91]
	ds_read_b128 v[88:91], v2 offset:1552
	s_waitcnt vmcnt(15) lgkmcnt(2)
	v_mul_f64 v[200:201], v[196:197], v[50:51]
	v_fmac_f64_e32 v[200:201], v[198:199], v[48:49]
	s_waitcnt vmcnt(14) lgkmcnt(1)
	v_mul_f64 v[202:203], v[84:85], v[54:55]
	v_add_f64 v[200:201], v[232:233], v[200:201]
	v_fmac_f64_e32 v[202:203], v[86:87], v[52:53]
	v_mul_f64 v[94:95], v[210:211], v[94:95]
	v_fma_f64 v[254:255], v[208:209], v[92:93], -v[94:95]
	ds_read_b128 v[92:95], v2 offset:1568
	v_add_f64 v[200:201], v[200:201], v[202:203]
	s_waitcnt vmcnt(13) lgkmcnt(1)
	v_mul_f64 v[202:203], v[88:89], v[58:59]
	v_fmac_f64_e32 v[202:203], v[90:91], v[56:57]
	v_add_f64 v[204:205], v[200:201], v[202:203]
	ds_read_b128 v[200:203], v2 offset:1584
	v_mul_f64 v[98:99], v[214:215], v[98:99]
	v_fma_f64 v[232:233], v[212:213], v[96:97], -v[98:99]
	ds_read_b128 v[96:99], v2 offset:1600
	s_waitcnt vmcnt(12) lgkmcnt(2)
	v_mul_f64 v[206:207], v[92:93], v[62:63]
	v_fmac_f64_e32 v[206:207], v[94:95], v[60:61]
	v_add_f64 v[204:205], v[204:205], v[206:207]
	s_waitcnt vmcnt(11) lgkmcnt(1)
	v_mul_f64 v[206:207], v[200:201], v[66:67]
	v_fmac_f64_e32 v[206:207], v[202:203], v[64:65]
	v_mul_f64 v[102:103], v[218:219], v[102:103]
	v_add_f64 v[204:205], v[204:205], v[206:207]
	v_fma_f64 v[4:5], v[216:217], v[100:101], -v[102:103]
	ds_read_b128 v[100:103], v2 offset:1616
	s_waitcnt vmcnt(10) lgkmcnt(1)
	v_mul_f64 v[206:207], v[96:97], v[70:71]
	v_fmac_f64_e32 v[206:207], v[98:99], v[68:69]
	v_add_f64 v[208:209], v[204:205], v[206:207]
	ds_read_b128 v[204:207], v2 offset:1632
	v_mul_f64 v[106:107], v[222:223], v[106:107]
	v_fma_f64 v[0:1], v[220:221], v[104:105], -v[106:107]
	ds_read_b128 v[104:107], v2 offset:1648
	s_waitcnt vmcnt(9) lgkmcnt(2)
	v_mul_f64 v[210:211], v[100:101], v[74:75]
	v_fmac_f64_e32 v[210:211], v[102:103], v[72:73]
	v_add_f64 v[208:209], v[208:209], v[210:211]
	s_waitcnt vmcnt(8) lgkmcnt(1)
	v_mul_f64 v[210:211], v[204:205], v[78:79]
	v_fmac_f64_e32 v[210:211], v[206:207], v[76:77]
	v_mul_f64 v[6:7], v[226:227], v[110:111]
	v_fma_f64 v[6:7], v[224:225], v[108:109], -v[6:7]
	ds_read_b128 v[108:111], v2 offset:1664
	v_add_f64 v[208:209], v[208:209], v[210:211]
	s_waitcnt vmcnt(7) lgkmcnt(1)
	v_mul_f64 v[210:211], v[104:105], v[126:127]
	v_fmac_f64_e32 v[210:211], v[106:107], v[124:125]
	v_mul_f64 v[114:115], v[230:231], v[114:115]
	v_add_f64 v[212:213], v[208:209], v[210:211]
	ds_read_b128 v[208:211], v2 offset:1680
	v_fma_f64 v[112:113], v[228:229], v[112:113], -v[114:115]
	v_accvgpr_write_b32 a115, v113
	v_accvgpr_write_b32 a114, v112
	ds_read_b128 v[112:115], v2 offset:1696
	s_waitcnt vmcnt(6) lgkmcnt(2)
	v_mul_f64 v[214:215], v[108:109], v[142:143]
	v_fmac_f64_e32 v[214:215], v[110:111], v[140:141]
	v_add_f64 v[212:213], v[212:213], v[214:215]
	s_waitcnt vmcnt(5) lgkmcnt(1)
	v_mul_f64 v[214:215], v[208:209], v[154:155]
	v_fmac_f64_e32 v[214:215], v[210:211], v[152:153]
	v_mul_f64 v[118:119], v[244:245], v[118:119]
	v_add_f64 v[212:213], v[212:213], v[214:215]
	v_fma_f64 v[238:239], v[242:243], v[116:117], -v[118:119]
	ds_read_b128 v[116:119], v2 offset:1712
	s_waitcnt vmcnt(4) lgkmcnt(1)
	v_mul_f64 v[214:215], v[112:113], v[162:163]
	v_fmac_f64_e32 v[214:215], v[114:115], v[160:161]
	v_add_f64 v[216:217], v[212:213], v[214:215]
	ds_read_b128 v[212:215], v2 offset:1728
	v_mul_f64 v[122:123], v[248:249], v[122:123]
	v_fma_f64 v[242:243], v[246:247], v[120:121], -v[122:123]
	ds_read_b128 v[120:123], v2 offset:1744
	s_waitcnt vmcnt(3) lgkmcnt(2)
	v_mul_f64 v[218:219], v[116:117], v[166:167]
	v_fmac_f64_e32 v[218:219], v[118:119], v[164:165]
	v_add_f64 v[216:217], v[216:217], v[218:219]
	s_waitcnt vmcnt(2) lgkmcnt(1)
	v_mul_f64 v[218:219], v[212:213], v[174:175]
	v_fmac_f64_e32 v[218:219], v[214:215], v[172:173]
	v_add_f64 v[216:217], v[216:217], v[218:219]
	;; [unrolled: 4-line block ×3, first 2 shown]
	ds_read_b128 v[216:219], v2 offset:1760
	ds_read_b128 v[224:227], v2 offset:1776
	s_waitcnt vmcnt(0) lgkmcnt(1)
	v_mul_f64 v[222:223], v[216:217], v[82:83]
	v_fmac_f64_e32 v[222:223], v[218:219], v[80:81]
	v_add_f64 v[228:229], v[220:221], v[222:223]
	scratch_load_dwordx4 v[220:223], off, off offset:896
	s_waitcnt vmcnt(0) lgkmcnt(0)
	v_mul_f64 v[230:231], v[224:225], v[222:223]
	v_fmac_f64_e32 v[230:231], v[226:227], v[220:221]
	v_add_f64 v[246:247], v[228:229], v[230:231]
	v_add_f64 v[228:229], v[240:241], 0
	;; [unrolled: 1-line block ×7, first 2 shown]
	scratch_load_dwordx4 v[228:231], off, off offset:272
	v_add_f64 v[244:245], v[4:5], v[0:1]
	v_accvgpr_read_b32 v4, a114
	v_add_f64 v[0:1], v[244:245], v[6:7]
	v_accvgpr_read_b32 v5, a115
	v_add_f64 v[0:1], v[0:1], v[4:5]
	v_add_f64 v[0:1], v[0:1], v[238:239]
	v_mul_f64 v[4:5], v[158:159], v[236:237]
	v_add_f64 v[0:1], v[0:1], v[242:243]
	v_fma_f64 v[4:5], v[156:157], v[234:235], -v[4:5]
	v_add_f64 v[0:1], v[0:1], v[4:5]
	v_mul_f64 v[4:5], v[150:151], v[10:11]
	v_fma_f64 v[4:5], v[148:149], v[8:9], -v[4:5]
	v_add_f64 v[0:1], v[0:1], v[4:5]
	v_mul_f64 v[4:5], v[146:147], v[14:15]
	;; [unrolled: 3-line block ×27, first 2 shown]
	v_fma_f64 v[4:5], v[224:225], v[220:221], -v[4:5]
	v_add_f64 v[0:1], v[0:1], v[4:5]
	s_waitcnt vmcnt(0)
	v_add_f64 v[4:5], v[228:229], -v[0:1]
	v_accvgpr_read_b32 v0, a112
	v_add_f64 v[6:7], v[230:231], -v[246:247]
	v_cmp_lt_u32_e32 vcc, 15, v0
	scratch_store_dwordx4 off, v[4:7], off offset:272
	s_and_saveexec_b64 s[0:1], vcc
	s_cbranch_execz .LBB119_319
; %bb.318:
	scratch_load_dwordx4 v[6:9], off, s57
	v_mov_b32_e32 v3, v2
	v_mov_b32_e32 v4, v2
	;; [unrolled: 1-line block ×3, first 2 shown]
	v_accvgpr_read_b32 v0, a113
	scratch_store_dwordx4 off, v[2:5], off offset:256
	s_waitcnt vmcnt(1)
	ds_write_b128 v0, v[6:9]
.LBB119_319:
	s_or_b64 exec, exec, s[0:1]
	s_waitcnt lgkmcnt(0)
	; wave barrier
	scratch_load_dwordx4 v[132:135], off, off offset:272
	scratch_load_dwordx4 v[160:163], off, off offset:288
	scratch_load_dwordx4 v[164:167], off, off offset:304
	scratch_load_dwordx4 v[168:171], off, off offset:320
	scratch_load_dwordx4 v[176:179], off, off offset:336
	scratch_load_dwordx4 v[180:183], off, off offset:352
	scratch_load_dwordx4 v[188:191], off, off offset:368
	scratch_load_dwordx4 v[192:195], off, off offset:384
	scratch_load_dwordx4 v[200:203], off, off offset:400
	scratch_load_dwordx4 v[204:207], off, off offset:416
	scratch_load_dwordx4 v[212:215], off, off offset:432
	scratch_load_dwordx4 v[4:7], off, off offset:448
	scratch_load_dwordx4 v[8:11], off, off offset:464
	scratch_load_dwordx4 v[12:15], off, off offset:480
	scratch_load_dwordx4 v[16:19], off, off offset:496
	scratch_load_dwordx4 v[20:23], off, off offset:512
	ds_read_b128 v[156:159], v2 offset:1152
	ds_read_b128 v[172:175], v2 offset:1168
	scratch_load_dwordx4 v[24:27], off, off offset:528
	ds_read_b128 v[232:235], v2 offset:1184
	ds_read_b128 v[228:231], v2 offset:1200
	scratch_load_dwordx4 v[28:31], off, off offset:544
	ds_read_b128 v[236:239], v2 offset:1216
	ds_read_b128 v[184:187], v2 offset:1232
	;; [unrolled: 1-line block ×5, first 2 shown]
	scratch_load_dwordx4 v[32:35], off, off offset:560
	ds_read_b128 v[220:223], v2 offset:1296
	ds_read_b128 v[216:219], v2 offset:1312
	;; [unrolled: 1-line block ×3, first 2 shown]
	scratch_load_dwordx4 v[36:39], off, off offset:576
	ds_read_b128 v[64:67], v2 offset:1344
	ds_read_b128 v[60:63], v2 offset:1360
	;; [unrolled: 1-line block ×5, first 2 shown]
	scratch_load_dwordx4 v[52:55], off, off offset:592
	scratch_load_dwordx4 v[68:71], off, off offset:608
	;; [unrolled: 1-line block ×11, first 2 shown]
	ds_read_b128 v[144:147], v2 offset:1456
	ds_read_b128 v[148:151], v2 offset:1472
	;; [unrolled: 1-line block ×3, first 2 shown]
	s_waitcnt vmcnt(30) lgkmcnt(14)
	v_mul_f64 v[0:1], v[156:157], v[134:135]
	s_waitcnt vmcnt(29)
	v_mul_f64 v[108:109], v[172:173], v[162:163]
	v_fmac_f64_e32 v[0:1], v[158:159], v[132:133]
	s_waitcnt vmcnt(28)
	v_mul_f64 v[110:111], v[232:233], v[166:167]
	v_fmac_f64_e32 v[108:109], v[174:175], v[160:161]
	v_add_f64 v[0:1], v[0:1], 0
	s_waitcnt vmcnt(27)
	v_mul_f64 v[112:113], v[228:229], v[170:171]
	v_fmac_f64_e32 v[110:111], v[234:235], v[164:165]
	v_add_f64 v[0:1], v[0:1], v[108:109]
	;; [unrolled: 4-line block ×4, first 2 shown]
	s_waitcnt vmcnt(24) lgkmcnt(13)
	v_mul_f64 v[118:119], v[224:225], v[190:191]
	v_fmac_f64_e32 v[116:117], v[186:187], v[180:181]
	v_add_f64 v[0:1], v[0:1], v[114:115]
	s_waitcnt vmcnt(23) lgkmcnt(12)
	v_mul_f64 v[120:121], v[196:197], v[194:195]
	v_fmac_f64_e32 v[118:119], v[226:227], v[188:189]
	v_add_f64 v[0:1], v[0:1], v[116:117]
	;; [unrolled: 4-line block ×9, first 2 shown]
	v_fmac_f64_e32 v[138:139], v[58:59], v[16:17]
	v_add_f64 v[0:1], v[0:1], v[136:137]
	v_add_f64 v[0:1], v[0:1], v[138:139]
	ds_read_b128 v[136:139], v2 offset:1424
	s_waitcnt vmcnt(15) lgkmcnt(5)
	v_mul_f64 v[140:141], v[48:49], v[22:23]
	v_fmac_f64_e32 v[140:141], v[50:51], v[20:21]
	s_waitcnt vmcnt(14) lgkmcnt(4)
	v_mul_f64 v[112:113], v[44:45], v[26:27]
	scratch_load_dwordx4 v[108:111], off, off offset:768
	v_add_f64 v[0:1], v[0:1], v[140:141]
	v_fmac_f64_e32 v[112:113], v[46:47], v[24:25]
	v_add_f64 v[0:1], v[0:1], v[112:113]
	scratch_load_dwordx4 v[112:115], off, off offset:784
	ds_read_b128 v[140:143], v2 offset:1440
	s_waitcnt vmcnt(15) lgkmcnt(1)
	v_mul_f64 v[116:117], v[136:137], v[30:31]
	v_fmac_f64_e32 v[116:117], v[138:139], v[28:29]
	v_add_f64 v[0:1], v[0:1], v[116:117]
	scratch_load_dwordx4 v[116:119], off, off offset:800
	s_waitcnt vmcnt(15) lgkmcnt(0)
	v_mul_f64 v[120:121], v[140:141], v[34:35]
	v_fmac_f64_e32 v[120:121], v[142:143], v[32:33]
	s_waitcnt vmcnt(14)
	v_mul_f64 v[124:125], v[144:145], v[38:39]
	v_add_f64 v[0:1], v[0:1], v[120:121]
	scratch_load_dwordx4 v[120:123], off, off offset:816
	v_fmac_f64_e32 v[124:125], v[146:147], v[36:37]
	v_add_f64 v[0:1], v[0:1], v[124:125]
	s_waitcnt vmcnt(14)
	v_mul_f64 v[124:125], v[148:149], v[54:55]
	scratch_load_dwordx4 v[128:131], off, off offset:832
	v_fmac_f64_e32 v[124:125], v[150:151], v[52:53]
	v_add_f64 v[0:1], v[0:1], v[124:125]
	scratch_load_dwordx4 v[124:127], off, off offset:848
	v_mul_f64 v[134:135], v[158:159], v[134:135]
	v_fma_f64 v[240:241], v[156:157], v[132:133], -v[134:135]
	ds_read_b128 v[156:159], v2 offset:1504
	s_waitcnt vmcnt(15)
	v_mul_f64 v[132:133], v[152:153], v[70:71]
	v_fmac_f64_e32 v[132:133], v[154:155], v[68:69]
	v_add_f64 v[0:1], v[0:1], v[132:133]
	v_mul_f64 v[132:133], v[174:175], v[162:163]
	v_fma_f64 v[246:247], v[172:173], v[160:161], -v[132:133]
	scratch_load_dwordx4 v[132:135], off, off offset:864
	ds_read_b128 v[160:163], v2 offset:1520
	v_mul_f64 v[166:167], v[234:235], v[166:167]
	v_fma_f64 v[248:249], v[232:233], v[164:165], -v[166:167]
	ds_read_b128 v[164:167], v2 offset:1536
	s_waitcnt vmcnt(15) lgkmcnt(2)
	v_mul_f64 v[172:173], v[156:157], v[74:75]
	v_fmac_f64_e32 v[172:173], v[158:159], v[72:73]
	v_add_f64 v[0:1], v[0:1], v[172:173]
	s_waitcnt vmcnt(14) lgkmcnt(1)
	v_mul_f64 v[172:173], v[160:161], v[78:79]
	v_fmac_f64_e32 v[172:173], v[162:163], v[76:77]
	v_mul_f64 v[170:171], v[230:231], v[170:171]
	v_fma_f64 v[250:251], v[228:229], v[168:169], -v[170:171]
	ds_read_b128 v[168:171], v2 offset:1552
	v_add_f64 v[0:1], v[0:1], v[172:173]
	s_waitcnt vmcnt(13) lgkmcnt(1)
	v_mul_f64 v[172:173], v[164:165], v[82:83]
	v_fmac_f64_e32 v[172:173], v[166:167], v[80:81]
	v_add_f64 v[0:1], v[0:1], v[172:173]
	ds_read_b128 v[172:175], v2 offset:1568
	v_mul_f64 v[178:179], v[238:239], v[178:179]
	v_fma_f64 v[236:237], v[236:237], v[176:177], -v[178:179]
	ds_read_b128 v[176:179], v2 offset:1584
	s_waitcnt vmcnt(12) lgkmcnt(2)
	v_mul_f64 v[228:229], v[168:169], v[86:87]
	v_fmac_f64_e32 v[228:229], v[170:171], v[84:85]
	v_add_f64 v[0:1], v[0:1], v[228:229]
	s_waitcnt vmcnt(11) lgkmcnt(1)
	v_mul_f64 v[228:229], v[172:173], v[90:91]
	v_mul_f64 v[182:183], v[186:187], v[182:183]
	v_fmac_f64_e32 v[228:229], v[174:175], v[88:89]
	v_fma_f64 v[238:239], v[184:185], v[180:181], -v[182:183]
	ds_read_b128 v[180:183], v2 offset:1600
	s_waitcnt vmcnt(10) lgkmcnt(1)
	v_mul_f64 v[184:185], v[176:177], v[94:95]
	v_add_f64 v[0:1], v[0:1], v[228:229]
	v_fmac_f64_e32 v[184:185], v[178:179], v[92:93]
	v_add_f64 v[0:1], v[0:1], v[184:185]
	ds_read_b128 v[184:187], v2 offset:1616
	v_mul_f64 v[190:191], v[226:227], v[190:191]
	v_fma_f64 v[252:253], v[224:225], v[188:189], -v[190:191]
	ds_read_b128 v[188:191], v2 offset:1632
	s_waitcnt vmcnt(9) lgkmcnt(2)
	v_mul_f64 v[228:229], v[180:181], v[98:99]
	v_fmac_f64_e32 v[228:229], v[182:183], v[96:97]
	s_waitcnt vmcnt(8) lgkmcnt(1)
	v_mul_f64 v[224:225], v[184:185], v[102:103]
	v_mul_f64 v[194:195], v[198:199], v[194:195]
	v_add_f64 v[0:1], v[0:1], v[228:229]
	v_fmac_f64_e32 v[224:225], v[186:187], v[100:101]
	v_fma_f64 v[254:255], v[196:197], v[192:193], -v[194:195]
	s_waitcnt vmcnt(7) lgkmcnt(0)
	v_mul_f64 v[196:197], v[188:189], v[106:107]
	ds_read_b128 v[192:195], v2 offset:1648
	v_add_f64 v[0:1], v[0:1], v[224:225]
	v_fmac_f64_e32 v[196:197], v[190:191], v[104:105]
	v_add_f64 v[0:1], v[0:1], v[196:197]
	ds_read_b128 v[196:199], v2 offset:1664
	v_mul_f64 v[202:203], v[210:211], v[202:203]
	v_fma_f64 v[242:243], v[208:209], v[200:201], -v[202:203]
	ds_read_b128 v[200:203], v2 offset:1680
	s_waitcnt vmcnt(6) lgkmcnt(2)
	v_mul_f64 v[224:225], v[192:193], v[110:111]
	v_fmac_f64_e32 v[224:225], v[194:195], v[108:109]
	s_waitcnt vmcnt(5) lgkmcnt(1)
	v_mul_f64 v[208:209], v[196:197], v[114:115]
	v_add_f64 v[0:1], v[0:1], v[224:225]
	v_fmac_f64_e32 v[208:209], v[198:199], v[112:113]
	v_add_f64 v[208:209], v[0:1], v[208:209]
	v_mul_f64 v[0:1], v[222:223], v[206:207]
	v_fma_f64 v[0:1], v[220:221], v[204:205], -v[0:1]
	ds_read_b128 v[204:207], v2 offset:1696
	s_waitcnt vmcnt(4) lgkmcnt(1)
	v_mul_f64 v[210:211], v[200:201], v[118:119]
	v_fmac_f64_e32 v[210:211], v[202:203], v[116:117]
	v_add_f64 v[220:221], v[208:209], v[210:211]
	ds_read_b128 v[208:211], v2 offset:1712
	v_mul_f64 v[214:215], v[218:219], v[214:215]
	v_fma_f64 v[244:245], v[216:217], v[212:213], -v[214:215]
	ds_read_b128 v[212:215], v2 offset:1728
	s_waitcnt vmcnt(3) lgkmcnt(2)
	v_mul_f64 v[216:217], v[204:205], v[122:123]
	v_fmac_f64_e32 v[216:217], v[206:207], v[120:121]
	s_waitcnt vmcnt(2) lgkmcnt(1)
	v_mul_f64 v[218:219], v[208:209], v[130:131]
	v_add_f64 v[216:217], v[220:221], v[216:217]
	v_fmac_f64_e32 v[218:219], v[210:211], v[128:129]
	v_add_f64 v[216:217], v[216:217], v[218:219]
	s_waitcnt vmcnt(1) lgkmcnt(0)
	v_mul_f64 v[218:219], v[212:213], v[126:127]
	v_fmac_f64_e32 v[218:219], v[214:215], v[124:125]
	v_add_f64 v[220:221], v[216:217], v[218:219]
	ds_read_b128 v[216:219], v2 offset:1744
	ds_read_b128 v[224:227], v2 offset:1760
	scratch_load_dwordx4 v[232:235], off, off offset:896
	v_accvgpr_write_b32 a115, v1
	v_accvgpr_write_b32 a114, v0
	s_waitcnt vmcnt(1) lgkmcnt(1)
	v_mul_f64 v[222:223], v[216:217], v[134:135]
	v_fmac_f64_e32 v[222:223], v[218:219], v[132:133]
	v_add_f64 v[228:229], v[220:221], v[222:223]
	scratch_load_dwordx4 v[220:223], off, off offset:880
	v_mul_f64 v[6:7], v[42:43], v[6:7]
	v_fma_f64 v[4:5], v[40:41], v[4:5], -v[6:7]
	s_waitcnt vmcnt(0) lgkmcnt(0)
	v_mul_f64 v[230:231], v[224:225], v[222:223]
	v_fmac_f64_e32 v[230:231], v[226:227], v[220:221]
	v_add_f64 v[0:1], v[228:229], v[230:231]
	ds_read_b128 v[228:231], v2 offset:1776
	s_waitcnt lgkmcnt(0)
	v_mul_f64 v[2:3], v[228:229], v[234:235]
	v_fmac_f64_e32 v[2:3], v[230:231], v[232:233]
	v_add_f64 v[2:3], v[0:1], v[2:3]
	v_add_f64 v[0:1], v[240:241], 0
	;; [unrolled: 1-line block ×7, first 2 shown]
	scratch_load_dwordx4 v[236:239], off, off offset:256
	v_add_f64 v[0:1], v[0:1], v[252:253]
	v_add_f64 v[0:1], v[0:1], v[254:255]
	;; [unrolled: 1-line block ×3, first 2 shown]
	v_accvgpr_read_b32 v0, a114
	v_accvgpr_read_b32 v1, a115
	v_add_f64 v[0:1], v[254:255], v[0:1]
	v_add_f64 v[0:1], v[0:1], v[244:245]
	v_add_f64 v[0:1], v[0:1], v[4:5]
	v_mul_f64 v[4:5], v[66:67], v[10:11]
	v_fma_f64 v[4:5], v[64:65], v[8:9], -v[4:5]
	v_add_f64 v[0:1], v[0:1], v[4:5]
	v_mul_f64 v[4:5], v[62:63], v[14:15]
	v_fma_f64 v[4:5], v[60:61], v[12:13], -v[4:5]
	v_add_f64 v[0:1], v[0:1], v[4:5]
	;; [unrolled: 3-line block ×28, first 2 shown]
	s_waitcnt vmcnt(0)
	v_add_f64 v[4:5], v[236:237], -v[0:1]
	v_accvgpr_read_b32 v0, a112
	v_add_f64 v[6:7], v[238:239], -v[2:3]
	v_cmp_lt_u32_e32 vcc, 14, v0
	scratch_store_dwordx4 off, v[4:7], off offset:256
	s_and_saveexec_b64 s[0:1], vcc
	s_cbranch_execz .LBB119_321
; %bb.320:
	scratch_load_dwordx4 v[2:5], off, s58
	v_mov_b32_e32 v6, 0
	v_mov_b32_e32 v7, v6
	;; [unrolled: 1-line block ×4, first 2 shown]
	v_accvgpr_read_b32 v0, a113
	scratch_store_dwordx4 off, v[6:9], off offset:240
	s_waitcnt vmcnt(1)
	ds_write_b128 v0, v[2:5]
.LBB119_321:
	s_or_b64 exec, exec, s[0:1]
	s_waitcnt lgkmcnt(0)
	; wave barrier
	scratch_load_dwordx4 v[112:115], off, off offset:256
	scratch_load_dwordx4 v[116:119], off, off offset:272
	scratch_load_dwordx4 v[120:123], off, off offset:288
	scratch_load_dwordx4 v[152:155], off, off offset:304
	scratch_load_dwordx4 v[160:163], off, off offset:320
	scratch_load_dwordx4 v[164:167], off, off offset:336
	scratch_load_dwordx4 v[172:175], off, off offset:352
	scratch_load_dwordx4 v[176:179], off, off offset:368
	scratch_load_dwordx4 v[184:187], off, off offset:384
	scratch_load_dwordx4 v[188:191], off, off offset:400
	scratch_load_dwordx4 v[196:199], off, off offset:416
	scratch_load_dwordx4 v[200:203], off, off offset:432
	scratch_load_dwordx4 v[208:211], off, off offset:448
	scratch_load_dwordx4 v[4:7], off, off offset:464
	scratch_load_dwordx4 v[8:11], off, off offset:480
	scratch_load_dwordx4 v[234:237], off, off offset:496
	scratch_load_dwordx4 v[16:19], off, off offset:512
	scratch_load_dwordx4 v[20:23], off, off offset:528
	scratch_load_dwordx4 v[24:27], off, off offset:544
	scratch_load_dwordx4 v[28:31], off, off offset:560
	scratch_load_dwordx4 v[32:35], off, off offset:576
	scratch_load_dwordx4 v[36:39], off, off offset:592
	scratch_load_dwordx4 v[40:43], off, off offset:608
	scratch_load_dwordx4 v[44:47], off, off offset:624
	scratch_load_dwordx4 v[48:51], off, off offset:640
	scratch_load_dwordx4 v[52:55], off, off offset:656
	scratch_load_dwordx4 v[56:59], off, off offset:672
	scratch_load_dwordx4 v[60:63], off, off offset:688
	scratch_load_dwordx4 v[64:67], off, off offset:704
	scratch_load_dwordx4 v[68:71], off, off offset:720
	v_mov_b32_e32 v2, 0
	ds_read_b128 v[144:147], v2 offset:1136
	ds_read_b128 v[156:159], v2 offset:1152
	;; [unrolled: 1-line block ×20, first 2 shown]
	s_waitcnt vmcnt(29) lgkmcnt(14)
	v_mul_f64 v[0:1], v[144:145], v[114:115]
	s_waitcnt vmcnt(28)
	v_mul_f64 v[88:89], v[156:157], v[118:119]
	v_fmac_f64_e32 v[0:1], v[146:147], v[112:113]
	s_waitcnt vmcnt(27)
	v_mul_f64 v[90:91], v[168:169], v[122:123]
	v_fmac_f64_e32 v[88:89], v[158:159], v[116:117]
	v_add_f64 v[0:1], v[0:1], 0
	s_waitcnt vmcnt(26)
	v_mul_f64 v[92:93], v[180:181], v[154:155]
	v_fmac_f64_e32 v[90:91], v[170:171], v[120:121]
	v_add_f64 v[0:1], v[0:1], v[88:89]
	;; [unrolled: 4-line block ×4, first 2 shown]
	s_waitcnt vmcnt(23) lgkmcnt(13)
	v_mul_f64 v[98:99], v[212:213], v[174:175]
	v_fmac_f64_e32 v[96:97], v[206:207], v[164:165]
	v_add_f64 v[0:1], v[0:1], v[94:95]
	s_waitcnt vmcnt(22) lgkmcnt(12)
	v_mul_f64 v[100:101], v[216:217], v[178:179]
	v_fmac_f64_e32 v[98:99], v[214:215], v[172:173]
	v_add_f64 v[0:1], v[0:1], v[96:97]
	;; [unrolled: 4-line block ×9, first 2 shown]
	v_fmac_f64_e32 v[126:127], v[82:83], v[8:9]
	v_add_f64 v[0:1], v[0:1], v[124:125]
	scratch_load_dwordx4 v[88:91], off, off offset:736
	s_waitcnt vmcnt(15) lgkmcnt(4)
	v_mul_f64 v[128:129], v[76:77], v[236:237]
	v_add_f64 v[0:1], v[0:1], v[126:127]
	ds_read_b128 v[124:127], v2 offset:1408
	v_fmac_f64_e32 v[128:129], v[78:79], v[234:235]
	v_add_f64 v[0:1], v[0:1], v[128:129]
	ds_read_b128 v[128:131], v2 offset:1424
	s_waitcnt vmcnt(14) lgkmcnt(5)
	v_mul_f64 v[92:93], v[72:73], v[18:19]
	v_fmac_f64_e32 v[92:93], v[74:75], v[16:17]
	v_add_f64 v[0:1], v[0:1], v[92:93]
	s_waitcnt vmcnt(13) lgkmcnt(1)
	v_mul_f64 v[96:97], v[124:125], v[22:23]
	scratch_load_dwordx4 v[92:95], off, off offset:752
	v_fmac_f64_e32 v[96:97], v[126:127], v[20:21]
	v_add_f64 v[0:1], v[0:1], v[96:97]
	s_waitcnt vmcnt(13) lgkmcnt(0)
	v_mul_f64 v[100:101], v[128:129], v[26:27]
	scratch_load_dwordx4 v[96:99], off, off offset:768
	v_fmac_f64_e32 v[100:101], v[130:131], v[24:25]
	v_add_f64 v[0:1], v[0:1], v[100:101]
	scratch_load_dwordx4 v[100:103], off, off offset:784
	s_waitcnt vmcnt(14)
	v_mul_f64 v[104:105], v[132:133], v[30:31]
	v_fmac_f64_e32 v[104:105], v[134:135], v[28:29]
	v_add_f64 v[0:1], v[0:1], v[104:105]
	s_waitcnt vmcnt(13)
	v_mul_f64 v[104:105], v[136:137], v[34:35]
	v_fmac_f64_e32 v[104:105], v[138:139], v[32:33]
	v_add_f64 v[0:1], v[0:1], v[104:105]
	scratch_load_dwordx4 v[104:107], off, off offset:800
	s_waitcnt vmcnt(13)
	v_mul_f64 v[108:109], v[140:141], v[38:39]
	v_fmac_f64_e32 v[108:109], v[142:143], v[36:37]
	v_add_f64 v[0:1], v[0:1], v[108:109]
	scratch_load_dwordx4 v[108:111], off, off offset:816
	v_mul_f64 v[114:115], v[146:147], v[114:115]
	v_fma_f64 v[240:241], v[144:145], v[112:113], -v[114:115]
	v_mul_f64 v[112:113], v[158:159], v[118:119]
	ds_read_b128 v[148:151], v2 offset:1488
	ds_read_b128 v[144:147], v2 offset:1504
	v_fma_f64 v[250:251], v[156:157], v[116:117], -v[112:113]
	scratch_load_dwordx4 v[116:119], off, off offset:832
	scratch_load_dwordx4 v[112:115], off, off offset:848
	v_mul_f64 v[122:123], v[170:171], v[122:123]
	v_fma_f64 v[252:253], v[168:169], v[120:121], -v[122:123]
	scratch_load_dwordx4 v[120:123], off, off offset:864
	s_waitcnt vmcnt(16) lgkmcnt(1)
	v_mul_f64 v[156:157], v[148:149], v[42:43]
	v_fmac_f64_e32 v[156:157], v[150:151], v[40:41]
	v_mul_f64 v[154:155], v[182:183], v[154:155]
	v_add_f64 v[0:1], v[0:1], v[156:157]
	v_fma_f64 v[254:255], v[180:181], v[152:153], -v[154:155]
	ds_read_b128 v[152:155], v2 offset:1520
	s_waitcnt vmcnt(15) lgkmcnt(1)
	v_mul_f64 v[156:157], v[144:145], v[46:47]
	v_fmac_f64_e32 v[156:157], v[146:147], v[44:45]
	v_add_f64 v[0:1], v[0:1], v[156:157]
	ds_read_b128 v[156:159], v2 offset:1536
	v_mul_f64 v[162:163], v[194:195], v[162:163]
	v_fma_f64 v[232:233], v[192:193], v[160:161], -v[162:163]
	ds_read_b128 v[160:163], v2 offset:1552
	s_waitcnt vmcnt(14) lgkmcnt(2)
	v_mul_f64 v[168:169], v[152:153], v[50:51]
	v_fmac_f64_e32 v[168:169], v[154:155], v[48:49]
	v_mul_f64 v[166:167], v[206:207], v[166:167]
	v_add_f64 v[0:1], v[0:1], v[168:169]
	s_waitcnt vmcnt(13) lgkmcnt(1)
	v_mul_f64 v[168:169], v[156:157], v[54:55]
	v_fma_f64 v[12:13], v[204:205], v[164:165], -v[166:167]
	ds_read_b128 v[164:167], v2 offset:1568
	v_accvgpr_write_b32 a117, v7
	v_fmac_f64_e32 v[168:169], v[158:159], v[52:53]
	v_accvgpr_write_b32 a116, v6
	v_accvgpr_write_b32 a115, v5
	;; [unrolled: 1-line block ×3, first 2 shown]
	v_add_f64 v[0:1], v[0:1], v[168:169]
	s_waitcnt vmcnt(12) lgkmcnt(1)
	v_mul_f64 v[6:7], v[160:161], v[58:59]
	ds_read_b128 v[168:171], v2 offset:1584
	v_fmac_f64_e32 v[6:7], v[162:163], v[56:57]
	v_accvgpr_write_b32 a121, v11
	v_add_f64 v[0:1], v[0:1], v[6:7]
	v_mul_f64 v[6:7], v[214:215], v[174:175]
	v_accvgpr_write_b32 a120, v10
	v_accvgpr_write_b32 a119, v9
	v_accvgpr_write_b32 a118, v8
	v_fma_f64 v[8:9], v[212:213], v[172:173], -v[6:7]
	s_waitcnt vmcnt(11) lgkmcnt(1)
	v_mul_f64 v[6:7], v[164:165], v[62:63]
	v_fmac_f64_e32 v[6:7], v[166:167], v[60:61]
	ds_read_b128 v[172:175], v2 offset:1600
	v_add_f64 v[0:1], v[0:1], v[6:7]
	s_waitcnt vmcnt(10) lgkmcnt(1)
	v_mul_f64 v[6:7], v[168:169], v[66:67]
	v_fmac_f64_e32 v[6:7], v[170:171], v[64:65]
	v_add_f64 v[0:1], v[0:1], v[6:7]
	v_mul_f64 v[6:7], v[218:219], v[178:179]
	v_fma_f64 v[10:11], v[216:217], v[176:177], -v[6:7]
	ds_read_b128 v[176:179], v2 offset:1616
	ds_read_b128 v[180:183], v2 offset:1632
	s_waitcnt vmcnt(9) lgkmcnt(2)
	v_mul_f64 v[6:7], v[172:173], v[70:71]
	v_fmac_f64_e32 v[6:7], v[174:175], v[68:69]
	v_add_f64 v[0:1], v[0:1], v[6:7]
	s_waitcnt vmcnt(8) lgkmcnt(1)
	v_mul_f64 v[6:7], v[176:177], v[90:91]
	v_fmac_f64_e32 v[6:7], v[178:179], v[88:89]
	v_add_f64 v[0:1], v[0:1], v[6:7]
	v_mul_f64 v[6:7], v[222:223], v[186:187]
	v_fma_f64 v[4:5], v[220:221], v[184:185], -v[6:7]
	ds_read_b128 v[184:187], v2 offset:1648
	v_mul_f64 v[6:7], v[226:227], v[190:191]
	v_fma_f64 v[6:7], v[224:225], v[188:189], -v[6:7]
	ds_read_b128 v[188:191], v2 offset:1664
	s_waitcnt vmcnt(7) lgkmcnt(2)
	v_mul_f64 v[14:15], v[180:181], v[94:95]
	v_fmac_f64_e32 v[14:15], v[182:183], v[92:93]
	v_add_f64 v[0:1], v[0:1], v[14:15]
	s_waitcnt vmcnt(6) lgkmcnt(1)
	v_mul_f64 v[14:15], v[184:185], v[98:99]
	v_fmac_f64_e32 v[14:15], v[186:187], v[96:97]
	v_add_f64 v[0:1], v[0:1], v[14:15]
	s_waitcnt vmcnt(5) lgkmcnt(0)
	v_mul_f64 v[14:15], v[188:189], v[102:103]
	ds_read_b128 v[192:195], v2 offset:1680
	v_fmac_f64_e32 v[14:15], v[190:191], v[100:101]
	v_add_f64 v[14:15], v[0:1], v[14:15]
	v_mul_f64 v[0:1], v[230:231], v[198:199]
	v_fma_f64 v[0:1], v[228:229], v[196:197], -v[0:1]
	ds_read_b128 v[196:199], v2 offset:1696
	v_mul_f64 v[202:203], v[244:245], v[202:203]
	s_waitcnt vmcnt(4) lgkmcnt(1)
	v_mul_f64 v[204:205], v[192:193], v[106:107]
	v_fma_f64 v[238:239], v[242:243], v[200:201], -v[202:203]
	ds_read_b128 v[200:203], v2 offset:1712
	v_fmac_f64_e32 v[204:205], v[194:195], v[104:105]
	v_add_f64 v[14:15], v[14:15], v[204:205]
	ds_read_b128 v[204:207], v2 offset:1728
	s_waitcnt vmcnt(3) lgkmcnt(2)
	v_mul_f64 v[212:213], v[196:197], v[110:111]
	v_mul_f64 v[210:211], v[248:249], v[210:211]
	v_fmac_f64_e32 v[212:213], v[198:199], v[108:109]
	v_fma_f64 v[242:243], v[246:247], v[208:209], -v[210:211]
	ds_read_b128 v[208:211], v2 offset:1744
	ds_read_b128 v[216:219], v2 offset:1760
	v_add_f64 v[14:15], v[14:15], v[212:213]
	s_waitcnt vmcnt(2) lgkmcnt(3)
	v_mul_f64 v[212:213], v[200:201], v[118:119]
	v_fmac_f64_e32 v[212:213], v[202:203], v[116:117]
	v_add_f64 v[14:15], v[14:15], v[212:213]
	s_waitcnt vmcnt(1) lgkmcnt(2)
	v_mul_f64 v[212:213], v[204:205], v[114:115]
	v_fmac_f64_e32 v[212:213], v[206:207], v[112:113]
	;; [unrolled: 4-line block ×3, first 2 shown]
	v_add_f64 v[14:15], v[14:15], v[212:213]
	scratch_load_dwordx4 v[212:215], off, off offset:880
	ds_read_b128 v[224:227], v2 offset:1776
	s_waitcnt vmcnt(0) lgkmcnt(1)
	v_mul_f64 v[220:221], v[216:217], v[214:215]
	v_fmac_f64_e32 v[220:221], v[218:219], v[212:213]
	v_add_f64 v[14:15], v[14:15], v[220:221]
	scratch_load_dwordx4 v[220:223], off, off offset:896
	s_waitcnt vmcnt(0) lgkmcnt(0)
	v_mul_f64 v[228:229], v[224:225], v[222:223]
	v_fmac_f64_e32 v[228:229], v[226:227], v[220:221]
	v_add_f64 v[246:247], v[14:15], v[228:229]
	scratch_load_dwordx4 v[228:231], off, off offset:240
	v_add_f64 v[14:15], v[240:241], 0
	v_add_f64 v[14:15], v[14:15], v[250:251]
	;; [unrolled: 1-line block ×10, first 2 shown]
	v_accvgpr_read_b32 v6, a114
	v_accvgpr_read_b32 v8, a116
	;; [unrolled: 1-line block ×3, first 2 shown]
	v_add_f64 v[0:1], v[4:5], v[0:1]
	v_accvgpr_read_b32 v7, a115
	v_mul_f64 v[4:5], v[86:87], v[8:9]
	v_add_f64 v[0:1], v[0:1], v[238:239]
	v_fma_f64 v[4:5], v[84:85], v[6:7], -v[4:5]
	v_accvgpr_read_b32 v6, a118
	v_add_f64 v[0:1], v[0:1], v[242:243]
	v_accvgpr_read_b32 v8, a120
	v_accvgpr_read_b32 v9, a121
	v_add_f64 v[0:1], v[0:1], v[4:5]
	v_accvgpr_read_b32 v7, a119
	v_mul_f64 v[4:5], v[82:83], v[8:9]
	v_fma_f64 v[4:5], v[80:81], v[6:7], -v[4:5]
	v_add_f64 v[0:1], v[0:1], v[4:5]
	v_mul_f64 v[4:5], v[78:79], v[236:237]
	v_fma_f64 v[4:5], v[76:77], v[234:235], -v[4:5]
	v_add_f64 v[0:1], v[0:1], v[4:5]
	v_mul_f64 v[4:5], v[74:75], v[18:19]
	v_fma_f64 v[4:5], v[72:73], v[16:17], -v[4:5]
	v_add_f64 v[0:1], v[0:1], v[4:5]
	v_mul_f64 v[4:5], v[126:127], v[22:23]
	v_fma_f64 v[4:5], v[124:125], v[20:21], -v[4:5]
	v_add_f64 v[0:1], v[0:1], v[4:5]
	v_mul_f64 v[4:5], v[130:131], v[26:27]
	v_fma_f64 v[4:5], v[128:129], v[24:25], -v[4:5]
	v_add_f64 v[0:1], v[0:1], v[4:5]
	v_mul_f64 v[4:5], v[134:135], v[30:31]
	v_fma_f64 v[4:5], v[132:133], v[28:29], -v[4:5]
	v_add_f64 v[0:1], v[0:1], v[4:5]
	v_mul_f64 v[4:5], v[138:139], v[34:35]
	v_fma_f64 v[4:5], v[136:137], v[32:33], -v[4:5]
	v_add_f64 v[0:1], v[0:1], v[4:5]
	v_mul_f64 v[4:5], v[142:143], v[38:39]
	v_fma_f64 v[4:5], v[140:141], v[36:37], -v[4:5]
	v_add_f64 v[0:1], v[0:1], v[4:5]
	v_mul_f64 v[4:5], v[150:151], v[42:43]
	v_fma_f64 v[4:5], v[148:149], v[40:41], -v[4:5]
	v_add_f64 v[0:1], v[0:1], v[4:5]
	v_mul_f64 v[4:5], v[146:147], v[46:47]
	v_fma_f64 v[4:5], v[144:145], v[44:45], -v[4:5]
	v_add_f64 v[0:1], v[0:1], v[4:5]
	v_mul_f64 v[4:5], v[154:155], v[50:51]
	v_fma_f64 v[4:5], v[152:153], v[48:49], -v[4:5]
	v_add_f64 v[0:1], v[0:1], v[4:5]
	v_mul_f64 v[4:5], v[158:159], v[54:55]
	v_fma_f64 v[4:5], v[156:157], v[52:53], -v[4:5]
	v_add_f64 v[0:1], v[0:1], v[4:5]
	v_mul_f64 v[4:5], v[162:163], v[58:59]
	v_fma_f64 v[4:5], v[160:161], v[56:57], -v[4:5]
	v_add_f64 v[0:1], v[0:1], v[4:5]
	v_mul_f64 v[4:5], v[166:167], v[62:63]
	v_fma_f64 v[4:5], v[164:165], v[60:61], -v[4:5]
	v_add_f64 v[0:1], v[0:1], v[4:5]
	v_mul_f64 v[4:5], v[170:171], v[66:67]
	v_fma_f64 v[4:5], v[168:169], v[64:65], -v[4:5]
	v_add_f64 v[0:1], v[0:1], v[4:5]
	v_mul_f64 v[4:5], v[174:175], v[70:71]
	v_fma_f64 v[4:5], v[172:173], v[68:69], -v[4:5]
	v_add_f64 v[0:1], v[0:1], v[4:5]
	v_mul_f64 v[4:5], v[178:179], v[90:91]
	v_fma_f64 v[4:5], v[176:177], v[88:89], -v[4:5]
	v_add_f64 v[0:1], v[0:1], v[4:5]
	v_mul_f64 v[4:5], v[182:183], v[94:95]
	v_fma_f64 v[4:5], v[180:181], v[92:93], -v[4:5]
	v_add_f64 v[0:1], v[0:1], v[4:5]
	v_mul_f64 v[4:5], v[186:187], v[98:99]
	v_fma_f64 v[4:5], v[184:185], v[96:97], -v[4:5]
	v_add_f64 v[0:1], v[0:1], v[4:5]
	v_mul_f64 v[4:5], v[190:191], v[102:103]
	v_fma_f64 v[4:5], v[188:189], v[100:101], -v[4:5]
	v_add_f64 v[0:1], v[0:1], v[4:5]
	v_mul_f64 v[4:5], v[194:195], v[106:107]
	v_fma_f64 v[4:5], v[192:193], v[104:105], -v[4:5]
	v_add_f64 v[0:1], v[0:1], v[4:5]
	v_mul_f64 v[4:5], v[198:199], v[110:111]
	v_fma_f64 v[4:5], v[196:197], v[108:109], -v[4:5]
	v_add_f64 v[0:1], v[0:1], v[4:5]
	v_mul_f64 v[4:5], v[202:203], v[118:119]
	v_fma_f64 v[4:5], v[200:201], v[116:117], -v[4:5]
	v_add_f64 v[0:1], v[0:1], v[4:5]
	v_mul_f64 v[4:5], v[206:207], v[114:115]
	v_fma_f64 v[4:5], v[204:205], v[112:113], -v[4:5]
	v_add_f64 v[0:1], v[0:1], v[4:5]
	v_mul_f64 v[4:5], v[210:211], v[122:123]
	v_fma_f64 v[4:5], v[208:209], v[120:121], -v[4:5]
	v_add_f64 v[0:1], v[0:1], v[4:5]
	v_mul_f64 v[4:5], v[218:219], v[214:215]
	v_fma_f64 v[4:5], v[216:217], v[212:213], -v[4:5]
	v_add_f64 v[0:1], v[0:1], v[4:5]
	v_mul_f64 v[4:5], v[226:227], v[222:223]
	v_fma_f64 v[4:5], v[224:225], v[220:221], -v[4:5]
	v_add_f64 v[0:1], v[0:1], v[4:5]
	s_waitcnt vmcnt(0)
	v_add_f64 v[4:5], v[228:229], -v[0:1]
	v_accvgpr_read_b32 v0, a112
	v_add_f64 v[6:7], v[230:231], -v[246:247]
	v_cmp_lt_u32_e32 vcc, 13, v0
	scratch_store_dwordx4 off, v[4:7], off offset:240
	s_and_saveexec_b64 s[0:1], vcc
	s_cbranch_execz .LBB119_323
; %bb.322:
	scratch_load_dwordx4 v[6:9], off, s59
	v_mov_b32_e32 v3, v2
	v_mov_b32_e32 v4, v2
	;; [unrolled: 1-line block ×3, first 2 shown]
	v_accvgpr_read_b32 v0, a113
	scratch_store_dwordx4 off, v[2:5], off offset:224
	s_waitcnt vmcnt(1)
	ds_write_b128 v0, v[6:9]
.LBB119_323:
	s_or_b64 exec, exec, s[0:1]
	s_waitcnt lgkmcnt(0)
	; wave barrier
	scratch_load_dwordx4 v[88:91], off, off offset:240
	scratch_load_dwordx4 v[92:95], off, off offset:256
	;; [unrolled: 1-line block ×17, first 2 shown]
	ds_read_b128 v[212:215], v2 offset:1120
	ds_read_b128 v[204:207], v2 offset:1136
	;; [unrolled: 1-line block ×3, first 2 shown]
	scratch_load_dwordx4 v[20:23], off, off offset:512
	ds_read_b128 v[216:219], v2 offset:1168
	ds_read_b128 v[208:211], v2 offset:1184
	;; [unrolled: 1-line block ×5, first 2 shown]
	scratch_load_dwordx4 v[24:27], off, off offset:528
	ds_read_b128 v[180:183], v2 offset:1248
	ds_read_b128 v[160:163], v2 offset:1264
	;; [unrolled: 1-line block ×3, first 2 shown]
	scratch_load_dwordx4 v[28:31], off, off offset:544
	ds_read_b128 v[172:175], v2 offset:1296
	ds_read_b128 v[148:151], v2 offset:1312
	;; [unrolled: 1-line block ×5, first 2 shown]
	scratch_load_dwordx4 v[36:39], off, off offset:560
	ds_read_b128 v[48:51], v2 offset:1376
	scratch_load_dwordx4 v[52:55], off, off offset:576
	scratch_load_dwordx4 v[56:59], off, off offset:592
	scratch_load_dwordx4 v[60:63], off, off offset:608
	scratch_load_dwordx4 v[64:67], off, off offset:624
	scratch_load_dwordx4 v[68:71], off, off offset:640
	scratch_load_dwordx4 v[72:75], off, off offset:656
	scratch_load_dwordx4 v[76:79], off, off offset:672
	scratch_load_dwordx4 v[80:83], off, off offset:688
	scratch_load_dwordx4 v[84:87], off, off offset:704
	ds_read_b128 v[140:143], v2 offset:1392
	ds_read_b128 v[232:235], v2 offset:1456
	;; [unrolled: 1-line block ×3, first 2 shown]
	s_waitcnt vmcnt(29) lgkmcnt(14)
	v_mul_f64 v[0:1], v[212:213], v[90:91]
	s_waitcnt vmcnt(28)
	v_mul_f64 v[152:153], v[204:205], v[94:95]
	v_fmac_f64_e32 v[0:1], v[214:215], v[88:89]
	s_waitcnt vmcnt(27)
	v_mul_f64 v[154:155], v[196:197], v[98:99]
	v_fmac_f64_e32 v[152:153], v[206:207], v[92:93]
	v_add_f64 v[0:1], v[0:1], 0
	s_waitcnt vmcnt(26)
	v_mul_f64 v[164:165], v[216:217], v[102:103]
	v_fmac_f64_e32 v[154:155], v[198:199], v[96:97]
	v_add_f64 v[0:1], v[0:1], v[152:153]
	;; [unrolled: 4-line block ×4, first 2 shown]
	s_waitcnt vmcnt(23) lgkmcnt(13)
	v_mul_f64 v[170:171], v[184:185], v[114:115]
	v_fmac_f64_e32 v[168:169], v[202:203], v[108:109]
	v_add_f64 v[0:1], v[0:1], v[166:167]
	s_waitcnt vmcnt(22) lgkmcnt(12)
	v_mul_f64 v[176:177], v[156:157], v[118:119]
	v_fmac_f64_e32 v[170:171], v[186:187], v[112:113]
	v_add_f64 v[0:1], v[0:1], v[168:169]
	;; [unrolled: 4-line block ×10, first 2 shown]
	v_fmac_f64_e32 v[224:225], v[34:35], v[12:13]
	v_add_f64 v[0:1], v[0:1], v[222:223]
	ds_read_b128 v[220:223], v2 offset:1408
	v_add_f64 v[0:1], v[0:1], v[224:225]
	ds_read_b128 v[224:227], v2 offset:1424
	s_waitcnt vmcnt(13) lgkmcnt(5)
	v_mul_f64 v[164:165], v[48:49], v[18:19]
	scratch_load_dwordx4 v[152:155], off, off offset:720
	v_fmac_f64_e32 v[164:165], v[50:51], v[16:17]
	s_waitcnt vmcnt(13) lgkmcnt(4)
	v_mul_f64 v[168:169], v[140:141], v[22:23]
	v_add_f64 v[0:1], v[0:1], v[164:165]
	v_fmac_f64_e32 v[168:169], v[142:143], v[20:21]
	scratch_load_dwordx4 v[164:167], off, off offset:736
	v_add_f64 v[0:1], v[0:1], v[168:169]
	s_waitcnt vmcnt(13) lgkmcnt(1)
	v_mul_f64 v[176:177], v[220:221], v[26:27]
	scratch_load_dwordx4 v[168:171], off, off offset:752
	v_fmac_f64_e32 v[176:177], v[222:223], v[24:25]
	s_waitcnt vmcnt(13) lgkmcnt(0)
	v_mul_f64 v[188:189], v[224:225], v[30:31]
	v_add_f64 v[0:1], v[0:1], v[176:177]
	scratch_load_dwordx4 v[176:179], off, off offset:768
	v_fmac_f64_e32 v[188:189], v[226:227], v[28:29]
	v_add_f64 v[0:1], v[0:1], v[188:189]
	s_waitcnt vmcnt(13)
	v_mul_f64 v[188:189], v[228:229], v[38:39]
	v_fmac_f64_e32 v[188:189], v[230:231], v[36:37]
	v_add_f64 v[0:1], v[0:1], v[188:189]
	scratch_load_dwordx4 v[188:191], off, off offset:784
	s_waitcnt vmcnt(13)
	v_mul_f64 v[192:193], v[232:233], v[54:55]
	v_fmac_f64_e32 v[192:193], v[234:235], v[52:53]
	v_mul_f64 v[90:91], v[214:215], v[90:91]
	v_add_f64 v[0:1], v[0:1], v[192:193]
	scratch_load_dwordx4 v[192:195], off, off offset:800
	v_fma_f64 v[240:241], v[212:213], v[88:89], -v[90:91]
	v_mul_f64 v[88:89], v[206:207], v[94:95]
	ds_read_b128 v[236:239], v2 offset:1472
	ds_read_b128 v[212:215], v2 offset:1488
	v_fma_f64 v[246:247], v[204:205], v[92:93], -v[88:89]
	scratch_load_dwordx4 v[92:95], off, off offset:816
	scratch_load_dwordx4 v[88:91], off, off offset:832
	v_mul_f64 v[98:99], v[198:199], v[98:99]
	v_fma_f64 v[248:249], v[196:197], v[96:97], -v[98:99]
	scratch_load_dwordx4 v[96:99], off, off offset:848
	s_waitcnt vmcnt(16) lgkmcnt(1)
	v_mul_f64 v[204:205], v[236:237], v[58:59]
	v_mul_f64 v[102:103], v[218:219], v[102:103]
	v_fmac_f64_e32 v[204:205], v[238:239], v[56:57]
	v_fma_f64 v[216:217], v[216:217], v[100:101], -v[102:103]
	ds_read_b128 v[100:103], v2 offset:1504
	s_waitcnt vmcnt(15) lgkmcnt(1)
	v_mul_f64 v[196:197], v[212:213], v[62:63]
	v_add_f64 v[0:1], v[0:1], v[204:205]
	v_fmac_f64_e32 v[196:197], v[214:215], v[60:61]
	v_add_f64 v[0:1], v[0:1], v[196:197]
	ds_read_b128 v[196:199], v2 offset:1520
	v_mul_f64 v[106:107], v[210:211], v[106:107]
	v_fma_f64 v[218:219], v[208:209], v[104:105], -v[106:107]
	ds_read_b128 v[104:107], v2 offset:1536
	s_waitcnt vmcnt(14) lgkmcnt(2)
	v_mul_f64 v[204:205], v[100:101], v[66:67]
	v_fmac_f64_e32 v[204:205], v[102:103], v[64:65]
	v_add_f64 v[0:1], v[0:1], v[204:205]
	s_waitcnt vmcnt(13) lgkmcnt(1)
	v_mul_f64 v[204:205], v[196:197], v[70:71]
	v_mul_f64 v[110:111], v[202:203], v[110:111]
	v_fmac_f64_e32 v[204:205], v[198:199], v[68:69]
	v_fma_f64 v[250:251], v[200:201], v[108:109], -v[110:111]
	ds_read_b128 v[108:111], v2 offset:1552
	s_waitcnt vmcnt(12) lgkmcnt(1)
	v_mul_f64 v[200:201], v[104:105], v[74:75]
	v_add_f64 v[0:1], v[0:1], v[204:205]
	v_fmac_f64_e32 v[200:201], v[106:107], v[72:73]
	v_add_f64 v[0:1], v[0:1], v[200:201]
	ds_read_b128 v[200:203], v2 offset:1568
	v_mul_f64 v[114:115], v[186:187], v[114:115]
	v_fma_f64 v[252:253], v[184:185], v[112:113], -v[114:115]
	ds_read_b128 v[112:115], v2 offset:1584
	s_waitcnt vmcnt(11) lgkmcnt(2)
	v_mul_f64 v[184:185], v[108:109], v[78:79]
	v_fmac_f64_e32 v[184:185], v[110:111], v[76:77]
	v_add_f64 v[0:1], v[0:1], v[184:185]
	s_waitcnt vmcnt(10) lgkmcnt(1)
	v_mul_f64 v[184:185], v[200:201], v[82:83]
	v_mul_f64 v[118:119], v[158:159], v[118:119]
	v_fmac_f64_e32 v[184:185], v[202:203], v[80:81]
	v_fma_f64 v[254:255], v[156:157], v[116:117], -v[118:119]
	s_waitcnt vmcnt(9) lgkmcnt(0)
	v_mul_f64 v[156:157], v[112:113], v[86:87]
	v_add_f64 v[0:1], v[0:1], v[184:185]
	ds_read_b128 v[116:119], v2 offset:1600
	v_fmac_f64_e32 v[156:157], v[114:115], v[84:85]
	v_add_f64 v[0:1], v[0:1], v[156:157]
	ds_read_b128 v[156:159], v2 offset:1616
	v_mul_f64 v[122:123], v[182:183], v[122:123]
	v_fma_f64 v[242:243], v[180:181], v[120:121], -v[122:123]
	ds_read_b128 v[120:123], v2 offset:1632
	v_accvgpr_write_b32 a117, v7
	v_mul_f64 v[126:127], v[162:163], v[126:127]
	v_accvgpr_write_b32 a116, v6
	v_accvgpr_write_b32 a115, v5
	;; [unrolled: 1-line block ×3, first 2 shown]
	v_fma_f64 v[4:5], v[160:161], v[124:125], -v[126:127]
	ds_read_b128 v[124:127], v2 offset:1648
	s_waitcnt vmcnt(8) lgkmcnt(3)
	v_mul_f64 v[184:185], v[116:117], v[154:155]
	v_fmac_f64_e32 v[184:185], v[118:119], v[152:153]
	s_waitcnt vmcnt(7) lgkmcnt(2)
	v_mul_f64 v[180:181], v[156:157], v[166:167]
	v_add_f64 v[0:1], v[0:1], v[184:185]
	v_fmac_f64_e32 v[180:181], v[158:159], v[164:165]
	s_waitcnt vmcnt(6) lgkmcnt(1)
	v_mul_f64 v[6:7], v[120:121], v[170:171]
	ds_read_b128 v[160:163], v2 offset:1664
	v_add_f64 v[0:1], v[0:1], v[180:181]
	v_fmac_f64_e32 v[6:7], v[122:123], v[168:169]
	v_add_f64 v[0:1], v[0:1], v[6:7]
	s_waitcnt vmcnt(5) lgkmcnt(1)
	v_mul_f64 v[6:7], v[124:125], v[178:179]
	v_fmac_f64_e32 v[6:7], v[126:127], v[176:177]
	v_add_f64 v[0:1], v[0:1], v[6:7]
	v_mul_f64 v[6:7], v[146:147], v[130:131]
	v_fma_f64 v[6:7], v[144:145], v[128:129], -v[6:7]
	ds_read_b128 v[128:131], v2 offset:1680
	s_waitcnt vmcnt(4) lgkmcnt(1)
	v_mul_f64 v[144:145], v[160:161], v[190:191]
	v_fmac_f64_e32 v[144:145], v[162:163], v[188:189]
	v_add_f64 v[180:181], v[0:1], v[144:145]
	v_mul_f64 v[0:1], v[174:175], v[134:135]
	v_fma_f64 v[0:1], v[172:173], v[132:133], -v[0:1]
	ds_read_b128 v[132:135], v2 offset:1696
	ds_read_b128 v[144:147], v2 offset:1712
	v_mul_f64 v[138:139], v[150:151], v[138:139]
	v_fma_f64 v[244:245], v[148:149], v[136:137], -v[138:139]
	ds_read_b128 v[136:139], v2 offset:1728
	s_waitcnt vmcnt(3) lgkmcnt(3)
	v_mul_f64 v[172:173], v[128:129], v[194:195]
	v_fmac_f64_e32 v[172:173], v[130:131], v[192:193]
	s_waitcnt vmcnt(2) lgkmcnt(2)
	v_mul_f64 v[148:149], v[132:133], v[94:95]
	v_add_f64 v[172:173], v[180:181], v[172:173]
	v_fmac_f64_e32 v[148:149], v[134:135], v[92:93]
	s_waitcnt vmcnt(1) lgkmcnt(1)
	v_mul_f64 v[150:151], v[144:145], v[90:91]
	v_add_f64 v[148:149], v[172:173], v[148:149]
	v_fmac_f64_e32 v[150:151], v[146:147], v[88:89]
	v_add_f64 v[148:149], v[148:149], v[150:151]
	ds_read_b128 v[172:175], v2 offset:1744
	scratch_load_dwordx4 v[208:211], off, off offset:896
	s_waitcnt vmcnt(1) lgkmcnt(1)
	v_mul_f64 v[150:151], v[136:137], v[98:99]
	v_fmac_f64_e32 v[150:151], v[138:139], v[96:97]
	v_add_f64 v[180:181], v[148:149], v[150:151]
	scratch_load_dwordx4 v[148:151], off, off offset:864
	ds_read_b128 v[184:187], v2 offset:1760
	v_accvgpr_write_b32 a119, v1
	v_accvgpr_write_b32 a118, v0
	s_waitcnt vmcnt(0) lgkmcnt(1)
	v_mul_f64 v[182:183], v[172:173], v[150:151]
	v_fmac_f64_e32 v[182:183], v[174:175], v[148:149]
	v_add_f64 v[204:205], v[180:181], v[182:183]
	scratch_load_dwordx4 v[180:183], off, off offset:880
	s_waitcnt vmcnt(0) lgkmcnt(0)
	v_mul_f64 v[206:207], v[184:185], v[182:183]
	v_fmac_f64_e32 v[206:207], v[186:187], v[180:181]
	v_add_f64 v[0:1], v[204:205], v[206:207]
	ds_read_b128 v[204:207], v2 offset:1776
	s_waitcnt lgkmcnt(0)
	v_mul_f64 v[2:3], v[204:205], v[210:211]
	v_fmac_f64_e32 v[2:3], v[206:207], v[208:209]
	v_add_f64 v[2:3], v[0:1], v[2:3]
	v_add_f64 v[0:1], v[240:241], 0
	;; [unrolled: 1-line block ×6, first 2 shown]
	scratch_load_dwordx4 v[216:219], off, off offset:224
	v_add_f64 v[0:1], v[0:1], v[250:251]
	v_add_f64 v[0:1], v[0:1], v[252:253]
	;; [unrolled: 1-line block ×6, first 2 shown]
	v_accvgpr_read_b32 v0, a118
	v_accvgpr_read_b32 v243, a117
	;; [unrolled: 1-line block ×4, first 2 shown]
	v_add_f64 v[0:1], v[254:255], v[0:1]
	v_accvgpr_read_b32 v241, a115
	v_accvgpr_read_b32 v240, a114
	v_mul_f64 v[4:5], v[46:47], v[242:243]
	v_add_f64 v[0:1], v[0:1], v[244:245]
	v_fma_f64 v[4:5], v[44:45], v[240:241], -v[4:5]
	v_add_f64 v[0:1], v[0:1], v[4:5]
	v_mul_f64 v[4:5], v[42:43], v[10:11]
	v_fma_f64 v[4:5], v[40:41], v[8:9], -v[4:5]
	v_add_f64 v[0:1], v[0:1], v[4:5]
	v_mul_f64 v[4:5], v[34:35], v[14:15]
	;; [unrolled: 3-line block ×28, first 2 shown]
	v_fma_f64 v[4:5], v[204:205], v[208:209], -v[4:5]
	v_add_f64 v[0:1], v[0:1], v[4:5]
	s_waitcnt vmcnt(0)
	v_add_f64 v[4:5], v[216:217], -v[0:1]
	v_accvgpr_read_b32 v0, a112
	v_add_f64 v[6:7], v[218:219], -v[2:3]
	v_cmp_lt_u32_e32 vcc, 12, v0
	scratch_store_dwordx4 off, v[4:7], off offset:224
	s_and_saveexec_b64 s[0:1], vcc
	s_cbranch_execz .LBB119_325
; %bb.324:
	scratch_load_dwordx4 v[2:5], off, s60
	v_mov_b32_e32 v6, 0
	v_mov_b32_e32 v7, v6
	;; [unrolled: 1-line block ×4, first 2 shown]
	v_accvgpr_read_b32 v0, a113
	scratch_store_dwordx4 off, v[6:9], off offset:208
	s_waitcnt vmcnt(1)
	ds_write_b128 v0, v[2:5]
.LBB119_325:
	s_or_b64 exec, exec, s[0:1]
	s_waitcnt lgkmcnt(0)
	; wave barrier
	scratch_load_dwordx4 v[96:99], off, off offset:224
	scratch_load_dwordx4 v[100:103], off, off offset:240
	;; [unrolled: 1-line block ×30, first 2 shown]
	v_mov_b32_e32 v2, 0
	ds_read_b128 v[136:139], v2 offset:1104
	ds_read_b128 v[144:147], v2 offset:1120
	;; [unrolled: 1-line block ×20, first 2 shown]
	s_waitcnt vmcnt(29) lgkmcnt(14)
	v_mul_f64 v[0:1], v[136:137], v[98:99]
	s_waitcnt vmcnt(28)
	v_mul_f64 v[72:73], v[144:145], v[102:103]
	v_fmac_f64_e32 v[0:1], v[138:139], v[96:97]
	s_waitcnt vmcnt(27)
	v_mul_f64 v[74:75], v[148:149], v[106:107]
	v_fmac_f64_e32 v[72:73], v[146:147], v[100:101]
	v_add_f64 v[0:1], v[0:1], 0
	s_waitcnt vmcnt(26)
	v_mul_f64 v[76:77], v[164:165], v[110:111]
	v_fmac_f64_e32 v[74:75], v[150:151], v[104:105]
	v_add_f64 v[0:1], v[0:1], v[72:73]
	;; [unrolled: 4-line block ×4, first 2 shown]
	s_waitcnt vmcnt(23) lgkmcnt(13)
	v_mul_f64 v[82:83], v[200:201], v[158:159]
	v_fmac_f64_e32 v[80:81], v[190:191], v[152:153]
	v_add_f64 v[0:1], v[0:1], v[78:79]
	s_waitcnt vmcnt(22) lgkmcnt(12)
	v_mul_f64 v[84:85], v[208:209], v[162:163]
	v_fmac_f64_e32 v[82:83], v[202:203], v[156:157]
	v_add_f64 v[0:1], v[0:1], v[80:81]
	;; [unrolled: 4-line block ×9, first 2 shown]
	s_waitcnt vmcnt(14) lgkmcnt(4)
	v_mul_f64 v[120:121], v[68:69], v[6:7]
	v_fmac_f64_e32 v[118:119], v[248:249], v[204:205]
	v_accvgpr_write_b32 a117, v7
	v_add_f64 v[0:1], v[0:1], v[116:117]
	v_fmac_f64_e32 v[120:121], v[70:71], v[4:5]
	v_accvgpr_write_b32 a116, v6
	v_accvgpr_write_b32 a115, v5
	;; [unrolled: 1-line block ×3, first 2 shown]
	v_add_f64 v[0:1], v[0:1], v[118:119]
	ds_read_b128 v[116:119], v2 offset:1376
	s_waitcnt vmcnt(13)
	v_mov_b64_e32 v[4:5], v[8:9]
	v_mov_b64_e32 v[6:7], v[10:11]
	s_waitcnt lgkmcnt(4)
	v_mul_f64 v[76:77], v[64:65], v[6:7]
	scratch_load_dwordx4 v[72:75], off, off offset:704
	v_add_f64 v[0:1], v[0:1], v[120:121]
	v_fmac_f64_e32 v[76:77], v[66:67], v[4:5]
	s_waitcnt vmcnt(13)
	v_mov_b64_e32 v[4:5], v[12:13]
	v_add_f64 v[0:1], v[0:1], v[76:77]
	v_mov_b64_e32 v[6:7], v[14:15]
	scratch_load_dwordx4 v[76:79], off, off offset:720
	ds_read_b128 v[120:123], v2 offset:1392
	s_waitcnt lgkmcnt(1)
	v_mul_f64 v[80:81], v[116:117], v[6:7]
	v_fmac_f64_e32 v[80:81], v[118:119], v[4:5]
	v_add_f64 v[0:1], v[0:1], v[80:81]
	scratch_load_dwordx4 v[80:83], off, off offset:736
	s_waitcnt vmcnt(14) lgkmcnt(0)
	v_mul_f64 v[84:85], v[120:121], v[236:237]
	v_fmac_f64_e32 v[84:85], v[122:123], v[234:235]
	s_waitcnt vmcnt(13)
	v_mul_f64 v[88:89], v[124:125], v[22:23]
	v_add_f64 v[0:1], v[0:1], v[84:85]
	v_fmac_f64_e32 v[88:89], v[126:127], v[20:21]
	scratch_load_dwordx4 v[84:87], off, off offset:752
	v_add_f64 v[0:1], v[0:1], v[88:89]
	s_waitcnt vmcnt(13)
	v_mul_f64 v[88:89], v[128:129], v[26:27]
	v_fmac_f64_e32 v[88:89], v[130:131], v[24:25]
	v_add_f64 v[0:1], v[0:1], v[88:89]
	scratch_load_dwordx4 v[88:91], off, off offset:768
	s_waitcnt vmcnt(13)
	v_mul_f64 v[92:93], v[132:133], v[30:31]
	v_fmac_f64_e32 v[92:93], v[134:135], v[28:29]
	v_add_f64 v[0:1], v[0:1], v[92:93]
	scratch_load_dwordx4 v[92:95], off, off offset:784
	v_mul_f64 v[98:99], v[138:139], v[98:99]
	v_fma_f64 v[240:241], v[136:137], v[96:97], -v[98:99]
	v_mul_f64 v[96:97], v[146:147], v[102:103]
	ds_read_b128 v[140:143], v2 offset:1456
	ds_read_b128 v[136:139], v2 offset:1472
	v_fma_f64 v[250:251], v[144:145], v[100:101], -v[96:97]
	scratch_load_dwordx4 v[100:103], off, off offset:800
	scratch_load_dwordx4 v[96:99], off, off offset:816
	s_waitcnt vmcnt(15) lgkmcnt(1)
	v_mul_f64 v[144:145], v[140:141], v[34:35]
	v_fmac_f64_e32 v[144:145], v[142:143], v[32:33]
	v_mul_f64 v[106:107], v[150:151], v[106:107]
	v_add_f64 v[0:1], v[0:1], v[144:145]
	s_waitcnt vmcnt(14) lgkmcnt(0)
	v_mul_f64 v[144:145], v[136:137], v[38:39]
	v_fma_f64 v[252:253], v[148:149], v[104:105], -v[106:107]
	v_mul_f64 v[104:105], v[166:167], v[110:111]
	v_fmac_f64_e32 v[144:145], v[138:139], v[36:37]
	v_fma_f64 v[254:255], v[164:165], v[108:109], -v[104:105]
	scratch_load_dwordx4 v[104:107], off, off offset:832
	v_add_f64 v[0:1], v[0:1], v[144:145]
	ds_read_b128 v[144:147], v2 offset:1488
	ds_read_b128 v[148:151], v2 offset:1504
	v_mul_f64 v[108:109], v[178:179], v[114:115]
	v_fma_f64 v[232:233], v[176:177], v[112:113], -v[108:109]
	scratch_load_dwordx4 v[108:111], off, off offset:848
	s_waitcnt vmcnt(15) lgkmcnt(1)
	v_mul_f64 v[112:113], v[144:145], v[42:43]
	v_fmac_f64_e32 v[112:113], v[146:147], v[40:41]
	v_add_f64 v[0:1], v[0:1], v[112:113]
	v_mul_f64 v[112:113], v[190:191], v[154:155]
	v_fma_f64 v[16:17], v[188:189], v[152:153], -v[112:113]
	scratch_load_dwordx4 v[112:115], off, off offset:864
	ds_read_b128 v[152:155], v2 offset:1520
	s_waitcnt vmcnt(15) lgkmcnt(1)
	v_mul_f64 v[6:7], v[148:149], v[46:47]
	v_fmac_f64_e32 v[6:7], v[150:151], v[44:45]
	v_accvgpr_write_b32 a125, v15
	v_add_f64 v[0:1], v[0:1], v[6:7]
	v_mul_f64 v[6:7], v[202:203], v[158:159]
	v_accvgpr_write_b32 a124, v14
	v_accvgpr_write_b32 a123, v13
	;; [unrolled: 1-line block ×3, first 2 shown]
	v_fma_f64 v[12:13], v[200:201], v[156:157], -v[6:7]
	ds_read_b128 v[156:159], v2 offset:1536
	s_waitcnt vmcnt(14) lgkmcnt(1)
	v_mul_f64 v[6:7], v[152:153], v[50:51]
	v_fmac_f64_e32 v[6:7], v[154:155], v[48:49]
	v_accvgpr_write_b32 a121, v11
	v_add_f64 v[0:1], v[0:1], v[6:7]
	v_mul_f64 v[6:7], v[210:211], v[162:163]
	v_accvgpr_write_b32 a120, v10
	v_accvgpr_write_b32 a119, v9
	;; [unrolled: 1-line block ×3, first 2 shown]
	v_fma_f64 v[10:11], v[208:209], v[160:161], -v[6:7]
	ds_read_b128 v[160:163], v2 offset:1552
	ds_read_b128 v[164:167], v2 offset:1568
	s_waitcnt vmcnt(13) lgkmcnt(2)
	v_mul_f64 v[6:7], v[156:157], v[54:55]
	v_fmac_f64_e32 v[6:7], v[158:159], v[52:53]
	v_add_f64 v[0:1], v[0:1], v[6:7]
	s_waitcnt vmcnt(12) lgkmcnt(1)
	v_mul_f64 v[6:7], v[160:161], v[62:63]
	v_fmac_f64_e32 v[6:7], v[162:163], v[60:61]
	v_add_f64 v[0:1], v[0:1], v[6:7]
	v_mul_f64 v[6:7], v[214:215], v[170:171]
	v_fma_f64 v[8:9], v[212:213], v[168:169], -v[6:7]
	s_waitcnt vmcnt(11) lgkmcnt(0)
	v_mul_f64 v[6:7], v[164:165], v[58:59]
	v_fmac_f64_e32 v[6:7], v[166:167], v[56:57]
	ds_read_b128 v[168:171], v2 offset:1584
	v_add_f64 v[0:1], v[0:1], v[6:7]
	v_mul_f64 v[6:7], v[218:219], v[174:175]
	v_fma_f64 v[14:15], v[216:217], v[172:173], -v[6:7]
	ds_read_b128 v[172:175], v2 offset:1600
	s_waitcnt vmcnt(10) lgkmcnt(1)
	v_mul_f64 v[6:7], v[168:169], v[74:75]
	ds_read_b128 v[176:179], v2 offset:1616
	v_fmac_f64_e32 v[6:7], v[170:171], v[72:73]
	v_add_f64 v[0:1], v[0:1], v[6:7]
	s_waitcnt vmcnt(9) lgkmcnt(1)
	v_mul_f64 v[6:7], v[172:173], v[78:79]
	v_fmac_f64_e32 v[6:7], v[174:175], v[76:77]
	v_add_f64 v[0:1], v[0:1], v[6:7]
	v_mul_f64 v[6:7], v[222:223], v[182:183]
	v_fma_f64 v[4:5], v[220:221], v[180:181], -v[6:7]
	ds_read_b128 v[180:183], v2 offset:1632
	s_waitcnt vmcnt(8) lgkmcnt(1)
	v_mul_f64 v[6:7], v[176:177], v[82:83]
	v_fmac_f64_e32 v[6:7], v[178:179], v[80:81]
	v_add_f64 v[0:1], v[0:1], v[6:7]
	v_mul_f64 v[6:7], v[226:227], v[186:187]
	v_fma_f64 v[6:7], v[224:225], v[184:185], -v[6:7]
	ds_read_b128 v[184:187], v2 offset:1648
	ds_read_b128 v[188:191], v2 offset:1664
	s_waitcnt vmcnt(7) lgkmcnt(2)
	v_mul_f64 v[18:19], v[180:181], v[86:87]
	v_fmac_f64_e32 v[18:19], v[182:183], v[84:85]
	v_add_f64 v[0:1], v[0:1], v[18:19]
	s_waitcnt vmcnt(6) lgkmcnt(1)
	v_mul_f64 v[18:19], v[184:185], v[90:91]
	v_fmac_f64_e32 v[18:19], v[186:187], v[88:89]
	v_add_f64 v[18:19], v[0:1], v[18:19]
	v_mul_f64 v[0:1], v[230:231], v[194:195]
	v_fma_f64 v[0:1], v[228:229], v[192:193], -v[0:1]
	ds_read_b128 v[192:195], v2 offset:1680
	s_waitcnt vmcnt(5) lgkmcnt(1)
	v_mul_f64 v[200:201], v[188:189], v[94:95]
	v_fmac_f64_e32 v[200:201], v[190:191], v[92:93]
	v_mul_f64 v[198:199], v[244:245], v[198:199]
	v_fma_f64 v[238:239], v[242:243], v[196:197], -v[198:199]
	ds_read_b128 v[196:199], v2 offset:1696
	v_add_f64 v[18:19], v[18:19], v[200:201]
	s_waitcnt vmcnt(4) lgkmcnt(1)
	v_mul_f64 v[200:201], v[192:193], v[102:103]
	v_fmac_f64_e32 v[200:201], v[194:195], v[100:101]
	v_add_f64 v[18:19], v[18:19], v[200:201]
	ds_read_b128 v[200:203], v2 offset:1712
	v_mul_f64 v[206:207], v[248:249], v[206:207]
	v_fma_f64 v[242:243], v[246:247], v[204:205], -v[206:207]
	ds_read_b128 v[204:207], v2 offset:1728
	s_waitcnt vmcnt(3) lgkmcnt(2)
	v_mul_f64 v[208:209], v[196:197], v[98:99]
	v_fmac_f64_e32 v[208:209], v[198:199], v[96:97]
	v_add_f64 v[18:19], v[18:19], v[208:209]
	s_waitcnt vmcnt(2) lgkmcnt(1)
	v_mul_f64 v[208:209], v[200:201], v[106:107]
	v_fmac_f64_e32 v[208:209], v[202:203], v[104:105]
	v_add_f64 v[18:19], v[18:19], v[208:209]
	;; [unrolled: 4-line block ×3, first 2 shown]
	ds_read_b128 v[208:211], v2 offset:1744
	ds_read_b128 v[216:219], v2 offset:1760
	;; [unrolled: 1-line block ×3, first 2 shown]
	s_waitcnt vmcnt(0) lgkmcnt(2)
	v_mul_f64 v[212:213], v[208:209], v[114:115]
	v_fmac_f64_e32 v[212:213], v[210:211], v[112:113]
	v_add_f64 v[18:19], v[18:19], v[212:213]
	scratch_load_dwordx4 v[212:215], off, off offset:880
	s_waitcnt vmcnt(0) lgkmcnt(1)
	v_mul_f64 v[220:221], v[216:217], v[214:215]
	v_fmac_f64_e32 v[220:221], v[218:219], v[212:213]
	v_add_f64 v[18:19], v[18:19], v[220:221]
	scratch_load_dwordx4 v[220:223], off, off offset:896
	;; [unrolled: 5-line block ×3, first 2 shown]
	v_add_f64 v[18:19], v[240:241], 0
	v_add_f64 v[18:19], v[18:19], v[250:251]
	;; [unrolled: 1-line block ×12, first 2 shown]
	v_accvgpr_read_b32 v6, a114
	v_accvgpr_read_b32 v8, a116
	v_accvgpr_read_b32 v9, a117
	v_add_f64 v[0:1], v[4:5], v[0:1]
	v_accvgpr_read_b32 v7, a115
	v_mul_f64 v[4:5], v[70:71], v[8:9]
	v_add_f64 v[0:1], v[0:1], v[238:239]
	v_fma_f64 v[4:5], v[68:69], v[6:7], -v[4:5]
	v_accvgpr_read_b32 v6, a118
	v_add_f64 v[0:1], v[0:1], v[242:243]
	v_accvgpr_read_b32 v8, a120
	v_accvgpr_read_b32 v9, a121
	v_add_f64 v[0:1], v[0:1], v[4:5]
	v_accvgpr_read_b32 v7, a119
	v_mul_f64 v[4:5], v[66:67], v[8:9]
	v_fma_f64 v[4:5], v[64:65], v[6:7], -v[4:5]
	v_accvgpr_read_b32 v6, a122
	v_accvgpr_read_b32 v8, a124
	;; [unrolled: 1-line block ×3, first 2 shown]
	v_add_f64 v[0:1], v[0:1], v[4:5]
	v_accvgpr_read_b32 v7, a123
	v_mul_f64 v[4:5], v[118:119], v[8:9]
	v_fma_f64 v[4:5], v[116:117], v[6:7], -v[4:5]
	v_add_f64 v[0:1], v[0:1], v[4:5]
	v_mul_f64 v[4:5], v[122:123], v[236:237]
	v_fma_f64 v[4:5], v[120:121], v[234:235], -v[4:5]
	v_add_f64 v[0:1], v[0:1], v[4:5]
	v_mul_f64 v[4:5], v[126:127], v[22:23]
	v_fma_f64 v[4:5], v[124:125], v[20:21], -v[4:5]
	v_add_f64 v[0:1], v[0:1], v[4:5]
	v_mul_f64 v[4:5], v[130:131], v[26:27]
	v_fma_f64 v[4:5], v[128:129], v[24:25], -v[4:5]
	v_add_f64 v[0:1], v[0:1], v[4:5]
	v_mul_f64 v[4:5], v[134:135], v[30:31]
	v_fma_f64 v[4:5], v[132:133], v[28:29], -v[4:5]
	v_add_f64 v[0:1], v[0:1], v[4:5]
	v_mul_f64 v[4:5], v[142:143], v[34:35]
	v_fma_f64 v[4:5], v[140:141], v[32:33], -v[4:5]
	v_add_f64 v[0:1], v[0:1], v[4:5]
	v_mul_f64 v[4:5], v[138:139], v[38:39]
	v_fma_f64 v[4:5], v[136:137], v[36:37], -v[4:5]
	v_add_f64 v[0:1], v[0:1], v[4:5]
	v_mul_f64 v[4:5], v[146:147], v[42:43]
	v_fma_f64 v[4:5], v[144:145], v[40:41], -v[4:5]
	v_add_f64 v[0:1], v[0:1], v[4:5]
	v_mul_f64 v[4:5], v[150:151], v[46:47]
	v_fma_f64 v[4:5], v[148:149], v[44:45], -v[4:5]
	v_add_f64 v[0:1], v[0:1], v[4:5]
	v_mul_f64 v[4:5], v[154:155], v[50:51]
	v_fma_f64 v[4:5], v[152:153], v[48:49], -v[4:5]
	v_add_f64 v[0:1], v[0:1], v[4:5]
	v_mul_f64 v[4:5], v[158:159], v[54:55]
	v_fma_f64 v[4:5], v[156:157], v[52:53], -v[4:5]
	v_add_f64 v[0:1], v[0:1], v[4:5]
	v_mul_f64 v[4:5], v[162:163], v[62:63]
	v_fma_f64 v[4:5], v[160:161], v[60:61], -v[4:5]
	v_add_f64 v[0:1], v[0:1], v[4:5]
	v_mul_f64 v[4:5], v[166:167], v[58:59]
	v_fma_f64 v[4:5], v[164:165], v[56:57], -v[4:5]
	v_add_f64 v[0:1], v[0:1], v[4:5]
	v_mul_f64 v[4:5], v[170:171], v[74:75]
	v_fma_f64 v[4:5], v[168:169], v[72:73], -v[4:5]
	v_add_f64 v[0:1], v[0:1], v[4:5]
	v_mul_f64 v[4:5], v[174:175], v[78:79]
	v_fma_f64 v[4:5], v[172:173], v[76:77], -v[4:5]
	v_add_f64 v[0:1], v[0:1], v[4:5]
	v_mul_f64 v[4:5], v[178:179], v[82:83]
	v_fma_f64 v[4:5], v[176:177], v[80:81], -v[4:5]
	v_add_f64 v[0:1], v[0:1], v[4:5]
	v_mul_f64 v[4:5], v[182:183], v[86:87]
	v_fma_f64 v[4:5], v[180:181], v[84:85], -v[4:5]
	v_add_f64 v[0:1], v[0:1], v[4:5]
	v_mul_f64 v[4:5], v[186:187], v[90:91]
	v_fma_f64 v[4:5], v[184:185], v[88:89], -v[4:5]
	v_add_f64 v[0:1], v[0:1], v[4:5]
	v_mul_f64 v[4:5], v[190:191], v[94:95]
	v_fma_f64 v[4:5], v[188:189], v[92:93], -v[4:5]
	v_add_f64 v[0:1], v[0:1], v[4:5]
	v_mul_f64 v[4:5], v[194:195], v[102:103]
	v_fma_f64 v[4:5], v[192:193], v[100:101], -v[4:5]
	v_add_f64 v[0:1], v[0:1], v[4:5]
	v_mul_f64 v[4:5], v[198:199], v[98:99]
	v_fma_f64 v[4:5], v[196:197], v[96:97], -v[4:5]
	v_add_f64 v[0:1], v[0:1], v[4:5]
	v_mul_f64 v[4:5], v[202:203], v[106:107]
	v_fma_f64 v[4:5], v[200:201], v[104:105], -v[4:5]
	v_add_f64 v[0:1], v[0:1], v[4:5]
	v_mul_f64 v[4:5], v[206:207], v[110:111]
	v_fma_f64 v[4:5], v[204:205], v[108:109], -v[4:5]
	v_add_f64 v[0:1], v[0:1], v[4:5]
	v_mul_f64 v[4:5], v[210:211], v[114:115]
	v_fma_f64 v[4:5], v[208:209], v[112:113], -v[4:5]
	v_add_f64 v[0:1], v[0:1], v[4:5]
	v_mul_f64 v[4:5], v[218:219], v[214:215]
	v_fma_f64 v[4:5], v[216:217], v[212:213], -v[4:5]
	v_add_f64 v[0:1], v[0:1], v[4:5]
	v_mul_f64 v[4:5], v[226:227], v[222:223]
	v_fma_f64 v[4:5], v[224:225], v[220:221], -v[4:5]
	v_add_f64 v[0:1], v[0:1], v[4:5]
	s_waitcnt vmcnt(0)
	v_add_f64 v[4:5], v[228:229], -v[0:1]
	v_accvgpr_read_b32 v0, a112
	v_add_f64 v[6:7], v[230:231], -v[246:247]
	v_cmp_lt_u32_e32 vcc, 11, v0
	scratch_store_dwordx4 off, v[4:7], off offset:208
	s_and_saveexec_b64 s[0:1], vcc
	s_cbranch_execz .LBB119_327
; %bb.326:
	scratch_load_dwordx4 v[6:9], off, s61
	v_mov_b32_e32 v3, v2
	v_mov_b32_e32 v4, v2
	;; [unrolled: 1-line block ×3, first 2 shown]
	v_accvgpr_read_b32 v0, a113
	scratch_store_dwordx4 off, v[2:5], off offset:192
	s_waitcnt vmcnt(1)
	ds_write_b128 v0, v[6:9]
.LBB119_327:
	s_or_b64 exec, exec, s[0:1]
	s_waitcnt lgkmcnt(0)
	; wave barrier
	scratch_load_dwordx4 v[72:75], off, off offset:208
	scratch_load_dwordx4 v[76:79], off, off offset:224
	scratch_load_dwordx4 v[80:83], off, off offset:240
	scratch_load_dwordx4 v[84:87], off, off offset:256
	scratch_load_dwordx4 v[88:91], off, off offset:272
	scratch_load_dwordx4 v[92:95], off, off offset:288
	scratch_load_dwordx4 v[96:99], off, off offset:304
	scratch_load_dwordx4 v[100:103], off, off offset:320
	scratch_load_dwordx4 v[104:107], off, off offset:336
	scratch_load_dwordx4 v[108:111], off, off offset:352
	scratch_load_dwordx4 v[112:115], off, off offset:368
	scratch_load_dwordx4 v[116:119], off, off offset:384
	scratch_load_dwordx4 v[120:123], off, off offset:400
	scratch_load_dwordx4 v[124:127], off, off offset:416
	scratch_load_dwordx4 v[128:131], off, off offset:432
	scratch_load_dwordx4 v[4:7], off, off offset:448
	scratch_load_dwordx4 v[24:27], off, off offset:464
	ds_read_b128 v[176:179], v2 offset:1088
	ds_read_b128 v[192:195], v2 offset:1104
	;; [unrolled: 1-line block ×3, first 2 shown]
	scratch_load_dwordx4 v[20:23], off, off offset:480
	ds_read_b128 v[236:239], v2 offset:1136
	ds_read_b128 v[232:235], v2 offset:1152
	;; [unrolled: 1-line block ×5, first 2 shown]
	scratch_load_dwordx4 v[168:171], off, off offset:496
	ds_read_b128 v[224:227], v2 offset:1216
	ds_read_b128 v[212:215], v2 offset:1232
	;; [unrolled: 1-line block ×3, first 2 shown]
	scratch_load_dwordx4 v[12:15], off, off offset:512
	ds_read_b128 v[216:219], v2 offset:1264
	ds_read_b128 v[204:207], v2 offset:1280
	;; [unrolled: 1-line block ×5, first 2 shown]
	scratch_load_dwordx4 v[28:31], off, off offset:528
	ds_read_b128 v[32:35], v2 offset:1344
	scratch_load_dwordx4 v[36:39], off, off offset:544
	scratch_load_dwordx4 v[40:43], off, off offset:560
	;; [unrolled: 1-line block ×9, first 2 shown]
	ds_read_b128 v[132:135], v2 offset:1360
	s_waitcnt lgkmcnt(2)
	v_accvgpr_write_b32 a121, v19
	v_accvgpr_write_b32 a120, v18
	;; [unrolled: 1-line block ×4, first 2 shown]
	ds_read_b128 v[172:175], v2 offset:1424
	s_waitcnt vmcnt(29)
	v_mul_f64 v[0:1], v[176:177], v[74:75]
	s_waitcnt vmcnt(28)
	v_mul_f64 v[136:137], v[192:193], v[78:79]
	v_fmac_f64_e32 v[0:1], v[178:179], v[72:73]
	s_waitcnt vmcnt(27)
	v_mul_f64 v[138:139], v[188:189], v[82:83]
	v_fmac_f64_e32 v[136:137], v[194:195], v[76:77]
	v_add_f64 v[0:1], v[0:1], 0
	s_waitcnt vmcnt(26)
	v_mul_f64 v[140:141], v[236:237], v[86:87]
	v_fmac_f64_e32 v[138:139], v[190:191], v[80:81]
	v_add_f64 v[0:1], v[0:1], v[136:137]
	;; [unrolled: 4-line block ×14, first 2 shown]
	v_fmac_f64_e32 v[164:165], v[18:19], v[4:5]
	v_add_f64 v[0:1], v[0:1], v[162:163]
	s_waitcnt vmcnt(13) lgkmcnt(2)
	v_mul_f64 v[140:141], v[32:33], v[26:27]
	scratch_load_dwordx4 v[136:139], off, off offset:688
	v_add_f64 v[0:1], v[0:1], v[164:165]
	v_fmac_f64_e32 v[140:141], v[34:35], v[24:25]
	v_add_f64 v[0:1], v[0:1], v[140:141]
	ds_read_b128 v[160:163], v2 offset:1376
	scratch_load_dwordx4 v[140:143], off, off offset:704
	ds_read_b128 v[164:167], v2 offset:1392
	s_waitcnt vmcnt(13)
	v_mov_b64_e32 v[16:17], v[168:169]
	v_mov_b64_e32 v[18:19], v[170:171]
	ds_read_b128 v[168:171], v2 offset:1408
	s_waitcnt lgkmcnt(4)
	v_mul_f64 v[144:145], v[132:133], v[22:23]
	v_fmac_f64_e32 v[144:145], v[134:135], v[20:21]
	s_waitcnt lgkmcnt(2)
	v_mul_f64 v[148:149], v[160:161], v[18:19]
	v_add_f64 v[0:1], v[0:1], v[144:145]
	v_fmac_f64_e32 v[148:149], v[162:163], v[16:17]
	s_waitcnt vmcnt(12) lgkmcnt(1)
	v_mul_f64 v[152:153], v[164:165], v[14:15]
	scratch_load_dwordx4 v[144:147], off, off offset:720
	v_add_f64 v[0:1], v[0:1], v[148:149]
	v_fmac_f64_e32 v[152:153], v[166:167], v[12:13]
	scratch_load_dwordx4 v[148:151], off, off offset:736
	v_add_f64 v[0:1], v[0:1], v[152:153]
	s_waitcnt vmcnt(13) lgkmcnt(0)
	v_mul_f64 v[152:153], v[168:169], v[30:31]
	v_fmac_f64_e32 v[152:153], v[170:171], v[28:29]
	v_add_f64 v[0:1], v[0:1], v[152:153]
	scratch_load_dwordx4 v[152:155], off, off offset:752
	s_waitcnt vmcnt(13)
	v_mul_f64 v[156:157], v[172:173], v[38:39]
	v_fmac_f64_e32 v[156:157], v[174:175], v[36:37]
	v_mul_f64 v[74:75], v[178:179], v[74:75]
	v_add_f64 v[0:1], v[0:1], v[156:157]
	scratch_load_dwordx4 v[156:159], off, off offset:768
	v_fma_f64 v[240:241], v[176:177], v[72:73], -v[74:75]
	v_mul_f64 v[72:73], v[194:195], v[78:79]
	ds_read_b128 v[180:183], v2 offset:1440
	ds_read_b128 v[176:179], v2 offset:1456
	v_fma_f64 v[246:247], v[192:193], v[76:77], -v[72:73]
	scratch_load_dwordx4 v[76:79], off, off offset:784
	scratch_load_dwordx4 v[72:75], off, off offset:800
	v_mul_f64 v[82:83], v[190:191], v[82:83]
	v_fma_f64 v[248:249], v[188:189], v[80:81], -v[82:83]
	v_mul_f64 v[80:81], v[238:239], v[86:87]
	v_fma_f64 v[236:237], v[236:237], v[84:85], -v[80:81]
	scratch_load_dwordx4 v[80:83], off, off offset:816
	ds_read_b128 v[188:191], v2 offset:1472
	v_mul_f64 v[84:85], v[234:235], v[90:91]
	s_waitcnt vmcnt(16) lgkmcnt(2)
	v_mul_f64 v[192:193], v[180:181], v[42:43]
	v_fma_f64 v[238:239], v[232:233], v[88:89], -v[84:85]
	scratch_load_dwordx4 v[84:87], off, off offset:832
	v_fmac_f64_e32 v[192:193], v[182:183], v[40:41]
	v_add_f64 v[0:1], v[0:1], v[192:193]
	s_waitcnt vmcnt(16) lgkmcnt(1)
	v_mul_f64 v[192:193], v[176:177], v[46:47]
	v_fmac_f64_e32 v[192:193], v[178:179], v[44:45]
	v_add_f64 v[0:1], v[0:1], v[192:193]
	ds_read_b128 v[192:195], v2 offset:1488
	s_waitcnt vmcnt(15) lgkmcnt(1)
	v_mul_f64 v[88:89], v[188:189], v[50:51]
	v_fmac_f64_e32 v[88:89], v[190:191], v[48:49]
	v_add_f64 v[0:1], v[0:1], v[88:89]
	v_mul_f64 v[88:89], v[230:231], v[94:95]
	v_fma_f64 v[250:251], v[228:229], v[92:93], -v[88:89]
	scratch_load_dwordx4 v[88:91], off, off offset:848
	scratch_load_dwordx4 v[232:235], off, off offset:896
	ds_read_b128 v[92:95], v2 offset:1504
	v_mul_f64 v[98:99], v[222:223], v[98:99]
	v_fma_f64 v[252:253], v[220:221], v[96:97], -v[98:99]
	ds_read_b128 v[96:99], v2 offset:1520
	v_mul_f64 v[102:103], v[210:211], v[102:103]
	s_waitcnt vmcnt(16) lgkmcnt(2)
	v_mul_f64 v[228:229], v[192:193], v[54:55]
	v_fma_f64 v[254:255], v[208:209], v[100:101], -v[102:103]
	ds_read_b128 v[100:103], v2 offset:1536
	ds_read_b128 v[208:211], v2 offset:1552
	v_fmac_f64_e32 v[228:229], v[194:195], v[52:53]
	s_waitcnt vmcnt(15) lgkmcnt(3)
	v_mul_f64 v[220:221], v[92:93], v[58:59]
	v_add_f64 v[0:1], v[0:1], v[228:229]
	v_fmac_f64_e32 v[220:221], v[94:95], v[56:57]
	v_mul_f64 v[106:107], v[226:227], v[106:107]
	v_add_f64 v[0:1], v[0:1], v[220:221]
	s_waitcnt vmcnt(14) lgkmcnt(2)
	v_mul_f64 v[220:221], v[96:97], v[62:63]
	v_fma_f64 v[242:243], v[224:225], v[104:105], -v[106:107]
	ds_read_b128 v[104:107], v2 offset:1568
	v_fmac_f64_e32 v[220:221], v[98:99], v[60:61]
	v_mul_f64 v[110:111], v[214:215], v[110:111]
	v_add_f64 v[0:1], v[0:1], v[220:221]
	s_waitcnt vmcnt(13) lgkmcnt(2)
	v_mul_f64 v[220:221], v[100:101], v[70:71]
	v_fma_f64 v[8:9], v[212:213], v[108:109], -v[110:111]
	ds_read_b128 v[108:111], v2 offset:1584
	v_fmac_f64_e32 v[220:221], v[102:103], v[68:69]
	v_accvgpr_write_b32 a117, v7
	v_add_f64 v[0:1], v[0:1], v[220:221]
	s_waitcnt vmcnt(12) lgkmcnt(2)
	v_mul_f64 v[220:221], v[208:209], v[66:67]
	v_accvgpr_write_b32 a116, v6
	v_accvgpr_write_b32 a115, v5
	;; [unrolled: 1-line block ×3, first 2 shown]
	v_fmac_f64_e32 v[220:221], v[210:211], v[64:65]
	s_waitcnt vmcnt(11) lgkmcnt(1)
	v_mul_f64 v[6:7], v[104:105], v[138:139]
	v_add_f64 v[0:1], v[0:1], v[220:221]
	v_fmac_f64_e32 v[6:7], v[106:107], v[136:137]
	v_add_f64 v[0:1], v[0:1], v[6:7]
	s_waitcnt vmcnt(10) lgkmcnt(0)
	v_mul_f64 v[6:7], v[108:109], v[142:143]
	v_fmac_f64_e32 v[6:7], v[110:111], v[140:141]
	ds_read_b128 v[212:215], v2 offset:1600
	v_add_f64 v[0:1], v[0:1], v[6:7]
	v_mul_f64 v[6:7], v[202:203], v[114:115]
	v_fma_f64 v[6:7], v[200:201], v[112:113], -v[6:7]
	ds_read_b128 v[112:115], v2 offset:1616
	v_mul_f64 v[118:119], v[218:219], v[118:119]
	v_fma_f64 v[4:5], v[216:217], v[116:117], -v[118:119]
	ds_read_b128 v[116:119], v2 offset:1632
	s_waitcnt vmcnt(9) lgkmcnt(2)
	v_mul_f64 v[200:201], v[212:213], v[146:147]
	v_fmac_f64_e32 v[200:201], v[214:215], v[144:145]
	s_waitcnt vmcnt(8) lgkmcnt(1)
	v_mul_f64 v[10:11], v[112:113], v[150:151]
	v_add_f64 v[0:1], v[0:1], v[200:201]
	v_fmac_f64_e32 v[10:11], v[114:115], v[148:149]
	v_add_f64 v[0:1], v[0:1], v[10:11]
	ds_read_b128 v[200:203], v2 offset:1648
	s_waitcnt vmcnt(7) lgkmcnt(1)
	v_mul_f64 v[10:11], v[116:117], v[154:155]
	v_fmac_f64_e32 v[10:11], v[118:119], v[152:153]
	v_add_f64 v[10:11], v[0:1], v[10:11]
	v_mul_f64 v[0:1], v[206:207], v[122:123]
	v_fma_f64 v[0:1], v[204:205], v[120:121], -v[0:1]
	ds_read_b128 v[120:123], v2 offset:1664
	v_mul_f64 v[126:127], v[198:199], v[126:127]
	v_fma_f64 v[124:125], v[196:197], v[124:125], -v[126:127]
	s_waitcnt vmcnt(6) lgkmcnt(1)
	v_mul_f64 v[204:205], v[200:201], v[158:159]
	v_accvgpr_write_b32 a122, v124
	v_fmac_f64_e32 v[204:205], v[202:203], v[156:157]
	v_accvgpr_write_b32 a123, v125
	ds_read_b128 v[124:127], v2 offset:1680
	s_waitcnt vmcnt(5) lgkmcnt(1)
	v_mul_f64 v[196:197], v[120:121], v[78:79]
	v_add_f64 v[10:11], v[10:11], v[204:205]
	v_fmac_f64_e32 v[196:197], v[122:123], v[76:77]
	v_add_f64 v[10:11], v[10:11], v[196:197]
	ds_read_b128 v[196:199], v2 offset:1696
	v_mul_f64 v[130:131], v[186:187], v[130:131]
	v_fma_f64 v[244:245], v[184:185], v[128:129], -v[130:131]
	ds_read_b128 v[128:131], v2 offset:1712
	s_waitcnt vmcnt(4) lgkmcnt(2)
	v_mul_f64 v[184:185], v[124:125], v[74:75]
	v_fmac_f64_e32 v[184:185], v[126:127], v[72:73]
	v_add_f64 v[10:11], v[10:11], v[184:185]
	s_waitcnt vmcnt(3) lgkmcnt(1)
	v_mul_f64 v[184:185], v[196:197], v[82:83]
	v_fmac_f64_e32 v[184:185], v[198:199], v[80:81]
	v_add_f64 v[10:11], v[10:11], v[184:185]
	;; [unrolled: 4-line block ×3, first 2 shown]
	ds_read_b128 v[184:187], v2 offset:1728
	ds_read_b128 v[216:219], v2 offset:1744
	;; [unrolled: 1-line block ×3, first 2 shown]
	s_waitcnt vmcnt(1) lgkmcnt(2)
	v_mul_f64 v[204:205], v[184:185], v[90:91]
	v_fmac_f64_e32 v[204:205], v[186:187], v[88:89]
	v_add_f64 v[10:11], v[10:11], v[204:205]
	scratch_load_dwordx4 v[204:207], off, off offset:864
	s_waitcnt vmcnt(0) lgkmcnt(1)
	v_mul_f64 v[220:221], v[216:217], v[206:207]
	v_fmac_f64_e32 v[220:221], v[218:219], v[204:205]
	v_add_f64 v[10:11], v[10:11], v[220:221]
	scratch_load_dwordx4 v[220:223], off, off offset:880
	s_waitcnt vmcnt(0) lgkmcnt(0)
	v_mul_f64 v[228:229], v[224:225], v[222:223]
	v_fmac_f64_e32 v[228:229], v[226:227], v[220:221]
	v_add_f64 v[10:11], v[10:11], v[228:229]
	ds_read_b128 v[228:231], v2 offset:1776
	s_waitcnt lgkmcnt(0)
	v_mul_f64 v[2:3], v[228:229], v[234:235]
	v_fmac_f64_e32 v[2:3], v[230:231], v[232:233]
	v_add_f64 v[2:3], v[10:11], v[2:3]
	v_add_f64 v[10:11], v[240:241], 0
	;; [unrolled: 1-line block ×6, first 2 shown]
	scratch_load_dwordx4 v[236:239], off, off offset:192
	v_add_f64 v[10:11], v[10:11], v[250:251]
	v_add_f64 v[10:11], v[10:11], v[252:253]
	;; [unrolled: 1-line block ×8, first 2 shown]
	v_accvgpr_read_b32 v0, a122
	v_accvgpr_read_b32 v6, a114
	;; [unrolled: 1-line block ×7, first 2 shown]
	v_add_f64 v[0:1], v[254:255], v[0:1]
	v_accvgpr_read_b32 v7, a115
	v_accvgpr_read_b32 v241, a119
	;; [unrolled: 1-line block ×3, first 2 shown]
	v_mul_f64 v[4:5], v[242:243], v[8:9]
	v_add_f64 v[0:1], v[0:1], v[244:245]
	v_fma_f64 v[4:5], v[240:241], v[6:7], -v[4:5]
	v_add_f64 v[0:1], v[0:1], v[4:5]
	v_mul_f64 v[4:5], v[34:35], v[26:27]
	v_fma_f64 v[4:5], v[32:33], v[24:25], -v[4:5]
	v_add_f64 v[0:1], v[0:1], v[4:5]
	v_mul_f64 v[4:5], v[134:135], v[22:23]
	;; [unrolled: 3-line block ×28, first 2 shown]
	v_fma_f64 v[4:5], v[228:229], v[232:233], -v[4:5]
	v_add_f64 v[0:1], v[0:1], v[4:5]
	s_waitcnt vmcnt(0)
	v_add_f64 v[4:5], v[236:237], -v[0:1]
	v_accvgpr_read_b32 v0, a112
	v_add_f64 v[6:7], v[238:239], -v[2:3]
	v_cmp_lt_u32_e32 vcc, 10, v0
	scratch_store_dwordx4 off, v[4:7], off offset:192
	s_and_saveexec_b64 s[0:1], vcc
	s_cbranch_execz .LBB119_329
; %bb.328:
	scratch_load_dwordx4 v[2:5], off, s62
	v_mov_b32_e32 v6, 0
	v_mov_b32_e32 v7, v6
	;; [unrolled: 1-line block ×4, first 2 shown]
	v_accvgpr_read_b32 v0, a113
	scratch_store_dwordx4 off, v[6:9], off offset:176
	s_waitcnt vmcnt(1)
	ds_write_b128 v0, v[2:5]
.LBB119_329:
	s_or_b64 exec, exec, s[0:1]
	s_waitcnt lgkmcnt(0)
	; wave barrier
	scratch_load_dwordx4 v[80:83], off, off offset:192
	scratch_load_dwordx4 v[84:87], off, off offset:208
	;; [unrolled: 1-line block ×29, first 2 shown]
	v_mov_b32_e32 v2, 0
	ds_read_b128 v[132:135], v2 offset:1072
	ds_read_b128 v[136:139], v2 offset:1088
	ds_read_b128 v[140:143], v2 offset:1104
	ds_read_b128 v[148:151], v2 offset:1120
	ds_read_b128 v[160:163], v2 offset:1136
	ds_read_b128 v[172:175], v2 offset:1152
	ds_read_b128 v[184:187], v2 offset:1168
	ds_read_b128 v[196:199], v2 offset:1184
	ds_read_b128 v[204:207], v2 offset:1200
	ds_read_b128 v[208:211], v2 offset:1216
	ds_read_b128 v[212:215], v2 offset:1232
	ds_read_b128 v[216:219], v2 offset:1248
	ds_read_b128 v[220:223], v2 offset:1264
	ds_read_b128 v[224:227], v2 offset:1280
	ds_read_b128 v[228:231], v2 offset:1296
	ds_read_b128 v[242:245], v2 offset:1312
	ds_read_b128 v[246:249], v2 offset:1328
	ds_read_b128 v[52:55], v2 offset:1344
	ds_read_b128 v[116:119], v2 offset:1392
	ds_read_b128 v[120:123], v2 offset:1408
	ds_read_b128 v[124:127], v2 offset:1424
	ds_read_b128 v[128:131], v2 offset:1440
	s_waitcnt vmcnt(28) lgkmcnt(14)
	v_mul_f64 v[0:1], v[132:133], v[82:83]
	s_waitcnt vmcnt(27)
	v_mul_f64 v[56:57], v[136:137], v[86:87]
	v_fmac_f64_e32 v[0:1], v[134:135], v[80:81]
	s_waitcnt vmcnt(26)
	v_mul_f64 v[58:59], v[140:141], v[90:91]
	v_fmac_f64_e32 v[56:57], v[138:139], v[84:85]
	v_add_f64 v[0:1], v[0:1], 0
	s_waitcnt vmcnt(25)
	v_mul_f64 v[60:61], v[148:149], v[94:95]
	v_fmac_f64_e32 v[58:59], v[142:143], v[88:89]
	v_add_f64 v[0:1], v[0:1], v[56:57]
	;; [unrolled: 4-line block ×6, first 2 shown]
	s_waitcnt vmcnt(20) lgkmcnt(13)
	v_mul_f64 v[70:71], v[204:205], v[154:155]
	v_fmac_f64_e32 v[68:69], v[198:199], v[144:145]
	v_add_f64 v[0:1], v[0:1], v[66:67]
	s_waitcnt vmcnt(19) lgkmcnt(12)
	v_mul_f64 v[72:73], v[208:209], v[158:159]
	v_fmac_f64_e32 v[70:71], v[206:207], v[152:153]
	v_add_f64 v[0:1], v[0:1], v[68:69]
	s_waitcnt vmcnt(18) lgkmcnt(11)
	v_mul_f64 v[74:75], v[212:213], v[166:167]
	v_fmac_f64_e32 v[72:73], v[210:211], v[156:157]
	v_add_f64 v[0:1], v[0:1], v[70:71]
	s_waitcnt vmcnt(17) lgkmcnt(10)
	v_mul_f64 v[76:77], v[216:217], v[170:171]
	v_fmac_f64_e32 v[74:75], v[214:215], v[164:165]
	v_add_f64 v[0:1], v[0:1], v[72:73]
	s_waitcnt vmcnt(16) lgkmcnt(9)
	v_mul_f64 v[78:79], v[220:221], v[178:179]
	v_fmac_f64_e32 v[76:77], v[218:219], v[168:169]
	v_add_f64 v[0:1], v[0:1], v[74:75]
	s_waitcnt vmcnt(15) lgkmcnt(8)
	v_mul_f64 v[108:109], v[224:225], v[182:183]
	v_fmac_f64_e32 v[78:79], v[222:223], v[176:177]
	v_add_f64 v[0:1], v[0:1], v[76:77]
	s_waitcnt vmcnt(14) lgkmcnt(7)
	v_mul_f64 v[110:111], v[228:229], v[190:191]
	v_fmac_f64_e32 v[108:109], v[226:227], v[180:181]
	v_add_f64 v[0:1], v[0:1], v[78:79]
	s_waitcnt vmcnt(13) lgkmcnt(6)
	v_mul_f64 v[112:113], v[242:243], v[194:195]
	v_fmac_f64_e32 v[110:111], v[230:231], v[188:189]
	v_add_f64 v[0:1], v[0:1], v[108:109]
	v_fmac_f64_e32 v[112:113], v[244:245], v[192:193]
	v_add_f64 v[0:1], v[0:1], v[110:111]
	s_waitcnt vmcnt(12) lgkmcnt(5)
	v_mul_f64 v[60:61], v[246:247], v[202:203]
	scratch_load_dwordx4 v[56:59], off, off offset:656
	ds_read_b128 v[108:111], v2 offset:1360
	v_add_f64 v[0:1], v[0:1], v[112:113]
	v_fmac_f64_e32 v[60:61], v[248:249], v[200:201]
	v_add_f64 v[0:1], v[0:1], v[60:61]
	s_waitcnt vmcnt(12) lgkmcnt(5)
	v_mul_f64 v[64:65], v[52:53], v[6:7]
	scratch_load_dwordx4 v[60:63], off, off offset:672
	v_accvgpr_write_b32 a117, v7
	v_fmac_f64_e32 v[64:65], v[54:55], v[4:5]
	v_accvgpr_write_b32 a116, v6
	v_accvgpr_write_b32 a115, v5
	v_accvgpr_write_b32 a114, v4
	ds_read_b128 v[112:115], v2 offset:1376
	s_waitcnt vmcnt(12)
	v_mov_b64_e32 v[4:5], v[8:9]
	v_mov_b64_e32 v[6:7], v[10:11]
	s_waitcnt lgkmcnt(1)
	v_mul_f64 v[68:69], v[108:109], v[6:7]
	v_fmac_f64_e32 v[68:69], v[110:111], v[4:5]
	s_waitcnt vmcnt(11)
	v_mov_b64_e32 v[4:5], v[12:13]
	v_add_f64 v[0:1], v[0:1], v[64:65]
	v_mov_b64_e32 v[6:7], v[14:15]
	scratch_load_dwordx4 v[64:67], off, off offset:688
	v_add_f64 v[0:1], v[0:1], v[68:69]
	s_waitcnt lgkmcnt(0)
	v_mul_f64 v[68:69], v[112:113], v[6:7]
	v_fmac_f64_e32 v[68:69], v[114:115], v[4:5]
	s_waitcnt vmcnt(11)
	v_mov_b64_e32 v[4:5], v[16:17]
	v_add_f64 v[0:1], v[0:1], v[68:69]
	scratch_load_dwordx4 v[68:71], off, off offset:704
	v_mov_b64_e32 v[6:7], v[18:19]
	v_mul_f64 v[76:77], v[116:117], v[6:7]
	scratch_load_dwordx4 v[72:75], off, off offset:720
	v_fmac_f64_e32 v[76:77], v[118:119], v[4:5]
	v_add_f64 v[0:1], v[0:1], v[76:77]
	s_waitcnt vmcnt(12)
	v_mul_f64 v[76:77], v[120:121], v[236:237]
	v_fmac_f64_e32 v[76:77], v[122:123], v[234:235]
	v_add_f64 v[0:1], v[0:1], v[76:77]
	scratch_load_dwordx4 v[76:79], off, off offset:736
	v_mul_f64 v[82:83], v[134:135], v[82:83]
	v_fma_f64 v[240:241], v[132:133], v[80:81], -v[82:83]
	scratch_load_dwordx4 v[80:83], off, off offset:752
	v_mul_f64 v[86:87], v[138:139], v[86:87]
	v_fma_f64 v[250:251], v[136:137], v[84:85], -v[86:87]
	scratch_load_dwordx4 v[84:87], off, off offset:768
	v_mul_f64 v[90:91], v[142:143], v[90:91]
	s_waitcnt vmcnt(14)
	v_mul_f64 v[132:133], v[124:125], v[26:27]
	v_fma_f64 v[252:253], v[140:141], v[88:89], -v[90:91]
	scratch_load_dwordx4 v[88:91], off, off offset:784
	v_fmac_f64_e32 v[132:133], v[126:127], v[24:25]
	s_waitcnt vmcnt(14)
	v_mul_f64 v[136:137], v[128:129], v[30:31]
	v_mul_f64 v[94:95], v[150:151], v[94:95]
	v_add_f64 v[0:1], v[0:1], v[132:133]
	v_fmac_f64_e32 v[136:137], v[130:131], v[28:29]
	v_fma_f64 v[254:255], v[148:149], v[92:93], -v[94:95]
	v_mul_f64 v[92:93], v[162:163], v[98:99]
	ds_read_b128 v[132:135], v2 offset:1456
	v_add_f64 v[0:1], v[0:1], v[136:137]
	ds_read_b128 v[136:139], v2 offset:1472
	v_fma_f64 v[232:233], v[160:161], v[96:97], -v[92:93]
	scratch_load_dwordx4 v[96:99], off, off offset:800
	scratch_load_dwordx4 v[92:95], off, off offset:816
	v_mul_f64 v[102:103], v[174:175], v[102:103]
	v_fma_f64 v[20:21], v[172:173], v[100:101], -v[102:103]
	scratch_load_dwordx4 v[100:103], off, off offset:832
	v_accvgpr_write_b32 a129, v19
	v_mul_f64 v[6:7], v[186:187], v[106:107]
	v_accvgpr_write_b32 a128, v18
	v_accvgpr_write_b32 a127, v17
	;; [unrolled: 1-line block ×3, first 2 shown]
	v_fma_f64 v[16:17], v[184:185], v[104:105], -v[6:7]
	scratch_load_dwordx4 v[104:107], off, off offset:848
	s_waitcnt vmcnt(17) lgkmcnt(1)
	v_mul_f64 v[140:141], v[132:133], v[34:35]
	v_fmac_f64_e32 v[140:141], v[134:135], v[32:33]
	v_add_f64 v[0:1], v[0:1], v[140:141]
	ds_read_b128 v[140:143], v2 offset:1488
	v_accvgpr_write_b32 a125, v15
	v_mul_f64 v[6:7], v[198:199], v[146:147]
	v_accvgpr_write_b32 a124, v14
	v_accvgpr_write_b32 a123, v13
	;; [unrolled: 1-line block ×3, first 2 shown]
	v_fma_f64 v[12:13], v[196:197], v[144:145], -v[6:7]
	ds_read_b128 v[144:147], v2 offset:1504
	s_waitcnt vmcnt(16) lgkmcnt(2)
	v_mul_f64 v[148:149], v[136:137], v[38:39]
	v_fmac_f64_e32 v[148:149], v[138:139], v[36:37]
	v_add_f64 v[0:1], v[0:1], v[148:149]
	s_waitcnt vmcnt(15) lgkmcnt(1)
	v_mul_f64 v[6:7], v[140:141], v[42:43]
	ds_read_b128 v[148:151], v2 offset:1520
	v_fmac_f64_e32 v[6:7], v[142:143], v[40:41]
	v_add_f64 v[0:1], v[0:1], v[6:7]
	s_waitcnt vmcnt(14) lgkmcnt(1)
	v_mul_f64 v[6:7], v[144:145], v[46:47]
	v_fmac_f64_e32 v[6:7], v[146:147], v[44:45]
	v_accvgpr_write_b32 a121, v11
	v_add_f64 v[0:1], v[0:1], v[6:7]
	v_mul_f64 v[6:7], v[206:207], v[154:155]
	v_accvgpr_write_b32 a120, v10
	v_accvgpr_write_b32 a119, v9
	;; [unrolled: 1-line block ×3, first 2 shown]
	v_fma_f64 v[10:11], v[204:205], v[152:153], -v[6:7]
	ds_read_b128 v[152:155], v2 offset:1536
	s_waitcnt vmcnt(13) lgkmcnt(1)
	v_mul_f64 v[6:7], v[148:149], v[50:51]
	v_fmac_f64_e32 v[6:7], v[150:151], v[48:49]
	v_add_f64 v[0:1], v[0:1], v[6:7]
	v_mul_f64 v[6:7], v[210:211], v[158:159]
	v_fma_f64 v[14:15], v[208:209], v[156:157], -v[6:7]
	ds_read_b128 v[156:159], v2 offset:1552
	ds_read_b128 v[160:163], v2 offset:1568
	s_waitcnt vmcnt(12) lgkmcnt(2)
	v_mul_f64 v[6:7], v[152:153], v[58:59]
	v_fmac_f64_e32 v[6:7], v[154:155], v[56:57]
	v_add_f64 v[0:1], v[0:1], v[6:7]
	s_waitcnt vmcnt(11) lgkmcnt(1)
	v_mul_f64 v[6:7], v[156:157], v[62:63]
	v_fmac_f64_e32 v[6:7], v[158:159], v[60:61]
	v_add_f64 v[0:1], v[0:1], v[6:7]
	v_mul_f64 v[6:7], v[214:215], v[166:167]
	v_fma_f64 v[8:9], v[212:213], v[164:165], -v[6:7]
	ds_read_b128 v[164:167], v2 offset:1584
	v_mul_f64 v[18:19], v[218:219], v[170:171]
	v_fma_f64 v[18:19], v[216:217], v[168:169], -v[18:19]
	ds_read_b128 v[168:171], v2 offset:1600
	s_waitcnt vmcnt(10) lgkmcnt(2)
	v_mul_f64 v[6:7], v[160:161], v[66:67]
	v_fmac_f64_e32 v[6:7], v[162:163], v[64:65]
	v_add_f64 v[0:1], v[0:1], v[6:7]
	s_waitcnt vmcnt(9) lgkmcnt(1)
	v_mul_f64 v[6:7], v[164:165], v[70:71]
	ds_read_b128 v[172:175], v2 offset:1616
	v_fmac_f64_e32 v[6:7], v[166:167], v[68:69]
	v_add_f64 v[0:1], v[0:1], v[6:7]
	s_waitcnt vmcnt(8) lgkmcnt(1)
	v_mul_f64 v[6:7], v[168:169], v[74:75]
	v_fmac_f64_e32 v[6:7], v[170:171], v[72:73]
	v_add_f64 v[0:1], v[0:1], v[6:7]
	v_mul_f64 v[6:7], v[222:223], v[178:179]
	v_fma_f64 v[4:5], v[220:221], v[176:177], -v[6:7]
	ds_read_b128 v[176:179], v2 offset:1632
	s_waitcnt vmcnt(7) lgkmcnt(1)
	v_mul_f64 v[6:7], v[172:173], v[78:79]
	v_fmac_f64_e32 v[6:7], v[174:175], v[76:77]
	v_add_f64 v[0:1], v[0:1], v[6:7]
	v_mul_f64 v[6:7], v[226:227], v[182:183]
	v_fma_f64 v[6:7], v[224:225], v[180:181], -v[6:7]
	ds_read_b128 v[180:183], v2 offset:1648
	ds_read_b128 v[184:187], v2 offset:1664
	s_waitcnt vmcnt(6) lgkmcnt(2)
	v_mul_f64 v[22:23], v[176:177], v[82:83]
	v_fmac_f64_e32 v[22:23], v[178:179], v[80:81]
	v_add_f64 v[0:1], v[0:1], v[22:23]
	s_waitcnt vmcnt(5) lgkmcnt(1)
	v_mul_f64 v[22:23], v[180:181], v[86:87]
	v_fmac_f64_e32 v[22:23], v[182:183], v[84:85]
	v_add_f64 v[22:23], v[0:1], v[22:23]
	v_mul_f64 v[0:1], v[230:231], v[190:191]
	v_fma_f64 v[0:1], v[228:229], v[188:189], -v[0:1]
	ds_read_b128 v[188:191], v2 offset:1680
	s_waitcnt vmcnt(4) lgkmcnt(1)
	v_mul_f64 v[196:197], v[184:185], v[90:91]
	v_fmac_f64_e32 v[196:197], v[186:187], v[88:89]
	v_mul_f64 v[194:195], v[244:245], v[194:195]
	v_fma_f64 v[238:239], v[242:243], v[192:193], -v[194:195]
	ds_read_b128 v[192:195], v2 offset:1696
	v_add_f64 v[22:23], v[22:23], v[196:197]
	s_waitcnt vmcnt(3) lgkmcnt(1)
	v_mul_f64 v[196:197], v[188:189], v[98:99]
	v_fmac_f64_e32 v[196:197], v[190:191], v[96:97]
	v_add_f64 v[22:23], v[22:23], v[196:197]
	ds_read_b128 v[196:199], v2 offset:1712
	v_mul_f64 v[202:203], v[248:249], v[202:203]
	v_fma_f64 v[242:243], v[246:247], v[200:201], -v[202:203]
	ds_read_b128 v[200:203], v2 offset:1728
	s_waitcnt vmcnt(2) lgkmcnt(2)
	v_mul_f64 v[204:205], v[192:193], v[94:95]
	v_fmac_f64_e32 v[204:205], v[194:195], v[92:93]
	v_add_f64 v[22:23], v[22:23], v[204:205]
	s_waitcnt vmcnt(1) lgkmcnt(1)
	v_mul_f64 v[204:205], v[196:197], v[102:103]
	v_fmac_f64_e32 v[204:205], v[198:199], v[100:101]
	v_add_f64 v[22:23], v[22:23], v[204:205]
	;; [unrolled: 4-line block ×3, first 2 shown]
	scratch_load_dwordx4 v[204:207], off, off offset:864
	ds_read_b128 v[208:211], v2 offset:1744
	ds_read_b128 v[216:219], v2 offset:1760
	;; [unrolled: 1-line block ×3, first 2 shown]
	s_waitcnt vmcnt(0) lgkmcnt(2)
	v_mul_f64 v[212:213], v[208:209], v[206:207]
	v_fmac_f64_e32 v[212:213], v[210:211], v[204:205]
	v_add_f64 v[22:23], v[22:23], v[212:213]
	scratch_load_dwordx4 v[212:215], off, off offset:880
	s_waitcnt vmcnt(0) lgkmcnt(1)
	v_mul_f64 v[220:221], v[216:217], v[214:215]
	v_fmac_f64_e32 v[220:221], v[218:219], v[212:213]
	v_add_f64 v[22:23], v[22:23], v[220:221]
	scratch_load_dwordx4 v[220:223], off, off offset:896
	;; [unrolled: 5-line block ×3, first 2 shown]
	v_add_f64 v[22:23], v[240:241], 0
	v_add_f64 v[22:23], v[22:23], v[250:251]
	;; [unrolled: 1-line block ×14, first 2 shown]
	v_accvgpr_read_b32 v6, a114
	v_accvgpr_read_b32 v8, a116
	;; [unrolled: 1-line block ×3, first 2 shown]
	v_add_f64 v[0:1], v[4:5], v[0:1]
	v_accvgpr_read_b32 v7, a115
	v_mul_f64 v[4:5], v[54:55], v[8:9]
	v_add_f64 v[0:1], v[0:1], v[238:239]
	v_fma_f64 v[4:5], v[52:53], v[6:7], -v[4:5]
	v_accvgpr_read_b32 v6, a118
	v_add_f64 v[0:1], v[0:1], v[242:243]
	v_accvgpr_read_b32 v8, a120
	v_accvgpr_read_b32 v9, a121
	v_add_f64 v[0:1], v[0:1], v[4:5]
	v_accvgpr_read_b32 v7, a119
	v_mul_f64 v[4:5], v[110:111], v[8:9]
	v_fma_f64 v[4:5], v[108:109], v[6:7], -v[4:5]
	v_accvgpr_read_b32 v6, a122
	v_accvgpr_read_b32 v8, a124
	;; [unrolled: 1-line block ×3, first 2 shown]
	v_add_f64 v[0:1], v[0:1], v[4:5]
	v_accvgpr_read_b32 v7, a123
	v_mul_f64 v[4:5], v[114:115], v[8:9]
	v_fma_f64 v[4:5], v[112:113], v[6:7], -v[4:5]
	v_accvgpr_read_b32 v6, a126
	v_accvgpr_read_b32 v8, a128
	;; [unrolled: 1-line block ×3, first 2 shown]
	v_add_f64 v[0:1], v[0:1], v[4:5]
	v_accvgpr_read_b32 v7, a127
	v_mul_f64 v[4:5], v[118:119], v[8:9]
	v_fma_f64 v[4:5], v[116:117], v[6:7], -v[4:5]
	v_add_f64 v[0:1], v[0:1], v[4:5]
	v_mul_f64 v[4:5], v[122:123], v[236:237]
	v_fma_f64 v[4:5], v[120:121], v[234:235], -v[4:5]
	v_add_f64 v[0:1], v[0:1], v[4:5]
	;; [unrolled: 3-line block ×25, first 2 shown]
	s_waitcnt vmcnt(0)
	v_add_f64 v[4:5], v[228:229], -v[0:1]
	v_accvgpr_read_b32 v0, a112
	v_add_f64 v[6:7], v[230:231], -v[246:247]
	v_cmp_lt_u32_e32 vcc, 9, v0
	scratch_store_dwordx4 off, v[4:7], off offset:176
	s_and_saveexec_b64 s[0:1], vcc
	s_cbranch_execz .LBB119_331
; %bb.330:
	scratch_load_dwordx4 v[6:9], off, s63
	v_mov_b32_e32 v3, v2
	v_mov_b32_e32 v4, v2
	;; [unrolled: 1-line block ×3, first 2 shown]
	v_accvgpr_read_b32 v0, a113
	scratch_store_dwordx4 off, v[2:5], off offset:160
	s_waitcnt vmcnt(1)
	ds_write_b128 v0, v[6:9]
.LBB119_331:
	s_or_b64 exec, exec, s[0:1]
	s_waitcnt lgkmcnt(0)
	; wave barrier
	scratch_load_dwordx4 v[80:83], off, off offset:176
	scratch_load_dwordx4 v[84:87], off, off offset:192
	;; [unrolled: 1-line block ×17, first 2 shown]
	ds_read_b128 v[136:139], v2 offset:1056
	ds_read_b128 v[132:135], v2 offset:1072
	scratch_load_dwordx4 v[4:7], off, off offset:448
	ds_read_b128 v[236:239], v2 offset:1088
	ds_read_b128 v[228:231], v2 offset:1104
	;; [unrolled: 1-line block ×5, first 2 shown]
	scratch_load_dwordx4 v[8:11], off, off offset:464
	ds_read_b128 v[232:235], v2 offset:1168
	ds_read_b128 v[216:219], v2 offset:1184
	;; [unrolled: 1-line block ×3, first 2 shown]
	scratch_load_dwordx4 v[12:15], off, off offset:480
	ds_read_b128 v[220:223], v2 offset:1216
	ds_read_b128 v[172:175], v2 offset:1232
	;; [unrolled: 1-line block ×5, first 2 shown]
	scratch_load_dwordx4 v[16:19], off, off offset:496
	ds_read_b128 v[208:211], v2 offset:1296
	ds_read_b128 v[204:207], v2 offset:1312
	ds_read_b128 v[20:23], v2 offset:1328
	scratch_load_dwordx4 v[24:27], off, off offset:512
	scratch_load_dwordx4 v[28:31], off, off offset:528
	scratch_load_dwordx4 v[32:35], off, off offset:544
	scratch_load_dwordx4 v[36:39], off, off offset:560
	scratch_load_dwordx4 v[40:43], off, off offset:576
	scratch_load_dwordx4 v[44:47], off, off offset:592
	scratch_load_dwordx4 v[48:51], off, off offset:608
	scratch_load_dwordx4 v[52:55], off, off offset:624
	ds_read_b128 v[116:119], v2 offset:1376
	ds_read_b128 v[120:123], v2 offset:1392
	;; [unrolled: 1-line block ×4, first 2 shown]
	s_waitcnt vmcnt(28) lgkmcnt(14)
	v_mul_f64 v[0:1], v[136:137], v[82:83]
	s_waitcnt vmcnt(27)
	v_mul_f64 v[56:57], v[132:133], v[86:87]
	v_fmac_f64_e32 v[0:1], v[138:139], v[80:81]
	s_waitcnt vmcnt(26)
	v_mul_f64 v[58:59], v[236:237], v[90:91]
	v_fmac_f64_e32 v[56:57], v[134:135], v[84:85]
	v_add_f64 v[0:1], v[0:1], 0
	s_waitcnt vmcnt(25)
	v_mul_f64 v[60:61], v[228:229], v[94:95]
	v_fmac_f64_e32 v[58:59], v[238:239], v[88:89]
	v_add_f64 v[0:1], v[0:1], v[56:57]
	s_waitcnt vmcnt(24)
	v_mul_f64 v[62:63], v[224:225], v[98:99]
	v_fmac_f64_e32 v[60:61], v[230:231], v[92:93]
	v_add_f64 v[0:1], v[0:1], v[58:59]
	s_waitcnt vmcnt(23)
	v_mul_f64 v[64:65], v[148:149], v[102:103]
	v_fmac_f64_e32 v[62:63], v[226:227], v[96:97]
	v_add_f64 v[0:1], v[0:1], v[60:61]
	s_waitcnt vmcnt(22)
	v_mul_f64 v[66:67], v[140:141], v[106:107]
	v_fmac_f64_e32 v[64:65], v[150:151], v[100:101]
	v_add_f64 v[0:1], v[0:1], v[62:63]
	s_waitcnt vmcnt(21)
	v_mul_f64 v[68:69], v[232:233], v[146:147]
	v_fmac_f64_e32 v[66:67], v[142:143], v[104:105]
	v_add_f64 v[0:1], v[0:1], v[64:65]
	s_waitcnt vmcnt(20) lgkmcnt(13)
	v_mul_f64 v[70:71], v[216:217], v[154:155]
	v_fmac_f64_e32 v[68:69], v[234:235], v[144:145]
	v_add_f64 v[0:1], v[0:1], v[66:67]
	s_waitcnt vmcnt(19) lgkmcnt(12)
	v_mul_f64 v[72:73], v[160:161], v[158:159]
	v_fmac_f64_e32 v[70:71], v[218:219], v[152:153]
	v_add_f64 v[0:1], v[0:1], v[68:69]
	;; [unrolled: 4-line block ×7, first 2 shown]
	v_fmac_f64_e32 v[110:111], v[198:199], v[188:189]
	v_add_f64 v[0:1], v[0:1], v[108:109]
	s_waitcnt vmcnt(13) lgkmcnt(6)
	v_mul_f64 v[112:113], v[208:209], v[194:195]
	v_add_f64 v[0:1], v[0:1], v[110:111]
	scratch_load_dwordx4 v[56:59], off, off offset:640
	scratch_load_dwordx4 v[60:63], off, off offset:656
	ds_read_b128 v[108:111], v2 offset:1344
	s_waitcnt vmcnt(14) lgkmcnt(6)
	v_mul_f64 v[114:115], v[204:205], v[202:203]
	v_fmac_f64_e32 v[112:113], v[210:211], v[192:193]
	v_add_f64 v[0:1], v[0:1], v[112:113]
	v_fmac_f64_e32 v[114:115], v[206:207], v[200:201]
	s_waitcnt vmcnt(13) lgkmcnt(5)
	v_mul_f64 v[64:65], v[20:21], v[6:7]
	v_accvgpr_write_b32 a117, v7
	v_add_f64 v[0:1], v[0:1], v[114:115]
	v_fmac_f64_e32 v[64:65], v[22:23], v[4:5]
	v_accvgpr_write_b32 a116, v6
	v_accvgpr_write_b32 a115, v5
	;; [unrolled: 1-line block ×3, first 2 shown]
	ds_read_b128 v[112:115], v2 offset:1360
	s_waitcnt vmcnt(12)
	v_mov_b64_e32 v[4:5], v[8:9]
	v_mov_b64_e32 v[6:7], v[10:11]
	s_waitcnt lgkmcnt(1)
	v_mul_f64 v[68:69], v[108:109], v[6:7]
	v_fmac_f64_e32 v[68:69], v[110:111], v[4:5]
	s_waitcnt vmcnt(11)
	v_mov_b64_e32 v[4:5], v[12:13]
	v_add_f64 v[0:1], v[0:1], v[64:65]
	v_mov_b64_e32 v[6:7], v[14:15]
	v_add_f64 v[0:1], v[0:1], v[68:69]
	s_waitcnt lgkmcnt(0)
	v_mul_f64 v[68:69], v[112:113], v[6:7]
	scratch_load_dwordx4 v[64:67], off, off offset:672
	v_fmac_f64_e32 v[68:69], v[114:115], v[4:5]
	v_add_f64 v[0:1], v[0:1], v[68:69]
	scratch_load_dwordx4 v[68:71], off, off offset:688
	scratch_load_dwordx4 v[72:75], off, off offset:704
	s_waitcnt vmcnt(13)
	v_mul_f64 v[76:77], v[116:117], v[18:19]
	v_fmac_f64_e32 v[76:77], v[118:119], v[16:17]
	v_add_f64 v[0:1], v[0:1], v[76:77]
	s_waitcnt vmcnt(12)
	v_mul_f64 v[76:77], v[120:121], v[26:27]
	v_fmac_f64_e32 v[76:77], v[122:123], v[24:25]
	v_add_f64 v[0:1], v[0:1], v[76:77]
	scratch_load_dwordx4 v[76:79], off, off offset:720
	v_mul_f64 v[82:83], v[138:139], v[82:83]
	v_fma_f64 v[240:241], v[136:137], v[80:81], -v[82:83]
	scratch_load_dwordx4 v[80:83], off, off offset:736
	v_mul_f64 v[86:87], v[134:135], v[86:87]
	v_fma_f64 v[246:247], v[132:133], v[84:85], -v[86:87]
	scratch_load_dwordx4 v[84:87], off, off offset:752
	s_waitcnt vmcnt(14)
	v_mul_f64 v[136:137], v[124:125], v[30:31]
	v_mul_f64 v[90:91], v[238:239], v[90:91]
	v_fmac_f64_e32 v[136:137], v[126:127], v[28:29]
	v_fma_f64 v[236:237], v[236:237], v[88:89], -v[90:91]
	scratch_load_dwordx4 v[88:91], off, off offset:768
	v_add_f64 v[0:1], v[0:1], v[136:137]
	s_waitcnt vmcnt(14)
	v_mul_f64 v[136:137], v[128:129], v[34:35]
	v_mul_f64 v[94:95], v[230:231], v[94:95]
	v_fmac_f64_e32 v[136:137], v[130:131], v[32:33]
	v_fma_f64 v[238:239], v[228:229], v[92:93], -v[94:95]
	v_mul_f64 v[92:93], v[226:227], v[98:99]
	ds_read_b128 v[132:135], v2 offset:1440
	v_add_f64 v[0:1], v[0:1], v[136:137]
	ds_read_b128 v[136:139], v2 offset:1456
	v_fma_f64 v[248:249], v[224:225], v[96:97], -v[92:93]
	scratch_load_dwordx4 v[96:99], off, off offset:784
	scratch_load_dwordx4 v[92:95], off, off offset:800
	v_mul_f64 v[102:103], v[150:151], v[102:103]
	v_fma_f64 v[250:251], v[148:149], v[100:101], -v[102:103]
	scratch_load_dwordx4 v[100:103], off, off offset:816
	v_mul_f64 v[106:107], v[142:143], v[106:107]
	v_fma_f64 v[252:253], v[140:141], v[104:105], -v[106:107]
	v_mul_f64 v[104:105], v[234:235], v[146:147]
	v_fma_f64 v[254:255], v[232:233], v[144:145], -v[104:105]
	scratch_load_dwordx4 v[104:107], off, off offset:832
	ds_read_b128 v[140:143], v2 offset:1472
	ds_read_b128 v[144:147], v2 offset:1488
	s_waitcnt vmcnt(17) lgkmcnt(3)
	v_mul_f64 v[228:229], v[132:133], v[38:39]
	v_fmac_f64_e32 v[228:229], v[134:135], v[36:37]
	s_waitcnt vmcnt(16) lgkmcnt(2)
	v_mul_f64 v[224:225], v[136:137], v[42:43]
	v_add_f64 v[0:1], v[0:1], v[228:229]
	v_fmac_f64_e32 v[224:225], v[138:139], v[40:41]
	s_waitcnt vmcnt(15) lgkmcnt(1)
	v_mul_f64 v[148:149], v[140:141], v[46:47]
	v_add_f64 v[0:1], v[0:1], v[224:225]
	v_fmac_f64_e32 v[148:149], v[142:143], v[44:45]
	v_add_f64 v[0:1], v[0:1], v[148:149]
	ds_read_b128 v[148:151], v2 offset:1504
	v_mul_f64 v[154:155], v[218:219], v[154:155]
	v_fma_f64 v[242:243], v[216:217], v[152:153], -v[154:155]
	ds_read_b128 v[152:155], v2 offset:1520
	v_accvgpr_write_b32 a125, v15
	v_mul_f64 v[158:159], v[162:163], v[158:159]
	v_accvgpr_write_b32 a124, v14
	v_accvgpr_write_b32 a123, v13
	;; [unrolled: 1-line block ×3, first 2 shown]
	v_fma_f64 v[12:13], v[160:161], v[156:157], -v[158:159]
	ds_read_b128 v[156:159], v2 offset:1536
	ds_read_b128 v[160:163], v2 offset:1552
	s_waitcnt vmcnt(14) lgkmcnt(4)
	v_mul_f64 v[224:225], v[144:145], v[50:51]
	v_fmac_f64_e32 v[224:225], v[146:147], v[48:49]
	s_waitcnt vmcnt(13) lgkmcnt(3)
	v_mul_f64 v[216:217], v[148:149], v[54:55]
	v_add_f64 v[0:1], v[0:1], v[224:225]
	v_fmac_f64_e32 v[216:217], v[150:151], v[52:53]
	s_waitcnt vmcnt(12) lgkmcnt(2)
	v_mul_f64 v[6:7], v[152:153], v[58:59]
	v_add_f64 v[0:1], v[0:1], v[216:217]
	v_fmac_f64_e32 v[6:7], v[154:155], v[56:57]
	v_add_f64 v[0:1], v[0:1], v[6:7]
	s_waitcnt vmcnt(11) lgkmcnt(1)
	v_mul_f64 v[6:7], v[156:157], v[62:63]
	v_fmac_f64_e32 v[6:7], v[158:159], v[60:61]
	v_accvgpr_write_b32 a121, v11
	v_add_f64 v[0:1], v[0:1], v[6:7]
	v_mul_f64 v[6:7], v[222:223], v[166:167]
	v_accvgpr_write_b32 a120, v10
	v_accvgpr_write_b32 a119, v9
	;; [unrolled: 1-line block ×3, first 2 shown]
	v_fma_f64 v[8:9], v[220:221], v[164:165], -v[6:7]
	ds_read_b128 v[164:167], v2 offset:1568
	v_mul_f64 v[170:171], v[174:175], v[170:171]
	v_fma_f64 v[6:7], v[172:173], v[168:169], -v[170:171]
	ds_read_b128 v[168:171], v2 offset:1584
	s_waitcnt vmcnt(10) lgkmcnt(2)
	v_mul_f64 v[216:217], v[160:161], v[66:67]
	v_fmac_f64_e32 v[216:217], v[162:163], v[64:65]
	s_waitcnt vmcnt(9) lgkmcnt(1)
	v_mul_f64 v[10:11], v[164:165], v[70:71]
	v_add_f64 v[0:1], v[0:1], v[216:217]
	v_fmac_f64_e32 v[10:11], v[166:167], v[68:69]
	v_add_f64 v[0:1], v[0:1], v[10:11]
	s_waitcnt vmcnt(8) lgkmcnt(0)
	v_mul_f64 v[10:11], v[168:169], v[74:75]
	v_fmac_f64_e32 v[10:11], v[170:171], v[72:73]
	ds_read_b128 v[172:175], v2 offset:1600
	v_add_f64 v[0:1], v[0:1], v[10:11]
	v_mul_f64 v[10:11], v[214:215], v[178:179]
	v_fma_f64 v[10:11], v[212:213], v[176:177], -v[10:11]
	ds_read_b128 v[176:179], v2 offset:1616
	v_mul_f64 v[182:183], v[186:187], v[182:183]
	v_fma_f64 v[4:5], v[184:185], v[180:181], -v[182:183]
	ds_read_b128 v[180:183], v2 offset:1632
	ds_read_b128 v[184:187], v2 offset:1648
	s_waitcnt vmcnt(7) lgkmcnt(3)
	v_mul_f64 v[212:213], v[172:173], v[78:79]
	v_fmac_f64_e32 v[212:213], v[174:175], v[76:77]
	s_waitcnt vmcnt(6) lgkmcnt(2)
	v_mul_f64 v[14:15], v[176:177], v[82:83]
	v_add_f64 v[0:1], v[0:1], v[212:213]
	v_fmac_f64_e32 v[14:15], v[178:179], v[80:81]
	v_add_f64 v[0:1], v[0:1], v[14:15]
	s_waitcnt vmcnt(5) lgkmcnt(1)
	v_mul_f64 v[14:15], v[180:181], v[86:87]
	v_fmac_f64_e32 v[14:15], v[182:183], v[84:85]
	v_add_f64 v[14:15], v[0:1], v[14:15]
	v_mul_f64 v[0:1], v[198:199], v[190:191]
	v_fma_f64 v[0:1], v[196:197], v[188:189], -v[0:1]
	ds_read_b128 v[188:191], v2 offset:1664
	v_mul_f64 v[194:195], v[210:211], v[194:195]
	s_waitcnt vmcnt(4) lgkmcnt(1)
	v_mul_f64 v[196:197], v[184:185], v[90:91]
	v_fma_f64 v[192:193], v[208:209], v[192:193], -v[194:195]
	v_fmac_f64_e32 v[196:197], v[186:187], v[88:89]
	v_accvgpr_write_b32 a126, v192
	v_accvgpr_write_b32 a127, v193
	ds_read_b128 v[192:195], v2 offset:1680
	v_add_f64 v[14:15], v[14:15], v[196:197]
	s_waitcnt vmcnt(3) lgkmcnt(1)
	v_mul_f64 v[196:197], v[188:189], v[98:99]
	v_fmac_f64_e32 v[196:197], v[190:191], v[96:97]
	v_add_f64 v[14:15], v[14:15], v[196:197]
	ds_read_b128 v[196:199], v2 offset:1696
	v_mul_f64 v[202:203], v[206:207], v[202:203]
	v_fma_f64 v[244:245], v[204:205], v[200:201], -v[202:203]
	ds_read_b128 v[200:203], v2 offset:1712
	s_waitcnt vmcnt(2) lgkmcnt(2)
	v_mul_f64 v[204:205], v[192:193], v[94:95]
	v_fmac_f64_e32 v[204:205], v[194:195], v[92:93]
	v_add_f64 v[14:15], v[14:15], v[204:205]
	s_waitcnt vmcnt(1) lgkmcnt(1)
	v_mul_f64 v[204:205], v[196:197], v[102:103]
	v_fmac_f64_e32 v[204:205], v[198:199], v[100:101]
	v_add_f64 v[14:15], v[14:15], v[204:205]
	;; [unrolled: 4-line block ×3, first 2 shown]
	scratch_load_dwordx4 v[204:207], off, off offset:848
	scratch_load_dwordx4 v[232:235], off, off offset:896
	ds_read_b128 v[208:211], v2 offset:1728
	ds_read_b128 v[216:219], v2 offset:1744
	;; [unrolled: 1-line block ×3, first 2 shown]
	s_waitcnt vmcnt(1) lgkmcnt(2)
	v_mul_f64 v[212:213], v[208:209], v[206:207]
	v_fmac_f64_e32 v[212:213], v[210:211], v[204:205]
	v_add_f64 v[14:15], v[14:15], v[212:213]
	scratch_load_dwordx4 v[212:215], off, off offset:864
	s_waitcnt vmcnt(0) lgkmcnt(1)
	v_mul_f64 v[220:221], v[216:217], v[214:215]
	v_fmac_f64_e32 v[220:221], v[218:219], v[212:213]
	v_add_f64 v[14:15], v[14:15], v[220:221]
	scratch_load_dwordx4 v[220:223], off, off offset:880
	s_waitcnt vmcnt(0) lgkmcnt(0)
	v_mul_f64 v[228:229], v[224:225], v[222:223]
	v_fmac_f64_e32 v[228:229], v[226:227], v[220:221]
	v_add_f64 v[14:15], v[14:15], v[228:229]
	ds_read_b128 v[228:231], v2 offset:1776
	s_waitcnt lgkmcnt(0)
	v_mul_f64 v[2:3], v[228:229], v[234:235]
	v_fmac_f64_e32 v[2:3], v[230:231], v[232:233]
	v_add_f64 v[2:3], v[14:15], v[2:3]
	v_add_f64 v[14:15], v[240:241], 0
	;; [unrolled: 1-line block ×5, first 2 shown]
	scratch_load_dwordx4 v[236:239], off, off offset:160
	v_add_f64 v[14:15], v[14:15], v[248:249]
	v_add_f64 v[14:15], v[14:15], v[250:251]
	;; [unrolled: 1-line block ×10, first 2 shown]
	v_accvgpr_read_b32 v6, a114
	v_add_f64 v[254:255], v[4:5], v[0:1]
	v_accvgpr_read_b32 v0, a126
	v_accvgpr_read_b32 v8, a116
	;; [unrolled: 1-line block ×5, first 2 shown]
	v_mul_f64 v[4:5], v[22:23], v[8:9]
	v_add_f64 v[0:1], v[254:255], v[0:1]
	v_fma_f64 v[4:5], v[20:21], v[6:7], -v[4:5]
	v_accvgpr_read_b32 v6, a118
	v_add_f64 v[0:1], v[0:1], v[244:245]
	v_accvgpr_read_b32 v8, a120
	v_accvgpr_read_b32 v9, a121
	v_add_f64 v[0:1], v[0:1], v[4:5]
	v_accvgpr_read_b32 v7, a119
	v_mul_f64 v[4:5], v[110:111], v[8:9]
	v_fma_f64 v[4:5], v[108:109], v[6:7], -v[4:5]
	v_accvgpr_read_b32 v6, a122
	v_accvgpr_read_b32 v8, a124
	;; [unrolled: 1-line block ×3, first 2 shown]
	v_add_f64 v[0:1], v[0:1], v[4:5]
	v_accvgpr_read_b32 v7, a123
	v_mul_f64 v[4:5], v[114:115], v[8:9]
	v_fma_f64 v[4:5], v[112:113], v[6:7], -v[4:5]
	v_add_f64 v[0:1], v[0:1], v[4:5]
	v_mul_f64 v[4:5], v[118:119], v[18:19]
	v_fma_f64 v[4:5], v[116:117], v[16:17], -v[4:5]
	v_add_f64 v[0:1], v[0:1], v[4:5]
	;; [unrolled: 3-line block ×27, first 2 shown]
	s_waitcnt vmcnt(0)
	v_add_f64 v[4:5], v[236:237], -v[0:1]
	v_accvgpr_read_b32 v0, a112
	v_add_f64 v[6:7], v[238:239], -v[2:3]
	v_cmp_lt_u32_e32 vcc, 8, v0
	scratch_store_dwordx4 off, v[4:7], off offset:160
	s_and_saveexec_b64 s[0:1], vcc
	s_cbranch_execz .LBB119_333
; %bb.332:
	scratch_load_dwordx4 v[2:5], off, s64
	v_mov_b32_e32 v6, 0
	v_mov_b32_e32 v7, v6
	;; [unrolled: 1-line block ×4, first 2 shown]
	v_accvgpr_read_b32 v0, a113
	scratch_store_dwordx4 off, v[6:9], off offset:144
	s_waitcnt vmcnt(1)
	ds_write_b128 v0, v[2:5]
.LBB119_333:
	s_or_b64 exec, exec, s[0:1]
	s_waitcnt lgkmcnt(0)
	; wave barrier
	scratch_load_dwordx4 v[68:71], off, off offset:160
	scratch_load_dwordx4 v[72:75], off, off offset:176
	;; [unrolled: 1-line block ×28, first 2 shown]
	v_mov_b32_e32 v2, 0
	ds_read_b128 v[124:127], v2 offset:1040
	ds_read_b128 v[128:131], v2 offset:1056
	;; [unrolled: 1-line block ×23, first 2 shown]
	s_waitcnt vmcnt(27) lgkmcnt(14)
	v_mul_f64 v[0:1], v[124:125], v[70:71]
	s_waitcnt vmcnt(26)
	v_mul_f64 v[40:41], v[128:129], v[74:75]
	v_fmac_f64_e32 v[0:1], v[126:127], v[68:69]
	s_waitcnt vmcnt(25)
	v_mul_f64 v[42:43], v[132:133], v[78:79]
	v_fmac_f64_e32 v[40:41], v[130:131], v[72:73]
	v_add_f64 v[0:1], v[0:1], 0
	s_waitcnt vmcnt(24)
	v_mul_f64 v[44:45], v[136:137], v[82:83]
	v_fmac_f64_e32 v[42:43], v[134:135], v[76:77]
	v_add_f64 v[0:1], v[0:1], v[40:41]
	;; [unrolled: 4-line block ×7, first 2 shown]
	s_waitcnt vmcnt(18) lgkmcnt(13)
	v_mul_f64 v[56:57], v[200:201], v[146:147]
	v_fmac_f64_e32 v[54:55], v[194:195], v[112:113]
	v_add_f64 v[0:1], v[0:1], v[52:53]
	s_waitcnt vmcnt(17) lgkmcnt(12)
	v_mul_f64 v[58:59], v[204:205], v[150:151]
	v_fmac_f64_e32 v[56:57], v[202:203], v[144:145]
	v_add_f64 v[0:1], v[0:1], v[54:55]
	;; [unrolled: 4-line block ×7, first 2 shown]
	scratch_load_dwordx4 v[40:43], off, off offset:608
	scratch_load_dwordx4 v[44:47], off, off offset:624
	s_waitcnt vmcnt(13) lgkmcnt(6)
	v_mul_f64 v[102:103], v[228:229], v[186:187]
	v_fmac_f64_e32 v[100:101], v[226:227], v[176:177]
	v_add_f64 v[0:1], v[0:1], v[66:67]
	v_add_f64 v[0:1], v[0:1], v[100:101]
	v_fmac_f64_e32 v[102:103], v[230:231], v[184:185]
	v_add_f64 v[0:1], v[0:1], v[102:103]
	ds_read_b128 v[100:103], v2 offset:1344
	s_waitcnt vmcnt(12) lgkmcnt(6)
	v_mul_f64 v[48:49], v[242:243], v[190:191]
	v_fmac_f64_e32 v[48:49], v[244:245], v[188:189]
	v_add_f64 v[0:1], v[0:1], v[48:49]
	s_waitcnt vmcnt(11) lgkmcnt(5)
	v_mul_f64 v[48:49], v[246:247], v[198:199]
	v_fmac_f64_e32 v[48:49], v[248:249], v[196:197]
	v_add_f64 v[0:1], v[0:1], v[48:49]
	scratch_load_dwordx4 v[48:51], off, off offset:640
	scratch_load_dwordx4 v[52:55], off, off offset:656
	s_waitcnt vmcnt(12) lgkmcnt(0)
	v_mul_f64 v[56:57], v[100:101], v[6:7]
	v_accvgpr_write_b32 a117, v7
	v_fmac_f64_e32 v[56:57], v[102:103], v[4:5]
	v_accvgpr_write_b32 a116, v6
	v_accvgpr_write_b32 a115, v5
	v_accvgpr_write_b32 a114, v4
	s_waitcnt vmcnt(11)
	v_mov_b64_e32 v[4:5], v[8:9]
	v_mov_b64_e32 v[6:7], v[10:11]
	v_add_f64 v[0:1], v[0:1], v[56:57]
	v_mul_f64 v[56:57], v[104:105], v[6:7]
	v_fmac_f64_e32 v[56:57], v[106:107], v[4:5]
	v_add_f64 v[0:1], v[0:1], v[56:57]
	scratch_load_dwordx4 v[56:59], off, off offset:672
	s_waitcnt vmcnt(11)
	v_mov_b64_e32 v[4:5], v[12:13]
	v_mov_b64_e32 v[6:7], v[14:15]
	v_mul_f64 v[60:61], v[108:109], v[6:7]
	v_fmac_f64_e32 v[60:61], v[110:111], v[4:5]
	s_waitcnt vmcnt(10)
	v_mov_b64_e32 v[4:5], v[16:17]
	v_mov_b64_e32 v[6:7], v[18:19]
	v_add_f64 v[0:1], v[0:1], v[60:61]
	scratch_load_dwordx4 v[60:63], off, off offset:688
	v_mul_f64 v[64:65], v[116:117], v[6:7]
	v_fmac_f64_e32 v[64:65], v[118:119], v[4:5]
	v_add_f64 v[0:1], v[0:1], v[64:65]
	scratch_load_dwordx4 v[64:67], off, off offset:704
	v_mul_f64 v[70:71], v[126:127], v[70:71]
	s_waitcnt vmcnt(11)
	v_mov_b64_e32 v[4:5], v[20:21]
	v_fma_f64 v[240:241], v[124:125], v[68:69], -v[70:71]
	v_mov_b64_e32 v[6:7], v[22:23]
	scratch_load_dwordx4 v[68:71], off, off offset:720
	v_mul_f64 v[124:125], v[120:121], v[6:7]
	v_mul_f64 v[74:75], v[130:131], v[74:75]
	v_fmac_f64_e32 v[124:125], v[122:123], v[4:5]
	v_fma_f64 v[250:251], v[128:129], v[72:73], -v[74:75]
	scratch_load_dwordx4 v[72:75], off, off offset:736
	v_mul_f64 v[78:79], v[134:135], v[78:79]
	v_add_f64 v[0:1], v[0:1], v[124:125]
	ds_read_b128 v[124:127], v2 offset:1424
	ds_read_b128 v[128:131], v2 offset:1440
	v_fma_f64 v[252:253], v[132:133], v[76:77], -v[78:79]
	v_mul_f64 v[76:77], v[138:139], v[82:83]
	v_fma_f64 v[254:255], v[136:137], v[80:81], -v[76:77]
	scratch_load_dwordx4 v[76:79], off, off offset:752
	s_waitcnt vmcnt(13) lgkmcnt(1)
	v_mul_f64 v[132:133], v[124:125], v[236:237]
	v_fmac_f64_e32 v[132:133], v[126:127], v[234:235]
	v_add_f64 v[0:1], v[0:1], v[132:133]
	s_waitcnt vmcnt(12) lgkmcnt(0)
	v_mul_f64 v[132:133], v[128:129], v[30:31]
	scratch_load_dwordx4 v[80:83], off, off offset:768
	v_fmac_f64_e32 v[132:133], v[130:131], v[28:29]
	v_mul_f64 v[86:87], v[142:143], v[86:87]
	v_add_f64 v[0:1], v[0:1], v[132:133]
	v_fma_f64 v[232:233], v[140:141], v[84:85], -v[86:87]
	ds_read_b128 v[132:135], v2 offset:1456
	v_mul_f64 v[84:85], v[158:159], v[90:91]
	v_fma_f64 v[24:25], v[156:157], v[88:89], -v[84:85]
	scratch_load_dwordx4 v[88:91], off, off offset:784
	scratch_load_dwordx4 v[84:87], off, off offset:800
	v_accvgpr_write_b32 a133, v23
	v_mul_f64 v[6:7], v[170:171], v[94:95]
	v_accvgpr_write_b32 a132, v22
	v_accvgpr_write_b32 a131, v21
	;; [unrolled: 1-line block ×3, first 2 shown]
	v_fma_f64 v[20:21], v[168:169], v[92:93], -v[6:7]
	s_waitcnt vmcnt(14) lgkmcnt(0)
	v_mul_f64 v[6:7], v[132:133], v[34:35]
	v_fmac_f64_e32 v[6:7], v[134:135], v[32:33]
	v_accvgpr_write_b32 a129, v19
	v_add_f64 v[0:1], v[0:1], v[6:7]
	v_mul_f64 v[6:7], v[182:183], v[98:99]
	v_accvgpr_write_b32 a128, v18
	v_accvgpr_write_b32 a127, v17
	;; [unrolled: 1-line block ×3, first 2 shown]
	ds_read_b128 v[136:139], v2 offset:1472
	v_fma_f64 v[16:17], v[180:181], v[96:97], -v[6:7]
	scratch_load_dwordx4 v[96:99], off, off offset:816
	scratch_load_dwordx4 v[92:95], off, off offset:832
	v_accvgpr_write_b32 a125, v15
	v_mul_f64 v[6:7], v[194:195], v[114:115]
	v_accvgpr_write_b32 a124, v14
	v_accvgpr_write_b32 a123, v13
	;; [unrolled: 1-line block ×3, first 2 shown]
	v_fma_f64 v[12:13], v[192:193], v[112:113], -v[6:7]
	scratch_load_dwordx4 v[112:115], off, off offset:848
	ds_read_b128 v[140:143], v2 offset:1488
	s_waitcnt vmcnt(16) lgkmcnt(1)
	v_mul_f64 v[6:7], v[136:137], v[38:39]
	v_fmac_f64_e32 v[6:7], v[138:139], v[36:37]
	v_add_f64 v[0:1], v[0:1], v[6:7]
	v_mul_f64 v[6:7], v[202:203], v[146:147]
	v_fma_f64 v[14:15], v[200:201], v[144:145], -v[6:7]
	ds_read_b128 v[144:147], v2 offset:1504
	s_waitcnt vmcnt(15) lgkmcnt(1)
	v_mul_f64 v[6:7], v[140:141], v[42:43]
	v_fmac_f64_e32 v[6:7], v[142:143], v[40:41]
	v_accvgpr_write_b32 a121, v11
	v_add_f64 v[0:1], v[0:1], v[6:7]
	v_mul_f64 v[6:7], v[206:207], v[150:151]
	v_accvgpr_write_b32 a120, v10
	v_accvgpr_write_b32 a119, v9
	;; [unrolled: 1-line block ×3, first 2 shown]
	v_fma_f64 v[10:11], v[204:205], v[148:149], -v[6:7]
	ds_read_b128 v[148:151], v2 offset:1520
	v_mul_f64 v[18:19], v[210:211], v[154:155]
	v_fma_f64 v[18:19], v[208:209], v[152:153], -v[18:19]
	ds_read_b128 v[152:155], v2 offset:1536
	s_waitcnt vmcnt(14) lgkmcnt(2)
	v_mul_f64 v[6:7], v[144:145], v[46:47]
	v_fmac_f64_e32 v[6:7], v[146:147], v[44:45]
	v_add_f64 v[0:1], v[0:1], v[6:7]
	s_waitcnt vmcnt(13) lgkmcnt(1)
	v_mul_f64 v[6:7], v[148:149], v[50:51]
	ds_read_b128 v[156:159], v2 offset:1552
	v_fmac_f64_e32 v[6:7], v[150:151], v[48:49]
	v_add_f64 v[0:1], v[0:1], v[6:7]
	s_waitcnt vmcnt(12) lgkmcnt(1)
	v_mul_f64 v[6:7], v[152:153], v[54:55]
	v_fmac_f64_e32 v[6:7], v[154:155], v[52:53]
	v_add_f64 v[0:1], v[0:1], v[6:7]
	v_mul_f64 v[6:7], v[214:215], v[162:163]
	v_fma_f64 v[8:9], v[212:213], v[160:161], -v[6:7]
	ds_read_b128 v[160:163], v2 offset:1568
	s_waitcnt vmcnt(11) lgkmcnt(1)
	v_mul_f64 v[6:7], v[156:157], v[58:59]
	v_fmac_f64_e32 v[6:7], v[158:159], v[56:57]
	v_add_f64 v[0:1], v[0:1], v[6:7]
	v_mul_f64 v[6:7], v[218:219], v[166:167]
	v_fma_f64 v[22:23], v[216:217], v[164:165], -v[6:7]
	ds_read_b128 v[164:167], v2 offset:1584
	ds_read_b128 v[168:171], v2 offset:1600
	s_waitcnt vmcnt(10) lgkmcnt(2)
	v_mul_f64 v[6:7], v[160:161], v[62:63]
	v_fmac_f64_e32 v[6:7], v[162:163], v[60:61]
	v_add_f64 v[0:1], v[0:1], v[6:7]
	s_waitcnt vmcnt(9) lgkmcnt(1)
	v_mul_f64 v[6:7], v[164:165], v[66:67]
	v_fmac_f64_e32 v[6:7], v[166:167], v[64:65]
	v_add_f64 v[0:1], v[0:1], v[6:7]
	v_mul_f64 v[6:7], v[222:223], v[174:175]
	v_fma_f64 v[4:5], v[220:221], v[172:173], -v[6:7]
	ds_read_b128 v[172:175], v2 offset:1616
	v_mul_f64 v[6:7], v[226:227], v[178:179]
	v_fma_f64 v[6:7], v[224:225], v[176:177], -v[6:7]
	ds_read_b128 v[176:179], v2 offset:1632
	s_waitcnt vmcnt(8) lgkmcnt(2)
	v_mul_f64 v[26:27], v[168:169], v[70:71]
	v_fmac_f64_e32 v[26:27], v[170:171], v[68:69]
	v_add_f64 v[0:1], v[0:1], v[26:27]
	s_waitcnt vmcnt(7) lgkmcnt(1)
	v_mul_f64 v[26:27], v[172:173], v[74:75]
	v_fmac_f64_e32 v[26:27], v[174:175], v[72:73]
	v_add_f64 v[0:1], v[0:1], v[26:27]
	s_waitcnt vmcnt(6) lgkmcnt(0)
	v_mul_f64 v[26:27], v[176:177], v[78:79]
	v_fmac_f64_e32 v[26:27], v[178:179], v[76:77]
	ds_read_b128 v[180:183], v2 offset:1648
	v_add_f64 v[26:27], v[0:1], v[26:27]
	v_mul_f64 v[0:1], v[230:231], v[186:187]
	v_fma_f64 v[0:1], v[228:229], v[184:185], -v[0:1]
	ds_read_b128 v[184:187], v2 offset:1664
	s_waitcnt vmcnt(5) lgkmcnt(1)
	v_mul_f64 v[192:193], v[180:181], v[82:83]
	v_fmac_f64_e32 v[192:193], v[182:183], v[80:81]
	v_mul_f64 v[190:191], v[244:245], v[190:191]
	v_add_f64 v[26:27], v[26:27], v[192:193]
	v_fma_f64 v[238:239], v[242:243], v[188:189], -v[190:191]
	ds_read_b128 v[188:191], v2 offset:1680
	s_waitcnt vmcnt(4) lgkmcnt(1)
	v_mul_f64 v[192:193], v[184:185], v[90:91]
	v_fmac_f64_e32 v[192:193], v[186:187], v[88:89]
	v_add_f64 v[26:27], v[26:27], v[192:193]
	ds_read_b128 v[192:195], v2 offset:1696
	v_mul_f64 v[198:199], v[248:249], v[198:199]
	v_fma_f64 v[242:243], v[246:247], v[196:197], -v[198:199]
	ds_read_b128 v[196:199], v2 offset:1712
	ds_read_b128 v[208:211], v2 offset:1744
	s_waitcnt vmcnt(3) lgkmcnt(3)
	v_mul_f64 v[200:201], v[188:189], v[86:87]
	v_fmac_f64_e32 v[200:201], v[190:191], v[84:85]
	v_add_f64 v[26:27], v[26:27], v[200:201]
	s_waitcnt vmcnt(2) lgkmcnt(2)
	v_mul_f64 v[200:201], v[192:193], v[98:99]
	v_fmac_f64_e32 v[200:201], v[194:195], v[96:97]
	v_add_f64 v[26:27], v[26:27], v[200:201]
	;; [unrolled: 4-line block ×3, first 2 shown]
	ds_read_b128 v[200:203], v2 offset:1728
	ds_read_b128 v[216:219], v2 offset:1760
	;; [unrolled: 1-line block ×3, first 2 shown]
	s_waitcnt vmcnt(0) lgkmcnt(2)
	v_mul_f64 v[204:205], v[200:201], v[114:115]
	v_fmac_f64_e32 v[204:205], v[202:203], v[112:113]
	v_add_f64 v[26:27], v[26:27], v[204:205]
	scratch_load_dwordx4 v[204:207], off, off offset:864
	s_waitcnt vmcnt(0)
	v_mul_f64 v[212:213], v[208:209], v[206:207]
	v_fmac_f64_e32 v[212:213], v[210:211], v[204:205]
	v_add_f64 v[26:27], v[26:27], v[212:213]
	scratch_load_dwordx4 v[212:215], off, off offset:880
	s_waitcnt vmcnt(0) lgkmcnt(1)
	v_mul_f64 v[220:221], v[216:217], v[214:215]
	v_fmac_f64_e32 v[220:221], v[218:219], v[212:213]
	v_add_f64 v[26:27], v[26:27], v[220:221]
	scratch_load_dwordx4 v[220:223], off, off offset:896
	s_waitcnt vmcnt(0) lgkmcnt(0)
	v_mul_f64 v[228:229], v[224:225], v[222:223]
	v_fmac_f64_e32 v[228:229], v[226:227], v[220:221]
	v_add_f64 v[246:247], v[26:27], v[228:229]
	scratch_load_dwordx4 v[228:231], off, off offset:144
	v_add_f64 v[26:27], v[240:241], 0
	v_add_f64 v[26:27], v[26:27], v[250:251]
	;; [unrolled: 1-line block ×16, first 2 shown]
	v_accvgpr_read_b32 v6, a114
	v_accvgpr_read_b32 v8, a116
	;; [unrolled: 1-line block ×3, first 2 shown]
	v_add_f64 v[0:1], v[4:5], v[0:1]
	v_accvgpr_read_b32 v7, a115
	v_mul_f64 v[4:5], v[102:103], v[8:9]
	v_add_f64 v[0:1], v[0:1], v[238:239]
	v_fma_f64 v[4:5], v[100:101], v[6:7], -v[4:5]
	v_accvgpr_read_b32 v6, a118
	v_add_f64 v[0:1], v[0:1], v[242:243]
	v_accvgpr_read_b32 v8, a120
	v_accvgpr_read_b32 v9, a121
	v_add_f64 v[0:1], v[0:1], v[4:5]
	v_accvgpr_read_b32 v7, a119
	v_mul_f64 v[4:5], v[106:107], v[8:9]
	v_fma_f64 v[4:5], v[104:105], v[6:7], -v[4:5]
	v_accvgpr_read_b32 v6, a122
	v_accvgpr_read_b32 v8, a124
	v_accvgpr_read_b32 v9, a125
	v_add_f64 v[0:1], v[0:1], v[4:5]
	v_accvgpr_read_b32 v7, a123
	v_mul_f64 v[4:5], v[110:111], v[8:9]
	v_fma_f64 v[4:5], v[108:109], v[6:7], -v[4:5]
	v_accvgpr_read_b32 v6, a126
	;; [unrolled: 7-line block ×3, first 2 shown]
	v_accvgpr_read_b32 v8, a132
	v_accvgpr_read_b32 v9, a133
	v_add_f64 v[0:1], v[0:1], v[4:5]
	v_accvgpr_read_b32 v7, a131
	v_mul_f64 v[4:5], v[122:123], v[8:9]
	v_fma_f64 v[4:5], v[120:121], v[6:7], -v[4:5]
	v_add_f64 v[0:1], v[0:1], v[4:5]
	v_mul_f64 v[4:5], v[126:127], v[236:237]
	v_fma_f64 v[4:5], v[124:125], v[234:235], -v[4:5]
	v_add_f64 v[0:1], v[0:1], v[4:5]
	v_mul_f64 v[4:5], v[130:131], v[30:31]
	v_fma_f64 v[4:5], v[128:129], v[28:29], -v[4:5]
	v_add_f64 v[0:1], v[0:1], v[4:5]
	v_mul_f64 v[4:5], v[134:135], v[34:35]
	v_fma_f64 v[4:5], v[132:133], v[32:33], -v[4:5]
	v_add_f64 v[0:1], v[0:1], v[4:5]
	v_mul_f64 v[4:5], v[138:139], v[38:39]
	v_fma_f64 v[4:5], v[136:137], v[36:37], -v[4:5]
	v_add_f64 v[0:1], v[0:1], v[4:5]
	v_mul_f64 v[4:5], v[142:143], v[42:43]
	v_fma_f64 v[4:5], v[140:141], v[40:41], -v[4:5]
	v_add_f64 v[0:1], v[0:1], v[4:5]
	v_mul_f64 v[4:5], v[146:147], v[46:47]
	v_fma_f64 v[4:5], v[144:145], v[44:45], -v[4:5]
	v_add_f64 v[0:1], v[0:1], v[4:5]
	v_mul_f64 v[4:5], v[150:151], v[50:51]
	v_fma_f64 v[4:5], v[148:149], v[48:49], -v[4:5]
	v_add_f64 v[0:1], v[0:1], v[4:5]
	v_mul_f64 v[4:5], v[154:155], v[54:55]
	v_fma_f64 v[4:5], v[152:153], v[52:53], -v[4:5]
	v_add_f64 v[0:1], v[0:1], v[4:5]
	v_mul_f64 v[4:5], v[158:159], v[58:59]
	v_fma_f64 v[4:5], v[156:157], v[56:57], -v[4:5]
	v_add_f64 v[0:1], v[0:1], v[4:5]
	v_mul_f64 v[4:5], v[162:163], v[62:63]
	v_fma_f64 v[4:5], v[160:161], v[60:61], -v[4:5]
	v_add_f64 v[0:1], v[0:1], v[4:5]
	v_mul_f64 v[4:5], v[166:167], v[66:67]
	v_fma_f64 v[4:5], v[164:165], v[64:65], -v[4:5]
	v_add_f64 v[0:1], v[0:1], v[4:5]
	v_mul_f64 v[4:5], v[170:171], v[70:71]
	v_fma_f64 v[4:5], v[168:169], v[68:69], -v[4:5]
	v_add_f64 v[0:1], v[0:1], v[4:5]
	v_mul_f64 v[4:5], v[174:175], v[74:75]
	v_fma_f64 v[4:5], v[172:173], v[72:73], -v[4:5]
	v_add_f64 v[0:1], v[0:1], v[4:5]
	v_mul_f64 v[4:5], v[178:179], v[78:79]
	v_fma_f64 v[4:5], v[176:177], v[76:77], -v[4:5]
	v_add_f64 v[0:1], v[0:1], v[4:5]
	v_mul_f64 v[4:5], v[182:183], v[82:83]
	v_fma_f64 v[4:5], v[180:181], v[80:81], -v[4:5]
	v_add_f64 v[0:1], v[0:1], v[4:5]
	v_mul_f64 v[4:5], v[186:187], v[90:91]
	v_fma_f64 v[4:5], v[184:185], v[88:89], -v[4:5]
	v_add_f64 v[0:1], v[0:1], v[4:5]
	v_mul_f64 v[4:5], v[190:191], v[86:87]
	v_fma_f64 v[4:5], v[188:189], v[84:85], -v[4:5]
	v_add_f64 v[0:1], v[0:1], v[4:5]
	v_mul_f64 v[4:5], v[194:195], v[98:99]
	v_fma_f64 v[4:5], v[192:193], v[96:97], -v[4:5]
	v_add_f64 v[0:1], v[0:1], v[4:5]
	v_mul_f64 v[4:5], v[198:199], v[94:95]
	v_fma_f64 v[4:5], v[196:197], v[92:93], -v[4:5]
	v_add_f64 v[0:1], v[0:1], v[4:5]
	v_mul_f64 v[4:5], v[202:203], v[114:115]
	v_fma_f64 v[4:5], v[200:201], v[112:113], -v[4:5]
	v_add_f64 v[0:1], v[0:1], v[4:5]
	v_mul_f64 v[4:5], v[210:211], v[206:207]
	v_fma_f64 v[4:5], v[208:209], v[204:205], -v[4:5]
	v_add_f64 v[0:1], v[0:1], v[4:5]
	v_mul_f64 v[4:5], v[218:219], v[214:215]
	v_fma_f64 v[4:5], v[216:217], v[212:213], -v[4:5]
	v_add_f64 v[0:1], v[0:1], v[4:5]
	v_mul_f64 v[4:5], v[226:227], v[222:223]
	v_fma_f64 v[4:5], v[224:225], v[220:221], -v[4:5]
	v_add_f64 v[0:1], v[0:1], v[4:5]
	s_waitcnt vmcnt(0)
	v_add_f64 v[4:5], v[228:229], -v[0:1]
	v_accvgpr_read_b32 v0, a112
	v_add_f64 v[6:7], v[230:231], -v[246:247]
	v_cmp_lt_u32_e32 vcc, 7, v0
	scratch_store_dwordx4 off, v[4:7], off offset:144
	s_and_saveexec_b64 s[0:1], vcc
	s_cbranch_execz .LBB119_335
; %bb.334:
	scratch_load_dwordx4 v[6:9], off, s65
	v_mov_b32_e32 v3, v2
	v_mov_b32_e32 v4, v2
	;; [unrolled: 1-line block ×3, first 2 shown]
	v_accvgpr_read_b32 v0, a113
	scratch_store_dwordx4 off, v[2:5], off offset:128
	s_waitcnt vmcnt(1)
	ds_write_b128 v0, v[6:9]
.LBB119_335:
	s_or_b64 exec, exec, s[0:1]
	s_waitcnt lgkmcnt(0)
	; wave barrier
	scratch_load_dwordx4 v[40:43], off, off offset:144
	scratch_load_dwordx4 v[44:47], off, off offset:160
	;; [unrolled: 1-line block ×18, first 2 shown]
	ds_read_b128 v[164:167], v2 offset:1024
	ds_read_b128 v[232:235], v2 offset:1040
	;; [unrolled: 1-line block ×6, first 2 shown]
	scratch_load_dwordx4 v[140:143], off, off offset:432
	ds_read_b128 v[224:227], v2 offset:1120
	ds_read_b128 v[212:215], v2 offset:1136
	;; [unrolled: 1-line block ×3, first 2 shown]
	scratch_load_dwordx4 v[4:7], off, off offset:448
	ds_read_b128 v[228:231], v2 offset:1168
	ds_read_b128 v[216:219], v2 offset:1184
	;; [unrolled: 1-line block ×5, first 2 shown]
	scratch_load_dwordx4 v[8:11], off, off offset:464
	ds_read_b128 v[208:211], v2 offset:1248
	ds_read_b128 v[196:199], v2 offset:1264
	;; [unrolled: 1-line block ×3, first 2 shown]
	scratch_load_dwordx4 v[12:15], off, off offset:480
	ds_read_b128 v[200:203], v2 offset:1296
	scratch_load_dwordx4 v[16:19], off, off offset:496
	scratch_load_dwordx4 v[20:23], off, off offset:512
	scratch_load_dwordx4 v[32:35], off, off offset:528
	scratch_load_dwordx4 v[36:39], off, off offset:544
	scratch_load_dwordx4 v[28:31], off, off offset:560
	scratch_load_dwordx4 v[24:27], off, off offset:576
	scratch_load_dwordx4 v[72:75], off, off offset:592
	ds_read_b128 v[236:239], v2 offset:1312
	ds_read_b128 v[156:159], v2 offset:1376
	;; [unrolled: 1-line block ×4, first 2 shown]
	s_waitcnt vmcnt(28) lgkmcnt(14)
	v_mul_f64 v[0:1], v[164:165], v[42:43]
	s_waitcnt vmcnt(27)
	v_mul_f64 v[108:109], v[232:233], v[46:47]
	v_fmac_f64_e32 v[0:1], v[166:167], v[40:41]
	s_waitcnt vmcnt(26)
	v_mul_f64 v[110:111], v[168:169], v[50:51]
	v_fmac_f64_e32 v[108:109], v[234:235], v[44:45]
	v_add_f64 v[0:1], v[0:1], 0
	s_waitcnt vmcnt(25)
	v_mul_f64 v[116:117], v[220:221], v[54:55]
	v_fmac_f64_e32 v[110:111], v[170:171], v[48:49]
	v_add_f64 v[0:1], v[0:1], v[108:109]
	;; [unrolled: 4-line block ×6, first 2 shown]
	s_waitcnt vmcnt(20) lgkmcnt(13)
	v_mul_f64 v[126:127], v[180:181], v[78:79]
	v_fmac_f64_e32 v[124:125], v[214:215], v[68:69]
	v_add_f64 v[0:1], v[0:1], v[122:123]
	s_waitcnt vmcnt(19) lgkmcnt(12)
	v_mul_f64 v[128:129], v[228:229], v[82:83]
	v_fmac_f64_e32 v[126:127], v[182:183], v[76:77]
	v_add_f64 v[0:1], v[0:1], v[124:125]
	;; [unrolled: 4-line block ×9, first 2 shown]
	v_add_f64 v[0:1], v[0:1], v[148:149]
	v_fmac_f64_e32 v[150:151], v[186:187], v[112:113]
	s_waitcnt vmcnt(11) lgkmcnt(4)
	v_mul_f64 v[116:117], v[200:201], v[138:139]
	v_add_f64 v[0:1], v[0:1], v[150:151]
	v_fmac_f64_e32 v[116:117], v[202:203], v[136:137]
	v_add_f64 v[0:1], v[0:1], v[116:117]
	ds_read_b128 v[144:147], v2 offset:1328
	s_waitcnt vmcnt(10) lgkmcnt(4)
	v_mul_f64 v[116:117], v[236:237], v[142:143]
	scratch_load_dwordx4 v[108:111], off, off offset:608
	v_fmac_f64_e32 v[116:117], v[238:239], v[140:141]
	v_add_f64 v[0:1], v[0:1], v[116:117]
	scratch_load_dwordx4 v[116:119], off, off offset:624
	ds_read_b128 v[148:151], v2 offset:1344
	scratch_load_dwordx4 v[120:123], off, off offset:640
	s_waitcnt vmcnt(12) lgkmcnt(1)
	v_mul_f64 v[124:125], v[144:145], v[6:7]
	v_fmac_f64_e32 v[124:125], v[146:147], v[4:5]
	v_add_f64 v[0:1], v[0:1], v[124:125]
	s_waitcnt vmcnt(11) lgkmcnt(0)
	v_mul_f64 v[124:125], v[148:149], v[10:11]
	v_fmac_f64_e32 v[124:125], v[150:151], v[8:9]
	s_waitcnt vmcnt(10)
	v_mul_f64 v[128:129], v[152:153], v[14:15]
	v_add_f64 v[0:1], v[0:1], v[124:125]
	scratch_load_dwordx4 v[124:127], off, off offset:656
	v_fmac_f64_e32 v[128:129], v[154:155], v[12:13]
	v_add_f64 v[0:1], v[0:1], v[128:129]
	scratch_load_dwordx4 v[128:131], off, off offset:672
	s_waitcnt vmcnt(11)
	v_mul_f64 v[132:133], v[156:157], v[18:19]
	v_fmac_f64_e32 v[132:133], v[158:159], v[16:17]
	v_add_f64 v[0:1], v[0:1], v[132:133]
	scratch_load_dwordx4 v[132:135], off, off offset:688
	v_mul_f64 v[42:43], v[166:167], v[42:43]
	v_fma_f64 v[240:241], v[164:165], v[40:41], -v[42:43]
	scratch_load_dwordx4 v[40:43], off, off offset:704
	v_mul_f64 v[46:47], v[234:235], v[46:47]
	v_fma_f64 v[246:247], v[232:233], v[44:45], -v[46:47]
	;; [unrolled: 3-line block ×3, first 2 shown]
	v_mul_f64 v[48:49], v[222:223], v[54:55]
	v_fma_f64 v[250:251], v[220:221], v[52:53], -v[48:49]
	scratch_load_dwordx4 v[48:51], off, off offset:736
	scratch_load_dwordx4 v[52:55], off, off offset:752
	s_waitcnt vmcnt(15)
	v_mul_f64 v[164:165], v[160:161], v[22:23]
	v_fmac_f64_e32 v[164:165], v[162:163], v[20:21]
	v_add_f64 v[0:1], v[0:1], v[164:165]
	ds_read_b128 v[164:167], v2 offset:1408
	ds_read_b128 v[168:171], v2 offset:1424
	v_mul_f64 v[58:59], v[174:175], v[58:59]
	v_fma_f64 v[252:253], v[172:173], v[56:57], -v[58:59]
	ds_read_b128 v[172:175], v2 offset:1440
	v_mul_f64 v[56:57], v[178:179], v[62:63]
	v_fma_f64 v[254:255], v[176:177], v[60:61], -v[56:57]
	scratch_load_dwordx4 v[60:63], off, off offset:768
	scratch_load_dwordx4 v[56:59], off, off offset:784
	s_waitcnt vmcnt(16) lgkmcnt(2)
	v_mul_f64 v[232:233], v[164:165], v[34:35]
	v_fmac_f64_e32 v[232:233], v[166:167], v[32:33]
	s_waitcnt vmcnt(15) lgkmcnt(1)
	v_mul_f64 v[220:221], v[168:169], v[38:39]
	v_mul_f64 v[66:67], v[226:227], v[66:67]
	v_add_f64 v[0:1], v[0:1], v[232:233]
	v_fmac_f64_e32 v[220:221], v[170:171], v[36:37]
	v_fma_f64 v[242:243], v[224:225], v[64:65], -v[66:67]
	s_waitcnt vmcnt(14) lgkmcnt(0)
	v_mul_f64 v[64:65], v[172:173], v[30:31]
	v_add_f64 v[0:1], v[0:1], v[220:221]
	v_fmac_f64_e32 v[64:65], v[174:175], v[28:29]
	v_accvgpr_write_b32 a141, v23
	v_add_f64 v[0:1], v[0:1], v[64:65]
	v_mul_f64 v[64:65], v[214:215], v[70:71]
	v_accvgpr_write_b32 a140, v22
	v_accvgpr_write_b32 a139, v21
	;; [unrolled: 1-line block ×3, first 2 shown]
	ds_read_b128 v[176:179], v2 offset:1456
	v_fma_f64 v[20:21], v[212:213], v[68:69], -v[64:65]
	scratch_load_dwordx4 v[68:71], off, off offset:800
	scratch_load_dwordx4 v[64:67], off, off offset:816
	v_accvgpr_write_b32 a125, v7
	v_accvgpr_write_b32 a124, v6
	;; [unrolled: 1-line block ×5, first 2 shown]
	v_mul_f64 v[6:7], v[182:183], v[78:79]
	v_accvgpr_write_b32 a136, v18
	v_accvgpr_write_b32 a135, v17
	;; [unrolled: 1-line block ×3, first 2 shown]
	v_fma_f64 v[16:17], v[180:181], v[76:77], -v[6:7]
	s_waitcnt vmcnt(15) lgkmcnt(0)
	v_mul_f64 v[76:77], v[176:177], v[26:27]
	v_fmac_f64_e32 v[76:77], v[178:179], v[24:25]
	v_accvgpr_write_b32 a133, v15
	v_add_f64 v[0:1], v[0:1], v[76:77]
	v_mul_f64 v[76:77], v[230:231], v[82:83]
	v_accvgpr_write_b32 a132, v14
	v_accvgpr_write_b32 a131, v13
	;; [unrolled: 1-line block ×3, first 2 shown]
	v_fma_f64 v[12:13], v[228:229], v[80:81], -v[76:77]
	scratch_load_dwordx4 v[76:79], off, off offset:832
	scratch_load_dwordx4 v[232:235], off, off offset:896
	ds_read_b128 v[180:183], v2 offset:1472
	ds_read_b128 v[80:83], v2 offset:1488
	v_accvgpr_write_b32 a129, v11
	v_accvgpr_write_b32 a128, v10
	v_accvgpr_write_b32 a127, v9
	v_accvgpr_write_b32 a126, v8
	s_waitcnt vmcnt(16) lgkmcnt(1)
	v_mul_f64 v[10:11], v[180:181], v[74:75]
	v_fmac_f64_e32 v[10:11], v[182:183], v[72:73]
	v_add_f64 v[0:1], v[0:1], v[10:11]
	v_mul_f64 v[10:11], v[218:219], v[86:87]
	v_fma_f64 v[10:11], v[216:217], v[84:85], -v[10:11]
	ds_read_b128 v[84:87], v2 offset:1504
	v_mul_f64 v[90:91], v[190:191], v[90:91]
	v_fma_f64 v[8:9], v[188:189], v[88:89], -v[90:91]
	ds_read_b128 v[88:91], v2 offset:1520
	s_waitcnt vmcnt(15) lgkmcnt(2)
	v_mul_f64 v[212:213], v[80:81], v[110:111]
	v_fmac_f64_e32 v[212:213], v[82:83], v[108:109]
	s_waitcnt vmcnt(14) lgkmcnt(1)
	v_mul_f64 v[14:15], v[84:85], v[118:119]
	v_add_f64 v[0:1], v[0:1], v[212:213]
	v_fmac_f64_e32 v[14:15], v[86:87], v[116:117]
	v_add_f64 v[0:1], v[0:1], v[14:15]
	s_waitcnt vmcnt(13) lgkmcnt(0)
	v_mul_f64 v[14:15], v[88:89], v[122:123]
	v_fmac_f64_e32 v[14:15], v[90:91], v[120:121]
	ds_read_b128 v[188:191], v2 offset:1536
	v_add_f64 v[0:1], v[0:1], v[14:15]
	v_mul_f64 v[14:15], v[206:207], v[94:95]
	v_fma_f64 v[14:15], v[204:205], v[92:93], -v[14:15]
	ds_read_b128 v[92:95], v2 offset:1552
	v_mul_f64 v[98:99], v[194:195], v[98:99]
	v_fma_f64 v[6:7], v[192:193], v[96:97], -v[98:99]
	ds_read_b128 v[96:99], v2 offset:1568
	ds_read_b128 v[192:195], v2 offset:1584
	s_waitcnt vmcnt(12) lgkmcnt(3)
	v_mul_f64 v[204:205], v[188:189], v[126:127]
	v_fmac_f64_e32 v[204:205], v[190:191], v[124:125]
	s_waitcnt vmcnt(11) lgkmcnt(2)
	v_mul_f64 v[18:19], v[92:93], v[130:131]
	v_add_f64 v[0:1], v[0:1], v[204:205]
	v_fmac_f64_e32 v[18:19], v[94:95], v[128:129]
	v_add_f64 v[0:1], v[0:1], v[18:19]
	s_waitcnt vmcnt(10) lgkmcnt(1)
	v_mul_f64 v[18:19], v[96:97], v[134:135]
	v_fmac_f64_e32 v[18:19], v[98:99], v[132:133]
	v_add_f64 v[0:1], v[0:1], v[18:19]
	v_mul_f64 v[18:19], v[210:211], v[102:103]
	v_fma_f64 v[18:19], v[208:209], v[100:101], -v[18:19]
	ds_read_b128 v[100:103], v2 offset:1600
	v_mul_f64 v[106:107], v[198:199], v[106:107]
	v_fma_f64 v[4:5], v[196:197], v[104:105], -v[106:107]
	ds_read_b128 v[104:107], v2 offset:1616
	s_waitcnt vmcnt(9) lgkmcnt(2)
	v_mul_f64 v[204:205], v[192:193], v[42:43]
	v_fmac_f64_e32 v[204:205], v[194:195], v[40:41]
	s_waitcnt vmcnt(8) lgkmcnt(1)
	v_mul_f64 v[22:23], v[100:101], v[46:47]
	v_add_f64 v[0:1], v[0:1], v[204:205]
	v_fmac_f64_e32 v[22:23], v[102:103], v[44:45]
	v_add_f64 v[0:1], v[0:1], v[22:23]
	s_waitcnt vmcnt(7) lgkmcnt(0)
	v_mul_f64 v[22:23], v[104:105], v[50:51]
	ds_read_b128 v[196:199], v2 offset:1632
	v_fmac_f64_e32 v[22:23], v[106:107], v[48:49]
	v_add_f64 v[0:1], v[0:1], v[22:23]
	v_mul_f64 v[22:23], v[186:187], v[114:115]
	v_fma_f64 v[22:23], v[184:185], v[112:113], -v[22:23]
	ds_read_b128 v[112:115], v2 offset:1648
	s_waitcnt vmcnt(6) lgkmcnt(1)
	v_mul_f64 v[184:185], v[196:197], v[54:55]
	v_fmac_f64_e32 v[184:185], v[198:199], v[52:53]
	v_add_f64 v[184:185], v[0:1], v[184:185]
	v_mul_f64 v[0:1], v[202:203], v[138:139]
	v_fma_f64 v[0:1], v[200:201], v[136:137], -v[0:1]
	ds_read_b128 v[136:139], v2 offset:1664
	s_waitcnt vmcnt(5) lgkmcnt(1)
	v_mul_f64 v[186:187], v[112:113], v[62:63]
	v_fmac_f64_e32 v[186:187], v[114:115], v[60:61]
	v_add_f64 v[200:201], v[184:185], v[186:187]
	ds_read_b128 v[184:187], v2 offset:1680
	v_mul_f64 v[142:143], v[238:239], v[142:143]
	v_fma_f64 v[244:245], v[236:237], v[140:141], -v[142:143]
	ds_read_b128 v[140:143], v2 offset:1696
	ds_read_b128 v[208:211], v2 offset:1728
	s_waitcnt vmcnt(4) lgkmcnt(3)
	v_mul_f64 v[202:203], v[136:137], v[58:59]
	v_fmac_f64_e32 v[202:203], v[138:139], v[56:57]
	v_add_f64 v[200:201], v[200:201], v[202:203]
	s_waitcnt vmcnt(3) lgkmcnt(2)
	v_mul_f64 v[202:203], v[184:185], v[70:71]
	v_fmac_f64_e32 v[202:203], v[186:187], v[68:69]
	v_add_f64 v[200:201], v[200:201], v[202:203]
	;; [unrolled: 4-line block ×3, first 2 shown]
	ds_read_b128 v[200:203], v2 offset:1712
	ds_read_b128 v[216:219], v2 offset:1744
	;; [unrolled: 1-line block ×3, first 2 shown]
	s_waitcnt vmcnt(1) lgkmcnt(2)
	v_mul_f64 v[206:207], v[200:201], v[78:79]
	v_fmac_f64_e32 v[206:207], v[202:203], v[76:77]
	v_add_f64 v[212:213], v[204:205], v[206:207]
	scratch_load_dwordx4 v[204:207], off, off offset:848
	s_waitcnt vmcnt(0)
	v_mul_f64 v[214:215], v[208:209], v[206:207]
	v_fmac_f64_e32 v[214:215], v[210:211], v[204:205]
	v_add_f64 v[220:221], v[212:213], v[214:215]
	scratch_load_dwordx4 v[212:215], off, off offset:864
	s_waitcnt vmcnt(0) lgkmcnt(1)
	v_mul_f64 v[222:223], v[216:217], v[214:215]
	v_fmac_f64_e32 v[222:223], v[218:219], v[212:213]
	v_add_f64 v[228:229], v[220:221], v[222:223]
	scratch_load_dwordx4 v[220:223], off, off offset:880
	s_waitcnt vmcnt(0) lgkmcnt(0)
	v_mul_f64 v[230:231], v[224:225], v[222:223]
	v_fmac_f64_e32 v[230:231], v[226:227], v[220:221]
	v_add_f64 v[236:237], v[228:229], v[230:231]
	ds_read_b128 v[228:231], v2 offset:1776
	s_waitcnt lgkmcnt(0)
	v_mul_f64 v[2:3], v[228:229], v[234:235]
	v_fmac_f64_e32 v[2:3], v[230:231], v[232:233]
	v_add_f64 v[2:3], v[236:237], v[2:3]
	v_add_f64 v[236:237], v[240:241], 0
	;; [unrolled: 1-line block ×9, first 2 shown]
	scratch_load_dwordx4 v[236:239], off, off offset:128
	v_add_f64 v[16:17], v[20:21], v[16:17]
	v_add_f64 v[12:13], v[16:17], v[12:13]
	;; [unrolled: 1-line block ×8, first 2 shown]
	v_accvgpr_read_b32 v6, a122
	v_accvgpr_read_b32 v8, a124
	;; [unrolled: 1-line block ×3, first 2 shown]
	v_add_f64 v[254:255], v[4:5], v[22:23]
	v_accvgpr_read_b32 v7, a123
	v_mul_f64 v[4:5], v[146:147], v[8:9]
	v_add_f64 v[0:1], v[254:255], v[0:1]
	v_fma_f64 v[4:5], v[144:145], v[6:7], -v[4:5]
	v_accvgpr_read_b32 v6, a126
	v_add_f64 v[0:1], v[0:1], v[244:245]
	v_accvgpr_read_b32 v8, a128
	v_accvgpr_read_b32 v9, a129
	v_add_f64 v[0:1], v[0:1], v[4:5]
	v_accvgpr_read_b32 v7, a127
	v_mul_f64 v[4:5], v[150:151], v[8:9]
	v_fma_f64 v[4:5], v[148:149], v[6:7], -v[4:5]
	v_accvgpr_read_b32 v6, a130
	v_accvgpr_read_b32 v8, a132
	v_accvgpr_read_b32 v9, a133
	v_add_f64 v[0:1], v[0:1], v[4:5]
	v_accvgpr_read_b32 v7, a131
	v_mul_f64 v[4:5], v[154:155], v[8:9]
	v_fma_f64 v[4:5], v[152:153], v[6:7], -v[4:5]
	v_accvgpr_read_b32 v6, a134
	v_accvgpr_read_b32 v8, a136
	v_accvgpr_read_b32 v9, a137
	v_add_f64 v[0:1], v[0:1], v[4:5]
	v_accvgpr_read_b32 v7, a135
	v_mul_f64 v[4:5], v[158:159], v[8:9]
	v_fma_f64 v[4:5], v[156:157], v[6:7], -v[4:5]
	v_accvgpr_read_b32 v6, a138
	v_accvgpr_read_b32 v8, a140
	v_accvgpr_read_b32 v9, a141
	v_add_f64 v[0:1], v[0:1], v[4:5]
	v_accvgpr_read_b32 v7, a139
	v_mul_f64 v[4:5], v[162:163], v[8:9]
	v_fma_f64 v[4:5], v[160:161], v[6:7], -v[4:5]
	v_add_f64 v[0:1], v[0:1], v[4:5]
	v_mul_f64 v[4:5], v[166:167], v[34:35]
	v_fma_f64 v[4:5], v[164:165], v[32:33], -v[4:5]
	v_add_f64 v[0:1], v[0:1], v[4:5]
	;; [unrolled: 3-line block ×25, first 2 shown]
	s_waitcnt vmcnt(0)
	v_add_f64 v[4:5], v[236:237], -v[0:1]
	v_accvgpr_read_b32 v0, a112
	v_add_f64 v[6:7], v[238:239], -v[2:3]
	v_cmp_lt_u32_e32 vcc, 6, v0
	scratch_store_dwordx4 off, v[4:7], off offset:128
	s_and_saveexec_b64 s[0:1], vcc
	s_cbranch_execz .LBB119_337
; %bb.336:
	scratch_load_dwordx4 v[2:5], off, s66
	v_mov_b32_e32 v6, 0
	v_mov_b32_e32 v7, v6
	;; [unrolled: 1-line block ×4, first 2 shown]
	v_accvgpr_read_b32 v0, a113
	scratch_store_dwordx4 off, v[6:9], off offset:112
	s_waitcnt vmcnt(1)
	ds_write_b128 v0, v[2:5]
.LBB119_337:
	s_or_b64 exec, exec, s[0:1]
	s_waitcnt lgkmcnt(0)
	; wave barrier
	scratch_load_dwordx4 v[56:59], off, off offset:128
	scratch_load_dwordx4 v[60:63], off, off offset:144
	;; [unrolled: 1-line block ×28, first 2 shown]
	v_mov_b32_e32 v2, 0
	ds_read_b128 v[116:119], v2 offset:1008
	ds_read_b128 v[120:123], v2 offset:1024
	;; [unrolled: 1-line block ×22, first 2 shown]
	s_waitcnt vmcnt(27) lgkmcnt(14)
	v_mul_f64 v[0:1], v[116:117], v[58:59]
	s_waitcnt vmcnt(26)
	v_mul_f64 v[32:33], v[120:121], v[62:63]
	v_fmac_f64_e32 v[0:1], v[118:119], v[56:57]
	s_waitcnt vmcnt(25)
	v_mul_f64 v[34:35], v[124:125], v[66:67]
	v_fmac_f64_e32 v[32:33], v[122:123], v[60:61]
	v_add_f64 v[0:1], v[0:1], 0
	v_fmac_f64_e32 v[34:35], v[126:127], v[64:65]
	v_add_f64 v[0:1], v[0:1], v[32:33]
	v_add_f64 v[0:1], v[0:1], v[34:35]
	scratch_load_dwordx4 v[32:35], off, off offset:576
	s_waitcnt vmcnt(25)
	v_mul_f64 v[36:37], v[128:129], v[70:71]
	s_waitcnt vmcnt(24)
	v_mul_f64 v[38:39], v[132:133], v[74:75]
	v_fmac_f64_e32 v[36:37], v[130:131], v[68:69]
	s_waitcnt vmcnt(23)
	v_mul_f64 v[40:41], v[140:141], v[78:79]
	v_fmac_f64_e32 v[38:39], v[134:135], v[72:73]
	v_add_f64 v[0:1], v[0:1], v[36:37]
	s_waitcnt vmcnt(22)
	v_mul_f64 v[42:43], v[152:153], v[82:83]
	v_fmac_f64_e32 v[40:41], v[142:143], v[76:77]
	v_add_f64 v[0:1], v[0:1], v[38:39]
	;; [unrolled: 4-line block ×3, first 2 shown]
	s_waitcnt vmcnt(20) lgkmcnt(13)
	v_mul_f64 v[46:47], v[176:177], v[94:95]
	v_fmac_f64_e32 v[44:45], v[166:167], v[84:85]
	v_add_f64 v[0:1], v[0:1], v[42:43]
	s_waitcnt vmcnt(19) lgkmcnt(12)
	v_mul_f64 v[48:49], v[188:189], v[98:99]
	v_fmac_f64_e32 v[46:47], v[178:179], v[92:93]
	v_add_f64 v[0:1], v[0:1], v[44:45]
	;; [unrolled: 4-line block ×9, first 2 shown]
	v_add_f64 v[0:1], v[0:1], v[104:105]
	v_fmac_f64_e32 v[106:107], v[222:223], v[168:169]
	s_waitcnt vmcnt(11) lgkmcnt(4)
	v_mul_f64 v[40:41], v[224:225], v[174:175]
	v_add_f64 v[0:1], v[0:1], v[106:107]
	v_fmac_f64_e32 v[40:41], v[226:227], v[172:173]
	scratch_load_dwordx4 v[36:39], off, off offset:592
	v_add_f64 v[0:1], v[0:1], v[40:41]
	s_waitcnt vmcnt(11) lgkmcnt(3)
	v_mul_f64 v[40:41], v[228:229], v[182:183]
	v_fmac_f64_e32 v[40:41], v[230:231], v[180:181]
	s_waitcnt vmcnt(10) lgkmcnt(2)
	v_mul_f64 v[44:45], v[242:243], v[186:187]
	v_add_f64 v[0:1], v[0:1], v[40:41]
	v_fmac_f64_e32 v[44:45], v[244:245], v[184:185]
	scratch_load_dwordx4 v[40:43], off, off offset:608
	ds_read_b128 v[88:91], v2 offset:1344
	v_add_f64 v[0:1], v[0:1], v[44:45]
	s_waitcnt vmcnt(10) lgkmcnt(2)
	v_mul_f64 v[44:45], v[246:247], v[194:195]
	v_fmac_f64_e32 v[44:45], v[248:249], v[192:193]
	v_add_f64 v[0:1], v[0:1], v[44:45]
	scratch_load_dwordx4 v[44:47], off, off offset:624
	ds_read_b128 v[104:107], v2 offset:1360
	s_waitcnt vmcnt(10) lgkmcnt(1)
	v_mul_f64 v[48:49], v[88:89], v[6:7]
	v_accvgpr_write_b32 a117, v7
	v_fmac_f64_e32 v[48:49], v[90:91], v[4:5]
	v_accvgpr_write_b32 a116, v6
	v_accvgpr_write_b32 a115, v5
	;; [unrolled: 1-line block ×3, first 2 shown]
	s_waitcnt vmcnt(9)
	v_mov_b64_e32 v[4:5], v[8:9]
	v_add_f64 v[0:1], v[0:1], v[48:49]
	scratch_load_dwordx4 v[48:51], off, off offset:640
	v_mov_b64_e32 v[6:7], v[10:11]
	s_waitcnt lgkmcnt(0)
	v_mul_f64 v[52:53], v[104:105], v[6:7]
	v_fmac_f64_e32 v[52:53], v[106:107], v[4:5]
	v_add_f64 v[0:1], v[0:1], v[52:53]
	scratch_load_dwordx4 v[52:55], off, off offset:656
	v_mul_f64 v[58:59], v[118:119], v[58:59]
	s_waitcnt vmcnt(10)
	v_mov_b64_e32 v[4:5], v[12:13]
	v_fma_f64 v[240:241], v[116:117], v[56:57], -v[58:59]
	scratch_load_dwordx4 v[56:59], off, off offset:672
	v_mov_b64_e32 v[6:7], v[14:15]
	v_mul_f64 v[112:113], v[108:109], v[6:7]
	v_fmac_f64_e32 v[112:113], v[110:111], v[4:5]
	v_add_f64 v[0:1], v[0:1], v[112:113]
	ds_read_b128 v[112:115], v2 offset:1392
	ds_read_b128 v[116:119], v2 offset:1408
	v_mul_f64 v[62:63], v[122:123], v[62:63]
	v_fma_f64 v[250:251], v[120:121], v[60:61], -v[62:63]
	scratch_load_dwordx4 v[60:63], off, off offset:688
	s_waitcnt vmcnt(11)
	v_mov_b64_e32 v[4:5], v[16:17]
	v_mul_f64 v[66:67], v[126:127], v[66:67]
	v_mov_b64_e32 v[6:7], v[18:19]
	v_fma_f64 v[252:253], v[124:125], v[64:65], -v[66:67]
	scratch_load_dwordx4 v[64:67], off, off offset:704
	s_waitcnt lgkmcnt(1)
	v_mul_f64 v[120:121], v[112:113], v[6:7]
	v_fmac_f64_e32 v[120:121], v[114:115], v[4:5]
	s_waitcnt vmcnt(11)
	v_mov_b64_e32 v[4:5], v[20:21]
	v_mov_b64_e32 v[6:7], v[22:23]
	v_add_f64 v[0:1], v[0:1], v[120:121]
	s_waitcnt lgkmcnt(0)
	v_mul_f64 v[120:121], v[116:117], v[6:7]
	v_fmac_f64_e32 v[120:121], v[118:119], v[4:5]
	v_mul_f64 v[70:71], v[130:131], v[70:71]
	v_add_f64 v[0:1], v[0:1], v[120:121]
	v_fma_f64 v[254:255], v[128:129], v[68:69], -v[70:71]
	scratch_load_dwordx4 v[68:71], off, off offset:720
	ds_read_b128 v[120:123], v2 offset:1424
	ds_read_b128 v[124:127], v2 offset:1440
	v_mul_f64 v[74:75], v[134:135], v[74:75]
	v_accvgpr_write_b32 a121, v11
	v_fma_f64 v[232:233], v[132:133], v[72:73], -v[74:75]
	scratch_load_dwordx4 v[72:75], off, off offset:736
	v_accvgpr_write_b32 a120, v10
	v_accvgpr_write_b32 a119, v9
	;; [unrolled: 1-line block ×3, first 2 shown]
	v_mul_f64 v[78:79], v[142:143], v[78:79]
	s_waitcnt vmcnt(12)
	v_mov_b64_e32 v[8:9], v[24:25]
	v_fma_f64 v[28:29], v[140:141], v[76:77], -v[78:79]
	v_mov_b64_e32 v[10:11], v[26:27]
	scratch_load_dwordx4 v[76:79], off, off offset:752
	s_waitcnt lgkmcnt(1)
	v_mul_f64 v[6:7], v[120:121], v[10:11]
	v_fmac_f64_e32 v[6:7], v[122:123], v[8:9]
	v_accvgpr_write_b32 a137, v27
	v_add_f64 v[0:1], v[0:1], v[6:7]
	v_mul_f64 v[6:7], v[154:155], v[82:83]
	v_accvgpr_write_b32 a136, v26
	v_accvgpr_write_b32 a135, v25
	;; [unrolled: 1-line block ×3, first 2 shown]
	v_fma_f64 v[24:25], v[152:153], v[80:81], -v[6:7]
	s_waitcnt vmcnt(12) lgkmcnt(0)
	v_mul_f64 v[6:7], v[124:125], v[236:237]
	v_fmac_f64_e32 v[6:7], v[126:127], v[234:235]
	scratch_load_dwordx4 v[80:83], off, off offset:768
	v_accvgpr_write_b32 a133, v23
	v_add_f64 v[0:1], v[0:1], v[6:7]
	v_mul_f64 v[6:7], v[166:167], v[86:87]
	v_accvgpr_write_b32 a132, v22
	v_accvgpr_write_b32 a131, v21
	v_accvgpr_write_b32 a130, v20
	v_fma_f64 v[20:21], v[164:165], v[84:85], -v[6:7]
	scratch_load_dwordx4 v[84:87], off, off offset:784
	ds_read_b128 v[132:135], v2 offset:1456
	ds_read_b128 v[128:131], v2 offset:1472
	v_accvgpr_write_b32 a129, v19
	v_mul_f64 v[6:7], v[178:179], v[94:95]
	v_accvgpr_write_b32 a125, v15
	v_accvgpr_write_b32 a128, v18
	;; [unrolled: 1-line block ×4, first 2 shown]
	v_fma_f64 v[16:17], v[176:177], v[92:93], -v[6:7]
	v_mul_f64 v[6:7], v[190:191], v[98:99]
	v_accvgpr_write_b32 a124, v14
	v_accvgpr_write_b32 a123, v13
	;; [unrolled: 1-line block ×3, first 2 shown]
	v_fma_f64 v[14:15], v[188:189], v[96:97], -v[6:7]
	scratch_load_dwordx4 v[96:99], off, off offset:800
	scratch_load_dwordx4 v[92:95], off, off offset:816
	s_waitcnt vmcnt(15) lgkmcnt(1)
	v_mul_f64 v[6:7], v[132:133], v[34:35]
	v_fmac_f64_e32 v[6:7], v[134:135], v[32:33]
	v_add_f64 v[0:1], v[0:1], v[6:7]
	v_mul_f64 v[6:7], v[198:199], v[102:103]
	v_fma_f64 v[12:13], v[196:197], v[100:101], -v[6:7]
	scratch_load_dwordx4 v[100:103], off, off offset:832
	v_mul_f64 v[6:7], v[202:203], v[138:139]
	v_fma_f64 v[18:19], v[200:201], v[136:137], -v[6:7]
	ds_read_b128 v[136:139], v2 offset:1488
	ds_read_b128 v[140:143], v2 offset:1504
	s_waitcnt vmcnt(15) lgkmcnt(2)
	v_mul_f64 v[6:7], v[128:129], v[38:39]
	v_fmac_f64_e32 v[6:7], v[130:131], v[36:37]
	v_add_f64 v[0:1], v[0:1], v[6:7]
	s_waitcnt vmcnt(14) lgkmcnt(1)
	v_mul_f64 v[6:7], v[136:137], v[42:43]
	v_fmac_f64_e32 v[6:7], v[138:139], v[40:41]
	v_add_f64 v[0:1], v[0:1], v[6:7]
	v_mul_f64 v[6:7], v[206:207], v[146:147]
	v_fma_f64 v[10:11], v[204:205], v[144:145], -v[6:7]
	ds_read_b128 v[144:147], v2 offset:1520
	s_waitcnt vmcnt(13) lgkmcnt(1)
	v_mul_f64 v[6:7], v[140:141], v[46:47]
	v_fmac_f64_e32 v[6:7], v[142:143], v[44:45]
	v_add_f64 v[0:1], v[0:1], v[6:7]
	v_mul_f64 v[6:7], v[210:211], v[150:151]
	v_fma_f64 v[22:23], v[208:209], v[148:149], -v[6:7]
	ds_read_b128 v[148:151], v2 offset:1536
	s_waitcnt vmcnt(12) lgkmcnt(1)
	v_mul_f64 v[6:7], v[144:145], v[50:51]
	ds_read_b128 v[152:155], v2 offset:1552
	v_fmac_f64_e32 v[6:7], v[146:147], v[48:49]
	v_add_f64 v[0:1], v[0:1], v[6:7]
	v_mul_f64 v[6:7], v[214:215], v[158:159]
	v_fma_f64 v[8:9], v[212:213], v[156:157], -v[6:7]
	s_waitcnt vmcnt(11) lgkmcnt(1)
	v_mul_f64 v[6:7], v[148:149], v[54:55]
	v_fmac_f64_e32 v[6:7], v[150:151], v[52:53]
	ds_read_b128 v[156:159], v2 offset:1568
	v_add_f64 v[0:1], v[0:1], v[6:7]
	s_waitcnt vmcnt(10) lgkmcnt(1)
	v_mul_f64 v[6:7], v[152:153], v[58:59]
	v_fmac_f64_e32 v[6:7], v[154:155], v[56:57]
	v_add_f64 v[0:1], v[0:1], v[6:7]
	v_mul_f64 v[6:7], v[218:219], v[162:163]
	v_fma_f64 v[26:27], v[216:217], v[160:161], -v[6:7]
	ds_read_b128 v[160:163], v2 offset:1584
	ds_read_b128 v[164:167], v2 offset:1600
	s_waitcnt vmcnt(9) lgkmcnt(2)
	v_mul_f64 v[6:7], v[156:157], v[62:63]
	v_fmac_f64_e32 v[6:7], v[158:159], v[60:61]
	v_add_f64 v[0:1], v[0:1], v[6:7]
	s_waitcnt vmcnt(8) lgkmcnt(1)
	v_mul_f64 v[6:7], v[160:161], v[66:67]
	v_fmac_f64_e32 v[6:7], v[162:163], v[64:65]
	v_add_f64 v[0:1], v[0:1], v[6:7]
	v_mul_f64 v[6:7], v[222:223], v[170:171]
	v_fma_f64 v[4:5], v[220:221], v[168:169], -v[6:7]
	ds_read_b128 v[168:171], v2 offset:1616
	v_mul_f64 v[6:7], v[226:227], v[174:175]
	v_fma_f64 v[6:7], v[224:225], v[172:173], -v[6:7]
	ds_read_b128 v[172:175], v2 offset:1632
	s_waitcnt vmcnt(7) lgkmcnt(2)
	v_mul_f64 v[30:31], v[164:165], v[70:71]
	v_fmac_f64_e32 v[30:31], v[166:167], v[68:69]
	v_add_f64 v[0:1], v[0:1], v[30:31]
	s_waitcnt vmcnt(6) lgkmcnt(1)
	v_mul_f64 v[30:31], v[168:169], v[74:75]
	v_fmac_f64_e32 v[30:31], v[170:171], v[72:73]
	v_add_f64 v[0:1], v[0:1], v[30:31]
	s_waitcnt vmcnt(5) lgkmcnt(0)
	v_mul_f64 v[30:31], v[172:173], v[78:79]
	ds_read_b128 v[176:179], v2 offset:1648
	v_fmac_f64_e32 v[30:31], v[174:175], v[76:77]
	v_add_f64 v[30:31], v[0:1], v[30:31]
	v_mul_f64 v[0:1], v[230:231], v[182:183]
	v_fma_f64 v[0:1], v[228:229], v[180:181], -v[0:1]
	ds_read_b128 v[180:183], v2 offset:1664
	v_mul_f64 v[186:187], v[244:245], v[186:187]
	s_waitcnt vmcnt(4) lgkmcnt(1)
	v_mul_f64 v[188:189], v[176:177], v[82:83]
	v_fma_f64 v[238:239], v[242:243], v[184:185], -v[186:187]
	ds_read_b128 v[184:187], v2 offset:1680
	v_fmac_f64_e32 v[188:189], v[178:179], v[80:81]
	v_add_f64 v[30:31], v[30:31], v[188:189]
	ds_read_b128 v[188:191], v2 offset:1696
	s_waitcnt vmcnt(3) lgkmcnt(2)
	v_mul_f64 v[196:197], v[180:181], v[86:87]
	v_mul_f64 v[194:195], v[248:249], v[194:195]
	v_fmac_f64_e32 v[196:197], v[182:183], v[84:85]
	v_fma_f64 v[242:243], v[246:247], v[192:193], -v[194:195]
	ds_read_b128 v[192:195], v2 offset:1712
	ds_read_b128 v[200:203], v2 offset:1728
	v_add_f64 v[30:31], v[30:31], v[196:197]
	s_waitcnt vmcnt(2) lgkmcnt(3)
	v_mul_f64 v[196:197], v[184:185], v[98:99]
	v_fmac_f64_e32 v[196:197], v[186:187], v[96:97]
	v_add_f64 v[30:31], v[30:31], v[196:197]
	s_waitcnt vmcnt(1) lgkmcnt(2)
	v_mul_f64 v[196:197], v[188:189], v[94:95]
	v_fmac_f64_e32 v[196:197], v[190:191], v[92:93]
	;; [unrolled: 4-line block ×3, first 2 shown]
	v_add_f64 v[30:31], v[30:31], v[196:197]
	scratch_load_dwordx4 v[196:199], off, off offset:848
	ds_read_b128 v[208:211], v2 offset:1744
	ds_read_b128 v[216:219], v2 offset:1760
	ds_read_b128 v[224:227], v2 offset:1776
	s_waitcnt vmcnt(0) lgkmcnt(3)
	v_mul_f64 v[204:205], v[200:201], v[198:199]
	v_fmac_f64_e32 v[204:205], v[202:203], v[196:197]
	v_add_f64 v[30:31], v[30:31], v[204:205]
	scratch_load_dwordx4 v[204:207], off, off offset:864
	s_waitcnt vmcnt(0) lgkmcnt(2)
	v_mul_f64 v[212:213], v[208:209], v[206:207]
	v_fmac_f64_e32 v[212:213], v[210:211], v[204:205]
	v_add_f64 v[30:31], v[30:31], v[212:213]
	scratch_load_dwordx4 v[212:215], off, off offset:880
	;; [unrolled: 5-line block ×3, first 2 shown]
	s_waitcnt vmcnt(0) lgkmcnt(0)
	v_mul_f64 v[228:229], v[224:225], v[222:223]
	v_fmac_f64_e32 v[228:229], v[226:227], v[220:221]
	v_add_f64 v[246:247], v[30:31], v[228:229]
	v_add_f64 v[30:31], v[240:241], 0
	;; [unrolled: 1-line block ×3, first 2 shown]
	scratch_load_dwordx4 v[228:231], off, off offset:112
	v_add_f64 v[30:31], v[30:31], v[252:253]
	v_add_f64 v[30:31], v[30:31], v[254:255]
	;; [unrolled: 1-line block ×16, first 2 shown]
	v_accvgpr_read_b32 v6, a114
	v_accvgpr_read_b32 v8, a116
	;; [unrolled: 1-line block ×3, first 2 shown]
	v_add_f64 v[0:1], v[4:5], v[0:1]
	v_accvgpr_read_b32 v7, a115
	v_mul_f64 v[4:5], v[90:91], v[8:9]
	v_add_f64 v[0:1], v[0:1], v[238:239]
	v_fma_f64 v[4:5], v[88:89], v[6:7], -v[4:5]
	v_accvgpr_read_b32 v6, a118
	v_add_f64 v[0:1], v[0:1], v[242:243]
	v_accvgpr_read_b32 v8, a120
	v_accvgpr_read_b32 v9, a121
	v_add_f64 v[0:1], v[0:1], v[4:5]
	v_accvgpr_read_b32 v7, a119
	v_mul_f64 v[4:5], v[106:107], v[8:9]
	v_fma_f64 v[4:5], v[104:105], v[6:7], -v[4:5]
	v_accvgpr_read_b32 v6, a122
	v_accvgpr_read_b32 v8, a124
	v_accvgpr_read_b32 v9, a125
	v_add_f64 v[0:1], v[0:1], v[4:5]
	v_accvgpr_read_b32 v7, a123
	v_mul_f64 v[4:5], v[110:111], v[8:9]
	v_fma_f64 v[4:5], v[108:109], v[6:7], -v[4:5]
	v_accvgpr_read_b32 v6, a126
	;; [unrolled: 7-line block ×4, first 2 shown]
	v_accvgpr_read_b32 v8, a136
	v_accvgpr_read_b32 v9, a137
	v_add_f64 v[0:1], v[0:1], v[4:5]
	v_accvgpr_read_b32 v7, a135
	v_mul_f64 v[4:5], v[122:123], v[8:9]
	v_fma_f64 v[4:5], v[120:121], v[6:7], -v[4:5]
	v_add_f64 v[0:1], v[0:1], v[4:5]
	v_mul_f64 v[4:5], v[126:127], v[236:237]
	v_fma_f64 v[4:5], v[124:125], v[234:235], -v[4:5]
	v_add_f64 v[0:1], v[0:1], v[4:5]
	;; [unrolled: 3-line block ×23, first 2 shown]
	s_waitcnt vmcnt(0)
	v_add_f64 v[4:5], v[228:229], -v[0:1]
	v_accvgpr_read_b32 v0, a112
	v_add_f64 v[6:7], v[230:231], -v[246:247]
	v_cmp_lt_u32_e32 vcc, 5, v0
	scratch_store_dwordx4 off, v[4:7], off offset:112
	s_and_saveexec_b64 s[0:1], vcc
	s_cbranch_execz .LBB119_339
; %bb.338:
	scratch_load_dwordx4 v[6:9], off, s67
	v_mov_b32_e32 v3, v2
	v_mov_b32_e32 v4, v2
	;; [unrolled: 1-line block ×3, first 2 shown]
	v_accvgpr_read_b32 v0, a113
	scratch_store_dwordx4 off, v[2:5], off offset:96
	s_waitcnt vmcnt(1)
	ds_write_b128 v0, v[6:9]
.LBB119_339:
	s_or_b64 exec, exec, s[0:1]
	s_waitcnt lgkmcnt(0)
	; wave barrier
	scratch_load_dwordx4 v[56:59], off, off offset:112
	scratch_load_dwordx4 v[60:63], off, off offset:128
	;; [unrolled: 1-line block ×18, first 2 shown]
	ds_read_b128 v[116:119], v2 offset:992
	ds_read_b128 v[220:223], v2 offset:1008
	;; [unrolled: 1-line block ×6, first 2 shown]
	scratch_load_dwordx4 v[180:183], off, off offset:400
	ds_read_b128 v[204:207], v2 offset:1088
	ds_read_b128 v[132:135], v2 offset:1104
	scratch_load_dwordx4 v[184:187], off, off offset:416
	ds_read_b128 v[224:227], v2 offset:1120
	ds_read_b128 v[216:219], v2 offset:1136
	;; [unrolled: 1-line block ×5, first 2 shown]
	scratch_load_dwordx4 v[192:195], off, off offset:432
	ds_read_b128 v[200:203], v2 offset:1200
	ds_read_b128 v[164:167], v2 offset:1216
	scratch_load_dwordx4 v[4:7], off, off offset:448
	ds_read_b128 v[212:215], v2 offset:1232
	ds_read_b128 v[188:191], v2 offset:1248
	;; [unrolled: 1-line block ×3, first 2 shown]
	scratch_load_dwordx4 v[8:11], off, off offset:464
	scratch_load_dwordx4 v[12:15], off, off offset:480
	;; [unrolled: 1-line block ×6, first 2 shown]
	ds_read_b128 v[228:231], v2 offset:1280
	ds_read_b128 v[232:235], v2 offset:1296
	;; [unrolled: 1-line block ×4, first 2 shown]
	s_waitcnt vmcnt(27) lgkmcnt(14)
	v_mul_f64 v[0:1], v[116:117], v[58:59]
	s_waitcnt vmcnt(26)
	v_mul_f64 v[32:33], v[220:221], v[62:63]
	v_fmac_f64_e32 v[0:1], v[118:119], v[56:57]
	s_waitcnt vmcnt(25)
	v_mul_f64 v[34:35], v[208:209], v[66:67]
	v_fmac_f64_e32 v[32:33], v[222:223], v[60:61]
	v_add_f64 v[0:1], v[0:1], 0
	v_fmac_f64_e32 v[34:35], v[210:211], v[64:65]
	v_add_f64 v[0:1], v[0:1], v[32:33]
	v_add_f64 v[0:1], v[0:1], v[34:35]
	scratch_load_dwordx4 v[32:35], off, off offset:560
	s_waitcnt vmcnt(25)
	v_mul_f64 v[36:37], v[120:121], v[70:71]
	s_waitcnt vmcnt(24)
	v_mul_f64 v[38:39], v[128:129], v[74:75]
	v_fmac_f64_e32 v[36:37], v[122:123], v[68:69]
	s_waitcnt vmcnt(23)
	v_mul_f64 v[40:41], v[124:125], v[78:79]
	v_fmac_f64_e32 v[38:39], v[130:131], v[72:73]
	v_add_f64 v[0:1], v[0:1], v[36:37]
	s_waitcnt vmcnt(22)
	v_mul_f64 v[42:43], v[204:205], v[82:83]
	v_fmac_f64_e32 v[40:41], v[126:127], v[76:77]
	v_add_f64 v[0:1], v[0:1], v[38:39]
	;; [unrolled: 4-line block ×3, first 2 shown]
	s_waitcnt vmcnt(20) lgkmcnt(13)
	v_mul_f64 v[46:47], v[224:225], v[94:95]
	v_fmac_f64_e32 v[44:45], v[134:135], v[84:85]
	v_add_f64 v[0:1], v[0:1], v[42:43]
	s_waitcnt vmcnt(19) lgkmcnt(12)
	v_mul_f64 v[48:49], v[216:217], v[98:99]
	v_fmac_f64_e32 v[46:47], v[226:227], v[92:93]
	v_add_f64 v[0:1], v[0:1], v[44:45]
	s_waitcnt vmcnt(18) lgkmcnt(11)
	v_mul_f64 v[50:51], v[196:197], v[102:103]
	v_fmac_f64_e32 v[48:49], v[218:219], v[96:97]
	v_add_f64 v[0:1], v[0:1], v[46:47]
	s_waitcnt vmcnt(17) lgkmcnt(10)
	v_mul_f64 v[52:53], v[140:141], v[138:139]
	v_fmac_f64_e32 v[50:51], v[198:199], v[100:101]
	v_add_f64 v[0:1], v[0:1], v[48:49]
	s_waitcnt vmcnt(16) lgkmcnt(9)
	v_mul_f64 v[54:55], v[152:153], v[146:147]
	v_fmac_f64_e32 v[52:53], v[142:143], v[136:137]
	v_add_f64 v[0:1], v[0:1], v[50:51]
	s_waitcnt vmcnt(15) lgkmcnt(8)
	v_mul_f64 v[88:89], v[200:201], v[150:151]
	v_fmac_f64_e32 v[54:55], v[154:155], v[144:145]
	v_add_f64 v[0:1], v[0:1], v[52:53]
	s_waitcnt vmcnt(14) lgkmcnt(7)
	v_mul_f64 v[90:91], v[164:165], v[158:159]
	v_fmac_f64_e32 v[88:89], v[202:203], v[148:149]
	v_add_f64 v[0:1], v[0:1], v[54:55]
	s_waitcnt vmcnt(13) lgkmcnt(6)
	v_mul_f64 v[104:105], v[212:213], v[162:163]
	v_fmac_f64_e32 v[90:91], v[166:167], v[156:157]
	v_add_f64 v[0:1], v[0:1], v[88:89]
	s_waitcnt vmcnt(12) lgkmcnt(5)
	v_mul_f64 v[106:107], v[188:189], v[170:171]
	v_fmac_f64_e32 v[104:105], v[214:215], v[160:161]
	v_add_f64 v[0:1], v[0:1], v[90:91]
	v_fmac_f64_e32 v[106:107], v[190:191], v[168:169]
	v_add_f64 v[0:1], v[0:1], v[104:105]
	s_waitcnt vmcnt(11) lgkmcnt(4)
	v_mul_f64 v[40:41], v[176:177], v[174:175]
	v_add_f64 v[0:1], v[0:1], v[106:107]
	v_fmac_f64_e32 v[40:41], v[178:179], v[172:173]
	scratch_load_dwordx4 v[36:39], off, off offset:576
	v_add_f64 v[0:1], v[0:1], v[40:41]
	s_waitcnt vmcnt(11) lgkmcnt(3)
	v_mul_f64 v[40:41], v[228:229], v[182:183]
	v_fmac_f64_e32 v[40:41], v[230:231], v[180:181]
	v_add_f64 v[0:1], v[0:1], v[40:41]
	scratch_load_dwordx4 v[40:43], off, off offset:592
	ds_read_b128 v[88:91], v2 offset:1328
	s_waitcnt vmcnt(11) lgkmcnt(3)
	v_mul_f64 v[44:45], v[232:233], v[186:187]
	v_fmac_f64_e32 v[44:45], v[234:235], v[184:185]
	v_add_f64 v[0:1], v[0:1], v[44:45]
	s_waitcnt vmcnt(10) lgkmcnt(2)
	v_mul_f64 v[44:45], v[236:237], v[194:195]
	v_fmac_f64_e32 v[44:45], v[238:239], v[192:193]
	s_waitcnt vmcnt(9) lgkmcnt(0)
	v_mul_f64 v[48:49], v[88:89], v[6:7]
	ds_read_b128 v[104:107], v2 offset:1344
	v_add_f64 v[0:1], v[0:1], v[44:45]
	scratch_load_dwordx4 v[44:47], off, off offset:608
	v_fmac_f64_e32 v[48:49], v[90:91], v[4:5]
	v_accvgpr_write_b32 a117, v7
	v_add_f64 v[0:1], v[0:1], v[48:49]
	scratch_load_dwordx4 v[48:51], off, off offset:624
	v_accvgpr_write_b32 a116, v6
	v_accvgpr_write_b32 a115, v5
	;; [unrolled: 1-line block ×3, first 2 shown]
	s_waitcnt vmcnt(10)
	v_mov_b64_e32 v[4:5], v[8:9]
	v_mov_b64_e32 v[6:7], v[10:11]
	s_waitcnt lgkmcnt(0)
	v_mul_f64 v[52:53], v[104:105], v[6:7]
	v_fmac_f64_e32 v[52:53], v[106:107], v[4:5]
	v_add_f64 v[0:1], v[0:1], v[52:53]
	scratch_load_dwordx4 v[52:55], off, off offset:640
	v_mul_f64 v[58:59], v[118:119], v[58:59]
	v_fma_f64 v[240:241], v[116:117], v[56:57], -v[58:59]
	scratch_load_dwordx4 v[56:59], off, off offset:656
	v_mul_f64 v[62:63], v[222:223], v[62:63]
	v_fma_f64 v[246:247], v[220:221], v[60:61], -v[62:63]
	scratch_load_dwordx4 v[60:63], off, off offset:672
	s_waitcnt vmcnt(12)
	v_mov_b64_e32 v[4:5], v[12:13]
	v_mul_f64 v[66:67], v[210:211], v[66:67]
	v_mov_b64_e32 v[6:7], v[14:15]
	v_fma_f64 v[248:249], v[208:209], v[64:65], -v[66:67]
	scratch_load_dwordx4 v[64:67], off, off offset:688
	v_mul_f64 v[112:113], v[108:109], v[6:7]
	v_fmac_f64_e32 v[112:113], v[110:111], v[4:5]
	v_add_f64 v[0:1], v[0:1], v[112:113]
	ds_read_b128 v[112:115], v2 offset:1376
	ds_read_b128 v[116:119], v2 offset:1392
	s_waitcnt vmcnt(12)
	v_mov_b64_e32 v[4:5], v[16:17]
	v_mul_f64 v[70:71], v[122:123], v[70:71]
	v_mov_b64_e32 v[6:7], v[18:19]
	v_fma_f64 v[250:251], v[120:121], v[68:69], -v[70:71]
	scratch_load_dwordx4 v[68:71], off, off offset:704
	v_mul_f64 v[74:75], v[130:131], v[74:75]
	s_waitcnt lgkmcnt(1)
	v_mul_f64 v[220:221], v[112:113], v[6:7]
	v_fma_f64 v[252:253], v[128:129], v[72:73], -v[74:75]
	scratch_load_dwordx4 v[72:75], off, off offset:720
	v_fmac_f64_e32 v[220:221], v[114:115], v[4:5]
	s_waitcnt vmcnt(13)
	v_mov_b64_e32 v[4:5], v[20:21]
	ds_read_b128 v[120:123], v2 offset:1408
	v_mul_f64 v[78:79], v[126:127], v[78:79]
	v_mov_b64_e32 v[6:7], v[22:23]
	v_fma_f64 v[254:255], v[124:125], v[76:77], -v[78:79]
	scratch_load_dwordx4 v[76:79], off, off offset:736
	s_waitcnt lgkmcnt(1)
	v_mul_f64 v[208:209], v[116:117], v[6:7]
	ds_read_b128 v[124:127], v2 offset:1424
	v_fmac_f64_e32 v[208:209], v[118:119], v[4:5]
	s_waitcnt vmcnt(13)
	v_mov_b64_e32 v[4:5], v[24:25]
	v_mul_f64 v[82:83], v[206:207], v[82:83]
	v_mov_b64_e32 v[6:7], v[26:27]
	v_fma_f64 v[242:243], v[204:205], v[80:81], -v[82:83]
	scratch_load_dwordx4 v[80:83], off, off offset:752
	v_add_f64 v[0:1], v[0:1], v[220:221]
	s_waitcnt lgkmcnt(1)
	v_mul_f64 v[128:129], v[120:121], v[6:7]
	v_add_f64 v[0:1], v[0:1], v[208:209]
	v_fmac_f64_e32 v[128:129], v[122:123], v[4:5]
	v_add_f64 v[0:1], v[0:1], v[128:129]
	s_waitcnt vmcnt(13) lgkmcnt(0)
	v_mul_f64 v[128:129], v[124:125], v[30:31]
	v_accvgpr_write_b32 a137, v27
	v_fmac_f64_e32 v[128:129], v[126:127], v[28:29]
	v_mul_f64 v[86:87], v[134:135], v[86:87]
	v_accvgpr_write_b32 a136, v26
	v_accvgpr_write_b32 a135, v25
	;; [unrolled: 1-line block ×3, first 2 shown]
	v_add_f64 v[0:1], v[0:1], v[128:129]
	v_fma_f64 v[24:25], v[132:133], v[84:85], -v[86:87]
	scratch_load_dwordx4 v[84:87], off, off offset:768
	ds_read_b128 v[132:135], v2 offset:1440
	ds_read_b128 v[128:131], v2 offset:1456
	v_accvgpr_write_b32 a133, v23
	v_mul_f64 v[6:7], v[226:227], v[94:95]
	v_accvgpr_write_b32 a129, v19
	v_accvgpr_write_b32 a132, v22
	;; [unrolled: 1-line block ×4, first 2 shown]
	v_fma_f64 v[20:21], v[224:225], v[92:93], -v[6:7]
	v_mul_f64 v[92:93], v[218:219], v[98:99]
	v_accvgpr_write_b32 a121, v11
	v_accvgpr_write_b32 a128, v18
	;; [unrolled: 1-line block ×4, first 2 shown]
	v_fma_f64 v[16:17], v[216:217], v[96:97], -v[92:93]
	scratch_load_dwordx4 v[96:99], off, off offset:784
	scratch_load_dwordx4 v[92:95], off, off offset:800
	v_accvgpr_write_b32 a120, v10
	v_accvgpr_write_b32 a119, v9
	;; [unrolled: 1-line block ×3, first 2 shown]
	s_waitcnt vmcnt(15) lgkmcnt(1)
	v_mul_f64 v[10:11], v[132:133], v[34:35]
	v_fmac_f64_e32 v[10:11], v[134:135], v[32:33]
	v_accvgpr_write_b32 a125, v15
	v_add_f64 v[0:1], v[0:1], v[10:11]
	v_mul_f64 v[10:11], v[198:199], v[102:103]
	v_accvgpr_write_b32 a124, v14
	v_accvgpr_write_b32 a123, v13
	;; [unrolled: 1-line block ×3, first 2 shown]
	v_fma_f64 v[12:13], v[196:197], v[100:101], -v[10:11]
	scratch_load_dwordx4 v[100:103], off, off offset:816
	v_mul_f64 v[138:139], v[142:143], v[138:139]
	v_fma_f64 v[10:11], v[140:141], v[136:137], -v[138:139]
	ds_read_b128 v[136:139], v2 offset:1472
	ds_read_b128 v[140:143], v2 offset:1488
	s_waitcnt vmcnt(15) lgkmcnt(2)
	v_mul_f64 v[14:15], v[128:129], v[38:39]
	v_fmac_f64_e32 v[14:15], v[130:131], v[36:37]
	v_add_f64 v[0:1], v[0:1], v[14:15]
	s_waitcnt vmcnt(14) lgkmcnt(1)
	v_mul_f64 v[14:15], v[136:137], v[42:43]
	v_fmac_f64_e32 v[14:15], v[138:139], v[40:41]
	v_add_f64 v[0:1], v[0:1], v[14:15]
	v_mul_f64 v[14:15], v[154:155], v[146:147]
	v_fma_f64 v[14:15], v[152:153], v[144:145], -v[14:15]
	ds_read_b128 v[144:147], v2 offset:1504
	s_waitcnt vmcnt(13) lgkmcnt(1)
	v_mul_f64 v[152:153], v[140:141], v[46:47]
	v_mul_f64 v[150:151], v[202:203], v[150:151]
	v_fmac_f64_e32 v[152:153], v[142:143], v[44:45]
	v_fma_f64 v[8:9], v[200:201], v[148:149], -v[150:151]
	ds_read_b128 v[148:151], v2 offset:1520
	s_waitcnt vmcnt(12) lgkmcnt(1)
	v_mul_f64 v[18:19], v[144:145], v[50:51]
	v_add_f64 v[0:1], v[0:1], v[152:153]
	v_fmac_f64_e32 v[18:19], v[146:147], v[48:49]
	v_add_f64 v[0:1], v[0:1], v[18:19]
	ds_read_b128 v[152:155], v2 offset:1536
	v_mul_f64 v[18:19], v[166:167], v[158:159]
	v_fma_f64 v[18:19], v[164:165], v[156:157], -v[18:19]
	ds_read_b128 v[156:159], v2 offset:1552
	v_mul_f64 v[162:163], v[214:215], v[162:163]
	s_waitcnt vmcnt(11) lgkmcnt(2)
	v_mul_f64 v[164:165], v[148:149], v[54:55]
	v_fma_f64 v[6:7], v[212:213], v[160:161], -v[162:163]
	ds_read_b128 v[160:163], v2 offset:1568
	v_fmac_f64_e32 v[164:165], v[150:151], v[52:53]
	v_add_f64 v[0:1], v[0:1], v[164:165]
	s_waitcnt vmcnt(10) lgkmcnt(2)
	v_mul_f64 v[164:165], v[152:153], v[58:59]
	v_fmac_f64_e32 v[164:165], v[154:155], v[56:57]
	s_waitcnt vmcnt(9) lgkmcnt(1)
	v_mul_f64 v[22:23], v[156:157], v[62:63]
	v_add_f64 v[0:1], v[0:1], v[164:165]
	v_fmac_f64_e32 v[22:23], v[158:159], v[60:61]
	v_add_f64 v[0:1], v[0:1], v[22:23]
	ds_read_b128 v[164:167], v2 offset:1584
	s_waitcnt vmcnt(8) lgkmcnt(1)
	v_mul_f64 v[22:23], v[160:161], v[66:67]
	v_fmac_f64_e32 v[22:23], v[162:163], v[64:65]
	v_add_f64 v[0:1], v[0:1], v[22:23]
	v_mul_f64 v[22:23], v[190:191], v[170:171]
	v_fma_f64 v[22:23], v[188:189], v[168:169], -v[22:23]
	ds_read_b128 v[168:171], v2 offset:1600
	v_mul_f64 v[174:175], v[178:179], v[174:175]
	v_fma_f64 v[4:5], v[176:177], v[172:173], -v[174:175]
	ds_read_b128 v[172:175], v2 offset:1616
	s_waitcnt vmcnt(7) lgkmcnt(2)
	v_mul_f64 v[188:189], v[164:165], v[70:71]
	v_fmac_f64_e32 v[188:189], v[166:167], v[68:69]
	s_waitcnt vmcnt(6) lgkmcnt(1)
	v_mul_f64 v[26:27], v[168:169], v[74:75]
	ds_read_b128 v[176:179], v2 offset:1632
	v_add_f64 v[0:1], v[0:1], v[188:189]
	v_fmac_f64_e32 v[26:27], v[170:171], v[72:73]
	v_add_f64 v[0:1], v[0:1], v[26:27]
	s_waitcnt vmcnt(5) lgkmcnt(1)
	v_mul_f64 v[26:27], v[172:173], v[78:79]
	v_fmac_f64_e32 v[26:27], v[174:175], v[76:77]
	v_add_f64 v[0:1], v[0:1], v[26:27]
	v_mul_f64 v[26:27], v[230:231], v[182:183]
	v_fma_f64 v[26:27], v[228:229], v[180:181], -v[26:27]
	ds_read_b128 v[180:183], v2 offset:1648
	s_waitcnt vmcnt(4) lgkmcnt(1)
	v_mul_f64 v[188:189], v[176:177], v[82:83]
	v_fmac_f64_e32 v[188:189], v[178:179], v[80:81]
	v_add_f64 v[196:197], v[0:1], v[188:189]
	v_mul_f64 v[0:1], v[234:235], v[186:187]
	v_fma_f64 v[0:1], v[232:233], v[184:185], -v[0:1]
	ds_read_b128 v[184:187], v2 offset:1664
	ds_read_b128 v[188:191], v2 offset:1680
	s_waitcnt vmcnt(3) lgkmcnt(2)
	v_mul_f64 v[198:199], v[180:181], v[86:87]
	v_mul_f64 v[194:195], v[238:239], v[194:195]
	v_fmac_f64_e32 v[198:199], v[182:183], v[84:85]
	v_fma_f64 v[244:245], v[236:237], v[192:193], -v[194:195]
	ds_read_b128 v[192:195], v2 offset:1696
	ds_read_b128 v[200:203], v2 offset:1712
	v_add_f64 v[196:197], v[196:197], v[198:199]
	s_waitcnt vmcnt(2) lgkmcnt(3)
	v_mul_f64 v[198:199], v[184:185], v[98:99]
	v_fmac_f64_e32 v[198:199], v[186:187], v[96:97]
	v_add_f64 v[196:197], v[196:197], v[198:199]
	s_waitcnt vmcnt(1) lgkmcnt(2)
	v_mul_f64 v[198:199], v[188:189], v[94:95]
	v_fmac_f64_e32 v[198:199], v[190:191], v[92:93]
	v_add_f64 v[196:197], v[196:197], v[198:199]
	scratch_load_dwordx4 v[232:235], off, off offset:896
	s_waitcnt vmcnt(1) lgkmcnt(1)
	v_mul_f64 v[198:199], v[192:193], v[102:103]
	v_fmac_f64_e32 v[198:199], v[194:195], v[100:101]
	v_add_f64 v[204:205], v[196:197], v[198:199]
	scratch_load_dwordx4 v[196:199], off, off offset:832
	ds_read_b128 v[208:211], v2 offset:1728
	ds_read_b128 v[216:219], v2 offset:1744
	;; [unrolled: 1-line block ×3, first 2 shown]
	s_waitcnt vmcnt(0) lgkmcnt(3)
	v_mul_f64 v[206:207], v[200:201], v[198:199]
	v_fmac_f64_e32 v[206:207], v[202:203], v[196:197]
	v_add_f64 v[212:213], v[204:205], v[206:207]
	scratch_load_dwordx4 v[204:207], off, off offset:848
	s_waitcnt vmcnt(0) lgkmcnt(2)
	v_mul_f64 v[214:215], v[208:209], v[206:207]
	v_fmac_f64_e32 v[214:215], v[210:211], v[204:205]
	v_add_f64 v[220:221], v[212:213], v[214:215]
	scratch_load_dwordx4 v[212:215], off, off offset:864
	;; [unrolled: 5-line block ×3, first 2 shown]
	s_waitcnt vmcnt(0) lgkmcnt(0)
	v_mul_f64 v[230:231], v[224:225], v[222:223]
	v_fmac_f64_e32 v[230:231], v[226:227], v[220:221]
	v_add_f64 v[236:237], v[228:229], v[230:231]
	ds_read_b128 v[228:231], v2 offset:1776
	s_waitcnt lgkmcnt(0)
	v_mul_f64 v[2:3], v[228:229], v[234:235]
	v_fmac_f64_e32 v[2:3], v[230:231], v[232:233]
	v_add_f64 v[2:3], v[236:237], v[2:3]
	v_add_f64 v[236:237], v[240:241], 0
	v_add_f64 v[236:237], v[236:237], v[246:247]
	v_add_f64 v[236:237], v[236:237], v[248:249]
	v_add_f64 v[236:237], v[236:237], v[250:251]
	v_add_f64 v[236:237], v[236:237], v[252:253]
	v_add_f64 v[236:237], v[236:237], v[254:255]
	v_add_f64 v[236:237], v[236:237], v[242:243]
	v_add_f64 v[24:25], v[236:237], v[24:25]
	scratch_load_dwordx4 v[236:239], off, off offset:96
	v_add_f64 v[20:21], v[24:25], v[20:21]
	v_add_f64 v[16:17], v[20:21], v[16:17]
	;; [unrolled: 1-line block ×10, first 2 shown]
	v_accvgpr_read_b32 v6, a114
	v_accvgpr_read_b32 v8, a116
	;; [unrolled: 1-line block ×3, first 2 shown]
	v_add_f64 v[254:255], v[4:5], v[26:27]
	v_accvgpr_read_b32 v7, a115
	v_mul_f64 v[4:5], v[90:91], v[8:9]
	v_add_f64 v[0:1], v[254:255], v[0:1]
	v_fma_f64 v[4:5], v[88:89], v[6:7], -v[4:5]
	v_accvgpr_read_b32 v6, a118
	v_add_f64 v[0:1], v[0:1], v[244:245]
	v_accvgpr_read_b32 v8, a120
	v_accvgpr_read_b32 v9, a121
	v_add_f64 v[0:1], v[0:1], v[4:5]
	v_accvgpr_read_b32 v7, a119
	v_mul_f64 v[4:5], v[106:107], v[8:9]
	v_fma_f64 v[4:5], v[104:105], v[6:7], -v[4:5]
	v_accvgpr_read_b32 v6, a122
	v_accvgpr_read_b32 v8, a124
	v_accvgpr_read_b32 v9, a125
	v_add_f64 v[0:1], v[0:1], v[4:5]
	v_accvgpr_read_b32 v7, a123
	v_mul_f64 v[4:5], v[110:111], v[8:9]
	v_fma_f64 v[4:5], v[108:109], v[6:7], -v[4:5]
	v_accvgpr_read_b32 v6, a126
	;; [unrolled: 7-line block ×4, first 2 shown]
	v_accvgpr_read_b32 v8, a136
	v_accvgpr_read_b32 v9, a137
	v_add_f64 v[0:1], v[0:1], v[4:5]
	v_accvgpr_read_b32 v7, a135
	v_mul_f64 v[4:5], v[122:123], v[8:9]
	v_fma_f64 v[4:5], v[120:121], v[6:7], -v[4:5]
	v_add_f64 v[0:1], v[0:1], v[4:5]
	v_mul_f64 v[4:5], v[126:127], v[30:31]
	v_fma_f64 v[4:5], v[124:125], v[28:29], -v[4:5]
	v_add_f64 v[0:1], v[0:1], v[4:5]
	;; [unrolled: 3-line block ×24, first 2 shown]
	s_waitcnt vmcnt(0)
	v_add_f64 v[4:5], v[236:237], -v[0:1]
	v_accvgpr_read_b32 v0, a112
	v_add_f64 v[6:7], v[238:239], -v[2:3]
	v_cmp_lt_u32_e32 vcc, 4, v0
	scratch_store_dwordx4 off, v[4:7], off offset:96
	s_and_saveexec_b64 s[0:1], vcc
	s_cbranch_execz .LBB119_341
; %bb.340:
	scratch_load_dwordx4 v[2:5], off, s68
	v_mov_b32_e32 v6, 0
	v_mov_b32_e32 v7, v6
	;; [unrolled: 1-line block ×4, first 2 shown]
	v_accvgpr_read_b32 v0, a113
	scratch_store_dwordx4 off, v[6:9], off offset:80
	s_waitcnt vmcnt(1)
	ds_write_b128 v0, v[2:5]
.LBB119_341:
	s_or_b64 exec, exec, s[0:1]
	s_waitcnt lgkmcnt(0)
	; wave barrier
	scratch_load_dwordx4 v[48:51], off, off offset:96
	scratch_load_dwordx4 v[52:55], off, off offset:112
	scratch_load_dwordx4 v[56:59], off, off offset:128
	scratch_load_dwordx4 v[60:63], off, off offset:144
	scratch_load_dwordx4 v[64:67], off, off offset:160
	scratch_load_dwordx4 v[68:71], off, off offset:176
	scratch_load_dwordx4 v[72:75], off, off offset:192
	scratch_load_dwordx4 v[76:79], off, off offset:208
	scratch_load_dwordx4 v[80:83], off, off offset:224
	scratch_load_dwordx4 v[84:87], off, off offset:240
	scratch_load_dwordx4 v[92:95], off, off offset:256
	scratch_load_dwordx4 v[100:103], off, off offset:272
	scratch_load_dwordx4 v[108:111], off, off offset:288
	scratch_load_dwordx4 v[136:139], off, off offset:304
	scratch_load_dwordx4 v[140:143], off, off offset:320
	scratch_load_dwordx4 v[144:147], off, off offset:336
	scratch_load_dwordx4 v[152:155], off, off offset:352
	scratch_load_dwordx4 v[156:159], off, off offset:368
	scratch_load_dwordx4 v[164:167], off, off offset:384
	scratch_load_dwordx4 v[168:171], off, off offset:400
	scratch_load_dwordx4 v[176:179], off, off offset:416
	scratch_load_dwordx4 v[180:183], off, off offset:432
	scratch_load_dwordx4 v[188:191], off, off offset:448
	scratch_load_dwordx4 v[4:7], off, off offset:464
	scratch_load_dwordx4 v[8:11], off, off offset:480
	scratch_load_dwordx4 v[12:15], off, off offset:496
	scratch_load_dwordx4 v[16:19], off, off offset:512
	scratch_load_dwordx4 v[20:23], off, off offset:528
	v_mov_b32_e32 v2, 0
	ds_read_b128 v[104:107], v2 offset:976
	ds_read_b128 v[112:115], v2 offset:992
	;; [unrolled: 1-line block ×18, first 2 shown]
	scratch_load_dwordx4 a[114:117], off, off offset:544
	scratch_load_dwordx4 a[118:121], off, off offset:560
	ds_read_b128 v[220:223], v2 offset:1264
	ds_read_b128 v[224:227], v2 offset:1280
	;; [unrolled: 1-line block ×4, first 2 shown]
	scratch_load_dwordx4 v[234:237], off, off offset:576
	ds_read_b128 v[246:249], v2 offset:1328
	s_waitcnt vmcnt(30) lgkmcnt(14)
	v_mul_f64 v[0:1], v[104:105], v[50:51]
	s_waitcnt vmcnt(29)
	v_mul_f64 v[24:25], v[112:113], v[54:55]
	v_fmac_f64_e32 v[0:1], v[106:107], v[48:49]
	s_waitcnt vmcnt(28)
	v_mul_f64 v[26:27], v[116:117], v[58:59]
	v_fmac_f64_e32 v[24:25], v[114:115], v[52:53]
	v_add_f64 v[0:1], v[0:1], 0
	s_waitcnt vmcnt(27)
	v_mul_f64 v[28:29], v[120:121], v[62:63]
	v_fmac_f64_e32 v[26:27], v[118:119], v[56:57]
	v_add_f64 v[0:1], v[0:1], v[24:25]
	;; [unrolled: 4-line block ×7, first 2 shown]
	s_waitcnt vmcnt(21) lgkmcnt(13)
	v_mul_f64 v[40:41], v[172:173], v[86:87]
	v_fmac_f64_e32 v[38:39], v[162:163], v[80:81]
	v_add_f64 v[0:1], v[0:1], v[36:37]
	s_waitcnt vmcnt(20) lgkmcnt(12)
	v_mul_f64 v[42:43], v[184:185], v[94:95]
	v_fmac_f64_e32 v[40:41], v[174:175], v[84:85]
	v_add_f64 v[0:1], v[0:1], v[38:39]
	;; [unrolled: 4-line block ×8, first 2 shown]
	v_add_f64 v[0:1], v[0:1], v[96:97]
	v_fmac_f64_e32 v[98:99], v[214:215], v[152:153]
	s_waitcnt vmcnt(13) lgkmcnt(5)
	v_mul_f64 v[32:33], v[216:217], v[158:159]
	v_add_f64 v[0:1], v[0:1], v[98:99]
	v_fmac_f64_e32 v[32:33], v[218:219], v[156:157]
	v_add_f64 v[0:1], v[0:1], v[32:33]
	s_waitcnt vmcnt(12) lgkmcnt(4)
	v_mul_f64 v[32:33], v[220:221], v[166:167]
	v_fmac_f64_e32 v[32:33], v[222:223], v[164:165]
	s_waitcnt vmcnt(11) lgkmcnt(3)
	v_mul_f64 v[36:37], v[224:225], v[170:171]
	v_add_f64 v[0:1], v[0:1], v[32:33]
	v_fmac_f64_e32 v[36:37], v[226:227], v[168:169]
	v_add_f64 v[0:1], v[0:1], v[36:37]
	s_waitcnt vmcnt(10) lgkmcnt(2)
	v_mul_f64 v[36:37], v[228:229], v[178:179]
	v_fmac_f64_e32 v[36:37], v[230:231], v[176:177]
	v_add_f64 v[0:1], v[0:1], v[36:37]
	scratch_load_dwordx4 v[36:39], off, off offset:592
	s_waitcnt vmcnt(10) lgkmcnt(1)
	v_mul_f64 v[40:41], v[242:243], v[182:183]
	v_fmac_f64_e32 v[40:41], v[244:245], v[180:181]
	v_add_f64 v[0:1], v[0:1], v[40:41]
	scratch_load_dwordx4 v[40:43], off, off offset:608
	ds_read_b128 v[88:91], v2 offset:1344
	s_waitcnt vmcnt(10) lgkmcnt(1)
	v_mul_f64 v[44:45], v[246:247], v[190:191]
	v_fmac_f64_e32 v[44:45], v[248:249], v[188:189]
	v_add_f64 v[0:1], v[0:1], v[44:45]
	scratch_load_dwordx4 v[44:47], off, off offset:624
	v_mul_f64 v[50:51], v[106:107], v[50:51]
	v_fma_f64 v[240:241], v[104:105], v[48:49], -v[50:51]
	scratch_load_dwordx4 v[48:51], off, off offset:640
	s_waitcnt vmcnt(11) lgkmcnt(0)
	v_mul_f64 v[96:97], v[88:89], v[6:7]
	v_mul_f64 v[54:55], v[114:115], v[54:55]
	v_fmac_f64_e32 v[96:97], v[90:91], v[4:5]
	v_fma_f64 v[250:251], v[112:113], v[52:53], -v[54:55]
	scratch_load_dwordx4 v[52:55], off, off offset:656
	v_add_f64 v[0:1], v[0:1], v[96:97]
	ds_read_b128 v[96:99], v2 offset:1360
	ds_read_b128 v[104:107], v2 offset:1376
	v_accvgpr_write_b32 a125, v7
	v_accvgpr_write_b32 a124, v6
	;; [unrolled: 1-line block ×4, first 2 shown]
	s_waitcnt vmcnt(11)
	v_mov_b64_e32 v[4:5], v[8:9]
	v_mov_b64_e32 v[6:7], v[10:11]
	v_mul_f64 v[58:59], v[118:119], v[58:59]
	s_waitcnt lgkmcnt(1)
	v_mul_f64 v[112:113], v[96:97], v[6:7]
	v_fma_f64 v[252:253], v[116:117], v[56:57], -v[58:59]
	scratch_load_dwordx4 v[56:59], off, off offset:672
	v_fmac_f64_e32 v[112:113], v[98:99], v[4:5]
	s_waitcnt vmcnt(11)
	v_mov_b64_e32 v[4:5], v[12:13]
	v_mul_f64 v[62:63], v[122:123], v[62:63]
	v_mov_b64_e32 v[6:7], v[14:15]
	v_fma_f64 v[254:255], v[120:121], v[60:61], -v[62:63]
	scratch_load_dwordx4 v[60:63], off, off offset:688
	v_add_f64 v[0:1], v[0:1], v[112:113]
	s_waitcnt lgkmcnt(0)
	v_mul_f64 v[112:113], v[104:105], v[6:7]
	v_fmac_f64_e32 v[112:113], v[106:107], v[4:5]
	v_mul_f64 v[66:67], v[126:127], v[66:67]
	v_add_f64 v[0:1], v[0:1], v[112:113]
	ds_read_b128 v[112:115], v2 offset:1392
	ds_read_b128 v[116:119], v2 offset:1408
	v_fma_f64 v[232:233], v[124:125], v[64:65], -v[66:67]
	scratch_load_dwordx4 v[64:67], off, off offset:704
	v_accvgpr_write_b32 a129, v11
	v_accvgpr_write_b32 a128, v10
	;; [unrolled: 1-line block ×4, first 2 shown]
	s_waitcnt vmcnt(12)
	v_mov_b64_e32 v[8:9], v[16:17]
	v_mov_b64_e32 v[10:11], v[18:19]
	v_mul_f64 v[70:71], v[130:131], v[70:71]
	s_waitcnt lgkmcnt(1)
	v_mul_f64 v[6:7], v[112:113], v[10:11]
	v_fma_f64 v[32:33], v[128:129], v[68:69], -v[70:71]
	scratch_load_dwordx4 v[68:71], off, off offset:720
	v_fmac_f64_e32 v[6:7], v[114:115], v[8:9]
	v_add_f64 v[0:1], v[0:1], v[6:7]
	v_mul_f64 v[6:7], v[134:135], v[74:75]
	v_fma_f64 v[28:29], v[132:133], v[72:73], -v[6:7]
	s_waitcnt vmcnt(12)
	v_mov_b64_e32 v[8:9], v[20:21]
	scratch_load_dwordx4 v[72:75], off, off offset:736
	v_mov_b64_e32 v[10:11], v[22:23]
	s_waitcnt lgkmcnt(0)
	v_mul_f64 v[6:7], v[116:117], v[10:11]
	v_fmac_f64_e32 v[6:7], v[118:119], v[8:9]
	v_add_f64 v[0:1], v[0:1], v[6:7]
	v_mul_f64 v[6:7], v[150:151], v[78:79]
	v_fma_f64 v[24:25], v[148:149], v[76:77], -v[6:7]
	scratch_load_dwordx4 v[76:79], off, off offset:752
	ds_read_b128 v[124:127], v2 offset:1424
	ds_read_b128 v[120:123], v2 offset:1440
	v_accvgpr_write_b32 a141, v23
	v_mul_f64 v[6:7], v[162:163], v[82:83]
	v_accvgpr_write_b32 a137, v19
	v_accvgpr_write_b32 a140, v22
	;; [unrolled: 1-line block ×4, first 2 shown]
	v_fma_f64 v[20:21], v[160:161], v[80:81], -v[6:7]
	v_mul_f64 v[6:7], v[174:175], v[86:87]
	s_waitcnt vmcnt(13)
	v_accvgpr_read_b32 v8, a114
	v_accvgpr_write_b32 a136, v18
	v_accvgpr_write_b32 a135, v17
	;; [unrolled: 1-line block ×3, first 2 shown]
	v_fma_f64 v[16:17], v[172:173], v[84:85], -v[6:7]
	scratch_load_dwordx4 v[84:87], off, off offset:768
	scratch_load_dwordx4 v[80:83], off, off offset:784
	v_accvgpr_read_b32 v10, a116
	v_accvgpr_read_b32 v11, a117
	v_accvgpr_read_b32 v9, a115
	s_waitcnt lgkmcnt(1)
	v_mul_f64 v[6:7], v[124:125], v[10:11]
	v_fmac_f64_e32 v[6:7], v[126:127], v[8:9]
	s_waitcnt vmcnt(14)
	v_accvgpr_read_b32 v8, a118
	v_accvgpr_read_b32 v10, a120
	;; [unrolled: 1-line block ×3, first 2 shown]
	v_add_f64 v[0:1], v[0:1], v[6:7]
	v_accvgpr_read_b32 v9, a119
	s_waitcnt lgkmcnt(0)
	v_mul_f64 v[6:7], v[120:121], v[10:11]
	v_fmac_f64_e32 v[6:7], v[122:123], v[8:9]
	v_accvgpr_write_b32 a133, v15
	v_add_f64 v[0:1], v[0:1], v[6:7]
	v_mul_f64 v[6:7], v[186:187], v[94:95]
	v_accvgpr_write_b32 a132, v14
	v_accvgpr_write_b32 a131, v13
	;; [unrolled: 1-line block ×3, first 2 shown]
	v_fma_f64 v[14:15], v[184:185], v[92:93], -v[6:7]
	scratch_load_dwordx4 v[92:95], off, off offset:800
	v_mul_f64 v[6:7], v[194:195], v[102:103]
	v_fma_f64 v[18:19], v[192:193], v[100:101], -v[6:7]
	scratch_load_dwordx4 v[100:103], off, off offset:816
	v_mul_f64 v[6:7], v[198:199], v[110:111]
	v_fma_f64 v[12:13], v[196:197], v[108:109], -v[6:7]
	scratch_load_dwordx4 v[108:111], off, off offset:832
	ds_read_b128 v[128:131], v2 offset:1456
	ds_read_b128 v[132:135], v2 offset:1472
	;; [unrolled: 1-line block ×5, first 2 shown]
	s_waitcnt vmcnt(16) lgkmcnt(4)
	v_mul_f64 v[6:7], v[128:129], v[236:237]
	v_fmac_f64_e32 v[6:7], v[130:131], v[234:235]
	v_add_f64 v[0:1], v[0:1], v[6:7]
	v_mul_f64 v[6:7], v[202:203], v[138:139]
	v_fma_f64 v[22:23], v[200:201], v[136:137], -v[6:7]
	ds_read_b128 v[136:139], v2 offset:1488
	s_waitcnt vmcnt(15) lgkmcnt(4)
	v_mul_f64 v[6:7], v[132:133], v[38:39]
	v_fmac_f64_e32 v[6:7], v[134:135], v[36:37]
	v_add_f64 v[0:1], v[0:1], v[6:7]
	v_mul_f64 v[6:7], v[206:207], v[142:143]
	v_fma_f64 v[10:11], v[204:205], v[140:141], -v[6:7]
	ds_read_b128 v[140:143], v2 offset:1504
	s_waitcnt vmcnt(14) lgkmcnt(1)
	v_mul_f64 v[6:7], v[136:137], v[42:43]
	v_fmac_f64_e32 v[6:7], v[138:139], v[40:41]
	v_add_f64 v[0:1], v[0:1], v[6:7]
	v_mul_f64 v[6:7], v[210:211], v[146:147]
	v_fma_f64 v[26:27], v[208:209], v[144:145], -v[6:7]
	ds_read_b128 v[144:147], v2 offset:1520
	s_waitcnt vmcnt(13) lgkmcnt(1)
	v_mul_f64 v[6:7], v[140:141], v[46:47]
	v_fmac_f64_e32 v[6:7], v[142:143], v[44:45]
	v_add_f64 v[0:1], v[0:1], v[6:7]
	v_mul_f64 v[182:183], v[244:245], v[182:183]
	s_waitcnt vmcnt(12) lgkmcnt(0)
	v_mul_f64 v[6:7], v[144:145], v[50:51]
	v_fmac_f64_e32 v[6:7], v[146:147], v[48:49]
	v_add_f64 v[0:1], v[0:1], v[6:7]
	v_mul_f64 v[6:7], v[214:215], v[154:155]
	v_fma_f64 v[8:9], v[212:213], v[152:153], -v[6:7]
	s_waitcnt vmcnt(11)
	v_mul_f64 v[6:7], v[148:149], v[54:55]
	v_fmac_f64_e32 v[6:7], v[150:151], v[52:53]
	ds_read_b128 v[152:155], v2 offset:1552
	v_add_f64 v[0:1], v[0:1], v[6:7]
	v_mul_f64 v[6:7], v[218:219], v[158:159]
	v_fma_f64 v[30:31], v[216:217], v[156:157], -v[6:7]
	ds_read_b128 v[156:159], v2 offset:1568
	s_waitcnt vmcnt(10) lgkmcnt(1)
	v_mul_f64 v[6:7], v[152:153], v[58:59]
	v_fmac_f64_e32 v[6:7], v[154:155], v[56:57]
	v_add_f64 v[0:1], v[0:1], v[6:7]
	s_waitcnt vmcnt(5)
	v_mul_f64 v[184:185], v[172:173], v[78:79]
	s_waitcnt lgkmcnt(0)
	v_mul_f64 v[6:7], v[156:157], v[62:63]
	v_fmac_f64_e32 v[6:7], v[158:159], v[60:61]
	v_add_f64 v[0:1], v[0:1], v[6:7]
	v_mul_f64 v[6:7], v[222:223], v[166:167]
	v_fma_f64 v[4:5], v[220:221], v[164:165], -v[6:7]
	ds_read_b128 v[164:167], v2 offset:1600
	v_mul_f64 v[6:7], v[160:161], v[66:67]
	v_fmac_f64_e32 v[6:7], v[162:163], v[64:65]
	v_add_f64 v[0:1], v[0:1], v[6:7]
	v_mul_f64 v[6:7], v[226:227], v[170:171]
	v_fma_f64 v[6:7], v[224:225], v[168:169], -v[6:7]
	ds_read_b128 v[168:171], v2 offset:1616
	s_waitcnt lgkmcnt(1)
	v_mul_f64 v[34:35], v[164:165], v[70:71]
	v_fmac_f64_e32 v[34:35], v[166:167], v[68:69]
	v_add_f64 v[0:1], v[0:1], v[34:35]
	v_fmac_f64_e32 v[184:185], v[174:175], v[76:77]
	s_waitcnt lgkmcnt(0)
	v_mul_f64 v[34:35], v[168:169], v[74:75]
	v_fmac_f64_e32 v[34:35], v[170:171], v[72:73]
	v_add_f64 v[34:35], v[0:1], v[34:35]
	v_mul_f64 v[0:1], v[230:231], v[178:179]
	v_fma_f64 v[0:1], v[228:229], v[176:177], -v[0:1]
	ds_read_b128 v[176:179], v2 offset:1648
	v_fma_f64 v[238:239], v[242:243], v[180:181], -v[182:183]
	ds_read_b128 v[180:183], v2 offset:1664
	v_add_f64 v[34:35], v[34:35], v[184:185]
	v_mul_f64 v[190:191], v[248:249], v[190:191]
	s_waitcnt vmcnt(4) lgkmcnt(1)
	v_mul_f64 v[184:185], v[176:177], v[86:87]
	v_fmac_f64_e32 v[184:185], v[178:179], v[84:85]
	v_add_f64 v[34:35], v[34:35], v[184:185]
	ds_read_b128 v[184:187], v2 offset:1680
	v_fma_f64 v[242:243], v[246:247], v[188:189], -v[190:191]
	ds_read_b128 v[188:191], v2 offset:1696
	s_waitcnt vmcnt(3) lgkmcnt(2)
	v_mul_f64 v[192:193], v[180:181], v[82:83]
	v_fmac_f64_e32 v[192:193], v[182:183], v[80:81]
	v_add_f64 v[34:35], v[34:35], v[192:193]
	s_waitcnt vmcnt(2) lgkmcnt(1)
	v_mul_f64 v[192:193], v[184:185], v[94:95]
	v_fmac_f64_e32 v[192:193], v[186:187], v[92:93]
	v_add_f64 v[34:35], v[34:35], v[192:193]
	;; [unrolled: 4-line block ×3, first 2 shown]
	ds_read_b128 v[192:195], v2 offset:1712
	ds_read_b128 v[200:203], v2 offset:1728
	;; [unrolled: 1-line block ×5, first 2 shown]
	s_waitcnt vmcnt(0) lgkmcnt(4)
	v_mul_f64 v[196:197], v[192:193], v[110:111]
	v_fmac_f64_e32 v[196:197], v[194:195], v[108:109]
	v_add_f64 v[34:35], v[34:35], v[196:197]
	scratch_load_dwordx4 v[196:199], off, off offset:848
	s_waitcnt vmcnt(0) lgkmcnt(3)
	v_mul_f64 v[204:205], v[200:201], v[198:199]
	v_fmac_f64_e32 v[204:205], v[202:203], v[196:197]
	v_add_f64 v[34:35], v[34:35], v[204:205]
	scratch_load_dwordx4 v[204:207], off, off offset:864
	;; [unrolled: 5-line block ×4, first 2 shown]
	s_waitcnt vmcnt(0) lgkmcnt(0)
	v_mul_f64 v[228:229], v[224:225], v[222:223]
	v_fmac_f64_e32 v[228:229], v[226:227], v[220:221]
	v_add_f64 v[246:247], v[34:35], v[228:229]
	v_add_f64 v[34:35], v[240:241], 0
	;; [unrolled: 1-line block ×6, first 2 shown]
	scratch_load_dwordx4 v[228:231], off, off offset:80
	v_add_f64 v[32:33], v[34:35], v[32:33]
	v_add_f64 v[28:29], v[32:33], v[28:29]
	;; [unrolled: 1-line block ×15, first 2 shown]
	v_accvgpr_read_b32 v6, a122
	v_accvgpr_read_b32 v8, a124
	;; [unrolled: 1-line block ×3, first 2 shown]
	v_add_f64 v[0:1], v[4:5], v[0:1]
	v_accvgpr_read_b32 v7, a123
	v_mul_f64 v[4:5], v[90:91], v[8:9]
	v_add_f64 v[0:1], v[0:1], v[238:239]
	v_fma_f64 v[4:5], v[88:89], v[6:7], -v[4:5]
	v_accvgpr_read_b32 v6, a126
	v_add_f64 v[0:1], v[0:1], v[242:243]
	v_accvgpr_read_b32 v8, a128
	v_accvgpr_read_b32 v9, a129
	v_add_f64 v[0:1], v[0:1], v[4:5]
	v_accvgpr_read_b32 v7, a127
	v_mul_f64 v[4:5], v[98:99], v[8:9]
	v_fma_f64 v[4:5], v[96:97], v[6:7], -v[4:5]
	v_accvgpr_read_b32 v6, a130
	v_accvgpr_read_b32 v8, a132
	v_accvgpr_read_b32 v9, a133
	v_add_f64 v[0:1], v[0:1], v[4:5]
	v_accvgpr_read_b32 v7, a131
	v_mul_f64 v[4:5], v[106:107], v[8:9]
	v_fma_f64 v[4:5], v[104:105], v[6:7], -v[4:5]
	v_accvgpr_read_b32 v6, a134
	;; [unrolled: 7-line block ×5, first 2 shown]
	v_accvgpr_read_b32 v8, a120
	v_accvgpr_read_b32 v9, a121
	v_add_f64 v[0:1], v[0:1], v[4:5]
	v_accvgpr_read_b32 v7, a119
	v_mul_f64 v[4:5], v[122:123], v[8:9]
	v_fma_f64 v[4:5], v[120:121], v[6:7], -v[4:5]
	v_add_f64 v[0:1], v[0:1], v[4:5]
	v_mul_f64 v[4:5], v[130:131], v[236:237]
	v_fma_f64 v[4:5], v[128:129], v[234:235], -v[4:5]
	v_add_f64 v[0:1], v[0:1], v[4:5]
	;; [unrolled: 3-line block ×22, first 2 shown]
	s_waitcnt vmcnt(0)
	v_add_f64 v[4:5], v[228:229], -v[0:1]
	v_accvgpr_read_b32 v0, a112
	v_add_f64 v[6:7], v[230:231], -v[246:247]
	v_cmp_lt_u32_e32 vcc, 3, v0
	scratch_store_dwordx4 off, v[4:7], off offset:80
	s_and_saveexec_b64 s[0:1], vcc
	s_cbranch_execz .LBB119_343
; %bb.342:
	scratch_load_dwordx4 v[6:9], off, s69
	v_mov_b32_e32 v3, v2
	v_mov_b32_e32 v4, v2
	;; [unrolled: 1-line block ×3, first 2 shown]
	v_accvgpr_read_b32 v0, a113
	scratch_store_dwordx4 off, v[2:5], off offset:64
	s_waitcnt vmcnt(1)
	ds_write_b128 v0, v[6:9]
.LBB119_343:
	s_or_b64 exec, exec, s[0:1]
	s_waitcnt lgkmcnt(0)
	; wave barrier
	scratch_load_dwordx4 v[48:51], off, off offset:80
	scratch_load_dwordx4 v[52:55], off, off offset:96
	scratch_load_dwordx4 v[56:59], off, off offset:112
	scratch_load_dwordx4 v[60:63], off, off offset:128
	scratch_load_dwordx4 v[64:67], off, off offset:144
	scratch_load_dwordx4 v[68:71], off, off offset:160
	scratch_load_dwordx4 v[72:75], off, off offset:176
	scratch_load_dwordx4 v[76:79], off, off offset:192
	scratch_load_dwordx4 v[80:83], off, off offset:208
	scratch_load_dwordx4 v[84:87], off, off offset:224
	scratch_load_dwordx4 v[92:95], off, off offset:240
	scratch_load_dwordx4 v[100:103], off, off offset:256
	scratch_load_dwordx4 v[108:111], off, off offset:272
	scratch_load_dwordx4 v[136:139], off, off offset:288
	scratch_load_dwordx4 v[140:143], off, off offset:304
	scratch_load_dwordx4 v[144:147], off, off offset:320
	scratch_load_dwordx4 v[152:155], off, off offset:336
	scratch_load_dwordx4 v[156:159], off, off offset:352
	ds_read_b128 v[104:107], v2 offset:960
	ds_read_b128 v[208:211], v2 offset:976
	ds_read_b128 v[196:199], v2 offset:992
	ds_read_b128 v[112:115], v2 offset:1008
	ds_read_b128 v[120:123], v2 offset:1024
	ds_read_b128 v[116:119], v2 offset:1040
	scratch_load_dwordx4 v[164:167], off, off offset:368
	ds_read_b128 v[192:195], v2 offset:1056
	ds_read_b128 v[124:127], v2 offset:1072
	scratch_load_dwordx4 v[168:171], off, off offset:384
	ds_read_b128 v[212:215], v2 offset:1088
	ds_read_b128 v[204:207], v2 offset:1104
	;; [unrolled: 1-line block ×5, first 2 shown]
	scratch_load_dwordx4 v[176:179], off, off offset:400
	ds_read_b128 v[200:203], v2 offset:1168
	ds_read_b128 v[172:175], v2 offset:1184
	scratch_load_dwordx4 v[180:183], off, off offset:416
	ds_read_b128 v[216:219], v2 offset:1200
	ds_read_b128 v[184:187], v2 offset:1216
	ds_read_b128 v[160:163], v2 offset:1232
	scratch_load_dwordx4 v[188:191], off, off offset:432
	scratch_load_dwordx4 v[4:7], off, off offset:448
	;; [unrolled: 1-line block ×8, first 2 shown]
	ds_read_b128 v[220:223], v2 offset:1248
	ds_read_b128 v[224:227], v2 offset:1264
	;; [unrolled: 1-line block ×5, first 2 shown]
	s_waitcnt vmcnt(29) lgkmcnt(14)
	v_mul_f64 v[0:1], v[104:105], v[50:51]
	s_waitcnt vmcnt(28)
	v_mul_f64 v[24:25], v[208:209], v[54:55]
	v_fmac_f64_e32 v[0:1], v[106:107], v[48:49]
	s_waitcnt vmcnt(27)
	v_mul_f64 v[26:27], v[196:197], v[58:59]
	v_fmac_f64_e32 v[24:25], v[210:211], v[52:53]
	v_add_f64 v[0:1], v[0:1], 0
	s_waitcnt vmcnt(26)
	v_mul_f64 v[28:29], v[112:113], v[62:63]
	v_fmac_f64_e32 v[26:27], v[198:199], v[56:57]
	v_add_f64 v[0:1], v[0:1], v[24:25]
	;; [unrolled: 4-line block ×7, first 2 shown]
	s_waitcnt vmcnt(20) lgkmcnt(13)
	v_mul_f64 v[40:41], v[204:205], v[86:87]
	v_fmac_f64_e32 v[38:39], v[214:215], v[80:81]
	v_add_f64 v[0:1], v[0:1], v[36:37]
	s_waitcnt vmcnt(19) lgkmcnt(12)
	v_mul_f64 v[42:43], v[128:129], v[94:95]
	v_fmac_f64_e32 v[40:41], v[206:207], v[84:85]
	v_add_f64 v[0:1], v[0:1], v[38:39]
	;; [unrolled: 4-line block ×8, first 2 shown]
	v_fmac_f64_e32 v[98:99], v[186:187], v[152:153]
	v_add_f64 v[0:1], v[0:1], v[96:97]
	s_waitcnt vmcnt(12) lgkmcnt(5)
	v_mul_f64 v[32:33], v[160:161], v[158:159]
	v_add_f64 v[0:1], v[0:1], v[98:99]
	v_fmac_f64_e32 v[32:33], v[162:163], v[156:157]
	v_add_f64 v[0:1], v[0:1], v[32:33]
	s_waitcnt vmcnt(11) lgkmcnt(4)
	v_mul_f64 v[32:33], v[220:221], v[166:167]
	v_fmac_f64_e32 v[32:33], v[222:223], v[164:165]
	v_add_f64 v[0:1], v[0:1], v[32:33]
	scratch_load_dwordx4 v[32:35], off, off offset:560
	s_waitcnt vmcnt(11) lgkmcnt(3)
	v_mul_f64 v[36:37], v[224:225], v[170:171]
	v_fmac_f64_e32 v[36:37], v[226:227], v[168:169]
	v_add_f64 v[0:1], v[0:1], v[36:37]
	s_waitcnt vmcnt(10) lgkmcnt(2)
	v_mul_f64 v[36:37], v[228:229], v[178:179]
	v_fmac_f64_e32 v[36:37], v[230:231], v[176:177]
	v_add_f64 v[0:1], v[0:1], v[36:37]
	scratch_load_dwordx4 v[36:39], off, off offset:576
	s_waitcnt vmcnt(10) lgkmcnt(1)
	v_mul_f64 v[40:41], v[232:233], v[182:183]
	v_fmac_f64_e32 v[40:41], v[234:235], v[180:181]
	ds_read_b128 v[88:91], v2 offset:1328
	s_waitcnt vmcnt(9) lgkmcnt(1)
	v_mul_f64 v[44:45], v[236:237], v[190:191]
	v_add_f64 v[0:1], v[0:1], v[40:41]
	scratch_load_dwordx4 v[40:43], off, off offset:592
	v_fmac_f64_e32 v[44:45], v[238:239], v[188:189]
	v_add_f64 v[0:1], v[0:1], v[44:45]
	scratch_load_dwordx4 v[44:47], off, off offset:608
	v_mul_f64 v[50:51], v[106:107], v[50:51]
	v_fma_f64 v[240:241], v[104:105], v[48:49], -v[50:51]
	scratch_load_dwordx4 v[48:51], off, off offset:624
	s_waitcnt vmcnt(11) lgkmcnt(0)
	v_mul_f64 v[96:97], v[88:89], v[6:7]
	v_mul_f64 v[54:55], v[210:211], v[54:55]
	v_fmac_f64_e32 v[96:97], v[90:91], v[4:5]
	v_fma_f64 v[246:247], v[208:209], v[52:53], -v[54:55]
	scratch_load_dwordx4 v[52:55], off, off offset:640
	v_mul_f64 v[58:59], v[198:199], v[58:59]
	v_add_f64 v[0:1], v[0:1], v[96:97]
	ds_read_b128 v[96:99], v2 offset:1344
	ds_read_b128 v[104:107], v2 offset:1360
	v_fma_f64 v[248:249], v[196:197], v[56:57], -v[58:59]
	scratch_load_dwordx4 v[56:59], off, off offset:656
	v_mul_f64 v[62:63], v[114:115], v[62:63]
	v_accvgpr_write_b32 a125, v7
	v_fma_f64 v[250:251], v[112:113], v[60:61], -v[62:63]
	scratch_load_dwordx4 v[60:63], off, off offset:672
	v_accvgpr_write_b32 a124, v6
	v_accvgpr_write_b32 a123, v5
	;; [unrolled: 1-line block ×3, first 2 shown]
	s_waitcnt vmcnt(13)
	v_mov_b64_e32 v[4:5], v[8:9]
	v_mov_b64_e32 v[6:7], v[10:11]
	s_waitcnt lgkmcnt(1)
	v_mul_f64 v[208:209], v[96:97], v[6:7]
	v_fmac_f64_e32 v[208:209], v[98:99], v[4:5]
	s_waitcnt vmcnt(12)
	v_mov_b64_e32 v[4:5], v[12:13]
	ds_read_b128 v[112:115], v2 offset:1376
	v_mov_b64_e32 v[6:7], v[14:15]
	s_waitcnt lgkmcnt(1)
	v_mul_f64 v[196:197], v[104:105], v[6:7]
	v_mul_f64 v[66:67], v[122:123], v[66:67]
	;; [unrolled: 1-line block ×3, first 2 shown]
	v_fmac_f64_e32 v[196:197], v[106:107], v[4:5]
	v_fma_f64 v[252:253], v[120:121], v[64:65], -v[66:67]
	scratch_load_dwordx4 v[64:67], off, off offset:688
	v_fma_f64 v[254:255], v[116:117], v[68:69], -v[70:71]
	ds_read_b128 v[116:119], v2 offset:1392
	s_waitcnt vmcnt(12)
	v_mov_b64_e32 v[4:5], v[16:17]
	v_mov_b64_e32 v[6:7], v[18:19]
	scratch_load_dwordx4 v[68:71], off, off offset:704
	s_waitcnt lgkmcnt(1)
	v_mul_f64 v[120:121], v[112:113], v[6:7]
	v_mul_f64 v[74:75], v[194:195], v[74:75]
	v_add_f64 v[0:1], v[0:1], v[208:209]
	v_fmac_f64_e32 v[120:121], v[114:115], v[4:5]
	v_fma_f64 v[242:243], v[192:193], v[72:73], -v[74:75]
	s_waitcnt vmcnt(12)
	v_mov_b64_e32 v[4:5], v[20:21]
	scratch_load_dwordx4 v[72:75], off, off offset:720
	v_add_f64 v[0:1], v[0:1], v[196:197]
	v_mov_b64_e32 v[6:7], v[22:23]
	v_add_f64 v[0:1], v[0:1], v[120:121]
	s_waitcnt lgkmcnt(0)
	v_mul_f64 v[120:121], v[116:117], v[6:7]
	v_fmac_f64_e32 v[120:121], v[118:119], v[4:5]
	v_mul_f64 v[78:79], v[126:127], v[78:79]
	v_add_f64 v[0:1], v[0:1], v[120:121]
	v_fma_f64 v[28:29], v[124:125], v[76:77], -v[78:79]
	scratch_load_dwordx4 v[76:79], off, off offset:736
	ds_read_b128 v[124:127], v2 offset:1408
	ds_read_b128 v[120:123], v2 offset:1424
	v_mul_f64 v[6:7], v[214:215], v[82:83]
	v_fma_f64 v[24:25], v[212:213], v[80:81], -v[6:7]
	s_waitcnt vmcnt(13)
	v_accvgpr_read_b32 v4, a114
	v_accvgpr_write_b32 a129, v11
	v_accvgpr_write_b32 a141, v23
	v_mul_f64 v[80:81], v[206:207], v[86:87]
	v_accvgpr_read_b32 v6, a116
	v_accvgpr_read_b32 v7, a117
	v_accvgpr_write_b32 a128, v10
	v_accvgpr_write_b32 a127, v9
	;; [unrolled: 1-line block ×6, first 2 shown]
	v_fma_f64 v[20:21], v[204:205], v[84:85], -v[80:81]
	scratch_load_dwordx4 v[84:87], off, off offset:752
	v_accvgpr_read_b32 v5, a115
	s_waitcnt lgkmcnt(1)
	v_mul_f64 v[10:11], v[124:125], v[6:7]
	v_fmac_f64_e32 v[10:11], v[126:127], v[4:5]
	s_waitcnt vmcnt(13)
	v_accvgpr_read_b32 v4, a118
	v_accvgpr_read_b32 v6, a120
	;; [unrolled: 1-line block ×3, first 2 shown]
	v_add_f64 v[0:1], v[0:1], v[10:11]
	v_accvgpr_read_b32 v5, a119
	s_waitcnt lgkmcnt(0)
	v_mul_f64 v[10:11], v[120:121], v[6:7]
	v_fmac_f64_e32 v[10:11], v[122:123], v[4:5]
	v_accvgpr_write_b32 a137, v19
	scratch_load_dwordx4 v[80:83], off, off offset:768
	v_add_f64 v[0:1], v[0:1], v[10:11]
	v_mul_f64 v[10:11], v[130:131], v[94:95]
	v_accvgpr_write_b32 a133, v15
	v_accvgpr_write_b32 a136, v18
	;; [unrolled: 1-line block ×4, first 2 shown]
	v_fma_f64 v[16:17], v[128:129], v[92:93], -v[10:11]
	v_mul_f64 v[92:93], v[134:135], v[102:103]
	v_accvgpr_write_b32 a132, v14
	v_accvgpr_write_b32 a131, v13
	;; [unrolled: 1-line block ×3, first 2 shown]
	v_fma_f64 v[12:13], v[132:133], v[100:101], -v[92:93]
	scratch_load_dwordx4 v[92:95], off, off offset:784
	ds_read_b128 v[128:131], v2 offset:1440
	ds_read_b128 v[132:135], v2 offset:1456
	scratch_load_dwordx4 v[100:103], off, off offset:800
	v_mul_f64 v[14:15], v[150:151], v[110:111]
	v_fma_f64 v[14:15], v[148:149], v[108:109], -v[14:15]
	s_waitcnt vmcnt(15) lgkmcnt(1)
	v_mul_f64 v[108:109], v[128:129], v[34:35]
	v_fmac_f64_e32 v[108:109], v[130:131], v[32:33]
	v_add_f64 v[0:1], v[0:1], v[108:109]
	v_mul_f64 v[108:109], v[202:203], v[138:139]
	v_fma_f64 v[10:11], v[200:201], v[136:137], -v[108:109]
	scratch_load_dwordx4 v[108:111], off, off offset:816
	s_waitcnt vmcnt(15) lgkmcnt(0)
	v_mul_f64 v[18:19], v[132:133], v[38:39]
	v_fmac_f64_e32 v[18:19], v[134:135], v[36:37]
	ds_read_b128 v[136:139], v2 offset:1472
	v_add_f64 v[0:1], v[0:1], v[18:19]
	v_mul_f64 v[18:19], v[174:175], v[142:143]
	v_fma_f64 v[18:19], v[172:173], v[140:141], -v[18:19]
	ds_read_b128 v[140:143], v2 offset:1488
	v_mul_f64 v[146:147], v[218:219], v[146:147]
	v_fma_f64 v[8:9], v[216:217], v[144:145], -v[146:147]
	ds_read_b128 v[144:147], v2 offset:1504
	s_waitcnt vmcnt(14) lgkmcnt(2)
	v_mul_f64 v[148:149], v[136:137], v[42:43]
	v_fmac_f64_e32 v[148:149], v[138:139], v[40:41]
	s_waitcnt vmcnt(13) lgkmcnt(1)
	v_mul_f64 v[22:23], v[140:141], v[46:47]
	v_add_f64 v[0:1], v[0:1], v[148:149]
	v_fmac_f64_e32 v[22:23], v[142:143], v[44:45]
	ds_read_b128 v[148:151], v2 offset:1520
	v_add_f64 v[0:1], v[0:1], v[22:23]
	s_waitcnt vmcnt(12) lgkmcnt(1)
	v_mul_f64 v[22:23], v[144:145], v[50:51]
	v_fmac_f64_e32 v[22:23], v[146:147], v[48:49]
	v_add_f64 v[0:1], v[0:1], v[22:23]
	v_mul_f64 v[22:23], v[186:187], v[154:155]
	v_fma_f64 v[22:23], v[184:185], v[152:153], -v[22:23]
	ds_read_b128 v[152:155], v2 offset:1536
	v_mul_f64 v[158:159], v[162:163], v[158:159]
	v_fma_f64 v[6:7], v[160:161], v[156:157], -v[158:159]
	ds_read_b128 v[156:159], v2 offset:1552
	s_waitcnt vmcnt(11) lgkmcnt(2)
	v_mul_f64 v[172:173], v[148:149], v[54:55]
	v_fmac_f64_e32 v[172:173], v[150:151], v[52:53]
	s_waitcnt vmcnt(10) lgkmcnt(1)
	v_mul_f64 v[26:27], v[152:153], v[58:59]
	v_add_f64 v[0:1], v[0:1], v[172:173]
	v_fmac_f64_e32 v[26:27], v[154:155], v[56:57]
	v_add_f64 v[0:1], v[0:1], v[26:27]
	s_waitcnt vmcnt(9) lgkmcnt(0)
	v_mul_f64 v[26:27], v[156:157], v[62:63]
	v_fmac_f64_e32 v[26:27], v[158:159], v[60:61]
	ds_read_b128 v[160:163], v2 offset:1568
	v_add_f64 v[0:1], v[0:1], v[26:27]
	v_mul_f64 v[26:27], v[222:223], v[166:167]
	v_fma_f64 v[26:27], v[220:221], v[164:165], -v[26:27]
	ds_read_b128 v[164:167], v2 offset:1584
	v_mul_f64 v[170:171], v[226:227], v[170:171]
	v_fma_f64 v[4:5], v[224:225], v[168:169], -v[170:171]
	ds_read_b128 v[168:171], v2 offset:1600
	s_waitcnt vmcnt(8) lgkmcnt(2)
	v_mul_f64 v[172:173], v[160:161], v[66:67]
	v_fmac_f64_e32 v[172:173], v[162:163], v[64:65]
	s_waitcnt vmcnt(7) lgkmcnt(1)
	v_mul_f64 v[30:31], v[164:165], v[70:71]
	v_add_f64 v[0:1], v[0:1], v[172:173]
	v_fmac_f64_e32 v[30:31], v[166:167], v[68:69]
	v_add_f64 v[0:1], v[0:1], v[30:31]
	ds_read_b128 v[172:175], v2 offset:1616
	s_waitcnt vmcnt(6) lgkmcnt(1)
	v_mul_f64 v[30:31], v[168:169], v[74:75]
	v_fmac_f64_e32 v[30:31], v[170:171], v[72:73]
	v_add_f64 v[30:31], v[0:1], v[30:31]
	v_mul_f64 v[0:1], v[230:231], v[178:179]
	v_fma_f64 v[0:1], v[228:229], v[176:177], -v[0:1]
	ds_read_b128 v[176:179], v2 offset:1632
	v_mul_f64 v[182:183], v[234:235], v[182:183]
	s_waitcnt vmcnt(5) lgkmcnt(1)
	v_mul_f64 v[184:185], v[172:173], v[78:79]
	v_fma_f64 v[180:181], v[232:233], v[180:181], -v[182:183]
	v_fmac_f64_e32 v[184:185], v[174:175], v[76:77]
	v_accvgpr_write_b32 a142, v180
	v_mul_f64 v[190:191], v[238:239], v[190:191]
	v_accvgpr_write_b32 a143, v181
	ds_read_b128 v[180:183], v2 offset:1648
	v_add_f64 v[30:31], v[30:31], v[184:185]
	v_fma_f64 v[244:245], v[236:237], v[188:189], -v[190:191]
	scratch_load_dwordx4 v[236:239], off, off offset:64
	s_waitcnt vmcnt(5) lgkmcnt(1)
	v_mul_f64 v[184:185], v[176:177], v[86:87]
	v_fmac_f64_e32 v[184:185], v[178:179], v[84:85]
	v_add_f64 v[30:31], v[30:31], v[184:185]
	ds_read_b128 v[184:187], v2 offset:1664
	ds_read_b128 v[188:191], v2 offset:1680
	s_waitcnt vmcnt(4) lgkmcnt(2)
	v_mul_f64 v[192:193], v[180:181], v[82:83]
	v_fmac_f64_e32 v[192:193], v[182:183], v[80:81]
	v_add_f64 v[30:31], v[30:31], v[192:193]
	s_waitcnt vmcnt(3) lgkmcnt(1)
	v_mul_f64 v[192:193], v[184:185], v[94:95]
	v_fmac_f64_e32 v[192:193], v[186:187], v[92:93]
	v_add_f64 v[30:31], v[30:31], v[192:193]
	;; [unrolled: 4-line block ×3, first 2 shown]
	ds_read_b128 v[192:195], v2 offset:1696
	ds_read_b128 v[200:203], v2 offset:1712
	scratch_load_dwordx4 v[232:235], off, off offset:896
	ds_read_b128 v[208:211], v2 offset:1728
	ds_read_b128 v[216:219], v2 offset:1744
	s_waitcnt vmcnt(2) lgkmcnt(3)
	v_mul_f64 v[196:197], v[192:193], v[110:111]
	v_fmac_f64_e32 v[196:197], v[194:195], v[108:109]
	v_add_f64 v[30:31], v[30:31], v[196:197]
	scratch_load_dwordx4 v[196:199], off, off offset:832
	ds_read_b128 v[224:227], v2 offset:1760
	s_waitcnt vmcnt(0) lgkmcnt(3)
	v_mul_f64 v[204:205], v[200:201], v[198:199]
	v_fmac_f64_e32 v[204:205], v[202:203], v[196:197]
	v_add_f64 v[30:31], v[30:31], v[204:205]
	scratch_load_dwordx4 v[204:207], off, off offset:848
	s_waitcnt vmcnt(0) lgkmcnt(2)
	v_mul_f64 v[212:213], v[208:209], v[206:207]
	v_fmac_f64_e32 v[212:213], v[210:211], v[204:205]
	v_add_f64 v[30:31], v[30:31], v[212:213]
	scratch_load_dwordx4 v[212:215], off, off offset:864
	;; [unrolled: 5-line block ×3, first 2 shown]
	s_waitcnt vmcnt(0) lgkmcnt(0)
	v_mul_f64 v[228:229], v[224:225], v[222:223]
	v_fmac_f64_e32 v[228:229], v[226:227], v[220:221]
	v_add_f64 v[30:31], v[30:31], v[228:229]
	ds_read_b128 v[228:231], v2 offset:1776
	s_waitcnt lgkmcnt(0)
	v_mul_f64 v[2:3], v[228:229], v[234:235]
	v_fmac_f64_e32 v[2:3], v[230:231], v[232:233]
	v_add_f64 v[2:3], v[30:31], v[2:3]
	v_add_f64 v[30:31], v[240:241], 0
	;; [unrolled: 1-line block ×21, first 2 shown]
	v_accvgpr_read_b32 v6, a122
	v_add_f64 v[254:255], v[4:5], v[0:1]
	v_accvgpr_read_b32 v0, a142
	v_accvgpr_read_b32 v8, a124
	;; [unrolled: 1-line block ×5, first 2 shown]
	v_mul_f64 v[4:5], v[90:91], v[8:9]
	v_add_f64 v[0:1], v[254:255], v[0:1]
	v_fma_f64 v[4:5], v[88:89], v[6:7], -v[4:5]
	v_accvgpr_read_b32 v6, a126
	v_add_f64 v[0:1], v[0:1], v[244:245]
	v_accvgpr_read_b32 v8, a128
	v_accvgpr_read_b32 v9, a129
	v_add_f64 v[0:1], v[0:1], v[4:5]
	v_accvgpr_read_b32 v7, a127
	v_mul_f64 v[4:5], v[98:99], v[8:9]
	v_fma_f64 v[4:5], v[96:97], v[6:7], -v[4:5]
	v_accvgpr_read_b32 v6, a130
	v_accvgpr_read_b32 v8, a132
	v_accvgpr_read_b32 v9, a133
	v_add_f64 v[0:1], v[0:1], v[4:5]
	v_accvgpr_read_b32 v7, a131
	v_mul_f64 v[4:5], v[106:107], v[8:9]
	v_fma_f64 v[4:5], v[104:105], v[6:7], -v[4:5]
	v_accvgpr_read_b32 v6, a134
	;; [unrolled: 7-line block ×5, first 2 shown]
	v_accvgpr_read_b32 v8, a120
	v_accvgpr_read_b32 v9, a121
	v_add_f64 v[0:1], v[0:1], v[4:5]
	v_accvgpr_read_b32 v7, a119
	v_mul_f64 v[4:5], v[122:123], v[8:9]
	v_fma_f64 v[4:5], v[120:121], v[6:7], -v[4:5]
	v_add_f64 v[0:1], v[0:1], v[4:5]
	v_mul_f64 v[4:5], v[130:131], v[34:35]
	v_fma_f64 v[4:5], v[128:129], v[32:33], -v[4:5]
	v_add_f64 v[0:1], v[0:1], v[4:5]
	;; [unrolled: 3-line block ×23, first 2 shown]
	v_add_f64 v[4:5], v[236:237], -v[0:1]
	v_accvgpr_read_b32 v0, a112
	v_add_f64 v[6:7], v[238:239], -v[2:3]
	v_cmp_lt_u32_e32 vcc, 2, v0
	scratch_store_dwordx4 off, v[4:7], off offset:64
	s_and_saveexec_b64 s[0:1], vcc
	s_cbranch_execz .LBB119_345
; %bb.344:
	scratch_load_dwordx4 v[2:5], off, s70
	v_mov_b32_e32 v6, 0
	v_mov_b32_e32 v7, v6
	;; [unrolled: 1-line block ×4, first 2 shown]
	v_accvgpr_read_b32 v0, a113
	scratch_store_dwordx4 off, v[6:9], off offset:48
	s_waitcnt vmcnt(1)
	ds_write_b128 v0, v[2:5]
.LBB119_345:
	s_or_b64 exec, exec, s[0:1]
	s_waitcnt lgkmcnt(0)
	; wave barrier
	scratch_load_dwordx4 v[40:43], off, off offset:64
	scratch_load_dwordx4 v[44:47], off, off offset:80
	;; [unrolled: 1-line block ×29, first 2 shown]
	v_mov_b32_e32 v2, 0
	ds_read_b128 v[80:83], v2 offset:944
	ds_read_b128 v[100:103], v2 offset:960
	;; [unrolled: 1-line block ×18, first 2 shown]
	scratch_load_dwordx4 a[114:117], off, off offset:528
	scratch_load_dwordx4 a[118:121], off, off offset:544
	;; [unrolled: 1-line block ×4, first 2 shown]
	ds_read_b128 v[228:231], v2 offset:1296
	ds_read_b128 v[242:245], v2 offset:1312
	;; [unrolled: 1-line block ×4, first 2 shown]
	s_waitcnt vmcnt(32) lgkmcnt(14)
	v_mul_f64 v[0:1], v[80:81], v[42:43]
	s_waitcnt vmcnt(31)
	v_mul_f64 v[20:21], v[100:101], v[46:47]
	v_fmac_f64_e32 v[0:1], v[82:83], v[40:41]
	s_waitcnt vmcnt(30)
	v_mul_f64 v[22:23], v[104:105], v[50:51]
	v_fmac_f64_e32 v[20:21], v[102:103], v[44:45]
	v_add_f64 v[0:1], v[0:1], 0
	s_waitcnt vmcnt(29)
	v_mul_f64 v[24:25], v[108:109], v[54:55]
	v_fmac_f64_e32 v[22:23], v[106:107], v[48:49]
	v_add_f64 v[0:1], v[0:1], v[20:21]
	;; [unrolled: 4-line block ×6, first 2 shown]
	s_waitcnt vmcnt(24) lgkmcnt(13)
	v_mul_f64 v[34:35], v[144:145], v[74:75]
	v_fmac_f64_e32 v[32:33], v[134:135], v[68:69]
	v_add_f64 v[0:1], v[0:1], v[30:31]
	s_waitcnt vmcnt(23) lgkmcnt(12)
	v_mul_f64 v[36:37], v[156:157], v[78:79]
	v_fmac_f64_e32 v[34:35], v[146:147], v[72:73]
	v_add_f64 v[0:1], v[0:1], v[32:33]
	s_waitcnt vmcnt(22) lgkmcnt(11)
	v_mul_f64 v[38:39], v[168:169], v[86:87]
	v_fmac_f64_e32 v[36:37], v[158:159], v[76:77]
	v_add_f64 v[0:1], v[0:1], v[34:35]
	s_waitcnt vmcnt(21) lgkmcnt(10)
	v_mul_f64 v[212:213], v[180:181], v[90:91]
	v_fmac_f64_e32 v[38:39], v[170:171], v[84:85]
	v_add_f64 v[0:1], v[0:1], v[36:37]
	s_waitcnt vmcnt(20) lgkmcnt(9)
	v_mul_f64 v[214:215], v[188:189], v[94:95]
	v_fmac_f64_e32 v[212:213], v[182:183], v[88:89]
	v_add_f64 v[0:1], v[0:1], v[38:39]
	s_waitcnt vmcnt(19) lgkmcnt(8)
	v_mul_f64 v[216:217], v[192:193], v[98:99]
	v_fmac_f64_e32 v[214:215], v[190:191], v[92:93]
	v_add_f64 v[0:1], v[0:1], v[212:213]
	s_waitcnt vmcnt(18) lgkmcnt(7)
	v_mul_f64 v[218:219], v[196:197], v[126:127]
	v_fmac_f64_e32 v[216:217], v[194:195], v[96:97]
	v_add_f64 v[0:1], v[0:1], v[214:215]
	v_fmac_f64_e32 v[218:219], v[198:199], v[124:125]
	v_add_f64 v[0:1], v[0:1], v[216:217]
	ds_read_b128 v[212:215], v2 offset:1232
	s_waitcnt vmcnt(17) lgkmcnt(7)
	v_mul_f64 v[220:221], v[200:201], v[130:131]
	v_add_f64 v[0:1], v[0:1], v[218:219]
	ds_read_b128 v[216:219], v2 offset:1248
	v_fmac_f64_e32 v[220:221], v[202:203], v[128:129]
	s_waitcnt vmcnt(16) lgkmcnt(7)
	v_mul_f64 v[20:21], v[204:205], v[138:139]
	v_add_f64 v[0:1], v[0:1], v[220:221]
	v_fmac_f64_e32 v[20:21], v[206:207], v[136:137]
	s_waitcnt vmcnt(15) lgkmcnt(6)
	v_mul_f64 v[24:25], v[208:209], v[142:143]
	ds_read_b128 v[220:223], v2 offset:1264
	v_add_f64 v[0:1], v[0:1], v[20:21]
	v_fmac_f64_e32 v[24:25], v[210:211], v[140:141]
	v_add_f64 v[0:1], v[0:1], v[24:25]
	s_waitcnt vmcnt(14) lgkmcnt(2)
	v_mul_f64 v[24:25], v[212:213], v[150:151]
	v_fmac_f64_e32 v[24:25], v[214:215], v[148:149]
	s_waitcnt vmcnt(13) lgkmcnt(1)
	v_mul_f64 v[28:29], v[216:217], v[154:155]
	v_add_f64 v[0:1], v[0:1], v[24:25]
	v_fmac_f64_e32 v[28:29], v[218:219], v[152:153]
	v_add_f64 v[0:1], v[0:1], v[28:29]
	s_waitcnt vmcnt(12) lgkmcnt(0)
	v_mul_f64 v[28:29], v[220:221], v[162:163]
	v_fmac_f64_e32 v[28:29], v[222:223], v[160:161]
	s_waitcnt vmcnt(11)
	v_mul_f64 v[32:33], v[224:225], v[166:167]
	v_add_f64 v[0:1], v[0:1], v[28:29]
	v_fmac_f64_e32 v[32:33], v[226:227], v[164:165]
	v_add_f64 v[0:1], v[0:1], v[32:33]
	s_waitcnt vmcnt(10)
	v_mul_f64 v[32:33], v[228:229], v[174:175]
	v_fmac_f64_e32 v[32:33], v[230:231], v[172:173]
	s_waitcnt vmcnt(9)
	v_mul_f64 v[36:37], v[242:243], v[178:179]
	v_add_f64 v[0:1], v[0:1], v[32:33]
	v_fmac_f64_e32 v[36:37], v[244:245], v[176:177]
	v_mul_f64 v[42:43], v[82:83], v[42:43]
	v_add_f64 v[0:1], v[0:1], v[36:37]
	scratch_load_dwordx4 v[36:39], off, off offset:592
	v_fma_f64 v[240:241], v[80:81], v[40:41], -v[42:43]
	ds_read_b128 v[80:83], v2 offset:1344
	s_waitcnt vmcnt(9)
	v_mul_f64 v[40:41], v[246:247], v[186:187]
	v_fmac_f64_e32 v[40:41], v[248:249], v[184:185]
	v_add_f64 v[0:1], v[0:1], v[40:41]
	v_mul_f64 v[40:41], v[102:103], v[46:47]
	v_fma_f64 v[250:251], v[100:101], v[44:45], -v[40:41]
	scratch_load_dwordx4 v[40:43], off, off offset:608
	s_waitcnt vmcnt(9) lgkmcnt(0)
	v_mul_f64 v[44:45], v[80:81], v[6:7]
	v_fmac_f64_e32 v[44:45], v[82:83], v[4:5]
	v_add_f64 v[0:1], v[0:1], v[44:45]
	scratch_load_dwordx4 v[44:47], off, off offset:624
	v_mul_f64 v[50:51], v[106:107], v[50:51]
	v_fma_f64 v[252:253], v[104:105], v[48:49], -v[50:51]
	ds_read_b128 v[100:103], v2 offset:1360
	v_mul_f64 v[48:49], v[110:111], v[54:55]
	v_fma_f64 v[232:233], v[108:109], v[52:53], -v[48:49]
	scratch_load_dwordx4 v[52:55], off, off offset:640
	scratch_load_dwordx4 v[48:51], off, off offset:656
	v_accvgpr_write_b32 a129, v7
	v_accvgpr_write_b32 a128, v6
	v_accvgpr_write_b32 a127, v5
	v_accvgpr_write_b32 a126, v4
	s_waitcnt vmcnt(11)
	v_mov_b64_e32 v[4:5], v[8:9]
	v_mul_f64 v[58:59], v[114:115], v[58:59]
	v_mov_b64_e32 v[6:7], v[10:11]
	v_fma_f64 v[238:239], v[112:113], v[56:57], -v[58:59]
	s_waitcnt lgkmcnt(0)
	v_mul_f64 v[56:57], v[100:101], v[6:7]
	v_fmac_f64_e32 v[56:57], v[102:103], v[4:5]
	v_add_f64 v[0:1], v[0:1], v[56:57]
	v_mul_f64 v[56:57], v[118:119], v[62:63]
	v_fma_f64 v[254:255], v[116:117], v[60:61], -v[56:57]
	scratch_load_dwordx4 v[56:59], off, off offset:672
	scratch_load_dwordx4 v[60:63], off, off offset:688
	ds_read_b128 v[104:107], v2 offset:1376
	ds_read_b128 v[112:115], v2 offset:1408
	v_mul_f64 v[66:67], v[122:123], v[66:67]
	v_fma_f64 v[32:33], v[120:121], v[64:65], -v[66:67]
	scratch_load_dwordx4 v[64:67], off, off offset:704
	s_waitcnt vmcnt(13)
	v_mov_b64_e32 v[4:5], v[12:13]
	v_mov_b64_e32 v[6:7], v[14:15]
	s_waitcnt lgkmcnt(1)
	v_mul_f64 v[108:109], v[104:105], v[6:7]
	v_fmac_f64_e32 v[108:109], v[106:107], v[4:5]
	v_mul_f64 v[6:7], v[134:135], v[70:71]
	v_add_f64 v[0:1], v[0:1], v[108:109]
	ds_read_b128 v[108:111], v2 offset:1392
	ds_read_b128 v[116:119], v2 offset:1424
	v_fma_f64 v[28:29], v[132:133], v[68:69], -v[6:7]
	scratch_load_dwordx4 v[68:71], off, off offset:720
	v_mul_f64 v[6:7], v[146:147], v[74:75]
	v_accvgpr_write_b32 a133, v11
	v_fma_f64 v[24:25], v[144:145], v[72:73], -v[6:7]
	scratch_load_dwordx4 v[72:75], off, off offset:736
	v_accvgpr_write_b32 a132, v10
	v_accvgpr_write_b32 a131, v9
	;; [unrolled: 1-line block ×3, first 2 shown]
	s_waitcnt vmcnt(14)
	v_mov_b64_e32 v[8:9], v[16:17]
	v_mov_b64_e32 v[10:11], v[18:19]
	s_waitcnt lgkmcnt(1)
	v_mul_f64 v[6:7], v[108:109], v[10:11]
	v_fmac_f64_e32 v[6:7], v[110:111], v[8:9]
	s_waitcnt vmcnt(13)
	v_accvgpr_read_b32 v8, a114
	v_add_f64 v[0:1], v[0:1], v[6:7]
	v_mul_f64 v[6:7], v[158:159], v[78:79]
	v_accvgpr_read_b32 v10, a116
	v_accvgpr_read_b32 v11, a117
	v_fma_f64 v[20:21], v[156:157], v[76:77], -v[6:7]
	v_accvgpr_read_b32 v9, a115
	v_mul_f64 v[6:7], v[112:113], v[10:11]
	scratch_load_dwordx4 v[76:79], off, off offset:752
	v_accvgpr_write_b32 a137, v15
	v_fmac_f64_e32 v[6:7], v[114:115], v[8:9]
	v_accvgpr_write_b32 a136, v14
	v_accvgpr_write_b32 a135, v13
	;; [unrolled: 1-line block ×4, first 2 shown]
	v_mul_f64 v[14:15], v[170:171], v[86:87]
	v_add_f64 v[0:1], v[0:1], v[6:7]
	v_mul_f64 v[6:7], v[182:183], v[90:91]
	v_accvgpr_write_b32 a140, v18
	v_accvgpr_write_b32 a139, v17
	;; [unrolled: 1-line block ×3, first 2 shown]
	v_fma_f64 v[16:17], v[168:169], v[84:85], -v[14:15]
	v_fma_f64 v[14:15], v[180:181], v[88:89], -v[6:7]
	ds_read_b128 v[120:123], v2 offset:1440
	scratch_load_dwordx4 v[88:91], off, off offset:768
	scratch_load_dwordx4 v[84:87], off, off offset:784
	s_waitcnt vmcnt(15)
	v_accvgpr_read_b32 v8, a118
	v_accvgpr_read_b32 v10, a120
	;; [unrolled: 1-line block ×3, first 2 shown]
	v_mul_f64 v[18:19], v[190:191], v[94:95]
	v_accvgpr_read_b32 v9, a119
	s_waitcnt lgkmcnt(1)
	v_mul_f64 v[6:7], v[116:117], v[10:11]
	v_fma_f64 v[18:19], v[188:189], v[92:93], -v[18:19]
	v_mul_f64 v[92:93], v[194:195], v[98:99]
	v_fmac_f64_e32 v[6:7], v[118:119], v[8:9]
	s_waitcnt vmcnt(14)
	v_accvgpr_read_b32 v8, a122
	v_fma_f64 v[12:13], v[192:193], v[96:97], -v[92:93]
	scratch_load_dwordx4 v[92:95], off, off offset:800
	v_accvgpr_read_b32 v10, a124
	v_accvgpr_read_b32 v11, a125
	v_mul_f64 v[96:97], v[202:203], v[130:131]
	v_add_f64 v[0:1], v[0:1], v[6:7]
	s_waitcnt lgkmcnt(0)
	v_mul_f64 v[6:7], v[120:121], v[10:11]
	v_fma_f64 v[10:11], v[200:201], v[128:129], -v[96:97]
	scratch_load_dwordx4 v[96:99], off, off offset:816
	v_mul_f64 v[22:23], v[198:199], v[126:127]
	v_fma_f64 v[22:23], v[196:197], v[124:125], -v[22:23]
	ds_read_b128 v[124:127], v2 offset:1456
	ds_read_b128 v[128:131], v2 offset:1472
	v_accvgpr_read_b32 v9, a123
	v_fmac_f64_e32 v[6:7], v[122:123], v[8:9]
	v_add_f64 v[0:1], v[0:1], v[6:7]
	s_waitcnt vmcnt(15) lgkmcnt(1)
	v_mul_f64 v[6:7], v[124:125], v[236:237]
	ds_read_b128 v[132:135], v2 offset:1488
	v_fmac_f64_e32 v[6:7], v[126:127], v[234:235]
	v_add_f64 v[0:1], v[0:1], v[6:7]
	s_waitcnt vmcnt(14) lgkmcnt(1)
	v_mul_f64 v[6:7], v[128:129], v[38:39]
	v_fmac_f64_e32 v[6:7], v[130:131], v[36:37]
	v_add_f64 v[0:1], v[0:1], v[6:7]
	v_mul_f64 v[6:7], v[206:207], v[138:139]
	v_fma_f64 v[26:27], v[204:205], v[136:137], -v[6:7]
	ds_read_b128 v[136:139], v2 offset:1504
	s_waitcnt vmcnt(13) lgkmcnt(1)
	v_mul_f64 v[6:7], v[132:133], v[42:43]
	v_fmac_f64_e32 v[6:7], v[134:135], v[40:41]
	v_add_f64 v[0:1], v[0:1], v[6:7]
	v_mul_f64 v[6:7], v[210:211], v[142:143]
	v_fma_f64 v[8:9], v[208:209], v[140:141], -v[6:7]
	ds_read_b128 v[140:143], v2 offset:1520
	ds_read_b128 v[144:147], v2 offset:1536
	s_waitcnt vmcnt(12) lgkmcnt(2)
	v_mul_f64 v[6:7], v[136:137], v[46:47]
	v_fmac_f64_e32 v[6:7], v[138:139], v[44:45]
	v_add_f64 v[0:1], v[0:1], v[6:7]
	s_waitcnt vmcnt(11) lgkmcnt(1)
	v_mul_f64 v[6:7], v[140:141], v[54:55]
	v_fmac_f64_e32 v[6:7], v[142:143], v[52:53]
	v_add_f64 v[0:1], v[0:1], v[6:7]
	v_mul_f64 v[6:7], v[214:215], v[150:151]
	v_fma_f64 v[30:31], v[212:213], v[148:149], -v[6:7]
	ds_read_b128 v[148:151], v2 offset:1552
	v_mul_f64 v[154:155], v[218:219], v[154:155]
	v_fma_f64 v[4:5], v[216:217], v[152:153], -v[154:155]
	ds_read_b128 v[152:155], v2 offset:1568
	s_waitcnt vmcnt(10) lgkmcnt(2)
	v_mul_f64 v[6:7], v[144:145], v[50:51]
	v_fmac_f64_e32 v[6:7], v[146:147], v[48:49]
	v_add_f64 v[0:1], v[0:1], v[6:7]
	s_waitcnt vmcnt(9) lgkmcnt(1)
	v_mul_f64 v[6:7], v[148:149], v[58:59]
	ds_read_b128 v[156:159], v2 offset:1584
	v_fmac_f64_e32 v[6:7], v[150:151], v[56:57]
	v_add_f64 v[0:1], v[0:1], v[6:7]
	s_waitcnt vmcnt(8) lgkmcnt(1)
	v_mul_f64 v[6:7], v[152:153], v[62:63]
	v_fmac_f64_e32 v[6:7], v[154:155], v[60:61]
	v_add_f64 v[0:1], v[0:1], v[6:7]
	v_mul_f64 v[6:7], v[222:223], v[162:163]
	v_fma_f64 v[34:35], v[220:221], v[160:161], -v[6:7]
	ds_read_b128 v[160:163], v2 offset:1600
	s_waitcnt vmcnt(7) lgkmcnt(1)
	v_mul_f64 v[6:7], v[156:157], v[66:67]
	v_fmac_f64_e32 v[6:7], v[158:159], v[64:65]
	v_add_f64 v[0:1], v[0:1], v[6:7]
	v_mul_f64 v[6:7], v[226:227], v[166:167]
	v_fma_f64 v[6:7], v[224:225], v[164:165], -v[6:7]
	ds_read_b128 v[164:167], v2 offset:1616
	s_waitcnt vmcnt(6) lgkmcnt(1)
	v_mul_f64 v[168:169], v[160:161], v[70:71]
	v_fmac_f64_e32 v[168:169], v[162:163], v[68:69]
	v_add_f64 v[0:1], v[0:1], v[168:169]
	ds_read_b128 v[168:171], v2 offset:1632
	s_waitcnt vmcnt(5) lgkmcnt(1)
	v_mul_f64 v[180:181], v[164:165], v[74:75]
	v_fmac_f64_e32 v[180:181], v[166:167], v[72:73]
	v_add_f64 v[180:181], v[0:1], v[180:181]
	v_mul_f64 v[0:1], v[230:231], v[174:175]
	v_fma_f64 v[0:1], v[228:229], v[172:173], -v[0:1]
	ds_read_b128 v[172:175], v2 offset:1648
	s_waitcnt vmcnt(4) lgkmcnt(1)
	v_mul_f64 v[182:183], v[168:169], v[78:79]
	v_fmac_f64_e32 v[182:183], v[170:171], v[76:77]
	v_mul_f64 v[178:179], v[244:245], v[178:179]
	v_fma_f64 v[244:245], v[242:243], v[176:177], -v[178:179]
	ds_read_b128 v[176:179], v2 offset:1664
	v_add_f64 v[180:181], v[180:181], v[182:183]
	s_waitcnt vmcnt(3) lgkmcnt(1)
	v_mul_f64 v[182:183], v[172:173], v[90:91]
	v_fmac_f64_e32 v[182:183], v[174:175], v[88:89]
	v_add_f64 v[188:189], v[180:181], v[182:183]
	ds_read_b128 v[180:183], v2 offset:1680
	v_mul_f64 v[186:187], v[248:249], v[186:187]
	v_fma_f64 v[246:247], v[246:247], v[184:185], -v[186:187]
	ds_read_b128 v[184:187], v2 offset:1696
	s_waitcnt vmcnt(2) lgkmcnt(2)
	v_mul_f64 v[190:191], v[176:177], v[86:87]
	v_fmac_f64_e32 v[190:191], v[178:179], v[84:85]
	v_add_f64 v[188:189], v[188:189], v[190:191]
	s_waitcnt vmcnt(1) lgkmcnt(1)
	v_mul_f64 v[190:191], v[180:181], v[94:95]
	v_fmac_f64_e32 v[190:191], v[182:183], v[92:93]
	v_add_f64 v[188:189], v[188:189], v[190:191]
	;; [unrolled: 4-line block ×3, first 2 shown]
	scratch_load_dwordx4 v[188:191], off, off offset:832
	ds_read_b128 v[192:195], v2 offset:1712
	ds_read_b128 v[200:203], v2 offset:1728
	;; [unrolled: 1-line block ×5, first 2 shown]
	s_waitcnt vmcnt(0) lgkmcnt(4)
	v_mul_f64 v[198:199], v[192:193], v[190:191]
	v_fmac_f64_e32 v[198:199], v[194:195], v[188:189]
	v_add_f64 v[204:205], v[196:197], v[198:199]
	scratch_load_dwordx4 v[196:199], off, off offset:848
	s_waitcnt vmcnt(0) lgkmcnt(3)
	v_mul_f64 v[206:207], v[200:201], v[198:199]
	v_fmac_f64_e32 v[206:207], v[202:203], v[196:197]
	v_add_f64 v[212:213], v[204:205], v[206:207]
	scratch_load_dwordx4 v[204:207], off, off offset:864
	;; [unrolled: 5-line block ×4, first 2 shown]
	s_waitcnt vmcnt(0) lgkmcnt(0)
	v_mul_f64 v[230:231], v[224:225], v[222:223]
	v_fmac_f64_e32 v[230:231], v[226:227], v[220:221]
	v_add_f64 v[248:249], v[228:229], v[230:231]
	v_add_f64 v[228:229], v[240:241], 0
	;; [unrolled: 1-line block ×8, first 2 shown]
	scratch_load_dwordx4 v[228:231], off, off offset:48
	v_add_f64 v[28:29], v[32:33], v[28:29]
	v_add_f64 v[24:25], v[28:29], v[24:25]
	v_add_f64 v[20:21], v[24:25], v[20:21]
	v_add_f64 v[16:17], v[20:21], v[16:17]
	v_add_f64 v[14:15], v[16:17], v[14:15]
	v_add_f64 v[14:15], v[14:15], v[18:19]
	v_add_f64 v[12:13], v[14:15], v[12:13]
	v_add_f64 v[12:13], v[12:13], v[22:23]
	v_add_f64 v[10:11], v[12:13], v[10:11]
	v_add_f64 v[10:11], v[10:11], v[26:27]
	v_add_f64 v[8:9], v[10:11], v[8:9]
	v_add_f64 v[8:9], v[8:9], v[30:31]
	v_add_f64 v[4:5], v[8:9], v[4:5]
	v_add_f64 v[242:243], v[4:5], v[34:35]
	v_add_f64 v[4:5], v[242:243], v[6:7]
	v_accvgpr_read_b32 v6, a126
	v_accvgpr_read_b32 v8, a128
	;; [unrolled: 1-line block ×3, first 2 shown]
	v_add_f64 v[0:1], v[4:5], v[0:1]
	v_accvgpr_read_b32 v7, a127
	v_mul_f64 v[4:5], v[82:83], v[8:9]
	v_add_f64 v[0:1], v[0:1], v[244:245]
	v_fma_f64 v[4:5], v[80:81], v[6:7], -v[4:5]
	v_accvgpr_read_b32 v6, a130
	v_add_f64 v[0:1], v[0:1], v[246:247]
	v_accvgpr_read_b32 v8, a132
	v_accvgpr_read_b32 v9, a133
	v_add_f64 v[0:1], v[0:1], v[4:5]
	v_accvgpr_read_b32 v7, a131
	v_mul_f64 v[4:5], v[102:103], v[8:9]
	v_fma_f64 v[4:5], v[100:101], v[6:7], -v[4:5]
	v_accvgpr_read_b32 v6, a134
	v_accvgpr_read_b32 v8, a136
	v_accvgpr_read_b32 v9, a137
	v_add_f64 v[0:1], v[0:1], v[4:5]
	v_accvgpr_read_b32 v7, a135
	v_mul_f64 v[4:5], v[106:107], v[8:9]
	v_fma_f64 v[4:5], v[104:105], v[6:7], -v[4:5]
	v_accvgpr_read_b32 v6, a138
	;; [unrolled: 7-line block ×5, first 2 shown]
	v_accvgpr_read_b32 v8, a124
	v_accvgpr_read_b32 v9, a125
	v_add_f64 v[0:1], v[0:1], v[4:5]
	v_accvgpr_read_b32 v7, a123
	v_mul_f64 v[4:5], v[122:123], v[8:9]
	v_fma_f64 v[4:5], v[120:121], v[6:7], -v[4:5]
	v_add_f64 v[0:1], v[0:1], v[4:5]
	v_mul_f64 v[4:5], v[126:127], v[236:237]
	v_fma_f64 v[4:5], v[124:125], v[234:235], -v[4:5]
	v_add_f64 v[0:1], v[0:1], v[4:5]
	;; [unrolled: 3-line block ×22, first 2 shown]
	s_waitcnt vmcnt(0)
	v_add_f64 v[4:5], v[228:229], -v[0:1]
	v_accvgpr_read_b32 v0, a112
	v_add_f64 v[6:7], v[230:231], -v[248:249]
	v_cmp_lt_u32_e32 vcc, 1, v0
	scratch_store_dwordx4 off, v[4:7], off offset:48
	s_and_saveexec_b64 s[0:1], vcc
	s_cbranch_execz .LBB119_347
; %bb.346:
	scratch_load_dwordx4 v[6:9], off, s71
	v_mov_b32_e32 v3, v2
	v_mov_b32_e32 v4, v2
	;; [unrolled: 1-line block ×3, first 2 shown]
	v_accvgpr_read_b32 v0, a113
	scratch_store_dwordx4 off, v[2:5], off offset:32
	s_waitcnt vmcnt(1)
	ds_write_b128 v0, v[6:9]
.LBB119_347:
	s_or_b64 exec, exec, s[0:1]
	s_waitcnt lgkmcnt(0)
	; wave barrier
	scratch_load_dwordx4 v[40:43], off, off offset:48
	scratch_load_dwordx4 v[44:47], off, off offset:64
	;; [unrolled: 1-line block ×18, first 2 shown]
	ds_read_b128 v[80:83], v2 offset:928
	ds_read_b128 v[204:207], v2 offset:944
	;; [unrolled: 1-line block ×6, first 2 shown]
	scratch_load_dwordx4 v[148:151], off, off offset:336
	ds_read_b128 v[180:183], v2 offset:1024
	ds_read_b128 v[112:115], v2 offset:1040
	scratch_load_dwordx4 v[152:155], off, off offset:352
	ds_read_b128 v[208:211], v2 offset:1056
	ds_read_b128 v[200:203], v2 offset:1072
	;; [unrolled: 1-line block ×5, first 2 shown]
	scratch_load_dwordx4 v[160:163], off, off offset:368
	ds_read_b128 v[196:199], v2 offset:1136
	ds_read_b128 v[192:195], v2 offset:1152
	ds_read_b128 v[156:159], v2 offset:1168
	ds_read_b128 v[144:147], v2 offset:1184
	scratch_load_dwordx4 v[164:167], off, off offset:384
	ds_read_b128 v[168:171], v2 offset:1200
	scratch_load_dwordx4 v[172:175], off, off offset:400
	scratch_load_dwordx4 v[176:179], off, off offset:416
	;; [unrolled: 1-line block ×7, first 2 shown]
	ds_read_b128 v[228:231], v2 offset:1280
	ds_read_b128 v[232:235], v2 offset:1296
	scratch_load_dwordx4 a[118:121], off, off offset:544
	scratch_load_dwordx4 a[122:125], off, off offset:560
	ds_read_b128 v[236:239], v2 offset:1312
	scratch_load_dwordx4 a[114:117], off, off offset:528
	ds_read_b128 v[224:227], v2 offset:1264
	s_waitcnt vmcnt(31) lgkmcnt(14)
	v_mul_f64 v[0:1], v[80:81], v[42:43]
	s_waitcnt vmcnt(30)
	v_mul_f64 v[20:21], v[204:205], v[46:47]
	v_fmac_f64_e32 v[0:1], v[82:83], v[40:41]
	s_waitcnt vmcnt(29)
	v_mul_f64 v[22:23], v[100:101], v[50:51]
	v_fmac_f64_e32 v[20:21], v[206:207], v[44:45]
	v_add_f64 v[0:1], v[0:1], 0
	v_fmac_f64_e32 v[22:23], v[102:103], v[48:49]
	v_add_f64 v[0:1], v[0:1], v[20:21]
	v_add_f64 v[0:1], v[0:1], v[22:23]
	scratch_load_dwordx4 v[20:23], off, off offset:512
	s_waitcnt vmcnt(29)
	v_mul_f64 v[24:25], v[116:117], v[54:55]
	s_waitcnt vmcnt(28)
	v_mul_f64 v[26:27], v[104:105], v[58:59]
	v_fmac_f64_e32 v[24:25], v[118:119], v[52:53]
	s_waitcnt vmcnt(27)
	v_mul_f64 v[28:29], v[108:109], v[62:63]
	v_fmac_f64_e32 v[26:27], v[106:107], v[56:57]
	v_add_f64 v[0:1], v[0:1], v[24:25]
	s_waitcnt vmcnt(26)
	v_mul_f64 v[30:31], v[180:181], v[66:67]
	v_fmac_f64_e32 v[28:29], v[110:111], v[60:61]
	v_add_f64 v[0:1], v[0:1], v[26:27]
	s_waitcnt vmcnt(25)
	v_mul_f64 v[32:33], v[112:113], v[70:71]
	v_fmac_f64_e32 v[30:31], v[182:183], v[64:65]
	v_add_f64 v[0:1], v[0:1], v[28:29]
	s_waitcnt vmcnt(24) lgkmcnt(13)
	v_mul_f64 v[34:35], v[208:209], v[74:75]
	v_fmac_f64_e32 v[32:33], v[114:115], v[68:69]
	v_add_f64 v[0:1], v[0:1], v[30:31]
	s_waitcnt vmcnt(23) lgkmcnt(12)
	v_mul_f64 v[36:37], v[200:201], v[78:79]
	v_fmac_f64_e32 v[34:35], v[210:211], v[72:73]
	v_add_f64 v[0:1], v[0:1], v[32:33]
	;; [unrolled: 4-line block ×8, first 2 shown]
	ds_read_b128 v[212:215], v2 offset:1216
	s_waitcnt vmcnt(16) lgkmcnt(6)
	v_mul_f64 v[222:223], v[144:145], v[138:139]
	v_fmac_f64_e32 v[220:221], v[158:159], v[128:129]
	v_add_f64 v[0:1], v[0:1], v[218:219]
	ds_read_b128 v[216:219], v2 offset:1232
	v_add_f64 v[0:1], v[0:1], v[220:221]
	v_fmac_f64_e32 v[222:223], v[146:147], v[136:137]
	v_add_f64 v[0:1], v[0:1], v[222:223]
	s_waitcnt vmcnt(15) lgkmcnt(6)
	v_mul_f64 v[24:25], v[168:169], v[142:143]
	ds_read_b128 v[220:223], v2 offset:1248
	v_fmac_f64_e32 v[24:25], v[170:171], v[140:141]
	v_add_f64 v[0:1], v[0:1], v[24:25]
	s_waitcnt vmcnt(14) lgkmcnt(2)
	v_mul_f64 v[24:25], v[212:213], v[150:151]
	v_fmac_f64_e32 v[24:25], v[214:215], v[148:149]
	s_waitcnt vmcnt(13) lgkmcnt(1)
	v_mul_f64 v[28:29], v[216:217], v[154:155]
	v_add_f64 v[0:1], v[0:1], v[24:25]
	v_fmac_f64_e32 v[28:29], v[218:219], v[152:153]
	v_add_f64 v[0:1], v[0:1], v[28:29]
	s_waitcnt vmcnt(12) lgkmcnt(0)
	v_mul_f64 v[28:29], v[220:221], v[162:163]
	v_fmac_f64_e32 v[28:29], v[222:223], v[160:161]
	s_waitcnt vmcnt(11)
	v_mul_f64 v[32:33], v[224:225], v[166:167]
	v_add_f64 v[0:1], v[0:1], v[28:29]
	v_fmac_f64_e32 v[32:33], v[226:227], v[164:165]
	v_add_f64 v[0:1], v[0:1], v[32:33]
	s_waitcnt vmcnt(10)
	v_mul_f64 v[32:33], v[228:229], v[174:175]
	v_fmac_f64_e32 v[32:33], v[230:231], v[172:173]
	s_waitcnt vmcnt(9)
	v_mul_f64 v[36:37], v[232:233], v[178:179]
	v_add_f64 v[0:1], v[0:1], v[32:33]
	v_fmac_f64_e32 v[36:37], v[234:235], v[176:177]
	v_mul_f64 v[42:43], v[82:83], v[42:43]
	v_add_f64 v[0:1], v[0:1], v[36:37]
	scratch_load_dwordx4 v[36:39], off, off offset:576
	v_fma_f64 v[240:241], v[80:81], v[40:41], -v[42:43]
	ds_read_b128 v[80:83], v2 offset:1328
	s_waitcnt vmcnt(9)
	v_mul_f64 v[40:41], v[236:237], v[186:187]
	v_fmac_f64_e32 v[40:41], v[238:239], v[184:185]
	v_add_f64 v[0:1], v[0:1], v[40:41]
	v_mul_f64 v[40:41], v[206:207], v[46:47]
	v_fma_f64 v[244:245], v[204:205], v[44:45], -v[40:41]
	scratch_load_dwordx4 v[40:43], off, off offset:592
	s_waitcnt vmcnt(9) lgkmcnt(0)
	v_mul_f64 v[44:45], v[80:81], v[6:7]
	v_fmac_f64_e32 v[44:45], v[82:83], v[4:5]
	v_add_f64 v[0:1], v[0:1], v[44:45]
	scratch_load_dwordx4 v[44:47], off, off offset:608
	v_mul_f64 v[50:51], v[102:103], v[50:51]
	v_fma_f64 v[246:247], v[100:101], v[48:49], -v[50:51]
	ds_read_b128 v[100:103], v2 offset:1344
	v_mul_f64 v[48:49], v[118:119], v[54:55]
	v_fma_f64 v[248:249], v[116:117], v[52:53], -v[48:49]
	scratch_load_dwordx4 v[52:55], off, off offset:624
	scratch_load_dwordx4 v[48:51], off, off offset:640
	v_accvgpr_write_b32 a129, v7
	v_accvgpr_write_b32 a128, v6
	;; [unrolled: 1-line block ×4, first 2 shown]
	s_waitcnt vmcnt(11)
	v_mov_b64_e32 v[4:5], v[8:9]
	v_mul_f64 v[58:59], v[106:107], v[58:59]
	v_mov_b64_e32 v[6:7], v[10:11]
	v_fma_f64 v[250:251], v[104:105], v[56:57], -v[58:59]
	s_waitcnt lgkmcnt(0)
	v_mul_f64 v[56:57], v[100:101], v[6:7]
	ds_read_b128 v[104:107], v2 offset:1360
	v_fmac_f64_e32 v[56:57], v[102:103], v[4:5]
	v_add_f64 v[0:1], v[0:1], v[56:57]
	v_mul_f64 v[56:57], v[110:111], v[62:63]
	v_fma_f64 v[252:253], v[108:109], v[60:61], -v[56:57]
	scratch_load_dwordx4 v[56:59], off, off offset:656
	scratch_load_dwordx4 v[60:63], off, off offset:672
	s_waitcnt vmcnt(12)
	v_mov_b64_e32 v[4:5], v[12:13]
	v_mul_f64 v[66:67], v[182:183], v[66:67]
	v_mov_b64_e32 v[6:7], v[14:15]
	v_fma_f64 v[254:255], v[180:181], v[64:65], -v[66:67]
	v_mul_f64 v[64:65], v[114:115], v[70:71]
	v_fma_f64 v[32:33], v[112:113], v[68:69], -v[64:65]
	ds_read_b128 v[112:115], v2 offset:1392
	s_waitcnt lgkmcnt(1)
	v_mul_f64 v[108:109], v[104:105], v[6:7]
	v_fmac_f64_e32 v[108:109], v[106:107], v[4:5]
	v_add_f64 v[0:1], v[0:1], v[108:109]
	ds_read_b128 v[108:111], v2 offset:1376
	ds_read_b128 v[116:119], v2 offset:1408
	scratch_load_dwordx4 v[64:67], off, off offset:688
	scratch_load_dwordx4 v[68:71], off, off offset:704
	v_mul_f64 v[6:7], v[210:211], v[74:75]
	v_fma_f64 v[28:29], v[208:209], v[72:73], -v[6:7]
	s_waitcnt vmcnt(13)
	v_mov_b64_e32 v[4:5], v[16:17]
	v_mov_b64_e32 v[6:7], v[18:19]
	s_waitcnt lgkmcnt(1)
	v_mul_f64 v[72:73], v[108:109], v[6:7]
	v_fmac_f64_e32 v[72:73], v[110:111], v[4:5]
	v_add_f64 v[0:1], v[0:1], v[72:73]
	v_mul_f64 v[72:73], v[202:203], v[78:79]
	v_fma_f64 v[24:25], v[200:201], v[76:77], -v[72:73]
	scratch_load_dwordx4 v[72:75], off, off offset:720
	s_waitcnt vmcnt(10)
	v_mov_b64_e32 v[4:5], v[20:21]
	v_accvgpr_write_b32 a133, v11
	v_mov_b64_e32 v[6:7], v[22:23]
	v_mul_f64 v[76:77], v[190:191], v[86:87]
	v_accvgpr_write_b32 a132, v10
	v_accvgpr_write_b32 a131, v9
	;; [unrolled: 1-line block ×3, first 2 shown]
	v_mul_f64 v[10:11], v[112:113], v[6:7]
	v_fma_f64 v[242:243], v[188:189], v[84:85], -v[76:77]
	scratch_load_dwordx4 v[76:79], off, off offset:736
	v_fmac_f64_e32 v[10:11], v[114:115], v[4:5]
	v_accvgpr_write_b32 a145, v23
	v_add_f64 v[0:1], v[0:1], v[10:11]
	v_mul_f64 v[10:11], v[122:123], v[90:91]
	v_accvgpr_write_b32 a144, v22
	v_accvgpr_write_b32 a143, v21
	;; [unrolled: 1-line block ×3, first 2 shown]
	v_fma_f64 v[20:21], v[120:121], v[88:89], -v[10:11]
	ds_read_b128 v[120:123], v2 offset:1424
	scratch_load_dwordx4 v[88:91], off, off offset:752
	scratch_load_dwordx4 v[84:87], off, off offset:768
	v_accvgpr_write_b32 a137, v15
	v_accvgpr_write_b32 a136, v14
	;; [unrolled: 1-line block ×5, first 2 shown]
	v_mul_f64 v[14:15], v[134:135], v[94:95]
	v_accvgpr_write_b32 a140, v18
	v_accvgpr_write_b32 a139, v17
	;; [unrolled: 1-line block ×3, first 2 shown]
	v_fma_f64 v[16:17], v[132:133], v[92:93], -v[14:15]
	v_mul_f64 v[92:93], v[198:199], v[98:99]
	v_fma_f64 v[14:15], v[196:197], v[96:97], -v[92:93]
	scratch_load_dwordx4 v[92:95], off, off offset:784
	v_mul_f64 v[96:97], v[158:159], v[130:131]
	v_fma_f64 v[12:13], v[156:157], v[128:129], -v[96:97]
	scratch_load_dwordx4 v[96:99], off, off offset:800
	v_accvgpr_read_b32 v4, a114
	v_accvgpr_read_b32 v6, a116
	;; [unrolled: 1-line block ×4, first 2 shown]
	s_waitcnt lgkmcnt(1)
	v_mul_f64 v[10:11], v[116:117], v[6:7]
	v_mul_f64 v[18:19], v[194:195], v[126:127]
	v_fmac_f64_e32 v[10:11], v[118:119], v[4:5]
	v_accvgpr_read_b32 v4, a118
	v_fma_f64 v[18:19], v[192:193], v[124:125], -v[18:19]
	ds_read_b128 v[124:127], v2 offset:1440
	ds_read_b128 v[128:131], v2 offset:1456
	v_accvgpr_read_b32 v6, a120
	v_accvgpr_read_b32 v7, a121
	v_add_f64 v[0:1], v[0:1], v[10:11]
	v_accvgpr_read_b32 v5, a119
	s_waitcnt lgkmcnt(2)
	v_mul_f64 v[10:11], v[120:121], v[6:7]
	v_fmac_f64_e32 v[10:11], v[122:123], v[4:5]
	v_accvgpr_read_b32 v4, a122
	v_accvgpr_read_b32 v6, a124
	;; [unrolled: 1-line block ×3, first 2 shown]
	v_add_f64 v[0:1], v[0:1], v[10:11]
	v_accvgpr_read_b32 v5, a123
	s_waitcnt lgkmcnt(1)
	v_mul_f64 v[10:11], v[124:125], v[6:7]
	ds_read_b128 v[132:135], v2 offset:1472
	v_fmac_f64_e32 v[10:11], v[126:127], v[4:5]
	v_add_f64 v[0:1], v[0:1], v[10:11]
	s_waitcnt vmcnt(14) lgkmcnt(1)
	v_mul_f64 v[10:11], v[128:129], v[38:39]
	v_fmac_f64_e32 v[10:11], v[130:131], v[36:37]
	v_add_f64 v[0:1], v[0:1], v[10:11]
	v_mul_f64 v[10:11], v[146:147], v[138:139]
	v_fma_f64 v[22:23], v[144:145], v[136:137], -v[10:11]
	ds_read_b128 v[136:139], v2 offset:1488
	s_waitcnt vmcnt(13) lgkmcnt(1)
	v_mul_f64 v[10:11], v[132:133], v[42:43]
	v_fmac_f64_e32 v[10:11], v[134:135], v[40:41]
	v_add_f64 v[0:1], v[0:1], v[10:11]
	v_mul_f64 v[10:11], v[170:171], v[142:143]
	v_fma_f64 v[8:9], v[168:169], v[140:141], -v[10:11]
	ds_read_b128 v[140:143], v2 offset:1504
	ds_read_b128 v[144:147], v2 offset:1520
	s_waitcnt vmcnt(12) lgkmcnt(2)
	v_mul_f64 v[10:11], v[136:137], v[46:47]
	v_fmac_f64_e32 v[10:11], v[138:139], v[44:45]
	v_add_f64 v[0:1], v[0:1], v[10:11]
	s_waitcnt vmcnt(11) lgkmcnt(1)
	v_mul_f64 v[10:11], v[140:141], v[54:55]
	v_fmac_f64_e32 v[10:11], v[142:143], v[52:53]
	v_add_f64 v[0:1], v[0:1], v[10:11]
	v_mul_f64 v[10:11], v[214:215], v[150:151]
	v_fma_f64 v[26:27], v[212:213], v[148:149], -v[10:11]
	ds_read_b128 v[148:151], v2 offset:1536
	v_mul_f64 v[154:155], v[218:219], v[154:155]
	v_fma_f64 v[6:7], v[216:217], v[152:153], -v[154:155]
	ds_read_b128 v[152:155], v2 offset:1552
	s_waitcnt vmcnt(10) lgkmcnt(2)
	v_mul_f64 v[10:11], v[144:145], v[50:51]
	v_fmac_f64_e32 v[10:11], v[146:147], v[48:49]
	v_add_f64 v[0:1], v[0:1], v[10:11]
	s_waitcnt vmcnt(9) lgkmcnt(1)
	v_mul_f64 v[10:11], v[148:149], v[58:59]
	ds_read_b128 v[156:159], v2 offset:1568
	v_fmac_f64_e32 v[10:11], v[150:151], v[56:57]
	v_add_f64 v[0:1], v[0:1], v[10:11]
	s_waitcnt vmcnt(8) lgkmcnt(1)
	v_mul_f64 v[10:11], v[152:153], v[62:63]
	v_fmac_f64_e32 v[10:11], v[154:155], v[60:61]
	v_add_f64 v[0:1], v[0:1], v[10:11]
	v_mul_f64 v[10:11], v[222:223], v[162:163]
	v_fma_f64 v[30:31], v[220:221], v[160:161], -v[10:11]
	ds_read_b128 v[160:163], v2 offset:1584
	s_waitcnt vmcnt(7) lgkmcnt(1)
	v_mul_f64 v[10:11], v[156:157], v[66:67]
	v_fmac_f64_e32 v[10:11], v[158:159], v[64:65]
	v_add_f64 v[0:1], v[0:1], v[10:11]
	v_mul_f64 v[10:11], v[226:227], v[166:167]
	v_fma_f64 v[4:5], v[224:225], v[164:165], -v[10:11]
	ds_read_b128 v[164:167], v2 offset:1600
	ds_read_b128 v[168:171], v2 offset:1616
	s_waitcnt vmcnt(6) lgkmcnt(2)
	v_mul_f64 v[10:11], v[160:161], v[70:71]
	v_fmac_f64_e32 v[10:11], v[162:163], v[68:69]
	v_add_f64 v[0:1], v[0:1], v[10:11]
	s_waitcnt vmcnt(5) lgkmcnt(1)
	v_mul_f64 v[10:11], v[164:165], v[74:75]
	v_fmac_f64_e32 v[10:11], v[166:167], v[72:73]
	v_add_f64 v[10:11], v[0:1], v[10:11]
	v_mul_f64 v[0:1], v[230:231], v[174:175]
	v_fma_f64 v[34:35], v[228:229], v[172:173], -v[0:1]
	ds_read_b128 v[172:175], v2 offset:1632
	s_waitcnt vmcnt(4) lgkmcnt(1)
	v_mul_f64 v[180:181], v[168:169], v[78:79]
	v_fmac_f64_e32 v[180:181], v[170:171], v[76:77]
	v_mul_f64 v[0:1], v[234:235], v[178:179]
	v_fma_f64 v[0:1], v[232:233], v[176:177], -v[0:1]
	ds_read_b128 v[176:179], v2 offset:1648
	v_add_f64 v[10:11], v[10:11], v[180:181]
	s_waitcnt vmcnt(3) lgkmcnt(1)
	v_mul_f64 v[180:181], v[172:173], v[90:91]
	v_fmac_f64_e32 v[180:181], v[174:175], v[88:89]
	v_add_f64 v[188:189], v[10:11], v[180:181]
	ds_read_b128 v[180:183], v2 offset:1664
	v_mul_f64 v[10:11], v[238:239], v[186:187]
	v_fma_f64 v[10:11], v[236:237], v[184:185], -v[10:11]
	ds_read_b128 v[184:187], v2 offset:1680
	s_waitcnt vmcnt(2) lgkmcnt(2)
	v_mul_f64 v[190:191], v[176:177], v[86:87]
	v_fmac_f64_e32 v[190:191], v[178:179], v[84:85]
	v_add_f64 v[188:189], v[188:189], v[190:191]
	s_waitcnt vmcnt(1) lgkmcnt(1)
	v_mul_f64 v[190:191], v[180:181], v[94:95]
	v_fmac_f64_e32 v[190:191], v[182:183], v[92:93]
	v_add_f64 v[188:189], v[188:189], v[190:191]
	s_waitcnt vmcnt(0) lgkmcnt(0)
	v_mul_f64 v[190:191], v[184:185], v[98:99]
	v_fmac_f64_e32 v[190:191], v[186:187], v[96:97]
	v_add_f64 v[196:197], v[188:189], v[190:191]
	scratch_load_dwordx4 v[188:191], off, off offset:816
	scratch_load_dwordx4 v[232:235], off, off offset:896
	ds_read_b128 v[192:195], v2 offset:1696
	ds_read_b128 v[200:203], v2 offset:1712
	ds_read_b128 v[208:211], v2 offset:1728
	ds_read_b128 v[216:219], v2 offset:1744
	ds_read_b128 v[224:227], v2 offset:1760
	s_waitcnt vmcnt(1) lgkmcnt(4)
	v_mul_f64 v[198:199], v[192:193], v[190:191]
	v_fmac_f64_e32 v[198:199], v[194:195], v[188:189]
	v_add_f64 v[204:205], v[196:197], v[198:199]
	scratch_load_dwordx4 v[196:199], off, off offset:832
	s_waitcnt vmcnt(0) lgkmcnt(3)
	v_mul_f64 v[206:207], v[200:201], v[198:199]
	v_fmac_f64_e32 v[206:207], v[202:203], v[196:197]
	v_add_f64 v[212:213], v[204:205], v[206:207]
	scratch_load_dwordx4 v[204:207], off, off offset:848
	;; [unrolled: 5-line block ×4, first 2 shown]
	s_waitcnt vmcnt(0) lgkmcnt(0)
	v_mul_f64 v[230:231], v[224:225], v[222:223]
	v_fmac_f64_e32 v[230:231], v[226:227], v[220:221]
	v_add_f64 v[236:237], v[228:229], v[230:231]
	ds_read_b128 v[228:231], v2 offset:1776
	s_waitcnt lgkmcnt(0)
	v_mul_f64 v[2:3], v[228:229], v[234:235]
	v_fmac_f64_e32 v[2:3], v[230:231], v[232:233]
	v_add_f64 v[2:3], v[236:237], v[2:3]
	v_add_f64 v[236:237], v[240:241], 0
	;; [unrolled: 1-line block ×11, first 2 shown]
	scratch_load_dwordx4 v[236:239], off, off offset:32
	v_add_f64 v[24:25], v[24:25], v[242:243]
	v_add_f64 v[20:21], v[24:25], v[20:21]
	v_add_f64 v[16:17], v[20:21], v[16:17]
	v_add_f64 v[14:15], v[16:17], v[14:15]
	v_add_f64 v[14:15], v[14:15], v[18:19]
	v_add_f64 v[12:13], v[14:15], v[12:13]
	v_add_f64 v[12:13], v[12:13], v[22:23]
	v_add_f64 v[8:9], v[12:13], v[8:9]
	v_add_f64 v[8:9], v[8:9], v[26:27]
	v_add_f64 v[6:7], v[8:9], v[6:7]
	v_add_f64 v[6:7], v[6:7], v[30:31]
	v_add_f64 v[4:5], v[6:7], v[4:5]
	v_accvgpr_read_b32 v6, a126
	v_accvgpr_read_b32 v8, a128
	;; [unrolled: 1-line block ×3, first 2 shown]
	v_add_f64 v[244:245], v[4:5], v[34:35]
	v_accvgpr_read_b32 v7, a127
	v_mul_f64 v[4:5], v[82:83], v[8:9]
	v_add_f64 v[0:1], v[244:245], v[0:1]
	v_fma_f64 v[4:5], v[80:81], v[6:7], -v[4:5]
	v_accvgpr_read_b32 v6, a130
	v_add_f64 v[0:1], v[0:1], v[10:11]
	v_accvgpr_read_b32 v8, a132
	v_accvgpr_read_b32 v9, a133
	v_add_f64 v[0:1], v[0:1], v[4:5]
	v_accvgpr_read_b32 v7, a131
	v_mul_f64 v[4:5], v[102:103], v[8:9]
	v_fma_f64 v[4:5], v[100:101], v[6:7], -v[4:5]
	v_accvgpr_read_b32 v6, a134
	v_accvgpr_read_b32 v8, a136
	v_accvgpr_read_b32 v9, a137
	v_add_f64 v[0:1], v[0:1], v[4:5]
	v_accvgpr_read_b32 v7, a135
	v_mul_f64 v[4:5], v[106:107], v[8:9]
	v_fma_f64 v[4:5], v[104:105], v[6:7], -v[4:5]
	v_accvgpr_read_b32 v6, a138
	;; [unrolled: 7-line block ×6, first 2 shown]
	v_accvgpr_read_b32 v8, a124
	v_accvgpr_read_b32 v9, a125
	v_add_f64 v[0:1], v[0:1], v[4:5]
	v_accvgpr_read_b32 v7, a123
	v_mul_f64 v[4:5], v[126:127], v[8:9]
	v_fma_f64 v[4:5], v[124:125], v[6:7], -v[4:5]
	v_add_f64 v[0:1], v[0:1], v[4:5]
	v_mul_f64 v[4:5], v[130:131], v[38:39]
	v_fma_f64 v[4:5], v[128:129], v[36:37], -v[4:5]
	v_add_f64 v[0:1], v[0:1], v[4:5]
	;; [unrolled: 3-line block ×22, first 2 shown]
	s_waitcnt vmcnt(0)
	v_add_f64 v[4:5], v[236:237], -v[0:1]
	v_accvgpr_read_b32 v0, a112
	v_add_f64 v[6:7], v[238:239], -v[2:3]
	v_cmp_ne_u32_e32 vcc, 0, v0
	scratch_store_dwordx4 off, v[4:7], off offset:32
	s_and_saveexec_b64 s[0:1], vcc
	s_cbranch_execz .LBB119_349
; %bb.348:
	scratch_load_dwordx4 v[2:5], off, off offset:16
	v_mov_b32_e32 v6, 0
	v_mov_b32_e32 v7, v6
	;; [unrolled: 1-line block ×4, first 2 shown]
	v_accvgpr_read_b32 v0, a113
	scratch_store_dwordx4 off, v[6:9], off offset:16
	s_waitcnt vmcnt(1)
	ds_write_b128 v0, v[2:5]
.LBB119_349:
	s_or_b64 exec, exec, s[0:1]
	s_waitcnt lgkmcnt(0)
	; wave barrier
	scratch_load_dwordx4 v[16:19], off, off offset:32
	scratch_load_dwordx4 v[20:23], off, off offset:48
	;; [unrolled: 1-line block ×30, first 2 shown]
	v_mov_b32_e32 v42, 0
	ds_read_b128 v[80:83], v42 offset:912
	ds_read_b128 v[88:91], v42 offset:928
	;; [unrolled: 1-line block ×17, first 2 shown]
	scratch_load_dwordx4 a[116:119], off, off offset:512
	scratch_load_dwordx4 a[120:123], off, off offset:528
	;; [unrolled: 1-line block ×4, first 2 shown]
	ds_read_b128 v[220:223], v42 offset:1248
	ds_read_b128 v[224:227], v42 offset:1264
	;; [unrolled: 1-line block ×5, first 2 shown]
	s_and_b64 vcc, exec, s[10:11]
	s_waitcnt vmcnt(33) lgkmcnt(14)
	v_mul_f64 v[44:45], v[80:81], v[18:19]
	s_waitcnt vmcnt(32)
	v_mul_f64 v[46:47], v[88:89], v[22:23]
	v_fmac_f64_e32 v[44:45], v[82:83], v[16:17]
	s_waitcnt vmcnt(31)
	v_mul_f64 v[52:53], v[100:101], v[26:27]
	v_fmac_f64_e32 v[46:47], v[90:91], v[20:21]
	v_add_f64 v[44:45], v[44:45], 0
	s_waitcnt vmcnt(30)
	v_mul_f64 v[54:55], v[108:109], v[30:31]
	v_fmac_f64_e32 v[52:53], v[102:103], v[24:25]
	v_add_f64 v[44:45], v[44:45], v[46:47]
	;; [unrolled: 4-line block ×6, first 2 shown]
	s_waitcnt vmcnt(25) lgkmcnt(13)
	v_mul_f64 v[204:205], v[140:141], v[58:59]
	v_fmac_f64_e32 v[66:67], v[130:131], v[48:49]
	v_add_f64 v[44:45], v[44:45], v[64:65]
	s_waitcnt vmcnt(24) lgkmcnt(12)
	v_mul_f64 v[206:207], v[148:149], v[70:71]
	v_fmac_f64_e32 v[204:205], v[142:143], v[56:57]
	v_add_f64 v[44:45], v[44:45], v[66:67]
	;; [unrolled: 4-line block ×6, first 2 shown]
	ds_read_b128 v[204:207], v42 offset:1184
	ds_read_b128 v[208:211], v42 offset:1200
	s_waitcnt vmcnt(19) lgkmcnt(9)
	v_mul_f64 v[216:217], v[192:193], v[98:99]
	v_fmac_f64_e32 v[214:215], v[190:191], v[92:93]
	v_add_f64 v[44:45], v[44:45], v[212:213]
	s_waitcnt vmcnt(18) lgkmcnt(8)
	v_mul_f64 v[218:219], v[196:197], v[106:107]
	v_fmac_f64_e32 v[216:217], v[194:195], v[96:97]
	v_add_f64 v[44:45], v[44:45], v[214:215]
	v_fmac_f64_e32 v[218:219], v[198:199], v[104:105]
	v_add_f64 v[44:45], v[44:45], v[216:217]
	s_waitcnt vmcnt(17) lgkmcnt(7)
	v_mul_f64 v[46:47], v[200:201], v[122:123]
	ds_read_b128 v[212:215], v42 offset:1216
	v_add_f64 v[44:45], v[44:45], v[218:219]
	v_fmac_f64_e32 v[46:47], v[202:203], v[120:121]
	ds_read_b128 v[216:219], v42 offset:1232
	v_add_f64 v[44:45], v[44:45], v[46:47]
	s_waitcnt vmcnt(16) lgkmcnt(3)
	v_mul_f64 v[46:47], v[204:205], v[134:135]
	v_fmac_f64_e32 v[46:47], v[206:207], v[132:133]
	s_waitcnt vmcnt(15) lgkmcnt(2)
	v_mul_f64 v[54:55], v[208:209], v[138:139]
	v_add_f64 v[52:53], v[44:45], v[46:47]
	v_fmac_f64_e32 v[54:55], v[210:211], v[136:137]
	v_add_f64 v[52:53], v[52:53], v[54:55]
	s_waitcnt vmcnt(14) lgkmcnt(1)
	v_mul_f64 v[54:55], v[212:213], v[146:147]
	v_fmac_f64_e32 v[54:55], v[214:215], v[144:145]
	s_waitcnt vmcnt(13) lgkmcnt(0)
	v_mul_f64 v[62:63], v[216:217], v[154:155]
	v_add_f64 v[60:61], v[52:53], v[54:55]
	v_fmac_f64_e32 v[62:63], v[218:219], v[152:153]
	v_mul_f64 v[18:19], v[82:83], v[18:19]
	v_add_f64 v[60:61], v[60:61], v[62:63]
	s_waitcnt vmcnt(12)
	v_mul_f64 v[62:63], v[220:221], v[158:159]
	v_fma_f64 v[240:241], v[80:81], v[16:17], -v[18:19]
	ds_read_b128 v[80:83], v42 offset:1328
	scratch_load_dwordx4 a[136:139], off, off offset:576
	scratch_load_dwordx4 a[132:135], off, off offset:592
	v_fmac_f64_e32 v[62:63], v[222:223], v[156:157]
	s_waitcnt vmcnt(13)
	v_mul_f64 v[66:67], v[224:225], v[166:167]
	v_add_f64 v[64:65], v[60:61], v[62:63]
	v_fmac_f64_e32 v[66:67], v[226:227], v[164:165]
	v_add_f64 v[64:65], v[64:65], v[66:67]
	s_waitcnt vmcnt(12)
	v_mul_f64 v[66:67], v[228:229], v[170:171]
	v_fmac_f64_e32 v[66:67], v[230:231], v[168:169]
	v_add_f64 v[64:65], v[64:65], v[66:67]
	s_waitcnt vmcnt(11)
	v_mul_f64 v[66:67], v[232:233], v[178:179]
	v_fmac_f64_e32 v[66:67], v[234:235], v[176:177]
	v_add_f64 v[236:237], v[64:65], v[66:67]
	scratch_load_dwordx4 v[64:67], off, off offset:608
	scratch_load_dwordx4 v[60:63], off, off offset:624
	v_mul_f64 v[16:17], v[90:91], v[22:23]
	v_fma_f64 v[246:247], v[88:89], v[20:21], -v[16:17]
	ds_read_b128 v[88:91], v42 offset:1344
	s_waitcnt vmcnt(12)
	v_mul_f64 v[238:239], v[242:243], v[182:183]
	v_mul_f64 v[26:27], v[102:103], v[26:27]
	v_fmac_f64_e32 v[238:239], v[244:245], v[180:181]
	v_fma_f64 v[248:249], v[100:101], v[24:25], -v[26:27]
	s_waitcnt vmcnt(11) lgkmcnt(1)
	v_mul_f64 v[24:25], v[80:81], v[10:11]
	v_add_f64 v[236:237], v[236:237], v[238:239]
	v_fmac_f64_e32 v[24:25], v[82:83], v[8:9]
	v_add_f64 v[100:101], v[236:237], v[24:25]
	v_mul_f64 v[24:25], v[110:111], v[30:31]
	v_fma_f64 v[250:251], v[108:109], v[28:29], -v[24:25]
	s_waitcnt vmcnt(10) lgkmcnt(0)
	v_mul_f64 v[28:29], v[88:89], v[14:15]
	v_fmac_f64_e32 v[28:29], v[90:91], v[12:13]
	v_add_f64 v[236:237], v[100:101], v[28:29]
	ds_read_b128 v[100:103], v42 offset:1360
	scratch_load_dwordx4 v[44:47], off, off offset:640
	scratch_load_dwordx4 v[52:55], off, off offset:656
	v_mul_f64 v[34:35], v[114:115], v[34:35]
	v_fma_f64 v[252:253], v[112:113], v[32:33], -v[34:35]
	v_mul_f64 v[32:33], v[118:119], v[2:3]
	s_waitcnt vmcnt(11) lgkmcnt(0)
	v_mul_f64 v[40:41], v[100:101], v[38:39]
	v_fma_f64 v[28:29], v[116:117], v[0:1], -v[32:33]
	v_fmac_f64_e32 v[40:41], v[102:103], v[36:37]
	scratch_load_dwordx4 v[32:35], off, off offset:672
	v_add_f64 v[112:113], v[236:237], v[40:41]
	v_mul_f64 v[40:41], v[130:131], v[50:51]
	v_fma_f64 v[20:21], v[128:129], v[48:49], -v[40:41]
	scratch_load_dwordx4 v[48:51], off, off offset:688
	ds_read_b128 v[108:111], v42 offset:1376
	ds_read_b128 v[116:119], v42 offset:1408
	v_mul_f64 v[2:3], v[126:127], v[6:7]
	v_fma_f64 v[24:25], v[124:125], v[4:5], -v[2:3]
	s_waitcnt vmcnt(12)
	v_accvgpr_read_b32 v0, a112
	v_accvgpr_read_b32 v2, a114
	;; [unrolled: 1-line block ×4, first 2 shown]
	s_waitcnt lgkmcnt(1)
	v_mul_f64 v[6:7], v[108:109], v[2:3]
	v_fmac_f64_e32 v[6:7], v[110:111], v[0:1]
	v_add_f64 v[6:7], v[112:113], v[6:7]
	ds_read_b128 v[112:115], v42 offset:1392
	ds_read_b128 v[124:127], v42 offset:1424
	v_accvgpr_write_b32 a143, v11
	s_waitcnt vmcnt(11)
	v_accvgpr_read_b32 v0, a116
	v_accvgpr_write_b32 a142, v10
	v_accvgpr_write_b32 a141, v9
	;; [unrolled: 1-line block ×4, first 2 shown]
	v_mul_f64 v[10:11], v[162:163], v[74:75]
	v_accvgpr_read_b32 v2, a118
	v_accvgpr_read_b32 v3, a119
	v_accvgpr_write_b32 a146, v14
	v_accvgpr_write_b32 a145, v13
	;; [unrolled: 1-line block ×3, first 2 shown]
	v_fma_f64 v[12:13], v[160:161], v[72:73], -v[10:11]
	v_accvgpr_read_b32 v1, a117
	s_waitcnt lgkmcnt(1)
	v_mul_f64 v[72:73], v[112:113], v[2:3]
	v_fmac_f64_e32 v[72:73], v[114:115], v[0:1]
	s_waitcnt vmcnt(10)
	v_accvgpr_read_b32 v0, a120
	v_accvgpr_read_b32 v2, a122
	;; [unrolled: 1-line block ×4, first 2 shown]
	v_mul_f64 v[14:15], v[116:117], v[2:3]
	v_add_f64 v[6:7], v[6:7], v[72:73]
	v_fmac_f64_e32 v[14:15], v[118:119], v[0:1]
	ds_read_b128 v[128:131], v42 offset:1440
	s_waitcnt vmcnt(9)
	v_accvgpr_read_b32 v0, a124
	v_mul_f64 v[58:59], v[142:143], v[58:59]
	v_add_f64 v[6:7], v[6:7], v[14:15]
	v_mul_f64 v[14:15], v[190:191], v[94:95]
	v_accvgpr_read_b32 v2, a126
	v_accvgpr_read_b32 v3, a127
	v_fma_f64 v[236:237], v[140:141], v[56:57], -v[58:59]
	v_mul_f64 v[56:57], v[150:151], v[70:71]
	v_mul_f64 v[72:73], v[174:175], v[78:79]
	v_fma_f64 v[8:9], v[188:189], v[92:93], -v[14:15]
	v_accvgpr_read_b32 v1, a125
	s_waitcnt lgkmcnt(1)
	v_mul_f64 v[14:15], v[124:125], v[2:3]
	v_fma_f64 v[16:17], v[148:149], v[68:69], -v[56:57]
	scratch_load_dwordx4 v[56:59], off, off offset:704
	scratch_load_dwordx4 v[68:71], off, off offset:720
	v_fma_f64 v[10:11], v[172:173], v[76:77], -v[72:73]
	v_mul_f64 v[76:77], v[186:187], v[86:87]
	v_mul_f64 v[18:19], v[194:195], v[98:99]
	v_fmac_f64_e32 v[14:15], v[126:127], v[0:1]
	s_waitcnt vmcnt(10)
	v_accvgpr_read_b32 v0, a128
	v_mul_f64 v[22:23], v[202:203], v[122:123]
	scratch_load_dwordx4 v[72:75], off, off offset:736
	v_fma_f64 v[238:239], v[184:185], v[84:85], -v[76:77]
	scratch_load_dwordx4 v[76:79], off, off offset:752
	v_fma_f64 v[18:19], v[192:193], v[96:97], -v[18:19]
	scratch_load_dwordx4 v[92:95], off, off offset:768
	scratch_load_dwordx4 v[84:87], off, off offset:784
	v_add_f64 v[6:7], v[6:7], v[14:15]
	v_mul_f64 v[14:15], v[198:199], v[106:107]
	scratch_load_dwordx4 v[96:99], off, off offset:800
	v_accvgpr_read_b32 v2, a130
	v_accvgpr_read_b32 v3, a131
	v_fma_f64 v[22:23], v[200:201], v[120:121], -v[22:23]
	ds_read_b128 v[140:143], v42 offset:1456
	ds_read_b128 v[120:123], v42 offset:1472
	v_accvgpr_write_b32 a151, v39
	v_fma_f64 v[4:5], v[196:197], v[104:105], -v[14:15]
	v_accvgpr_read_b32 v1, a129
	s_waitcnt lgkmcnt(2)
	v_mul_f64 v[14:15], v[128:129], v[2:3]
	v_accvgpr_write_b32 a150, v38
	v_accvgpr_write_b32 a149, v37
	;; [unrolled: 1-line block ×3, first 2 shown]
	v_fmac_f64_e32 v[14:15], v[130:131], v[0:1]
	s_waitcnt vmcnt(14)
	v_accvgpr_read_b32 v36, a136
	v_add_f64 v[6:7], v[6:7], v[14:15]
	v_mul_f64 v[14:15], v[206:207], v[134:135]
	v_accvgpr_read_b32 v38, a138
	v_accvgpr_read_b32 v39, a139
	v_fma_f64 v[2:3], v[204:205], v[132:133], -v[14:15]
	v_accvgpr_read_b32 v37, a137
	s_waitcnt lgkmcnt(1)
	v_mul_f64 v[14:15], v[140:141], v[38:39]
	v_fmac_f64_e32 v[14:15], v[142:143], v[36:37]
	s_waitcnt vmcnt(13)
	v_accvgpr_read_b32 v36, a132
	ds_read_b128 v[132:135], v42 offset:1488
	v_accvgpr_read_b32 v38, a134
	v_accvgpr_read_b32 v39, a135
	v_add_f64 v[6:7], v[6:7], v[14:15]
	v_accvgpr_read_b32 v37, a133
	s_waitcnt lgkmcnt(1)
	v_mul_f64 v[14:15], v[120:121], v[38:39]
	v_fmac_f64_e32 v[14:15], v[122:123], v[36:37]
	v_add_f64 v[6:7], v[6:7], v[14:15]
	v_mul_f64 v[14:15], v[210:211], v[138:139]
	v_fma_f64 v[26:27], v[208:209], v[136:137], -v[14:15]
	ds_read_b128 v[136:139], v42 offset:1504
	s_waitcnt vmcnt(12) lgkmcnt(1)
	v_mul_f64 v[14:15], v[132:133], v[66:67]
	v_fmac_f64_e32 v[14:15], v[134:135], v[64:65]
	v_add_f64 v[6:7], v[6:7], v[14:15]
	v_mul_f64 v[14:15], v[214:215], v[146:147]
	v_fma_f64 v[0:1], v[212:213], v[144:145], -v[14:15]
	ds_read_b128 v[144:147], v42 offset:1520
	ds_read_b128 v[148:151], v42 offset:1536
	s_waitcnt vmcnt(11) lgkmcnt(2)
	v_mul_f64 v[14:15], v[136:137], v[62:63]
	v_fmac_f64_e32 v[14:15], v[138:139], v[60:61]
	v_add_f64 v[6:7], v[6:7], v[14:15]
	s_waitcnt vmcnt(10) lgkmcnt(1)
	v_mul_f64 v[14:15], v[144:145], v[46:47]
	v_fmac_f64_e32 v[14:15], v[146:147], v[44:45]
	v_add_f64 v[6:7], v[6:7], v[14:15]
	v_mul_f64 v[14:15], v[218:219], v[154:155]
	scratch_load_dwordx4 v[104:107], off, off offset:816
	v_fma_f64 v[30:31], v[216:217], v[152:153], -v[14:15]
	ds_read_b128 v[152:155], v42 offset:1552
	v_mul_f64 v[158:159], v[222:223], v[158:159]
	v_fma_f64 v[254:255], v[220:221], v[156:157], -v[158:159]
	ds_read_b128 v[156:159], v42 offset:1568
	scratch_load_dwordx4 v[192:195], off, off offset:832
	scratch_load_dwordx4 v[200:203], off, off offset:848
	s_waitcnt vmcnt(12) lgkmcnt(2)
	v_mul_f64 v[14:15], v[148:149], v[54:55]
	v_fmac_f64_e32 v[14:15], v[150:151], v[52:53]
	v_add_f64 v[6:7], v[6:7], v[14:15]
	s_waitcnt vmcnt(11) lgkmcnt(1)
	v_mul_f64 v[14:15], v[152:153], v[34:35]
	v_fmac_f64_e32 v[14:15], v[154:155], v[32:33]
	scratch_load_dwordx4 v[208:211], off, off offset:864
	scratch_load_dwordx4 v[216:219], off, off offset:880
	v_add_f64 v[6:7], v[6:7], v[14:15]
	s_waitcnt vmcnt(12) lgkmcnt(0)
	v_mul_f64 v[14:15], v[156:157], v[50:51]
	v_fmac_f64_e32 v[14:15], v[158:159], v[48:49]
	v_add_f64 v[6:7], v[6:7], v[14:15]
	v_mul_f64 v[14:15], v[226:227], v[166:167]
	v_fma_f64 v[38:39], v[224:225], v[164:165], -v[14:15]
	scratch_load_dwordx4 v[224:227], off, off offset:896
	ds_read_b128 v[160:163], v42 offset:1584
	ds_read_b128 v[164:167], v42 offset:1600
	;; [unrolled: 1-line block ×5, first 2 shown]
	s_waitcnt vmcnt(12) lgkmcnt(4)
	v_mul_f64 v[14:15], v[160:161], v[58:59]
	v_fmac_f64_e32 v[14:15], v[162:163], v[56:57]
	v_add_f64 v[6:7], v[6:7], v[14:15]
	v_mul_f64 v[14:15], v[230:231], v[170:171]
	v_fma_f64 v[36:37], v[228:229], v[168:169], -v[14:15]
	ds_read_b128 v[168:171], v42 offset:1616
	s_waitcnt vmcnt(11) lgkmcnt(4)
	v_mul_f64 v[14:15], v[164:165], v[70:71]
	v_fmac_f64_e32 v[14:15], v[166:167], v[68:69]
	v_add_f64 v[6:7], v[6:7], v[14:15]
	s_waitcnt vmcnt(9) lgkmcnt(3)
	v_mul_f64 v[40:41], v[172:173], v[78:79]
	s_waitcnt lgkmcnt(0)
	v_mul_f64 v[14:15], v[168:169], v[74:75]
	v_fmac_f64_e32 v[14:15], v[170:171], v[72:73]
	v_add_f64 v[6:7], v[6:7], v[14:15]
	v_mul_f64 v[14:15], v[234:235], v[178:179]
	v_fma_f64 v[14:15], v[232:233], v[176:177], -v[14:15]
	v_fmac_f64_e32 v[40:41], v[174:175], v[76:77]
	ds_read_b128 v[176:179], v42 offset:1648
	v_add_f64 v[6:7], v[6:7], v[40:41]
	v_mul_f64 v[40:41], v[244:245], v[182:183]
	v_fma_f64 v[242:243], v[242:243], v[180:181], -v[40:41]
	ds_read_b128 v[180:183], v42 offset:1664
	s_waitcnt vmcnt(8) lgkmcnt(1)
	v_mul_f64 v[40:41], v[176:177], v[94:95]
	v_fmac_f64_e32 v[40:41], v[178:179], v[92:93]
	v_add_f64 v[6:7], v[6:7], v[40:41]
	ds_read_b128 v[196:199], v42 offset:1712
	ds_read_b128 v[204:207], v42 offset:1728
	s_waitcnt vmcnt(7) lgkmcnt(2)
	v_mul_f64 v[40:41], v[180:181], v[86:87]
	v_fmac_f64_e32 v[40:41], v[182:183], v[84:85]
	v_add_f64 v[6:7], v[6:7], v[40:41]
	s_waitcnt vmcnt(6)
	v_mul_f64 v[40:41], v[184:185], v[98:99]
	v_fmac_f64_e32 v[40:41], v[186:187], v[96:97]
	v_add_f64 v[6:7], v[6:7], v[40:41]
	scratch_load_dwordx4 v[232:235], off, off offset:16
	ds_read_b128 v[212:215], v42 offset:1744
	ds_read_b128 v[220:223], v42 offset:1760
	;; [unrolled: 1-line block ×3, first 2 shown]
	s_waitcnt vmcnt(6)
	v_mul_f64 v[40:41], v[188:189], v[106:107]
	v_fmac_f64_e32 v[40:41], v[190:191], v[104:105]
	v_add_f64 v[6:7], v[6:7], v[40:41]
	s_waitcnt vmcnt(5) lgkmcnt(4)
	v_mul_f64 v[40:41], v[196:197], v[194:195]
	v_fmac_f64_e32 v[40:41], v[198:199], v[192:193]
	v_add_f64 v[6:7], v[6:7], v[40:41]
	s_waitcnt vmcnt(4) lgkmcnt(3)
	;; [unrolled: 4-line block ×5, first 2 shown]
	v_mul_f64 v[40:41], v[228:229], v[226:227]
	v_fmac_f64_e32 v[40:41], v[230:231], v[224:225]
	v_add_f64 v[6:7], v[6:7], v[40:41]
	v_add_f64 v[40:41], v[240:241], 0
	v_add_f64 v[40:41], v[40:41], v[246:247]
	v_add_f64 v[40:41], v[40:41], v[248:249]
	v_add_f64 v[40:41], v[40:41], v[250:251]
	v_add_f64 v[40:41], v[40:41], v[252:253]
	v_add_f64 v[28:29], v[40:41], v[28:29]
	v_add_f64 v[24:25], v[28:29], v[24:25]
	v_add_f64 v[20:21], v[24:25], v[20:21]
	v_add_f64 v[20:21], v[20:21], v[236:237]
	v_add_f64 v[16:17], v[20:21], v[16:17]
	v_add_f64 v[12:13], v[16:17], v[12:13]
	v_add_f64 v[10:11], v[12:13], v[10:11]
	v_add_f64 v[10:11], v[10:11], v[238:239]
	v_add_f64 v[8:9], v[10:11], v[8:9]
	v_add_f64 v[8:9], v[8:9], v[18:19]
	v_add_f64 v[4:5], v[8:9], v[4:5]
	v_add_f64 v[4:5], v[4:5], v[22:23]
	v_add_f64 v[2:3], v[4:5], v[2:3]
	v_add_f64 v[2:3], v[2:3], v[26:27]
	v_add_f64 v[0:1], v[2:3], v[0:1]
	v_add_f64 v[0:1], v[0:1], v[30:31]
	v_add_f64 v[0:1], v[0:1], v[254:255]
	v_accvgpr_read_b32 v8, a140
	v_add_f64 v[0:1], v[0:1], v[38:39]
	v_accvgpr_read_b32 v10, a142
	v_accvgpr_read_b32 v11, a143
	v_add_f64 v[244:245], v[0:1], v[36:37]
	v_accvgpr_read_b32 v9, a141
	v_mul_f64 v[2:3], v[82:83], v[10:11]
	v_add_f64 v[0:1], v[244:245], v[14:15]
	v_fma_f64 v[2:3], v[80:81], v[8:9], -v[2:3]
	v_accvgpr_read_b32 v8, a144
	v_add_f64 v[0:1], v[0:1], v[242:243]
	v_accvgpr_read_b32 v10, a146
	v_accvgpr_read_b32 v11, a147
	v_add_f64 v[0:1], v[0:1], v[2:3]
	v_accvgpr_read_b32 v9, a145
	v_mul_f64 v[2:3], v[90:91], v[10:11]
	v_fma_f64 v[2:3], v[88:89], v[8:9], -v[2:3]
	v_accvgpr_read_b32 v8, a148
	v_accvgpr_read_b32 v10, a150
	v_accvgpr_read_b32 v11, a151
	v_add_f64 v[0:1], v[0:1], v[2:3]
	v_accvgpr_read_b32 v9, a149
	v_mul_f64 v[2:3], v[102:103], v[10:11]
	v_fma_f64 v[2:3], v[100:101], v[8:9], -v[2:3]
	v_accvgpr_read_b32 v8, a112
	;; [unrolled: 7-line block ×8, first 2 shown]
	v_accvgpr_read_b32 v10, a134
	v_accvgpr_read_b32 v11, a135
	v_add_f64 v[0:1], v[0:1], v[2:3]
	v_accvgpr_read_b32 v9, a133
	v_mul_f64 v[2:3], v[122:123], v[10:11]
	v_fma_f64 v[2:3], v[120:121], v[8:9], -v[2:3]
	v_add_f64 v[0:1], v[0:1], v[2:3]
	v_mul_f64 v[2:3], v[134:135], v[66:67]
	v_fma_f64 v[2:3], v[132:133], v[64:65], -v[2:3]
	v_add_f64 v[0:1], v[0:1], v[2:3]
	;; [unrolled: 3-line block ×20, first 2 shown]
	s_waitcnt vmcnt(0)
	v_add_f64 v[0:1], v[232:233], -v[0:1]
	v_add_f64 v[2:3], v[234:235], -v[6:7]
	scratch_store_dwordx4 off, v[0:3], off offset:16
	s_cbranch_vccz .LBB119_460
; %bb.350:
	global_load_dword v0, v42, s[8:9] offset:216
	s_waitcnt vmcnt(0)
	v_readfirstlane_b32 s0, v0
	s_add_i32 s0, s0, -1
	s_cmp_lg_u32 s0, 54
	s_cbranch_scc0 .LBB119_352
; %bb.351:
	s_lshl_b32 s0, s0, 4
	s_add_i32 s0, s0, 16
	scratch_load_dwordx4 v[0:3], off, s0
	scratch_load_dwordx4 v[4:7], off, s17
	s_waitcnt vmcnt(1)
	scratch_store_dwordx4 off, v[0:3], s17
	s_waitcnt vmcnt(1)
	scratch_store_dwordx4 off, v[4:7], s0
.LBB119_352:
	v_mov_b32_e32 v0, 0
	global_load_dword v1, v0, s[8:9] offset:212
	s_waitcnt vmcnt(0)
	v_readfirstlane_b32 s0, v1
	s_add_i32 s0, s0, -1
	s_cmp_eq_u32 s0, 53
	s_cbranch_scc1 .LBB119_354
; %bb.353:
	s_lshl_b32 s0, s0, 4
	s_add_i32 s0, s0, 16
	scratch_load_dwordx4 v[2:5], off, s0
	scratch_load_dwordx4 v[6:9], off, s18
	s_waitcnt vmcnt(1)
	scratch_store_dwordx4 off, v[2:5], s18
	s_waitcnt vmcnt(1)
	scratch_store_dwordx4 off, v[6:9], s0
.LBB119_354:
	global_load_dword v0, v0, s[8:9] offset:208
	s_waitcnt vmcnt(0)
	v_readfirstlane_b32 s0, v0
	s_add_i32 s0, s0, -1
	s_cmp_eq_u32 s0, 52
	s_cbranch_scc1 .LBB119_356
; %bb.355:
	s_lshl_b32 s0, s0, 4
	s_add_i32 s0, s0, 16
	scratch_load_dwordx4 v[0:3], off, s0
	scratch_load_dwordx4 v[4:7], off, s19
	s_waitcnt vmcnt(1)
	scratch_store_dwordx4 off, v[0:3], s19
	s_waitcnt vmcnt(1)
	scratch_store_dwordx4 off, v[4:7], s0
.LBB119_356:
	v_mov_b32_e32 v0, 0
	global_load_dword v1, v0, s[8:9] offset:204
	s_waitcnt vmcnt(0)
	v_readfirstlane_b32 s0, v1
	s_add_i32 s0, s0, -1
	s_cmp_eq_u32 s0, 51
	s_cbranch_scc1 .LBB119_358
; %bb.357:
	s_lshl_b32 s0, s0, 4
	s_add_i32 s0, s0, 16
	scratch_load_dwordx4 v[2:5], off, s0
	scratch_load_dwordx4 v[6:9], off, s20
	s_waitcnt vmcnt(1)
	scratch_store_dwordx4 off, v[2:5], s20
	s_waitcnt vmcnt(1)
	scratch_store_dwordx4 off, v[6:9], s0
.LBB119_358:
	global_load_dword v0, v0, s[8:9] offset:200
	s_waitcnt vmcnt(0)
	v_readfirstlane_b32 s0, v0
	s_add_i32 s0, s0, -1
	s_cmp_eq_u32 s0, 50
	s_cbranch_scc1 .LBB119_360
; %bb.359:
	s_lshl_b32 s0, s0, 4
	s_add_i32 s0, s0, 16
	scratch_load_dwordx4 v[0:3], off, s0
	scratch_load_dwordx4 v[4:7], off, s21
	s_waitcnt vmcnt(1)
	scratch_store_dwordx4 off, v[0:3], s21
	s_waitcnt vmcnt(1)
	scratch_store_dwordx4 off, v[4:7], s0
.LBB119_360:
	;; [unrolled: 33-line block ×26, first 2 shown]
	v_mov_b32_e32 v0, 0
	global_load_dword v1, v0, s[8:9] offset:4
	s_waitcnt vmcnt(0)
	v_readfirstlane_b32 s0, v1
	s_add_i32 s0, s0, -1
	s_cmp_eq_u32 s0, 1
	s_cbranch_scc1 .LBB119_458
; %bb.457:
	s_lshl_b32 s0, s0, 4
	s_add_i32 s0, s0, 16
	scratch_load_dwordx4 v[2:5], off, s0
	scratch_load_dwordx4 v[6:9], off, s71
	s_waitcnt vmcnt(1)
	scratch_store_dwordx4 off, v[2:5], s71
	s_waitcnt vmcnt(1)
	scratch_store_dwordx4 off, v[6:9], s0
.LBB119_458:
	global_load_dword v0, v0, s[8:9]
	s_waitcnt vmcnt(0)
	v_readfirstlane_b32 s0, v0
	s_add_i32 s0, s0, -1
	s_cmp_eq_u32 s0, 0
	s_cbranch_scc1 .LBB119_460
; %bb.459:
	s_lshl_b32 s0, s0, 4
	s_add_i32 s0, s0, 16
	scratch_load_dwordx4 v[0:3], off, s0
	scratch_load_dwordx4 v[4:7], off, off offset:16
	s_waitcnt vmcnt(1)
	scratch_store_dwordx4 off, v[0:3], off offset:16
	s_waitcnt vmcnt(1)
	scratch_store_dwordx4 off, v[4:7], s0
.LBB119_460:
	scratch_load_dwordx4 v[0:3], off, off offset:16
	s_nop 0
	v_accvgpr_read_b32 v5, a1
	v_accvgpr_read_b32 v4, a0
	s_waitcnt vmcnt(0)
	flat_store_dwordx4 v[4:5], v[0:3]
	scratch_load_dwordx4 v[0:3], off, s71
	v_accvgpr_read_b32 v5, a3
	v_accvgpr_read_b32 v4, a2
	s_waitcnt vmcnt(0)
	flat_store_dwordx4 v[4:5], v[0:3]
	scratch_load_dwordx4 v[0:3], off, s70
	;; [unrolled: 5-line block ×55, first 2 shown]
	v_accvgpr_read_b32 v4, a110
	v_accvgpr_read_b32 v5, a111
	s_waitcnt vmcnt(0)
	flat_store_dwordx4 v[4:5], v[0:3]
	s_endpgm
	.section	.rodata,"a",@progbits
	.p2align	6, 0x0
	.amdhsa_kernel _ZN9rocsolver6v33100L18getri_kernel_smallILi56E19rocblas_complex_numIdEPKPS3_EEvT1_iilPiilS8_bb
		.amdhsa_group_segment_fixed_size 1800
		.amdhsa_private_segment_fixed_size 928
		.amdhsa_kernarg_size 60
		.amdhsa_user_sgpr_count 2
		.amdhsa_user_sgpr_dispatch_ptr 0
		.amdhsa_user_sgpr_queue_ptr 0
		.amdhsa_user_sgpr_kernarg_segment_ptr 1
		.amdhsa_user_sgpr_dispatch_id 0
		.amdhsa_user_sgpr_kernarg_preload_length 0
		.amdhsa_user_sgpr_kernarg_preload_offset 0
		.amdhsa_user_sgpr_private_segment_size 0
		.amdhsa_uses_dynamic_stack 0
		.amdhsa_enable_private_segment 1
		.amdhsa_system_sgpr_workgroup_id_x 1
		.amdhsa_system_sgpr_workgroup_id_y 0
		.amdhsa_system_sgpr_workgroup_id_z 0
		.amdhsa_system_sgpr_workgroup_info 0
		.amdhsa_system_vgpr_workitem_id 0
		.amdhsa_next_free_vgpr 408
		.amdhsa_next_free_sgpr 92
		.amdhsa_accum_offset 256
		.amdhsa_reserve_vcc 1
		.amdhsa_float_round_mode_32 0
		.amdhsa_float_round_mode_16_64 0
		.amdhsa_float_denorm_mode_32 3
		.amdhsa_float_denorm_mode_16_64 3
		.amdhsa_dx10_clamp 1
		.amdhsa_ieee_mode 1
		.amdhsa_fp16_overflow 0
		.amdhsa_tg_split 0
		.amdhsa_exception_fp_ieee_invalid_op 0
		.amdhsa_exception_fp_denorm_src 0
		.amdhsa_exception_fp_ieee_div_zero 0
		.amdhsa_exception_fp_ieee_overflow 0
		.amdhsa_exception_fp_ieee_underflow 0
		.amdhsa_exception_fp_ieee_inexact 0
		.amdhsa_exception_int_div_zero 0
	.end_amdhsa_kernel
	.section	.text._ZN9rocsolver6v33100L18getri_kernel_smallILi56E19rocblas_complex_numIdEPKPS3_EEvT1_iilPiilS8_bb,"axG",@progbits,_ZN9rocsolver6v33100L18getri_kernel_smallILi56E19rocblas_complex_numIdEPKPS3_EEvT1_iilPiilS8_bb,comdat
.Lfunc_end119:
	.size	_ZN9rocsolver6v33100L18getri_kernel_smallILi56E19rocblas_complex_numIdEPKPS3_EEvT1_iilPiilS8_bb, .Lfunc_end119-_ZN9rocsolver6v33100L18getri_kernel_smallILi56E19rocblas_complex_numIdEPKPS3_EEvT1_iilPiilS8_bb
                                        ; -- End function
	.set _ZN9rocsolver6v33100L18getri_kernel_smallILi56E19rocblas_complex_numIdEPKPS3_EEvT1_iilPiilS8_bb.num_vgpr, 256
	.set _ZN9rocsolver6v33100L18getri_kernel_smallILi56E19rocblas_complex_numIdEPKPS3_EEvT1_iilPiilS8_bb.num_agpr, 152
	.set _ZN9rocsolver6v33100L18getri_kernel_smallILi56E19rocblas_complex_numIdEPKPS3_EEvT1_iilPiilS8_bb.numbered_sgpr, 92
	.set _ZN9rocsolver6v33100L18getri_kernel_smallILi56E19rocblas_complex_numIdEPKPS3_EEvT1_iilPiilS8_bb.num_named_barrier, 0
	.set _ZN9rocsolver6v33100L18getri_kernel_smallILi56E19rocblas_complex_numIdEPKPS3_EEvT1_iilPiilS8_bb.private_seg_size, 928
	.set _ZN9rocsolver6v33100L18getri_kernel_smallILi56E19rocblas_complex_numIdEPKPS3_EEvT1_iilPiilS8_bb.uses_vcc, 1
	.set _ZN9rocsolver6v33100L18getri_kernel_smallILi56E19rocblas_complex_numIdEPKPS3_EEvT1_iilPiilS8_bb.uses_flat_scratch, 0
	.set _ZN9rocsolver6v33100L18getri_kernel_smallILi56E19rocblas_complex_numIdEPKPS3_EEvT1_iilPiilS8_bb.has_dyn_sized_stack, 0
	.set _ZN9rocsolver6v33100L18getri_kernel_smallILi56E19rocblas_complex_numIdEPKPS3_EEvT1_iilPiilS8_bb.has_recursion, 0
	.set _ZN9rocsolver6v33100L18getri_kernel_smallILi56E19rocblas_complex_numIdEPKPS3_EEvT1_iilPiilS8_bb.has_indirect_call, 0
	.section	.AMDGPU.csdata,"",@progbits
; Kernel info:
; codeLenInByte = 132632
; TotalNumSgprs: 98
; NumVgprs: 256
; NumAgprs: 152
; TotalNumVgprs: 408
; ScratchSize: 928
; MemoryBound: 0
; FloatMode: 240
; IeeeMode: 1
; LDSByteSize: 1800 bytes/workgroup (compile time only)
; SGPRBlocks: 12
; VGPRBlocks: 50
; NumSGPRsForWavesPerEU: 98
; NumVGPRsForWavesPerEU: 408
; AccumOffset: 256
; Occupancy: 1
; WaveLimiterHint : 1
; COMPUTE_PGM_RSRC2:SCRATCH_EN: 1
; COMPUTE_PGM_RSRC2:USER_SGPR: 2
; COMPUTE_PGM_RSRC2:TRAP_HANDLER: 0
; COMPUTE_PGM_RSRC2:TGID_X_EN: 1
; COMPUTE_PGM_RSRC2:TGID_Y_EN: 0
; COMPUTE_PGM_RSRC2:TGID_Z_EN: 0
; COMPUTE_PGM_RSRC2:TIDIG_COMP_CNT: 0
; COMPUTE_PGM_RSRC3_GFX90A:ACCUM_OFFSET: 63
; COMPUTE_PGM_RSRC3_GFX90A:TG_SPLIT: 0
	.section	.text._ZN9rocsolver6v33100L18getri_kernel_smallILi57E19rocblas_complex_numIdEPKPS3_EEvT1_iilPiilS8_bb,"axG",@progbits,_ZN9rocsolver6v33100L18getri_kernel_smallILi57E19rocblas_complex_numIdEPKPS3_EEvT1_iilPiilS8_bb,comdat
	.globl	_ZN9rocsolver6v33100L18getri_kernel_smallILi57E19rocblas_complex_numIdEPKPS3_EEvT1_iilPiilS8_bb ; -- Begin function _ZN9rocsolver6v33100L18getri_kernel_smallILi57E19rocblas_complex_numIdEPKPS3_EEvT1_iilPiilS8_bb
	.p2align	8
	.type	_ZN9rocsolver6v33100L18getri_kernel_smallILi57E19rocblas_complex_numIdEPKPS3_EEvT1_iilPiilS8_bb,@function
_ZN9rocsolver6v33100L18getri_kernel_smallILi57E19rocblas_complex_numIdEPKPS3_EEvT1_iilPiilS8_bb: ; @_ZN9rocsolver6v33100L18getri_kernel_smallILi57E19rocblas_complex_numIdEPKPS3_EEvT1_iilPiilS8_bb
; %bb.0:
	v_mov_b32_e32 v240, v0
	v_cmp_gt_u32_e32 vcc, 57, v240
	s_and_saveexec_b64 s[4:5], vcc
	s_cbranch_execz .LBB120_242
; %bb.1:
	s_load_dword s14, s[0:1], 0x38
	s_load_dwordx2 s[8:9], s[0:1], 0x0
	s_load_dwordx4 s[4:7], s[0:1], 0x28
	s_waitcnt lgkmcnt(0)
	s_bitcmp1_b32 s14, 8
	s_cselect_b64 s[10:11], -1, 0
	s_ashr_i32 s3, s2, 31
	s_lshl_b64 s[12:13], s[2:3], 3
	s_add_u32 s8, s8, s12
	s_addc_u32 s9, s9, s13
	s_load_dwordx2 s[12:13], s[8:9], 0x0
	s_bfe_u32 s8, s14, 0x10008
	s_cmp_eq_u32 s8, 0
                                        ; implicit-def: $sgpr8_sgpr9
	s_cbranch_scc1 .LBB120_3
; %bb.2:
	s_load_dword s8, s[0:1], 0x20
	s_load_dwordx2 s[14:15], s[0:1], 0x18
	s_mul_i32 s9, s4, s3
	s_mul_hi_u32 s16, s4, s2
	s_add_i32 s16, s16, s9
	s_mul_i32 s5, s5, s2
	s_add_i32 s5, s16, s5
	s_mul_i32 s4, s4, s2
	s_waitcnt lgkmcnt(0)
	s_ashr_i32 s9, s8, 31
	s_lshl_b64 s[4:5], s[4:5], 2
	s_add_u32 s14, s14, s4
	s_addc_u32 s15, s15, s5
	s_lshl_b64 s[4:5], s[8:9], 2
	s_add_u32 s8, s14, s4
	s_addc_u32 s9, s15, s5
.LBB120_3:
	s_load_dwordx2 s[4:5], s[0:1], 0x8
	s_load_dword s14, s[0:1], 0x38
	v_lshlrev_b32_e32 v14, 4, v240
	v_mov_b32_e32 v15, 0
	s_movk_i32 s15, 0x80
	s_waitcnt lgkmcnt(0)
	s_ashr_i32 s1, s4, 31
	s_mov_b32 s0, s4
	s_lshl_b64 s[0:1], s[0:1], 4
	s_add_u32 s0, s12, s0
	s_addc_u32 s1, s13, s1
	v_lshl_add_u64 v[0:1], s[0:1], 0, v[14:15]
	flat_load_dwordx4 v[2:5], v[0:1]
	s_mov_b32 s12, s5
	s_ashr_i32 s13, s5, 31
	v_accvgpr_write_b32 a0, v0
	v_accvgpr_write_b32 a1, v1
	v_lshl_add_u64 v[0:1], s[12:13], 4, v[0:1]
	s_add_i32 s4, s5, s5
	v_add_u32_e32 v6, s4, v240
	v_accvgpr_write_b32 a3, v1
	v_ashrrev_i32_e32 v7, 31, v6
	v_accvgpr_write_b32 a2, v0
	s_movk_i32 s4, 0x50
	s_movk_i32 s12, 0x60
	;; [unrolled: 1-line block ×48, first 2 shown]
	s_add_i32 s68, s4, 16
	s_add_i32 s67, s12, 16
	s_add_i32 s66, s13, 16
	s_add_i32 s65, s15, 16
	s_add_i32 s64, s16, 16
	s_add_i32 s63, s17, 16
	s_add_i32 s62, s18, 16
	s_add_i32 s61, s19, 16
	s_add_i32 s60, s20, 16
	s_add_i32 s59, s21, 16
	s_add_i32 s58, s22, 16
	s_add_i32 s57, s23, 16
	s_add_i32 s56, s24, 16
	s_add_i32 s55, s25, 16
	s_add_i32 s54, s26, 16
	s_add_i32 s53, s27, 16
	s_add_i32 s52, s28, 16
	s_add_i32 s51, s29, 16
	s_add_i32 s50, s30, 16
	s_add_i32 s49, s31, 16
	s_add_i32 s48, s33, 16
	s_waitcnt vmcnt(0) lgkmcnt(0)
	scratch_store_dwordx4 off, v[2:5], off offset:16
	flat_load_dwordx4 v[2:5], v[0:1]
	v_lshl_add_u64 v[0:1], v[6:7], 4, s[0:1]
	v_add_u32_e32 v6, s5, v6
	v_accvgpr_write_b32 a5, v1
	v_ashrrev_i32_e32 v7, 31, v6
	v_accvgpr_write_b32 a4, v0
	s_add_i32 s47, s34, 16
	s_add_i32 s46, s35, 16
	s_add_i32 s45, s36, 16
	s_add_i32 s44, s37, 16
	s_add_i32 s43, s38, 16
	s_add_i32 s42, s39, 16
	s_add_i32 s41, s40, 16
	s_add_i32 s40, s73, 16
	s_add_i32 s39, s74, 16
	s_add_i32 s35, s75, 16
	s_add_i32 s34, s76, 16
	s_add_i32 s33, s77, 16
	s_add_i32 s31, s78, 16
	s_add_i32 s30, s79, 16
	s_add_i32 s29, s80, 16
	s_add_i32 s28, s81, 16
	s_add_i32 s27, s82, 16
	s_add_i32 s26, s83, 16
	s_add_i32 s25, s84, 16
	s_add_i32 s24, s85, 16
	s_add_i32 s23, s86, 16
	s_add_i32 s22, s87, 16
	s_add_i32 s21, s88, 16
	s_add_i32 s20, s89, 16
	s_add_i32 s19, s90, 16
	s_add_i32 s18, s91, 16
	s_add_i32 s17, s92, 16
	s_add_i32 s16, s93, 16
	s_mov_b32 s72, 32
	s_mov_b32 s71, 48
	s_mov_b32 s70, 64
	s_movk_i32 s69, 0x50
	s_waitcnt vmcnt(0) lgkmcnt(0)
	scratch_store_dwordx4 off, v[2:5], off offset:32
	flat_load_dwordx4 v[2:5], v[0:1]
	v_lshl_add_u64 v[0:1], v[6:7], 4, s[0:1]
	v_add_u32_e32 v6, s5, v6
	v_accvgpr_write_b32 a7, v1
	v_ashrrev_i32_e32 v7, 31, v6
	v_accvgpr_write_b32 a6, v0
	s_waitcnt vmcnt(0) lgkmcnt(0)
	scratch_store_dwordx4 off, v[2:5], off offset:48
	flat_load_dwordx4 v[2:5], v[0:1]
	v_lshl_add_u64 v[0:1], v[6:7], 4, s[0:1]
	v_add_u32_e32 v6, s5, v6
	v_accvgpr_write_b32 a9, v1
	v_ashrrev_i32_e32 v7, 31, v6
	v_accvgpr_write_b32 a8, v0
	;; [unrolled: 8-line block ×53, first 2 shown]
	s_movk_i32 s5, 0x250
	s_add_i32 s36, s5, 16
	s_mov_b64 s[4:5], -1
	s_waitcnt vmcnt(0) lgkmcnt(0)
	scratch_store_dwordx4 off, v[2:5], off offset:880
	flat_load_dwordx4 v[2:5], v[0:1]
	v_lshl_add_u64 v[0:1], v[6:7], 4, s[0:1]
	s_movk_i32 s0, 0x230
	s_movk_i32 s1, 0x240
	v_accvgpr_write_b32 a113, v1
	s_add_i32 s38, s0, 16
	s_add_i32 s37, s1, 16
	v_accvgpr_write_b32 a112, v0
	s_bitcmp0_b32 s14, 0
	s_waitcnt vmcnt(0) lgkmcnt(0)
	scratch_store_dwordx4 off, v[2:5], off offset:896
	flat_load_dwordx4 v[2:5], v[0:1]
	s_waitcnt vmcnt(0) lgkmcnt(0)
	scratch_store_dwordx4 off, v[2:5], off offset:912
	s_cbranch_scc1 .LBB120_240
; %bb.4:
	v_cmp_eq_u32_e64 s[0:1], 0, v240
	s_and_saveexec_b64 s[4:5], s[0:1]
; %bb.5:
	v_mov_b32_e32 v0, 0
	ds_write_b32 v0, v0 offset:1824
; %bb.6:
	s_or_b64 exec, exec, s[4:5]
	s_waitcnt lgkmcnt(0)
	; wave barrier
	scratch_load_dwordx4 v[2:5], v14, off offset:16
	s_waitcnt vmcnt(0)
	v_cmp_eq_f64_e32 vcc, 0, v[2:3]
	v_cmp_eq_f64_e64 s[4:5], 0, v[4:5]
	s_and_b64 s[4:5], vcc, s[4:5]
	s_and_saveexec_b64 s[12:13], s[4:5]
	s_cbranch_execz .LBB120_10
; %bb.7:
	v_mov_b32_e32 v1, 0
	ds_read_b32 v0, v1 offset:1824
	v_add_u32_e32 v2, 1, v240
	s_waitcnt lgkmcnt(0)
	v_readfirstlane_b32 s4, v0
	s_cmp_eq_u32 s4, 0
	s_cselect_b64 s[14:15], -1, 0
	v_cmp_gt_i32_e32 vcc, s4, v2
	s_or_b64 s[14:15], s[14:15], vcc
	s_and_b64 exec, exec, s[14:15]
	s_cbranch_execz .LBB120_10
; %bb.8:
	s_mov_b64 s[14:15], 0
	v_mov_b32_e32 v3, s4
.LBB120_9:                              ; =>This Inner Loop Header: Depth=1
	ds_cmpst_rtn_b32 v3, v1, v3, v2 offset:1824
	s_waitcnt lgkmcnt(0)
	v_cmp_ne_u32_e32 vcc, 0, v3
	v_cmp_le_i32_e64 s[4:5], v3, v2
	s_and_b64 s[4:5], vcc, s[4:5]
	s_and_b64 s[4:5], exec, s[4:5]
	s_or_b64 s[14:15], s[4:5], s[14:15]
	s_andn2_b64 exec, exec, s[14:15]
	s_cbranch_execnz .LBB120_9
.LBB120_10:
	s_or_b64 exec, exec, s[12:13]
	v_mov_b32_e32 v2, 0
	; wave barrier
	ds_read_b32 v1, v2 offset:1824
	s_and_saveexec_b64 s[4:5], s[0:1]
	s_cbranch_execz .LBB120_12
; %bb.11:
	s_lshl_b64 s[12:13], s[2:3], 2
	s_add_u32 s12, s6, s12
	s_addc_u32 s13, s7, s13
	s_waitcnt lgkmcnt(0)
	global_store_dword v2, v1, s[12:13]
.LBB120_12:
	s_or_b64 exec, exec, s[4:5]
	s_waitcnt lgkmcnt(0)
	v_cmp_ne_u32_e32 vcc, 0, v1
	s_mov_b64 s[4:5], 0
	s_cbranch_vccnz .LBB120_240
; %bb.13:
	v_add_u32_e32 v15, 16, v14
	scratch_load_dwordx4 v[2:5], v15, off
                                        ; implicit-def: $vgpr6_vgpr7
                                        ; implicit-def: $vgpr10_vgpr11
	s_waitcnt vmcnt(0)
	v_cmp_ngt_f64_e64 s[4:5], |v[2:3]|, |v[4:5]|
	s_and_saveexec_b64 s[12:13], s[4:5]
	s_xor_b64 s[4:5], exec, s[12:13]
	s_cbranch_execz .LBB120_15
; %bb.14:
	v_div_scale_f64 v[6:7], s[12:13], v[4:5], v[4:5], v[2:3]
	v_rcp_f64_e32 v[8:9], v[6:7]
	v_div_scale_f64 v[10:11], vcc, v[2:3], v[4:5], v[2:3]
	v_fma_f64 v[12:13], -v[6:7], v[8:9], 1.0
	v_fmac_f64_e32 v[8:9], v[8:9], v[12:13]
	v_fma_f64 v[12:13], -v[6:7], v[8:9], 1.0
	v_fmac_f64_e32 v[8:9], v[8:9], v[12:13]
	v_mul_f64 v[12:13], v[10:11], v[8:9]
	v_fma_f64 v[6:7], -v[6:7], v[12:13], v[10:11]
	v_div_fmas_f64 v[6:7], v[6:7], v[8:9], v[12:13]
	v_div_fixup_f64 v[6:7], v[6:7], v[4:5], v[2:3]
	v_fmac_f64_e32 v[4:5], v[2:3], v[6:7]
	v_div_scale_f64 v[2:3], s[12:13], v[4:5], v[4:5], 1.0
	v_rcp_f64_e32 v[8:9], v[2:3]
	s_nop 0
	v_fma_f64 v[10:11], -v[2:3], v[8:9], 1.0
	v_fmac_f64_e32 v[8:9], v[8:9], v[10:11]
	v_fma_f64 v[10:11], -v[2:3], v[8:9], 1.0
	v_fmac_f64_e32 v[8:9], v[8:9], v[10:11]
	v_div_scale_f64 v[10:11], vcc, 1.0, v[4:5], 1.0
	v_mul_f64 v[12:13], v[10:11], v[8:9]
	v_fma_f64 v[2:3], -v[2:3], v[12:13], v[10:11]
	s_nop 1
	v_div_fmas_f64 v[2:3], v[2:3], v[8:9], v[12:13]
	v_div_fixup_f64 v[8:9], v[2:3], v[4:5], 1.0
	v_mul_f64 v[6:7], v[6:7], v[8:9]
	v_xor_b32_e32 v9, 0x80000000, v9
	v_xor_b32_e32 v11, 0x80000000, v7
	v_mov_b32_e32 v10, v6
                                        ; implicit-def: $vgpr2_vgpr3
.LBB120_15:
	s_andn2_saveexec_b64 s[4:5], s[4:5]
	s_cbranch_execz .LBB120_17
; %bb.16:
	v_div_scale_f64 v[6:7], s[12:13], v[2:3], v[2:3], v[4:5]
	v_rcp_f64_e32 v[8:9], v[6:7]
	v_div_scale_f64 v[10:11], vcc, v[4:5], v[2:3], v[4:5]
	v_fma_f64 v[12:13], -v[6:7], v[8:9], 1.0
	v_fmac_f64_e32 v[8:9], v[8:9], v[12:13]
	v_fma_f64 v[12:13], -v[6:7], v[8:9], 1.0
	v_fmac_f64_e32 v[8:9], v[8:9], v[12:13]
	v_mul_f64 v[12:13], v[10:11], v[8:9]
	v_fma_f64 v[6:7], -v[6:7], v[12:13], v[10:11]
	v_div_fmas_f64 v[6:7], v[6:7], v[8:9], v[12:13]
	v_div_fixup_f64 v[8:9], v[6:7], v[2:3], v[4:5]
	v_fmac_f64_e32 v[2:3], v[4:5], v[8:9]
	v_div_scale_f64 v[4:5], s[12:13], v[2:3], v[2:3], 1.0
	v_rcp_f64_e32 v[6:7], v[4:5]
	s_nop 0
	v_fma_f64 v[10:11], -v[4:5], v[6:7], 1.0
	v_fmac_f64_e32 v[6:7], v[6:7], v[10:11]
	v_fma_f64 v[10:11], -v[4:5], v[6:7], 1.0
	v_fmac_f64_e32 v[6:7], v[6:7], v[10:11]
	v_div_scale_f64 v[10:11], vcc, 1.0, v[2:3], 1.0
	v_mul_f64 v[12:13], v[10:11], v[6:7]
	v_fma_f64 v[4:5], -v[4:5], v[12:13], v[10:11]
	s_nop 1
	v_div_fmas_f64 v[4:5], v[4:5], v[6:7], v[12:13]
	v_div_fixup_f64 v[6:7], v[4:5], v[2:3], 1.0
	v_xor_b32_e32 v11, 0x80000000, v7
	v_mov_b32_e32 v10, v6
	v_mul_f64 v[8:9], v[8:9], -v[6:7]
.LBB120_17:
	s_or_b64 exec, exec, s[4:5]
	scratch_store_dwordx4 v15, v[6:9], off
	scratch_load_dwordx4 v[2:5], off, s72
	v_xor_b32_e32 v13, 0x80000000, v9
	v_mov_b32_e32 v12, v8
	v_add_u32_e32 v1, 0x390, v14
	ds_write_b128 v14, v[10:13]
	s_waitcnt vmcnt(0)
	ds_write_b128 v14, v[2:5] offset:912
	s_waitcnt lgkmcnt(0)
	; wave barrier
	s_and_saveexec_b64 s[4:5], s[0:1]
	s_cbranch_execz .LBB120_19
; %bb.18:
	scratch_load_dwordx4 v[2:5], v15, off
	ds_read_b128 v[6:9], v1
	v_mov_b32_e32 v0, 0
	ds_read_b128 v[10:13], v0 offset:16
	s_waitcnt vmcnt(0) lgkmcnt(1)
	v_mul_f64 v[16:17], v[8:9], v[4:5]
	v_mul_f64 v[4:5], v[6:7], v[4:5]
	v_fma_f64 v[6:7], v[6:7], v[2:3], -v[16:17]
	v_fmac_f64_e32 v[4:5], v[8:9], v[2:3]
	v_add_f64 v[2:3], v[6:7], 0
	v_add_f64 v[6:7], v[4:5], 0
	s_waitcnt lgkmcnt(0)
	v_mul_f64 v[8:9], v[6:7], v[12:13]
	v_mul_f64 v[4:5], v[2:3], v[12:13]
	v_fma_f64 v[2:3], v[2:3], v[10:11], -v[8:9]
	v_fmac_f64_e32 v[4:5], v[6:7], v[10:11]
	scratch_store_dwordx4 off, v[2:5], off offset:32
.LBB120_19:
	s_or_b64 exec, exec, s[4:5]
	; wave barrier
	scratch_load_dwordx4 v[2:5], off, s71
	v_cmp_gt_u32_e32 vcc, 2, v240
	s_waitcnt vmcnt(0)
	ds_write_b128 v1, v[2:5]
	s_waitcnt lgkmcnt(0)
	; wave barrier
	s_and_saveexec_b64 s[4:5], vcc
	s_cbranch_execz .LBB120_23
; %bb.20:
	scratch_load_dwordx4 v[2:5], v15, off
	ds_read_b128 v[6:9], v1
	s_waitcnt vmcnt(0) lgkmcnt(0)
	v_mul_f64 v[10:11], v[8:9], v[4:5]
	v_mul_f64 v[12:13], v[6:7], v[4:5]
	v_fma_f64 v[4:5], v[6:7], v[2:3], -v[10:11]
	v_fmac_f64_e32 v[12:13], v[8:9], v[2:3]
	v_add_f64 v[4:5], v[4:5], 0
	v_add_f64 v[2:3], v[12:13], 0
	s_and_saveexec_b64 s[12:13], s[0:1]
	s_cbranch_execz .LBB120_22
; %bb.21:
	scratch_load_dwordx4 v[6:9], off, off offset:32
	v_mov_b32_e32 v0, 0
	ds_read_b128 v[10:13], v0 offset:928
	s_waitcnt vmcnt(0) lgkmcnt(0)
	v_mul_f64 v[16:17], v[10:11], v[8:9]
	v_mul_f64 v[8:9], v[12:13], v[8:9]
	v_fmac_f64_e32 v[16:17], v[12:13], v[6:7]
	v_fma_f64 v[6:7], v[10:11], v[6:7], -v[8:9]
	v_add_f64 v[2:3], v[2:3], v[16:17]
	v_add_f64 v[4:5], v[4:5], v[6:7]
.LBB120_22:
	s_or_b64 exec, exec, s[12:13]
	v_mov_b32_e32 v0, 0
	ds_read_b128 v[6:9], v0 offset:32
	s_waitcnt lgkmcnt(0)
	v_mul_f64 v[12:13], v[2:3], v[8:9]
	v_mul_f64 v[10:11], v[4:5], v[8:9]
	v_fma_f64 v[8:9], v[4:5], v[6:7], -v[12:13]
	v_fmac_f64_e32 v[10:11], v[2:3], v[6:7]
	scratch_store_dwordx4 off, v[8:11], off offset:48
.LBB120_23:
	s_or_b64 exec, exec, s[4:5]
	; wave barrier
	scratch_load_dwordx4 v[2:5], off, s70
	v_cmp_gt_u32_e32 vcc, 3, v240
	v_add_u32_e32 v6, -1, v240
	s_waitcnt vmcnt(0)
	ds_write_b128 v1, v[2:5]
	s_waitcnt lgkmcnt(0)
	; wave barrier
	s_and_saveexec_b64 s[0:1], vcc
	s_cbranch_execz .LBB120_27
; %bb.24:
	v_add_u32_e32 v7, -1, v240
	v_add_u32_e32 v8, 0x390, v14
	v_add_u32_e32 v9, 16, v14
	v_mov_b64_e32 v[2:3], 0
	s_mov_b64 s[4:5], 0
	v_mov_b64_e32 v[4:5], 0
.LBB120_25:                             ; =>This Inner Loop Header: Depth=1
	scratch_load_dwordx4 v[10:13], v9, off
	ds_read_b128 v[16:19], v8
	v_add_u32_e32 v7, 1, v7
	v_cmp_lt_u32_e32 vcc, 1, v7
	v_add_u32_e32 v8, 16, v8
	v_add_u32_e32 v9, 16, v9
	s_or_b64 s[4:5], vcc, s[4:5]
	s_waitcnt vmcnt(0) lgkmcnt(0)
	v_mul_f64 v[20:21], v[18:19], v[12:13]
	v_mul_f64 v[12:13], v[16:17], v[12:13]
	v_fma_f64 v[16:17], v[16:17], v[10:11], -v[20:21]
	v_fmac_f64_e32 v[12:13], v[18:19], v[10:11]
	v_add_f64 v[4:5], v[4:5], v[16:17]
	v_add_f64 v[2:3], v[2:3], v[12:13]
	s_andn2_b64 exec, exec, s[4:5]
	s_cbranch_execnz .LBB120_25
; %bb.26:
	s_or_b64 exec, exec, s[4:5]
	v_mov_b32_e32 v0, 0
	ds_read_b128 v[8:11], v0 offset:48
	s_waitcnt lgkmcnt(0)
	v_mul_f64 v[16:17], v[2:3], v[10:11]
	v_mul_f64 v[12:13], v[4:5], v[10:11]
	v_fma_f64 v[10:11], v[4:5], v[8:9], -v[16:17]
	v_fmac_f64_e32 v[12:13], v[2:3], v[8:9]
	scratch_store_dwordx4 off, v[10:13], off offset:64
.LBB120_27:
	s_or_b64 exec, exec, s[0:1]
	; wave barrier
	scratch_load_dwordx4 v[2:5], off, s69
	v_cmp_gt_u32_e32 vcc, 4, v240
	s_waitcnt vmcnt(0)
	ds_write_b128 v1, v[2:5]
	s_waitcnt lgkmcnt(0)
	; wave barrier
	s_and_saveexec_b64 s[0:1], vcc
	s_cbranch_execz .LBB120_31
; %bb.28:
	v_add_u32_e32 v7, -1, v240
	v_add_u32_e32 v8, 0x390, v14
	v_add_u32_e32 v9, 16, v14
	v_mov_b64_e32 v[2:3], 0
	s_mov_b64 s[4:5], 0
	v_mov_b64_e32 v[4:5], 0
.LBB120_29:                             ; =>This Inner Loop Header: Depth=1
	scratch_load_dwordx4 v[10:13], v9, off
	ds_read_b128 v[16:19], v8
	v_add_u32_e32 v7, 1, v7
	v_cmp_lt_u32_e32 vcc, 2, v7
	v_add_u32_e32 v8, 16, v8
	v_add_u32_e32 v9, 16, v9
	s_or_b64 s[4:5], vcc, s[4:5]
	s_waitcnt vmcnt(0) lgkmcnt(0)
	v_mul_f64 v[20:21], v[18:19], v[12:13]
	v_mul_f64 v[12:13], v[16:17], v[12:13]
	v_fma_f64 v[16:17], v[16:17], v[10:11], -v[20:21]
	v_fmac_f64_e32 v[12:13], v[18:19], v[10:11]
	v_add_f64 v[4:5], v[4:5], v[16:17]
	v_add_f64 v[2:3], v[2:3], v[12:13]
	s_andn2_b64 exec, exec, s[4:5]
	s_cbranch_execnz .LBB120_29
; %bb.30:
	s_or_b64 exec, exec, s[4:5]
	v_mov_b32_e32 v0, 0
	ds_read_b128 v[8:11], v0 offset:64
	s_waitcnt lgkmcnt(0)
	v_mul_f64 v[16:17], v[2:3], v[10:11]
	v_mul_f64 v[12:13], v[4:5], v[10:11]
	v_fma_f64 v[10:11], v[4:5], v[8:9], -v[16:17]
	v_fmac_f64_e32 v[12:13], v[2:3], v[8:9]
	scratch_store_dwordx4 off, v[10:13], off offset:80
.LBB120_31:
	s_or_b64 exec, exec, s[0:1]
	; wave barrier
	scratch_load_dwordx4 v[2:5], off, s68
	v_cmp_gt_u32_e32 vcc, 5, v240
	;; [unrolled: 45-line block ×19, first 2 shown]
	s_waitcnt vmcnt(0)
	ds_write_b128 v1, v[2:5]
	s_waitcnt lgkmcnt(0)
	; wave barrier
	s_and_saveexec_b64 s[0:1], vcc
	s_cbranch_execz .LBB120_103
; %bb.100:
	v_add_u32_e32 v7, -1, v240
	v_add_u32_e32 v8, 0x390, v14
	v_add_u32_e32 v9, 16, v14
	v_mov_b64_e32 v[2:3], 0
	s_mov_b64 s[4:5], 0
	v_mov_b64_e32 v[4:5], 0
.LBB120_101:                            ; =>This Inner Loop Header: Depth=1
	scratch_load_dwordx4 v[10:13], v9, off
	ds_read_b128 v[16:19], v8
	v_add_u32_e32 v7, 1, v7
	v_cmp_lt_u32_e32 vcc, 20, v7
	v_add_u32_e32 v8, 16, v8
	v_add_u32_e32 v9, 16, v9
	s_or_b64 s[4:5], vcc, s[4:5]
	s_waitcnt vmcnt(0) lgkmcnt(0)
	v_mul_f64 v[20:21], v[18:19], v[12:13]
	v_mul_f64 v[12:13], v[16:17], v[12:13]
	v_fma_f64 v[16:17], v[16:17], v[10:11], -v[20:21]
	v_fmac_f64_e32 v[12:13], v[18:19], v[10:11]
	v_add_f64 v[4:5], v[4:5], v[16:17]
	v_add_f64 v[2:3], v[2:3], v[12:13]
	s_andn2_b64 exec, exec, s[4:5]
	s_cbranch_execnz .LBB120_101
; %bb.102:
	s_or_b64 exec, exec, s[4:5]
	v_mov_b32_e32 v0, 0
	ds_read_b128 v[8:11], v0 offset:352
	s_waitcnt lgkmcnt(0)
	v_mul_f64 v[16:17], v[2:3], v[10:11]
	v_mul_f64 v[12:13], v[4:5], v[10:11]
	v_fma_f64 v[10:11], v[4:5], v[8:9], -v[16:17]
	v_fmac_f64_e32 v[12:13], v[2:3], v[8:9]
	scratch_store_dwordx4 off, v[10:13], off offset:368
.LBB120_103:
	s_or_b64 exec, exec, s[0:1]
	; wave barrier
	scratch_load_dwordx4 v[2:5], off, s50
	v_cmp_gt_u32_e32 vcc, 23, v240
	s_waitcnt vmcnt(0)
	ds_write_b128 v1, v[2:5]
	s_waitcnt lgkmcnt(0)
	; wave barrier
	s_and_saveexec_b64 s[0:1], vcc
	s_cbranch_execz .LBB120_107
; %bb.104:
	v_add_u32_e32 v7, -1, v240
	v_add_u32_e32 v8, 0x390, v14
	v_add_u32_e32 v9, 16, v14
	v_mov_b64_e32 v[2:3], 0
	s_mov_b64 s[4:5], 0
	v_mov_b64_e32 v[4:5], 0
.LBB120_105:                            ; =>This Inner Loop Header: Depth=1
	scratch_load_dwordx4 v[10:13], v9, off
	ds_read_b128 v[16:19], v8
	v_add_u32_e32 v7, 1, v7
	v_cmp_lt_u32_e32 vcc, 21, v7
	v_add_u32_e32 v8, 16, v8
	v_add_u32_e32 v9, 16, v9
	s_or_b64 s[4:5], vcc, s[4:5]
	s_waitcnt vmcnt(0) lgkmcnt(0)
	v_mul_f64 v[20:21], v[18:19], v[12:13]
	v_mul_f64 v[12:13], v[16:17], v[12:13]
	v_fma_f64 v[16:17], v[16:17], v[10:11], -v[20:21]
	v_fmac_f64_e32 v[12:13], v[18:19], v[10:11]
	v_add_f64 v[4:5], v[4:5], v[16:17]
	v_add_f64 v[2:3], v[2:3], v[12:13]
	s_andn2_b64 exec, exec, s[4:5]
	s_cbranch_execnz .LBB120_105
; %bb.106:
	s_or_b64 exec, exec, s[4:5]
	v_mov_b32_e32 v0, 0
	ds_read_b128 v[8:11], v0 offset:368
	s_waitcnt lgkmcnt(0)
	v_mul_f64 v[16:17], v[2:3], v[10:11]
	v_mul_f64 v[12:13], v[4:5], v[10:11]
	v_fma_f64 v[10:11], v[4:5], v[8:9], -v[16:17]
	v_fmac_f64_e32 v[12:13], v[2:3], v[8:9]
	scratch_store_dwordx4 off, v[10:13], off offset:384
.LBB120_107:
	s_or_b64 exec, exec, s[0:1]
	; wave barrier
	scratch_load_dwordx4 v[2:5], off, s49
	v_cmp_gt_u32_e32 vcc, 24, v240
	;; [unrolled: 45-line block ×33, first 2 shown]
	s_waitcnt vmcnt(0)
	ds_write_b128 v1, v[2:5]
	s_waitcnt lgkmcnt(0)
	; wave barrier
	s_and_saveexec_b64 s[0:1], vcc
	s_cbranch_execz .LBB120_235
; %bb.232:
	v_add_u32_e32 v7, -1, v240
	v_add_u32_e32 v8, 0x390, v14
	v_add_u32_e32 v9, 16, v14
	v_mov_b64_e32 v[2:3], 0
	s_mov_b64 s[4:5], 0
	v_mov_b64_e32 v[4:5], 0
.LBB120_233:                            ; =>This Inner Loop Header: Depth=1
	scratch_load_dwordx4 v[10:13], v9, off
	ds_read_b128 v[16:19], v8
	v_add_u32_e32 v7, 1, v7
	v_cmp_lt_u32_e32 vcc, 53, v7
	v_add_u32_e32 v8, 16, v8
	v_add_u32_e32 v9, 16, v9
	s_or_b64 s[4:5], vcc, s[4:5]
	s_waitcnt vmcnt(0) lgkmcnt(0)
	v_mul_f64 v[20:21], v[18:19], v[12:13]
	v_mul_f64 v[12:13], v[16:17], v[12:13]
	v_fma_f64 v[16:17], v[16:17], v[10:11], -v[20:21]
	v_fmac_f64_e32 v[12:13], v[18:19], v[10:11]
	v_add_f64 v[4:5], v[4:5], v[16:17]
	v_add_f64 v[2:3], v[2:3], v[12:13]
	s_andn2_b64 exec, exec, s[4:5]
	s_cbranch_execnz .LBB120_233
; %bb.234:
	s_or_b64 exec, exec, s[4:5]
	v_mov_b32_e32 v0, 0
	ds_read_b128 v[8:11], v0 offset:880
	s_waitcnt lgkmcnt(0)
	v_mul_f64 v[16:17], v[2:3], v[10:11]
	v_mul_f64 v[12:13], v[4:5], v[10:11]
	v_fma_f64 v[10:11], v[4:5], v[8:9], -v[16:17]
	v_fmac_f64_e32 v[12:13], v[2:3], v[8:9]
	scratch_store_dwordx4 off, v[10:13], off offset:896
.LBB120_235:
	s_or_b64 exec, exec, s[0:1]
	; wave barrier
	scratch_load_dwordx4 v[2:5], off, s16
	v_cmp_ne_u32_e32 vcc, 56, v240
	s_waitcnt vmcnt(0)
	ds_write_b128 v1, v[2:5]
	s_waitcnt lgkmcnt(0)
	; wave barrier
	s_and_saveexec_b64 s[0:1], vcc
	s_cbranch_execz .LBB120_239
; %bb.236:
	v_add_u32_e32 v1, 0x390, v14
	v_add_u32_e32 v7, 16, v14
	v_mov_b64_e32 v[2:3], 0
	s_mov_b64 s[4:5], 0
	v_mov_b64_e32 v[4:5], 0
.LBB120_237:                            ; =>This Inner Loop Header: Depth=1
	scratch_load_dwordx4 v[8:11], v7, off
	ds_read_b128 v[12:15], v1
	v_add_u32_e32 v6, 1, v6
	v_cmp_lt_u32_e32 vcc, 54, v6
	v_add_u32_e32 v1, 16, v1
	v_add_u32_e32 v7, 16, v7
	s_or_b64 s[4:5], vcc, s[4:5]
	s_waitcnt vmcnt(0) lgkmcnt(0)
	v_mul_f64 v[16:17], v[14:15], v[10:11]
	v_mul_f64 v[10:11], v[12:13], v[10:11]
	v_fma_f64 v[12:13], v[12:13], v[8:9], -v[16:17]
	v_fmac_f64_e32 v[10:11], v[14:15], v[8:9]
	v_add_f64 v[4:5], v[4:5], v[12:13]
	v_add_f64 v[2:3], v[2:3], v[10:11]
	s_andn2_b64 exec, exec, s[4:5]
	s_cbranch_execnz .LBB120_237
; %bb.238:
	s_or_b64 exec, exec, s[4:5]
	v_mov_b32_e32 v0, 0
	ds_read_b128 v[6:9], v0 offset:896
	s_waitcnt lgkmcnt(0)
	v_mul_f64 v[12:13], v[2:3], v[8:9]
	v_mul_f64 v[10:11], v[4:5], v[8:9]
	v_fma_f64 v[8:9], v[4:5], v[6:7], -v[12:13]
	v_fmac_f64_e32 v[10:11], v[2:3], v[6:7]
	scratch_store_dwordx4 off, v[8:11], off offset:912
.LBB120_239:
	s_or_b64 exec, exec, s[0:1]
	s_mov_b64 s[4:5], -1
	; wave barrier
.LBB120_240:
	s_and_b64 vcc, exec, s[4:5]
	s_cbranch_vccz .LBB120_242
; %bb.241:
	s_lshl_b64 s[0:1], s[2:3], 2
	s_add_u32 s0, s6, s0
	s_addc_u32 s1, s7, s1
	v_mov_b32_e32 v0, 0
	global_load_dword v0, v0, s[0:1]
	s_waitcnt vmcnt(0)
	v_cmp_ne_u32_e32 vcc, 0, v0
	s_cbranch_vccz .LBB120_243
.LBB120_242:
	s_endpgm
.LBB120_243:
	v_mov_b32_e32 v0, 0x390
	v_lshl_add_u32 v0, v240, 4, v0
	v_accvgpr_write_b32 a115, v0
	v_cmp_eq_u32_e32 vcc, 56, v240
	s_and_saveexec_b64 s[0:1], vcc
	s_cbranch_execz .LBB120_245
; %bb.244:
	scratch_load_dwordx4 v[2:5], off, s17
	v_mov_b32_e32 v6, 0
	v_mov_b32_e32 v7, v6
	;; [unrolled: 1-line block ×4, first 2 shown]
	v_accvgpr_read_b32 v0, a115
	scratch_store_dwordx4 off, v[6:9], off offset:896
	s_waitcnt vmcnt(1)
	ds_write_b128 v0, v[2:5]
.LBB120_245:
	s_or_b64 exec, exec, s[0:1]
	s_waitcnt lgkmcnt(0)
	; wave barrier
	scratch_load_dwordx4 v[4:7], off, off offset:912
	scratch_load_dwordx4 v[8:11], off, off offset:896
	v_mov_b32_e32 v2, 0
	ds_read_b128 v[12:15], v2 offset:1808
	v_cmp_lt_u32_e32 vcc, 54, v240
	s_waitcnt vmcnt(1) lgkmcnt(0)
	v_mul_f64 v[16:17], v[12:13], v[6:7]
	v_mul_f64 v[6:7], v[14:15], v[6:7]
	v_fmac_f64_e32 v[16:17], v[14:15], v[4:5]
	v_fma_f64 v[4:5], v[12:13], v[4:5], -v[6:7]
	v_add_f64 v[6:7], v[16:17], 0
	v_add_f64 v[4:5], v[4:5], 0
	s_waitcnt vmcnt(0)
	v_add_f64 v[4:5], v[8:9], -v[4:5]
	v_add_f64 v[6:7], v[10:11], -v[6:7]
	scratch_store_dwordx4 off, v[4:7], off offset:896
	s_and_saveexec_b64 s[0:1], vcc
	s_cbranch_execz .LBB120_247
; %bb.246:
	scratch_load_dwordx4 v[6:9], off, s18
	v_mov_b32_e32 v3, v2
	v_mov_b32_e32 v4, v2
	;; [unrolled: 1-line block ×3, first 2 shown]
	v_accvgpr_read_b32 v0, a115
	scratch_store_dwordx4 off, v[2:5], off offset:880
	s_waitcnt vmcnt(1)
	ds_write_b128 v0, v[6:9]
.LBB120_247:
	s_or_b64 exec, exec, s[0:1]
	s_waitcnt lgkmcnt(0)
	; wave barrier
	scratch_load_dwordx4 v[4:7], off, off offset:896
	scratch_load_dwordx4 v[8:11], off, off offset:912
	;; [unrolled: 1-line block ×3, first 2 shown]
	ds_read_b128 v[16:19], v2 offset:1792
	ds_read_b128 v[20:23], v2 offset:1808
	v_cmp_lt_u32_e32 vcc, 53, v240
	s_waitcnt vmcnt(2) lgkmcnt(1)
	v_mul_f64 v[2:3], v[16:17], v[6:7]
	v_mul_f64 v[6:7], v[18:19], v[6:7]
	s_waitcnt vmcnt(1) lgkmcnt(0)
	v_mul_f64 v[24:25], v[20:21], v[10:11]
	v_mul_f64 v[10:11], v[22:23], v[10:11]
	v_fmac_f64_e32 v[2:3], v[18:19], v[4:5]
	v_fma_f64 v[4:5], v[16:17], v[4:5], -v[6:7]
	v_fmac_f64_e32 v[24:25], v[22:23], v[8:9]
	v_fma_f64 v[6:7], v[20:21], v[8:9], -v[10:11]
	v_add_f64 v[2:3], v[2:3], 0
	v_add_f64 v[4:5], v[4:5], 0
	;; [unrolled: 1-line block ×4, first 2 shown]
	s_waitcnt vmcnt(0)
	v_add_f64 v[2:3], v[12:13], -v[2:3]
	v_add_f64 v[4:5], v[14:15], -v[8:9]
	scratch_store_dwordx4 off, v[2:5], off offset:880
	s_and_saveexec_b64 s[0:1], vcc
	s_cbranch_execz .LBB120_249
; %bb.248:
	scratch_load_dwordx4 v[2:5], off, s19
	v_mov_b32_e32 v6, 0
	v_mov_b32_e32 v7, v6
	;; [unrolled: 1-line block ×4, first 2 shown]
	v_accvgpr_read_b32 v0, a115
	scratch_store_dwordx4 off, v[6:9], off offset:864
	s_waitcnt vmcnt(1)
	ds_write_b128 v0, v[2:5]
.LBB120_249:
	s_or_b64 exec, exec, s[0:1]
	s_waitcnt lgkmcnt(0)
	; wave barrier
	scratch_load_dwordx4 v[4:7], off, off offset:880
	scratch_load_dwordx4 v[8:11], off, off offset:896
	;; [unrolled: 1-line block ×4, first 2 shown]
	v_mov_b32_e32 v2, 0
	ds_read_b128 v[20:23], v2 offset:1776
	ds_read_b128 v[24:27], v2 offset:1792
	;; [unrolled: 1-line block ×3, first 2 shown]
	v_cmp_lt_u32_e32 vcc, 52, v240
	s_waitcnt vmcnt(3) lgkmcnt(2)
	v_mul_f64 v[32:33], v[20:21], v[6:7]
	v_mul_f64 v[6:7], v[22:23], v[6:7]
	s_waitcnt vmcnt(2) lgkmcnt(1)
	v_mul_f64 v[34:35], v[24:25], v[10:11]
	v_mul_f64 v[10:11], v[26:27], v[10:11]
	v_fmac_f64_e32 v[32:33], v[22:23], v[4:5]
	v_fma_f64 v[4:5], v[20:21], v[4:5], -v[6:7]
	s_waitcnt vmcnt(1) lgkmcnt(0)
	v_mul_f64 v[36:37], v[28:29], v[14:15]
	v_mul_f64 v[14:15], v[30:31], v[14:15]
	v_fmac_f64_e32 v[34:35], v[26:27], v[8:9]
	v_fma_f64 v[6:7], v[24:25], v[8:9], -v[10:11]
	v_add_f64 v[10:11], v[32:33], 0
	v_add_f64 v[4:5], v[4:5], 0
	v_fmac_f64_e32 v[36:37], v[30:31], v[12:13]
	v_fma_f64 v[8:9], v[28:29], v[12:13], -v[14:15]
	v_add_f64 v[10:11], v[10:11], v[34:35]
	v_add_f64 v[4:5], v[4:5], v[6:7]
	;; [unrolled: 1-line block ×4, first 2 shown]
	s_waitcnt vmcnt(0)
	v_add_f64 v[4:5], v[16:17], -v[4:5]
	v_add_f64 v[6:7], v[18:19], -v[6:7]
	scratch_store_dwordx4 off, v[4:7], off offset:864
	s_and_saveexec_b64 s[0:1], vcc
	s_cbranch_execz .LBB120_251
; %bb.250:
	scratch_load_dwordx4 v[6:9], off, s20
	v_mov_b32_e32 v3, v2
	v_mov_b32_e32 v4, v2
	;; [unrolled: 1-line block ×3, first 2 shown]
	v_accvgpr_read_b32 v0, a115
	scratch_store_dwordx4 off, v[2:5], off offset:848
	s_waitcnt vmcnt(1)
	ds_write_b128 v0, v[6:9]
.LBB120_251:
	s_or_b64 exec, exec, s[0:1]
	s_waitcnt lgkmcnt(0)
	; wave barrier
	scratch_load_dwordx4 v[4:7], off, off offset:864
	scratch_load_dwordx4 v[8:11], off, off offset:880
	;; [unrolled: 1-line block ×5, first 2 shown]
	ds_read_b128 v[24:27], v2 offset:1760
	ds_read_b128 v[28:31], v2 offset:1776
	;; [unrolled: 1-line block ×4, first 2 shown]
	v_cmp_lt_u32_e32 vcc, 51, v240
	s_waitcnt vmcnt(4) lgkmcnt(3)
	v_mul_f64 v[2:3], v[24:25], v[6:7]
	v_mul_f64 v[6:7], v[26:27], v[6:7]
	s_waitcnt vmcnt(3) lgkmcnt(2)
	v_mul_f64 v[40:41], v[28:29], v[10:11]
	v_mul_f64 v[10:11], v[30:31], v[10:11]
	v_fmac_f64_e32 v[2:3], v[26:27], v[4:5]
	v_fma_f64 v[4:5], v[24:25], v[4:5], -v[6:7]
	s_waitcnt vmcnt(2) lgkmcnt(1)
	v_mul_f64 v[42:43], v[32:33], v[14:15]
	v_mul_f64 v[14:15], v[34:35], v[14:15]
	v_fmac_f64_e32 v[40:41], v[30:31], v[8:9]
	v_fma_f64 v[6:7], v[28:29], v[8:9], -v[10:11]
	v_add_f64 v[2:3], v[2:3], 0
	v_add_f64 v[4:5], v[4:5], 0
	s_waitcnt vmcnt(1) lgkmcnt(0)
	v_mul_f64 v[44:45], v[36:37], v[18:19]
	v_mul_f64 v[18:19], v[38:39], v[18:19]
	v_fmac_f64_e32 v[42:43], v[34:35], v[12:13]
	v_fma_f64 v[8:9], v[32:33], v[12:13], -v[14:15]
	v_add_f64 v[2:3], v[2:3], v[40:41]
	v_add_f64 v[4:5], v[4:5], v[6:7]
	v_fmac_f64_e32 v[44:45], v[38:39], v[16:17]
	v_fma_f64 v[10:11], v[36:37], v[16:17], -v[18:19]
	v_add_f64 v[2:3], v[2:3], v[42:43]
	v_add_f64 v[4:5], v[4:5], v[8:9]
	;; [unrolled: 1-line block ×4, first 2 shown]
	s_waitcnt vmcnt(0)
	v_add_f64 v[2:3], v[20:21], -v[2:3]
	v_add_f64 v[4:5], v[22:23], -v[6:7]
	scratch_store_dwordx4 off, v[2:5], off offset:848
	s_and_saveexec_b64 s[0:1], vcc
	s_cbranch_execz .LBB120_253
; %bb.252:
	scratch_load_dwordx4 v[2:5], off, s21
	v_mov_b32_e32 v6, 0
	v_mov_b32_e32 v7, v6
	;; [unrolled: 1-line block ×4, first 2 shown]
	v_accvgpr_read_b32 v0, a115
	scratch_store_dwordx4 off, v[6:9], off offset:832
	s_waitcnt vmcnt(1)
	ds_write_b128 v0, v[2:5]
.LBB120_253:
	s_or_b64 exec, exec, s[0:1]
	v_mov_b32_e32 v2, 0
	s_waitcnt lgkmcnt(0)
	; wave barrier
	ds_read_b128 v[4:7], v2 offset:1744
	ds_read_b128 v[8:11], v2 offset:1760
	;; [unrolled: 1-line block ×4, first 2 shown]
	scratch_load_dwordx4 v[20:23], off, off offset:848
	scratch_load_dwordx4 v[40:43], off, off offset:912
	v_cmp_lt_u32_e32 vcc, 50, v240
	s_waitcnt vmcnt(1) lgkmcnt(3)
	v_mul_f64 v[24:25], v[4:5], v[22:23]
	v_fmac_f64_e32 v[24:25], v[6:7], v[20:21]
	v_add_f64 v[28:29], v[24:25], 0
	scratch_load_dwordx4 v[24:27], off, off offset:864
	v_mul_f64 v[6:7], v[6:7], v[22:23]
	v_fma_f64 v[4:5], v[4:5], v[20:21], -v[6:7]
	v_add_f64 v[4:5], v[4:5], 0
	s_waitcnt vmcnt(0) lgkmcnt(2)
	v_mul_f64 v[30:31], v[8:9], v[26:27]
	v_fmac_f64_e32 v[30:31], v[10:11], v[24:25]
	v_add_f64 v[32:33], v[28:29], v[30:31]
	scratch_load_dwordx4 v[28:31], off, off offset:880
	v_mul_f64 v[6:7], v[10:11], v[26:27]
	v_fma_f64 v[6:7], v[8:9], v[24:25], -v[6:7]
	v_add_f64 v[4:5], v[4:5], v[6:7]
	;; [unrolled: 8-line block ×3, first 2 shown]
	s_waitcnt vmcnt(0) lgkmcnt(0)
	v_mul_f64 v[38:39], v[16:17], v[34:35]
	v_fmac_f64_e32 v[38:39], v[18:19], v[32:33]
	v_add_f64 v[44:45], v[36:37], v[38:39]
	ds_read_b128 v[36:39], v2 offset:1808
	v_mul_f64 v[6:7], v[18:19], v[34:35]
	v_fma_f64 v[6:7], v[16:17], v[32:33], -v[6:7]
	v_add_f64 v[4:5], v[4:5], v[6:7]
	s_waitcnt lgkmcnt(0)
	v_mul_f64 v[6:7], v[38:39], v[42:43]
	v_fma_f64 v[6:7], v[36:37], v[40:41], -v[6:7]
	v_add_f64 v[8:9], v[4:5], v[6:7]
	scratch_load_dwordx4 v[4:7], off, off offset:832
	v_mul_f64 v[46:47], v[36:37], v[42:43]
	v_fmac_f64_e32 v[46:47], v[38:39], v[40:41]
	v_add_f64 v[44:45], v[44:45], v[46:47]
	s_waitcnt vmcnt(0)
	v_add_f64 v[4:5], v[4:5], -v[8:9]
	v_add_f64 v[6:7], v[6:7], -v[44:45]
	scratch_store_dwordx4 off, v[4:7], off offset:832
	s_and_saveexec_b64 s[0:1], vcc
	s_cbranch_execz .LBB120_255
; %bb.254:
	scratch_load_dwordx4 v[6:9], off, s22
	v_mov_b32_e32 v3, v2
	v_mov_b32_e32 v4, v2
	;; [unrolled: 1-line block ×3, first 2 shown]
	v_accvgpr_read_b32 v0, a115
	scratch_store_dwordx4 off, v[2:5], off offset:816
	s_waitcnt vmcnt(1)
	ds_write_b128 v0, v[6:9]
.LBB120_255:
	s_or_b64 exec, exec, s[0:1]
	s_waitcnt lgkmcnt(0)
	; wave barrier
	scratch_load_dwordx4 v[4:7], off, off offset:832
	scratch_load_dwordx4 v[8:11], off, off offset:848
	;; [unrolled: 1-line block ×7, first 2 shown]
	ds_read_b128 v[32:35], v2 offset:1728
	ds_read_b128 v[36:39], v2 offset:1744
	;; [unrolled: 1-line block ×6, first 2 shown]
	v_cmp_lt_u32_e32 vcc, 49, v240
	s_waitcnt vmcnt(6) lgkmcnt(5)
	v_mul_f64 v[2:3], v[32:33], v[6:7]
	v_mul_f64 v[6:7], v[34:35], v[6:7]
	s_waitcnt vmcnt(5) lgkmcnt(4)
	v_mul_f64 v[56:57], v[36:37], v[10:11]
	v_mul_f64 v[10:11], v[38:39], v[10:11]
	v_fmac_f64_e32 v[2:3], v[34:35], v[4:5]
	v_fma_f64 v[4:5], v[32:33], v[4:5], -v[6:7]
	s_waitcnt vmcnt(4) lgkmcnt(3)
	v_mul_f64 v[58:59], v[40:41], v[14:15]
	v_mul_f64 v[14:15], v[42:43], v[14:15]
	v_fmac_f64_e32 v[56:57], v[38:39], v[8:9]
	v_fma_f64 v[6:7], v[36:37], v[8:9], -v[10:11]
	v_add_f64 v[2:3], v[2:3], 0
	v_add_f64 v[4:5], v[4:5], 0
	s_waitcnt vmcnt(3) lgkmcnt(2)
	v_mul_f64 v[60:61], v[44:45], v[18:19]
	v_mul_f64 v[18:19], v[46:47], v[18:19]
	v_fmac_f64_e32 v[58:59], v[42:43], v[12:13]
	v_fma_f64 v[8:9], v[40:41], v[12:13], -v[14:15]
	v_add_f64 v[2:3], v[2:3], v[56:57]
	v_add_f64 v[4:5], v[4:5], v[6:7]
	;; [unrolled: 7-line block ×4, first 2 shown]
	v_fmac_f64_e32 v[64:65], v[54:55], v[24:25]
	v_fma_f64 v[14:15], v[52:53], v[24:25], -v[26:27]
	v_add_f64 v[2:3], v[2:3], v[62:63]
	v_add_f64 v[4:5], v[4:5], v[12:13]
	;; [unrolled: 1-line block ×4, first 2 shown]
	s_waitcnt vmcnt(0)
	v_add_f64 v[2:3], v[28:29], -v[2:3]
	v_add_f64 v[4:5], v[30:31], -v[6:7]
	scratch_store_dwordx4 off, v[2:5], off offset:816
	s_and_saveexec_b64 s[0:1], vcc
	s_cbranch_execz .LBB120_257
; %bb.256:
	scratch_load_dwordx4 v[2:5], off, s23
	v_mov_b32_e32 v6, 0
	v_mov_b32_e32 v7, v6
	;; [unrolled: 1-line block ×4, first 2 shown]
	v_accvgpr_read_b32 v0, a115
	scratch_store_dwordx4 off, v[6:9], off offset:800
	s_waitcnt vmcnt(1)
	ds_write_b128 v0, v[2:5]
.LBB120_257:
	s_or_b64 exec, exec, s[0:1]
	s_waitcnt lgkmcnt(0)
	; wave barrier
	scratch_load_dwordx4 v[4:7], off, off offset:816
	scratch_load_dwordx4 v[8:11], off, off offset:832
	;; [unrolled: 1-line block ×8, first 2 shown]
	v_mov_b32_e32 v2, 0
	ds_read_b128 v[36:39], v2 offset:1712
	ds_read_b128 v[40:43], v2 offset:1728
	;; [unrolled: 1-line block ×7, first 2 shown]
	v_cmp_lt_u32_e32 vcc, 48, v240
	s_waitcnt vmcnt(7) lgkmcnt(6)
	v_mul_f64 v[64:65], v[36:37], v[6:7]
	v_mul_f64 v[6:7], v[38:39], v[6:7]
	s_waitcnt vmcnt(6) lgkmcnt(5)
	v_mul_f64 v[66:67], v[40:41], v[10:11]
	s_waitcnt vmcnt(4) lgkmcnt(3)
	v_mul_f64 v[70:71], v[48:49], v[18:19]
	v_mul_f64 v[10:11], v[42:43], v[10:11]
	;; [unrolled: 1-line block ×3, first 2 shown]
	v_fmac_f64_e32 v[64:65], v[38:39], v[4:5]
	v_fma_f64 v[4:5], v[36:37], v[4:5], -v[6:7]
	v_mul_f64 v[68:69], v[44:45], v[14:15]
	v_mul_f64 v[14:15], v[46:47], v[14:15]
	v_fmac_f64_e32 v[66:67], v[42:43], v[8:9]
	v_fma_f64 v[6:7], v[40:41], v[8:9], -v[10:11]
	v_fma_f64 v[10:11], v[48:49], v[16:17], -v[18:19]
	v_add_f64 v[18:19], v[64:65], 0
	v_add_f64 v[4:5], v[4:5], 0
	v_fmac_f64_e32 v[68:69], v[46:47], v[12:13]
	v_fma_f64 v[8:9], v[44:45], v[12:13], -v[14:15]
	v_add_f64 v[18:19], v[18:19], v[66:67]
	v_add_f64 v[4:5], v[4:5], v[6:7]
	s_waitcnt vmcnt(3) lgkmcnt(2)
	v_mul_f64 v[72:73], v[52:53], v[22:23]
	v_mul_f64 v[22:23], v[54:55], v[22:23]
	v_fmac_f64_e32 v[70:71], v[50:51], v[16:17]
	v_add_f64 v[6:7], v[18:19], v[68:69]
	v_add_f64 v[4:5], v[4:5], v[8:9]
	s_waitcnt vmcnt(2) lgkmcnt(1)
	v_mul_f64 v[74:75], v[56:57], v[26:27]
	v_mul_f64 v[26:27], v[58:59], v[26:27]
	v_fmac_f64_e32 v[72:73], v[54:55], v[20:21]
	v_fma_f64 v[12:13], v[52:53], v[20:21], -v[22:23]
	v_add_f64 v[6:7], v[6:7], v[70:71]
	v_add_f64 v[4:5], v[4:5], v[10:11]
	s_waitcnt vmcnt(1) lgkmcnt(0)
	v_mul_f64 v[76:77], v[60:61], v[30:31]
	v_mul_f64 v[30:31], v[62:63], v[30:31]
	v_fmac_f64_e32 v[74:75], v[58:59], v[24:25]
	v_fma_f64 v[14:15], v[56:57], v[24:25], -v[26:27]
	v_add_f64 v[6:7], v[6:7], v[72:73]
	v_add_f64 v[4:5], v[4:5], v[12:13]
	v_fmac_f64_e32 v[76:77], v[62:63], v[28:29]
	v_fma_f64 v[16:17], v[60:61], v[28:29], -v[30:31]
	v_add_f64 v[6:7], v[6:7], v[74:75]
	v_add_f64 v[4:5], v[4:5], v[14:15]
	v_add_f64 v[6:7], v[6:7], v[76:77]
	v_add_f64 v[4:5], v[4:5], v[16:17]
	s_waitcnt vmcnt(0)
	v_add_f64 v[4:5], v[32:33], -v[4:5]
	v_add_f64 v[6:7], v[34:35], -v[6:7]
	scratch_store_dwordx4 off, v[4:7], off offset:800
	s_and_saveexec_b64 s[0:1], vcc
	s_cbranch_execz .LBB120_259
; %bb.258:
	scratch_load_dwordx4 v[6:9], off, s24
	v_mov_b32_e32 v3, v2
	v_mov_b32_e32 v4, v2
	;; [unrolled: 1-line block ×3, first 2 shown]
	v_accvgpr_read_b32 v0, a115
	scratch_store_dwordx4 off, v[2:5], off offset:784
	s_waitcnt vmcnt(1)
	ds_write_b128 v0, v[6:9]
.LBB120_259:
	s_or_b64 exec, exec, s[0:1]
	s_waitcnt lgkmcnt(0)
	; wave barrier
	scratch_load_dwordx4 v[4:7], off, off offset:800
	scratch_load_dwordx4 v[8:11], off, off offset:816
	;; [unrolled: 1-line block ×9, first 2 shown]
	ds_read_b128 v[40:43], v2 offset:1696
	ds_read_b128 v[44:47], v2 offset:1712
	;; [unrolled: 1-line block ×8, first 2 shown]
	v_cmp_lt_u32_e32 vcc, 47, v240
	s_waitcnt vmcnt(8) lgkmcnt(7)
	v_mul_f64 v[2:3], v[40:41], v[6:7]
	v_mul_f64 v[6:7], v[42:43], v[6:7]
	s_waitcnt vmcnt(7) lgkmcnt(6)
	v_mul_f64 v[72:73], v[44:45], v[10:11]
	v_mul_f64 v[10:11], v[46:47], v[10:11]
	v_fmac_f64_e32 v[2:3], v[42:43], v[4:5]
	v_fma_f64 v[4:5], v[40:41], v[4:5], -v[6:7]
	s_waitcnt vmcnt(6) lgkmcnt(5)
	v_mul_f64 v[74:75], v[48:49], v[14:15]
	v_mul_f64 v[14:15], v[50:51], v[14:15]
	v_fmac_f64_e32 v[72:73], v[46:47], v[8:9]
	v_fma_f64 v[6:7], v[44:45], v[8:9], -v[10:11]
	v_add_f64 v[2:3], v[2:3], 0
	v_add_f64 v[4:5], v[4:5], 0
	s_waitcnt vmcnt(5) lgkmcnt(4)
	v_mul_f64 v[76:77], v[52:53], v[18:19]
	v_mul_f64 v[18:19], v[54:55], v[18:19]
	v_fmac_f64_e32 v[74:75], v[50:51], v[12:13]
	v_fma_f64 v[8:9], v[48:49], v[12:13], -v[14:15]
	v_add_f64 v[2:3], v[2:3], v[72:73]
	v_add_f64 v[4:5], v[4:5], v[6:7]
	;; [unrolled: 7-line block ×6, first 2 shown]
	v_fmac_f64_e32 v[84:85], v[70:71], v[32:33]
	v_fma_f64 v[18:19], v[68:69], v[32:33], -v[34:35]
	v_add_f64 v[2:3], v[2:3], v[82:83]
	v_add_f64 v[4:5], v[4:5], v[16:17]
	;; [unrolled: 1-line block ×4, first 2 shown]
	s_waitcnt vmcnt(0)
	v_add_f64 v[2:3], v[36:37], -v[2:3]
	v_add_f64 v[4:5], v[38:39], -v[6:7]
	scratch_store_dwordx4 off, v[2:5], off offset:784
	s_and_saveexec_b64 s[0:1], vcc
	s_cbranch_execz .LBB120_261
; %bb.260:
	scratch_load_dwordx4 v[2:5], off, s25
	v_mov_b32_e32 v6, 0
	v_mov_b32_e32 v7, v6
	;; [unrolled: 1-line block ×4, first 2 shown]
	v_accvgpr_read_b32 v0, a115
	scratch_store_dwordx4 off, v[6:9], off offset:768
	s_waitcnt vmcnt(1)
	ds_write_b128 v0, v[2:5]
.LBB120_261:
	s_or_b64 exec, exec, s[0:1]
	s_waitcnt lgkmcnt(0)
	; wave barrier
	scratch_load_dwordx4 v[4:7], off, off offset:784
	scratch_load_dwordx4 v[8:11], off, off offset:800
	;; [unrolled: 1-line block ×10, first 2 shown]
	v_mov_b32_e32 v2, 0
	ds_read_b128 v[44:47], v2 offset:1680
	ds_read_b128 v[48:51], v2 offset:1696
	;; [unrolled: 1-line block ×9, first 2 shown]
	v_cmp_lt_u32_e32 vcc, 46, v240
	s_waitcnt vmcnt(9) lgkmcnt(8)
	v_mul_f64 v[80:81], v[44:45], v[6:7]
	v_mul_f64 v[6:7], v[46:47], v[6:7]
	s_waitcnt vmcnt(8) lgkmcnt(7)
	v_mul_f64 v[82:83], v[48:49], v[10:11]
	s_waitcnt vmcnt(7) lgkmcnt(6)
	;; [unrolled: 2-line block ×3, first 2 shown]
	v_mul_f64 v[88:89], v[60:61], v[22:23]
	v_mul_f64 v[10:11], v[50:51], v[10:11]
	;; [unrolled: 1-line block ×4, first 2 shown]
	v_fmac_f64_e32 v[80:81], v[46:47], v[4:5]
	v_fma_f64 v[4:5], v[44:45], v[4:5], -v[6:7]
	v_fmac_f64_e32 v[82:83], v[50:51], v[8:9]
	v_fmac_f64_e32 v[84:85], v[54:55], v[12:13]
	v_fma_f64 v[6:7], v[48:49], v[8:9], -v[10:11]
	v_fma_f64 v[8:9], v[52:53], v[12:13], -v[14:15]
	;; [unrolled: 1-line block ×3, first 2 shown]
	v_add_f64 v[22:23], v[80:81], 0
	v_add_f64 v[4:5], v[4:5], 0
	v_mul_f64 v[86:87], v[56:57], v[18:19]
	v_mul_f64 v[18:19], v[58:59], v[18:19]
	v_add_f64 v[22:23], v[22:23], v[82:83]
	v_add_f64 v[4:5], v[4:5], v[6:7]
	v_fmac_f64_e32 v[86:87], v[58:59], v[16:17]
	v_fma_f64 v[10:11], v[56:57], v[16:17], -v[18:19]
	v_add_f64 v[6:7], v[22:23], v[84:85]
	v_add_f64 v[4:5], v[4:5], v[8:9]
	s_waitcnt vmcnt(4) lgkmcnt(3)
	v_mul_f64 v[90:91], v[64:65], v[26:27]
	v_mul_f64 v[26:27], v[66:67], v[26:27]
	v_fmac_f64_e32 v[88:89], v[62:63], v[20:21]
	v_add_f64 v[6:7], v[6:7], v[86:87]
	v_add_f64 v[4:5], v[4:5], v[10:11]
	s_waitcnt vmcnt(3) lgkmcnt(2)
	v_mul_f64 v[92:93], v[68:69], v[30:31]
	v_mul_f64 v[30:31], v[70:71], v[30:31]
	v_fmac_f64_e32 v[90:91], v[66:67], v[24:25]
	v_fma_f64 v[14:15], v[64:65], v[24:25], -v[26:27]
	v_add_f64 v[6:7], v[6:7], v[88:89]
	v_add_f64 v[4:5], v[4:5], v[12:13]
	s_waitcnt vmcnt(2) lgkmcnt(1)
	v_mul_f64 v[94:95], v[72:73], v[34:35]
	v_mul_f64 v[34:35], v[74:75], v[34:35]
	v_fmac_f64_e32 v[92:93], v[70:71], v[28:29]
	v_fma_f64 v[16:17], v[68:69], v[28:29], -v[30:31]
	;; [unrolled: 7-line block ×3, first 2 shown]
	v_add_f64 v[6:7], v[6:7], v[92:93]
	v_add_f64 v[4:5], v[4:5], v[16:17]
	v_fmac_f64_e32 v[96:97], v[78:79], v[36:37]
	v_fma_f64 v[20:21], v[76:77], v[36:37], -v[38:39]
	v_add_f64 v[6:7], v[6:7], v[94:95]
	v_add_f64 v[4:5], v[4:5], v[18:19]
	;; [unrolled: 1-line block ×4, first 2 shown]
	s_waitcnt vmcnt(0)
	v_add_f64 v[4:5], v[40:41], -v[4:5]
	v_add_f64 v[6:7], v[42:43], -v[6:7]
	scratch_store_dwordx4 off, v[4:7], off offset:768
	s_and_saveexec_b64 s[0:1], vcc
	s_cbranch_execz .LBB120_263
; %bb.262:
	scratch_load_dwordx4 v[6:9], off, s26
	v_mov_b32_e32 v3, v2
	v_mov_b32_e32 v4, v2
	;; [unrolled: 1-line block ×3, first 2 shown]
	v_accvgpr_read_b32 v0, a115
	scratch_store_dwordx4 off, v[2:5], off offset:752
	s_waitcnt vmcnt(1)
	ds_write_b128 v0, v[6:9]
.LBB120_263:
	s_or_b64 exec, exec, s[0:1]
	s_waitcnt lgkmcnt(0)
	; wave barrier
	scratch_load_dwordx4 v[4:7], off, off offset:768
	scratch_load_dwordx4 v[8:11], off, off offset:784
	;; [unrolled: 1-line block ×11, first 2 shown]
	ds_read_b128 v[48:51], v2 offset:1664
	ds_read_b128 v[52:55], v2 offset:1680
	;; [unrolled: 1-line block ×10, first 2 shown]
	v_cmp_lt_u32_e32 vcc, 45, v240
	s_waitcnt vmcnt(10) lgkmcnt(9)
	v_mul_f64 v[2:3], v[48:49], v[6:7]
	v_mul_f64 v[6:7], v[50:51], v[6:7]
	s_waitcnt vmcnt(9) lgkmcnt(8)
	v_mul_f64 v[88:89], v[52:53], v[10:11]
	v_mul_f64 v[10:11], v[54:55], v[10:11]
	v_fmac_f64_e32 v[2:3], v[50:51], v[4:5]
	v_fma_f64 v[4:5], v[48:49], v[4:5], -v[6:7]
	s_waitcnt vmcnt(8) lgkmcnt(7)
	v_mul_f64 v[90:91], v[56:57], v[14:15]
	v_mul_f64 v[14:15], v[58:59], v[14:15]
	v_fmac_f64_e32 v[88:89], v[54:55], v[8:9]
	v_fma_f64 v[6:7], v[52:53], v[8:9], -v[10:11]
	v_add_f64 v[2:3], v[2:3], 0
	v_add_f64 v[4:5], v[4:5], 0
	s_waitcnt vmcnt(7) lgkmcnt(6)
	v_mul_f64 v[92:93], v[60:61], v[18:19]
	v_mul_f64 v[18:19], v[62:63], v[18:19]
	v_fmac_f64_e32 v[90:91], v[58:59], v[12:13]
	v_fma_f64 v[8:9], v[56:57], v[12:13], -v[14:15]
	v_add_f64 v[2:3], v[2:3], v[88:89]
	v_add_f64 v[4:5], v[4:5], v[6:7]
	;; [unrolled: 7-line block ×8, first 2 shown]
	v_fmac_f64_e32 v[104:105], v[86:87], v[40:41]
	v_fma_f64 v[22:23], v[84:85], v[40:41], -v[42:43]
	v_add_f64 v[2:3], v[2:3], v[102:103]
	v_add_f64 v[4:5], v[4:5], v[20:21]
	v_add_f64 v[6:7], v[2:3], v[104:105]
	v_add_f64 v[2:3], v[4:5], v[22:23]
	s_waitcnt vmcnt(0)
	v_add_f64 v[2:3], v[44:45], -v[2:3]
	v_add_f64 v[4:5], v[46:47], -v[6:7]
	scratch_store_dwordx4 off, v[2:5], off offset:752
	s_and_saveexec_b64 s[0:1], vcc
	s_cbranch_execz .LBB120_265
; %bb.264:
	scratch_load_dwordx4 v[2:5], off, s27
	v_mov_b32_e32 v6, 0
	v_mov_b32_e32 v7, v6
	;; [unrolled: 1-line block ×4, first 2 shown]
	v_accvgpr_read_b32 v0, a115
	scratch_store_dwordx4 off, v[6:9], off offset:736
	s_waitcnt vmcnt(1)
	ds_write_b128 v0, v[2:5]
.LBB120_265:
	s_or_b64 exec, exec, s[0:1]
	s_waitcnt lgkmcnt(0)
	; wave barrier
	scratch_load_dwordx4 v[4:7], off, off offset:752
	scratch_load_dwordx4 v[8:11], off, off offset:768
	;; [unrolled: 1-line block ×12, first 2 shown]
	v_mov_b32_e32 v2, 0
	ds_read_b128 v[52:55], v2 offset:1648
	ds_read_b128 v[56:59], v2 offset:1664
	;; [unrolled: 1-line block ×11, first 2 shown]
	v_cmp_lt_u32_e32 vcc, 44, v240
	s_waitcnt vmcnt(11) lgkmcnt(10)
	v_mul_f64 v[96:97], v[52:53], v[6:7]
	v_mul_f64 v[6:7], v[54:55], v[6:7]
	s_waitcnt vmcnt(10) lgkmcnt(9)
	v_mul_f64 v[98:99], v[56:57], v[10:11]
	s_waitcnt vmcnt(9) lgkmcnt(8)
	v_mul_f64 v[100:101], v[60:61], v[14:15]
	v_mul_f64 v[10:11], v[58:59], v[10:11]
	s_waitcnt vmcnt(6) lgkmcnt(5)
	v_mul_f64 v[106:107], v[72:73], v[26:27]
	v_mul_f64 v[14:15], v[62:63], v[14:15]
	;; [unrolled: 1-line block ×3, first 2 shown]
	v_fmac_f64_e32 v[96:97], v[54:55], v[4:5]
	v_fma_f64 v[4:5], v[52:53], v[4:5], -v[6:7]
	v_fmac_f64_e32 v[98:99], v[58:59], v[8:9]
	v_fma_f64 v[6:7], v[56:57], v[8:9], -v[10:11]
	v_fma_f64 v[8:9], v[60:61], v[12:13], -v[14:15]
	;; [unrolled: 1-line block ×3, first 2 shown]
	v_add_f64 v[26:27], v[96:97], 0
	v_add_f64 v[4:5], v[4:5], 0
	v_mul_f64 v[102:103], v[64:65], v[18:19]
	v_mul_f64 v[18:19], v[66:67], v[18:19]
	v_fmac_f64_e32 v[100:101], v[62:63], v[12:13]
	v_add_f64 v[26:27], v[26:27], v[98:99]
	v_add_f64 v[4:5], v[4:5], v[6:7]
	v_mul_f64 v[104:105], v[68:69], v[22:23]
	v_mul_f64 v[22:23], v[70:71], v[22:23]
	v_fmac_f64_e32 v[102:103], v[66:67], v[16:17]
	v_fma_f64 v[10:11], v[64:65], v[16:17], -v[18:19]
	v_add_f64 v[6:7], v[26:27], v[100:101]
	v_add_f64 v[4:5], v[4:5], v[8:9]
	v_fmac_f64_e32 v[104:105], v[70:71], v[20:21]
	v_fma_f64 v[12:13], v[68:69], v[20:21], -v[22:23]
	v_add_f64 v[6:7], v[6:7], v[102:103]
	v_add_f64 v[4:5], v[4:5], v[10:11]
	s_waitcnt vmcnt(5) lgkmcnt(4)
	v_mul_f64 v[108:109], v[76:77], v[30:31]
	v_mul_f64 v[30:31], v[78:79], v[30:31]
	v_fmac_f64_e32 v[106:107], v[74:75], v[24:25]
	v_add_f64 v[6:7], v[6:7], v[104:105]
	v_add_f64 v[4:5], v[4:5], v[12:13]
	s_waitcnt vmcnt(4) lgkmcnt(3)
	v_mul_f64 v[110:111], v[80:81], v[34:35]
	v_mul_f64 v[34:35], v[82:83], v[34:35]
	v_fmac_f64_e32 v[108:109], v[78:79], v[28:29]
	v_fma_f64 v[16:17], v[76:77], v[28:29], -v[30:31]
	v_add_f64 v[6:7], v[6:7], v[106:107]
	v_add_f64 v[4:5], v[4:5], v[14:15]
	s_waitcnt vmcnt(3) lgkmcnt(2)
	v_mul_f64 v[112:113], v[84:85], v[38:39]
	v_mul_f64 v[38:39], v[86:87], v[38:39]
	v_fmac_f64_e32 v[110:111], v[82:83], v[32:33]
	v_fma_f64 v[18:19], v[80:81], v[32:33], -v[34:35]
	;; [unrolled: 7-line block ×4, first 2 shown]
	v_add_f64 v[6:7], v[6:7], v[112:113]
	v_add_f64 v[4:5], v[4:5], v[20:21]
	v_fmac_f64_e32 v[116:117], v[94:95], v[44:45]
	v_fma_f64 v[24:25], v[92:93], v[44:45], -v[46:47]
	v_add_f64 v[6:7], v[6:7], v[114:115]
	v_add_f64 v[4:5], v[4:5], v[22:23]
	;; [unrolled: 1-line block ×4, first 2 shown]
	s_waitcnt vmcnt(0)
	v_add_f64 v[4:5], v[48:49], -v[4:5]
	v_add_f64 v[6:7], v[50:51], -v[6:7]
	scratch_store_dwordx4 off, v[4:7], off offset:736
	s_and_saveexec_b64 s[0:1], vcc
	s_cbranch_execz .LBB120_267
; %bb.266:
	scratch_load_dwordx4 v[6:9], off, s28
	v_mov_b32_e32 v3, v2
	v_mov_b32_e32 v4, v2
	;; [unrolled: 1-line block ×3, first 2 shown]
	v_accvgpr_read_b32 v0, a115
	scratch_store_dwordx4 off, v[2:5], off offset:720
	s_waitcnt vmcnt(1)
	ds_write_b128 v0, v[6:9]
.LBB120_267:
	s_or_b64 exec, exec, s[0:1]
	s_waitcnt lgkmcnt(0)
	; wave barrier
	scratch_load_dwordx4 v[4:7], off, off offset:736
	scratch_load_dwordx4 v[8:11], off, off offset:752
	;; [unrolled: 1-line block ×12, first 2 shown]
	ds_read_b128 v[52:55], v2 offset:1632
	ds_read_b128 v[56:59], v2 offset:1648
	;; [unrolled: 1-line block ×4, first 2 shown]
	scratch_load_dwordx4 v[68:71], off, off offset:720
	ds_read_b128 v[72:75], v2 offset:1696
	ds_read_b128 v[76:79], v2 offset:1712
	;; [unrolled: 1-line block ×8, first 2 shown]
	v_cmp_lt_u32_e32 vcc, 43, v240
	s_waitcnt vmcnt(12) lgkmcnt(11)
	v_mul_f64 v[2:3], v[52:53], v[6:7]
	s_waitcnt vmcnt(11) lgkmcnt(10)
	v_mul_f64 v[104:105], v[56:57], v[10:11]
	v_fmac_f64_e32 v[2:3], v[54:55], v[4:5]
	s_waitcnt vmcnt(10) lgkmcnt(9)
	v_mul_f64 v[106:107], v[60:61], v[14:15]
	v_mul_f64 v[6:7], v[54:55], v[6:7]
	v_fmac_f64_e32 v[104:105], v[58:59], v[8:9]
	v_add_f64 v[2:3], v[2:3], 0
	s_waitcnt vmcnt(9) lgkmcnt(8)
	v_mul_f64 v[108:109], v[64:65], v[18:19]
	v_mul_f64 v[10:11], v[58:59], v[10:11]
	v_fmac_f64_e32 v[106:107], v[62:63], v[12:13]
	v_fma_f64 v[4:5], v[52:53], v[4:5], -v[6:7]
	v_add_f64 v[2:3], v[2:3], v[104:105]
	s_waitcnt vmcnt(8) lgkmcnt(7)
	v_mul_f64 v[110:111], v[72:73], v[22:23]
	v_mul_f64 v[14:15], v[62:63], v[14:15]
	v_fmac_f64_e32 v[108:109], v[66:67], v[16:17]
	v_fma_f64 v[6:7], v[56:57], v[8:9], -v[10:11]
	v_add_f64 v[4:5], v[4:5], 0
	v_add_f64 v[2:3], v[2:3], v[106:107]
	s_waitcnt vmcnt(7) lgkmcnt(6)
	v_mul_f64 v[112:113], v[76:77], v[26:27]
	v_mul_f64 v[18:19], v[66:67], v[18:19]
	v_fmac_f64_e32 v[110:111], v[74:75], v[20:21]
	v_fma_f64 v[8:9], v[60:61], v[12:13], -v[14:15]
	v_add_f64 v[4:5], v[4:5], v[6:7]
	;; [unrolled: 7-line block ×8, first 2 shown]
	v_add_f64 v[2:3], v[2:3], v[120:121]
	v_mul_f64 v[46:47], v[98:99], v[46:47]
	v_fmac_f64_e32 v[124:125], v[102:103], v[48:49]
	v_fma_f64 v[22:23], v[92:93], v[40:41], -v[42:43]
	v_add_f64 v[4:5], v[4:5], v[20:21]
	v_add_f64 v[2:3], v[2:3], v[122:123]
	;; [unrolled: 1-line block ×4, first 2 shown]
	v_fma_f64 v[2:3], v[96:97], v[44:45], -v[46:47]
	v_add_f64 v[2:3], v[4:5], v[2:3]
	v_mul_f64 v[4:5], v[102:103], v[50:51]
	v_fma_f64 v[4:5], v[100:101], v[48:49], -v[4:5]
	v_add_f64 v[2:3], v[2:3], v[4:5]
	s_waitcnt vmcnt(0)
	v_add_f64 v[2:3], v[68:69], -v[2:3]
	v_add_f64 v[4:5], v[70:71], -v[6:7]
	scratch_store_dwordx4 off, v[2:5], off offset:720
	s_and_saveexec_b64 s[0:1], vcc
	s_cbranch_execz .LBB120_269
; %bb.268:
	scratch_load_dwordx4 v[2:5], off, s29
	v_mov_b32_e32 v6, 0
	v_mov_b32_e32 v7, v6
	v_mov_b32_e32 v8, v6
	v_mov_b32_e32 v9, v6
	v_accvgpr_read_b32 v0, a115
	scratch_store_dwordx4 off, v[6:9], off offset:704
	s_waitcnt vmcnt(1)
	ds_write_b128 v0, v[2:5]
.LBB120_269:
	s_or_b64 exec, exec, s[0:1]
	s_waitcnt lgkmcnt(0)
	; wave barrier
	scratch_load_dwordx4 v[4:7], off, off offset:720
	scratch_load_dwordx4 v[8:11], off, off offset:736
	;; [unrolled: 1-line block ×14, first 2 shown]
	v_mov_b32_e32 v2, 0
	ds_read_b128 v[60:63], v2 offset:1616
	ds_read_b128 v[64:67], v2 offset:1632
	;; [unrolled: 1-line block ×13, first 2 shown]
	v_cmp_lt_u32_e32 vcc, 42, v240
	s_waitcnt vmcnt(13) lgkmcnt(12)
	v_mul_f64 v[112:113], v[60:61], v[6:7]
	v_mul_f64 v[6:7], v[62:63], v[6:7]
	s_waitcnt vmcnt(12) lgkmcnt(11)
	v_mul_f64 v[114:115], v[64:65], v[10:11]
	v_mul_f64 v[10:11], v[66:67], v[10:11]
	v_fmac_f64_e32 v[112:113], v[62:63], v[4:5]
	v_fma_f64 v[4:5], v[60:61], v[4:5], -v[6:7]
	s_waitcnt vmcnt(11) lgkmcnt(10)
	v_mul_f64 v[116:117], v[68:69], v[14:15]
	v_mul_f64 v[14:15], v[70:71], v[14:15]
	v_fma_f64 v[6:7], v[64:65], v[8:9], -v[10:11]
	v_add_f64 v[4:5], v[4:5], 0
	s_waitcnt vmcnt(10) lgkmcnt(9)
	v_mul_f64 v[118:119], v[72:73], v[18:19]
	v_mul_f64 v[18:19], v[74:75], v[18:19]
	v_fmac_f64_e32 v[114:115], v[66:67], v[8:9]
	v_fma_f64 v[8:9], v[68:69], v[12:13], -v[14:15]
	v_add_f64 v[4:5], v[4:5], v[6:7]
	s_waitcnt vmcnt(9) lgkmcnt(8)
	v_mul_f64 v[120:121], v[76:77], v[22:23]
	v_mul_f64 v[22:23], v[78:79], v[22:23]
	v_fma_f64 v[10:11], v[72:73], v[16:17], -v[18:19]
	v_add_f64 v[4:5], v[4:5], v[8:9]
	s_waitcnt vmcnt(8) lgkmcnt(7)
	v_mul_f64 v[122:123], v[80:81], v[26:27]
	v_mul_f64 v[26:27], v[82:83], v[26:27]
	v_fmac_f64_e32 v[116:117], v[70:71], v[12:13]
	v_fma_f64 v[12:13], v[76:77], v[20:21], -v[22:23]
	v_add_f64 v[22:23], v[112:113], 0
	v_add_f64 v[4:5], v[4:5], v[10:11]
	s_waitcnt vmcnt(7) lgkmcnt(6)
	v_mul_f64 v[124:125], v[84:85], v[30:31]
	v_mul_f64 v[30:31], v[86:87], v[30:31]
	v_fma_f64 v[14:15], v[80:81], v[24:25], -v[26:27]
	v_add_f64 v[22:23], v[22:23], v[114:115]
	v_add_f64 v[4:5], v[4:5], v[12:13]
	s_waitcnt vmcnt(6) lgkmcnt(5)
	v_mul_f64 v[126:127], v[88:89], v[34:35]
	v_mul_f64 v[34:35], v[90:91], v[34:35]
	v_fmac_f64_e32 v[118:119], v[74:75], v[16:17]
	v_fma_f64 v[16:17], v[84:85], v[28:29], -v[30:31]
	v_add_f64 v[6:7], v[22:23], v[116:117]
	v_add_f64 v[4:5], v[4:5], v[14:15]
	s_waitcnt vmcnt(5) lgkmcnt(4)
	v_mul_f64 v[128:129], v[92:93], v[38:39]
	v_mul_f64 v[38:39], v[94:95], v[38:39]
	v_fmac_f64_e32 v[120:121], v[78:79], v[20:21]
	v_fma_f64 v[18:19], v[88:89], v[32:33], -v[34:35]
	v_add_f64 v[6:7], v[6:7], v[118:119]
	v_add_f64 v[4:5], v[4:5], v[16:17]
	v_fmac_f64_e32 v[122:123], v[82:83], v[24:25]
	v_fma_f64 v[20:21], v[92:93], v[36:37], -v[38:39]
	v_add_f64 v[6:7], v[6:7], v[120:121]
	v_add_f64 v[4:5], v[4:5], v[18:19]
	s_waitcnt vmcnt(4) lgkmcnt(3)
	v_mul_f64 v[8:9], v[98:99], v[42:43]
	v_fmac_f64_e32 v[124:125], v[86:87], v[28:29]
	v_add_f64 v[6:7], v[6:7], v[122:123]
	v_add_f64 v[4:5], v[4:5], v[20:21]
	v_fma_f64 v[8:9], v[96:97], v[40:41], -v[8:9]
	v_fmac_f64_e32 v[126:127], v[90:91], v[32:33]
	v_add_f64 v[6:7], v[6:7], v[124:125]
	v_add_f64 v[4:5], v[4:5], v[8:9]
	s_waitcnt vmcnt(3) lgkmcnt(2)
	v_mul_f64 v[8:9], v[102:103], v[46:47]
	v_mul_f64 v[130:131], v[96:97], v[42:43]
	v_fmac_f64_e32 v[128:129], v[94:95], v[36:37]
	v_add_f64 v[6:7], v[6:7], v[126:127]
	v_fma_f64 v[8:9], v[100:101], v[44:45], -v[8:9]
	v_mul_f64 v[132:133], v[100:101], v[46:47]
	v_fmac_f64_e32 v[130:131], v[98:99], v[40:41]
	v_add_f64 v[6:7], v[6:7], v[128:129]
	v_add_f64 v[4:5], v[4:5], v[8:9]
	s_waitcnt vmcnt(2) lgkmcnt(1)
	v_mul_f64 v[8:9], v[106:107], v[50:51]
	v_mul_f64 v[134:135], v[104:105], v[50:51]
	v_fmac_f64_e32 v[132:133], v[102:103], v[44:45]
	v_add_f64 v[6:7], v[6:7], v[130:131]
	v_fma_f64 v[8:9], v[104:105], v[48:49], -v[8:9]
	s_waitcnt vmcnt(1) lgkmcnt(0)
	v_mul_f64 v[136:137], v[108:109], v[54:55]
	v_fmac_f64_e32 v[134:135], v[106:107], v[48:49]
	v_add_f64 v[6:7], v[6:7], v[132:133]
	v_add_f64 v[4:5], v[4:5], v[8:9]
	v_mul_f64 v[8:9], v[110:111], v[54:55]
	v_fmac_f64_e32 v[136:137], v[110:111], v[52:53]
	v_add_f64 v[6:7], v[6:7], v[134:135]
	v_fma_f64 v[8:9], v[108:109], v[52:53], -v[8:9]
	v_add_f64 v[6:7], v[6:7], v[136:137]
	v_add_f64 v[4:5], v[4:5], v[8:9]
	s_waitcnt vmcnt(0)
	v_add_f64 v[4:5], v[56:57], -v[4:5]
	v_add_f64 v[6:7], v[58:59], -v[6:7]
	scratch_store_dwordx4 off, v[4:7], off offset:704
	s_and_saveexec_b64 s[0:1], vcc
	s_cbranch_execz .LBB120_271
; %bb.270:
	scratch_load_dwordx4 v[6:9], off, s30
	v_mov_b32_e32 v3, v2
	v_mov_b32_e32 v4, v2
	;; [unrolled: 1-line block ×3, first 2 shown]
	v_accvgpr_read_b32 v0, a115
	scratch_store_dwordx4 off, v[2:5], off offset:688
	s_waitcnt vmcnt(1)
	ds_write_b128 v0, v[6:9]
.LBB120_271:
	s_or_b64 exec, exec, s[0:1]
	s_waitcnt lgkmcnt(0)
	; wave barrier
	ds_read_b128 v[16:19], v2 offset:1600
	ds_read_b128 v[12:15], v2 offset:1616
	;; [unrolled: 1-line block ×4, first 2 shown]
	scratch_load_dwordx4 v[20:23], off, off offset:704
	scratch_load_dwordx4 v[42:45], off, off offset:768
	;; [unrolled: 1-line block ×8, first 2 shown]
	v_cmp_lt_u32_e32 vcc, 41, v240
	scratch_load_dwordx4 v[50:53], off, off offset:784
	scratch_load_dwordx4 v[58:61], off, off offset:800
	;; [unrolled: 1-line block ×3, first 2 shown]
	s_waitcnt vmcnt(10) lgkmcnt(3)
	v_mul_f64 v[24:25], v[16:17], v[22:23]
	v_fmac_f64_e32 v[24:25], v[18:19], v[20:21]
	v_add_f64 v[28:29], v[24:25], 0
	scratch_load_dwordx4 v[24:27], off, off offset:720
	s_waitcnt vmcnt(0) lgkmcnt(2)
	v_mul_f64 v[30:31], v[12:13], v[26:27]
	v_fmac_f64_e32 v[30:31], v[14:15], v[24:25]
	v_add_f64 v[32:33], v[28:29], v[30:31]
	scratch_load_dwordx4 v[28:31], off, off offset:736
	v_mul_f64 v[14:15], v[14:15], v[26:27]
	v_fma_f64 v[12:13], v[12:13], v[24:25], -v[14:15]
	s_waitcnt vmcnt(0) lgkmcnt(1)
	v_mul_f64 v[34:35], v[8:9], v[30:31]
	v_fmac_f64_e32 v[34:35], v[10:11], v[28:29]
	v_add_f64 v[36:37], v[32:33], v[34:35]
	scratch_load_dwordx4 v[32:35], off, off offset:752
	v_mul_f64 v[10:11], v[10:11], v[30:31]
	v_fma_f64 v[8:9], v[8:9], v[28:29], -v[10:11]
	s_waitcnt vmcnt(0) lgkmcnt(0)
	v_mul_f64 v[38:39], v[4:5], v[34:35]
	v_fmac_f64_e32 v[38:39], v[6:7], v[32:33]
	v_add_f64 v[40:41], v[36:37], v[38:39]
	ds_read_b128 v[36:39], v2 offset:1664
	v_mul_f64 v[6:7], v[6:7], v[34:35]
	v_fma_f64 v[4:5], v[4:5], v[32:33], -v[6:7]
	s_waitcnt lgkmcnt(0)
	v_mul_f64 v[46:47], v[36:37], v[44:45]
	v_fmac_f64_e32 v[46:47], v[38:39], v[42:43]
	v_add_f64 v[40:41], v[40:41], v[46:47]
	ds_read_b128 v[46:49], v2 offset:1680
	s_waitcnt lgkmcnt(0)
	v_mul_f64 v[54:55], v[46:47], v[52:53]
	v_fmac_f64_e32 v[54:55], v[48:49], v[50:51]
	v_add_f64 v[40:41], v[40:41], v[54:55]
	ds_read_b128 v[54:57], v2 offset:1696
	;; [unrolled: 5-line block ×9, first 2 shown]
	s_waitcnt lgkmcnt(0)
	v_mul_f64 v[2:3], v[110:111], v[116:117]
	v_fmac_f64_e32 v[2:3], v[112:113], v[114:115]
	v_add_f64 v[40:41], v[40:41], v[2:3]
	v_mul_f64 v[2:3], v[18:19], v[22:23]
	v_fma_f64 v[2:3], v[16:17], v[20:21], -v[2:3]
	v_add_f64 v[2:3], v[2:3], 0
	v_add_f64 v[2:3], v[2:3], v[12:13]
	;; [unrolled: 1-line block ×4, first 2 shown]
	v_mul_f64 v[4:5], v[38:39], v[44:45]
	v_fma_f64 v[4:5], v[36:37], v[42:43], -v[4:5]
	v_add_f64 v[2:3], v[2:3], v[4:5]
	v_mul_f64 v[4:5], v[48:49], v[52:53]
	v_fma_f64 v[4:5], v[46:47], v[50:51], -v[4:5]
	v_add_f64 v[2:3], v[2:3], v[4:5]
	;; [unrolled: 3-line block ×10, first 2 shown]
	scratch_load_dwordx4 v[2:5], off, off offset:688
	s_waitcnt vmcnt(0)
	v_add_f64 v[2:3], v[2:3], -v[6:7]
	v_add_f64 v[4:5], v[4:5], -v[40:41]
	scratch_store_dwordx4 off, v[2:5], off offset:688
	s_and_saveexec_b64 s[0:1], vcc
	s_cbranch_execz .LBB120_273
; %bb.272:
	scratch_load_dwordx4 v[2:5], off, s31
	v_mov_b32_e32 v6, 0
	v_mov_b32_e32 v7, v6
	;; [unrolled: 1-line block ×4, first 2 shown]
	v_accvgpr_read_b32 v0, a115
	scratch_store_dwordx4 off, v[6:9], off offset:672
	s_waitcnt vmcnt(1)
	ds_write_b128 v0, v[2:5]
.LBB120_273:
	s_or_b64 exec, exec, s[0:1]
	v_mov_b32_e32 v2, 0
	s_waitcnt lgkmcnt(0)
	; wave barrier
	ds_read_b128 v[16:19], v2 offset:1584
	ds_read_b128 v[12:15], v2 offset:1600
	;; [unrolled: 1-line block ×4, first 2 shown]
	scratch_load_dwordx4 v[20:23], off, off offset:688
	scratch_load_dwordx4 v[40:43], off, off offset:752
	;; [unrolled: 1-line block ×9, first 2 shown]
	v_cmp_lt_u32_e32 vcc, 40, v240
	scratch_load_dwordx4 v[50:53], off, off offset:768
	scratch_load_dwordx4 v[58:61], off, off offset:784
	scratch_load_dwordx4 v[66:69], off, off offset:800
	s_waitcnt vmcnt(11) lgkmcnt(3)
	v_mul_f64 v[24:25], v[16:17], v[22:23]
	v_fmac_f64_e32 v[24:25], v[18:19], v[20:21]
	v_add_f64 v[28:29], v[24:25], 0
	scratch_load_dwordx4 v[24:27], off, off offset:704
	v_mul_f64 v[18:19], v[18:19], v[22:23]
	v_fma_f64 v[16:17], v[16:17], v[20:21], -v[18:19]
	v_add_f64 v[16:17], v[16:17], 0
	s_waitcnt vmcnt(0) lgkmcnt(2)
	v_mul_f64 v[30:31], v[12:13], v[26:27]
	v_fmac_f64_e32 v[30:31], v[14:15], v[24:25]
	v_add_f64 v[32:33], v[28:29], v[30:31]
	scratch_load_dwordx4 v[28:31], off, off offset:720
	v_mul_f64 v[14:15], v[14:15], v[26:27]
	v_fma_f64 v[12:13], v[12:13], v[24:25], -v[14:15]
	v_add_f64 v[12:13], v[16:17], v[12:13]
	;; [unrolled: 8-line block ×3, first 2 shown]
	s_waitcnt vmcnt(0) lgkmcnt(0)
	v_mul_f64 v[38:39], v[4:5], v[34:35]
	v_fmac_f64_e32 v[38:39], v[6:7], v[32:33]
	v_add_f64 v[44:45], v[36:37], v[38:39]
	ds_read_b128 v[36:39], v2 offset:1648
	v_mul_f64 v[6:7], v[6:7], v[34:35]
	v_fma_f64 v[4:5], v[4:5], v[32:33], -v[6:7]
	v_add_f64 v[4:5], v[8:9], v[4:5]
	s_waitcnt lgkmcnt(0)
	v_mul_f64 v[46:47], v[36:37], v[42:43]
	v_fmac_f64_e32 v[46:47], v[38:39], v[40:41]
	v_add_f64 v[48:49], v[44:45], v[46:47]
	ds_read_b128 v[44:47], v2 offset:1664
	v_mul_f64 v[6:7], v[38:39], v[42:43]
	v_fma_f64 v[6:7], v[36:37], v[40:41], -v[6:7]
	v_add_f64 v[4:5], v[4:5], v[6:7]
	s_waitcnt lgkmcnt(0)
	;; [unrolled: 8-line block ×11, first 2 shown]
	v_mul_f64 v[6:7], v[120:121], v[124:125]
	v_fma_f64 v[6:7], v[118:119], v[122:123], -v[6:7]
	v_add_f64 v[8:9], v[4:5], v[6:7]
	scratch_load_dwordx4 v[4:7], off, off offset:672
	v_mul_f64 v[126:127], v[118:119], v[124:125]
	v_fmac_f64_e32 v[126:127], v[120:121], v[122:123]
	v_add_f64 v[48:49], v[48:49], v[126:127]
	s_waitcnt vmcnt(0)
	v_add_f64 v[4:5], v[4:5], -v[8:9]
	v_add_f64 v[6:7], v[6:7], -v[48:49]
	scratch_store_dwordx4 off, v[4:7], off offset:672
	s_and_saveexec_b64 s[0:1], vcc
	s_cbranch_execz .LBB120_275
; %bb.274:
	scratch_load_dwordx4 v[6:9], off, s33
	v_mov_b32_e32 v3, v2
	v_mov_b32_e32 v4, v2
	;; [unrolled: 1-line block ×3, first 2 shown]
	v_accvgpr_read_b32 v0, a115
	scratch_store_dwordx4 off, v[2:5], off offset:656
	s_waitcnt vmcnt(1)
	ds_write_b128 v0, v[6:9]
.LBB120_275:
	s_or_b64 exec, exec, s[0:1]
	s_waitcnt lgkmcnt(0)
	; wave barrier
	ds_read_b128 v[16:19], v2 offset:1568
	ds_read_b128 v[12:15], v2 offset:1584
	;; [unrolled: 1-line block ×4, first 2 shown]
	scratch_load_dwordx4 v[20:23], off, off offset:672
	scratch_load_dwordx4 v[40:43], off, off offset:736
	scratch_load_dwordx4 v[74:77], off, off offset:800
	scratch_load_dwordx4 v[82:85], off, off offset:816
	scratch_load_dwordx4 v[90:93], off, off offset:832
	scratch_load_dwordx4 v[98:101], off, off offset:848
	scratch_load_dwordx4 v[106:109], off, off offset:864
	scratch_load_dwordx4 v[114:117], off, off offset:880
	scratch_load_dwordx4 v[122:125], off, off offset:896
	scratch_load_dwordx4 v[130:133], off, off offset:912
	v_cmp_lt_u32_e32 vcc, 39, v240
	scratch_load_dwordx4 v[48:51], off, off offset:752
	scratch_load_dwordx4 v[56:59], off, off offset:768
	;; [unrolled: 1-line block ×3, first 2 shown]
	s_waitcnt vmcnt(12) lgkmcnt(3)
	v_mul_f64 v[24:25], v[16:17], v[22:23]
	v_fmac_f64_e32 v[24:25], v[18:19], v[20:21]
	v_add_f64 v[28:29], v[24:25], 0
	scratch_load_dwordx4 v[24:27], off, off offset:688
	s_waitcnt vmcnt(0) lgkmcnt(2)
	v_mul_f64 v[30:31], v[12:13], v[26:27]
	v_fmac_f64_e32 v[30:31], v[14:15], v[24:25]
	v_add_f64 v[32:33], v[28:29], v[30:31]
	scratch_load_dwordx4 v[28:31], off, off offset:704
	v_mul_f64 v[14:15], v[14:15], v[26:27]
	v_fma_f64 v[12:13], v[12:13], v[24:25], -v[14:15]
	s_waitcnt vmcnt(0) lgkmcnt(1)
	v_mul_f64 v[34:35], v[8:9], v[30:31]
	v_fmac_f64_e32 v[34:35], v[10:11], v[28:29]
	v_add_f64 v[36:37], v[32:33], v[34:35]
	scratch_load_dwordx4 v[32:35], off, off offset:720
	v_mul_f64 v[10:11], v[10:11], v[30:31]
	v_fma_f64 v[8:9], v[8:9], v[28:29], -v[10:11]
	s_waitcnt vmcnt(0) lgkmcnt(0)
	v_mul_f64 v[38:39], v[4:5], v[34:35]
	v_fmac_f64_e32 v[38:39], v[6:7], v[32:33]
	v_add_f64 v[44:45], v[36:37], v[38:39]
	ds_read_b128 v[36:39], v2 offset:1632
	v_mul_f64 v[6:7], v[6:7], v[34:35]
	v_fma_f64 v[4:5], v[4:5], v[32:33], -v[6:7]
	s_waitcnt lgkmcnt(0)
	v_mul_f64 v[46:47], v[36:37], v[42:43]
	v_fmac_f64_e32 v[46:47], v[38:39], v[40:41]
	v_add_f64 v[52:53], v[44:45], v[46:47]
	ds_read_b128 v[44:47], v2 offset:1648
	s_waitcnt lgkmcnt(0)
	v_mul_f64 v[54:55], v[44:45], v[50:51]
	v_fmac_f64_e32 v[54:55], v[46:47], v[48:49]
	v_add_f64 v[60:61], v[52:53], v[54:55]
	ds_read_b128 v[52:55], v2 offset:1664
	;; [unrolled: 5-line block ×11, first 2 shown]
	s_waitcnt lgkmcnt(0)
	v_mul_f64 v[2:3], v[126:127], v[132:133]
	v_fmac_f64_e32 v[2:3], v[128:129], v[130:131]
	v_add_f64 v[64:65], v[64:65], v[2:3]
	v_mul_f64 v[2:3], v[18:19], v[22:23]
	v_fma_f64 v[2:3], v[16:17], v[20:21], -v[2:3]
	v_add_f64 v[2:3], v[2:3], 0
	v_add_f64 v[2:3], v[2:3], v[12:13]
	;; [unrolled: 1-line block ×4, first 2 shown]
	v_mul_f64 v[4:5], v[38:39], v[42:43]
	v_fma_f64 v[4:5], v[36:37], v[40:41], -v[4:5]
	v_add_f64 v[2:3], v[2:3], v[4:5]
	v_mul_f64 v[4:5], v[46:47], v[50:51]
	v_fma_f64 v[4:5], v[44:45], v[48:49], -v[4:5]
	v_add_f64 v[2:3], v[2:3], v[4:5]
	;; [unrolled: 3-line block ×12, first 2 shown]
	scratch_load_dwordx4 v[2:5], off, off offset:656
	s_waitcnt vmcnt(0)
	v_add_f64 v[2:3], v[2:3], -v[6:7]
	v_add_f64 v[4:5], v[4:5], -v[64:65]
	scratch_store_dwordx4 off, v[2:5], off offset:656
	s_and_saveexec_b64 s[0:1], vcc
	s_cbranch_execz .LBB120_277
; %bb.276:
	scratch_load_dwordx4 v[2:5], off, s34
	v_mov_b32_e32 v6, 0
	v_mov_b32_e32 v7, v6
	;; [unrolled: 1-line block ×4, first 2 shown]
	v_accvgpr_read_b32 v0, a115
	scratch_store_dwordx4 off, v[6:9], off offset:640
	s_waitcnt vmcnt(1)
	ds_write_b128 v0, v[2:5]
.LBB120_277:
	s_or_b64 exec, exec, s[0:1]
	v_mov_b32_e32 v2, 0
	s_waitcnt lgkmcnt(0)
	; wave barrier
	ds_read_b128 v[16:19], v2 offset:1552
	ds_read_b128 v[12:15], v2 offset:1568
	;; [unrolled: 1-line block ×4, first 2 shown]
	scratch_load_dwordx4 v[20:23], off, off offset:656
	scratch_load_dwordx4 v[40:43], off, off offset:720
	;; [unrolled: 1-line block ×11, first 2 shown]
	v_cmp_lt_u32_e32 vcc, 38, v240
	scratch_load_dwordx4 v[48:51], off, off offset:736
	scratch_load_dwordx4 v[56:59], off, off offset:752
	;; [unrolled: 1-line block ×3, first 2 shown]
	s_waitcnt vmcnt(13) lgkmcnt(3)
	v_mul_f64 v[24:25], v[16:17], v[22:23]
	v_fmac_f64_e32 v[24:25], v[18:19], v[20:21]
	v_add_f64 v[28:29], v[24:25], 0
	scratch_load_dwordx4 v[24:27], off, off offset:672
	v_mul_f64 v[18:19], v[18:19], v[22:23]
	v_fma_f64 v[16:17], v[16:17], v[20:21], -v[18:19]
	v_add_f64 v[16:17], v[16:17], 0
	s_waitcnt vmcnt(0) lgkmcnt(2)
	v_mul_f64 v[30:31], v[12:13], v[26:27]
	v_fmac_f64_e32 v[30:31], v[14:15], v[24:25]
	v_add_f64 v[32:33], v[28:29], v[30:31]
	scratch_load_dwordx4 v[28:31], off, off offset:688
	v_mul_f64 v[14:15], v[14:15], v[26:27]
	v_fma_f64 v[12:13], v[12:13], v[24:25], -v[14:15]
	v_add_f64 v[12:13], v[16:17], v[12:13]
	;; [unrolled: 8-line block ×3, first 2 shown]
	s_waitcnt vmcnt(0) lgkmcnt(0)
	v_mul_f64 v[38:39], v[4:5], v[34:35]
	v_fmac_f64_e32 v[38:39], v[6:7], v[32:33]
	v_add_f64 v[44:45], v[36:37], v[38:39]
	ds_read_b128 v[36:39], v2 offset:1616
	v_mul_f64 v[6:7], v[6:7], v[34:35]
	v_fma_f64 v[4:5], v[4:5], v[32:33], -v[6:7]
	v_add_f64 v[4:5], v[8:9], v[4:5]
	s_waitcnt lgkmcnt(0)
	v_mul_f64 v[46:47], v[36:37], v[42:43]
	v_fmac_f64_e32 v[46:47], v[38:39], v[40:41]
	v_add_f64 v[52:53], v[44:45], v[46:47]
	ds_read_b128 v[44:47], v2 offset:1632
	v_mul_f64 v[6:7], v[38:39], v[42:43]
	v_fma_f64 v[6:7], v[36:37], v[40:41], -v[6:7]
	v_add_f64 v[4:5], v[4:5], v[6:7]
	s_waitcnt lgkmcnt(0)
	;; [unrolled: 8-line block ×13, first 2 shown]
	v_mul_f64 v[6:7], v[136:137], v[140:141]
	v_fma_f64 v[6:7], v[134:135], v[138:139], -v[6:7]
	v_add_f64 v[8:9], v[4:5], v[6:7]
	scratch_load_dwordx4 v[4:7], off, off offset:640
	v_mul_f64 v[142:143], v[134:135], v[140:141]
	v_fmac_f64_e32 v[142:143], v[136:137], v[138:139]
	v_add_f64 v[72:73], v[72:73], v[142:143]
	s_waitcnt vmcnt(0)
	v_add_f64 v[4:5], v[4:5], -v[8:9]
	v_add_f64 v[6:7], v[6:7], -v[72:73]
	scratch_store_dwordx4 off, v[4:7], off offset:640
	s_and_saveexec_b64 s[0:1], vcc
	s_cbranch_execz .LBB120_279
; %bb.278:
	scratch_load_dwordx4 v[6:9], off, s35
	v_mov_b32_e32 v3, v2
	v_mov_b32_e32 v4, v2
	;; [unrolled: 1-line block ×3, first 2 shown]
	v_accvgpr_read_b32 v0, a115
	scratch_store_dwordx4 off, v[2:5], off offset:624
	s_waitcnt vmcnt(1)
	ds_write_b128 v0, v[6:9]
.LBB120_279:
	s_or_b64 exec, exec, s[0:1]
	s_waitcnt lgkmcnt(0)
	; wave barrier
	ds_read_b128 v[16:19], v2 offset:1536
	ds_read_b128 v[12:15], v2 offset:1552
	;; [unrolled: 1-line block ×4, first 2 shown]
	scratch_load_dwordx4 v[20:23], off, off offset:640
	scratch_load_dwordx4 v[40:43], off, off offset:704
	;; [unrolled: 1-line block ×12, first 2 shown]
	v_cmp_lt_u32_e32 vcc, 37, v240
	scratch_load_dwordx4 v[48:51], off, off offset:720
	scratch_load_dwordx4 v[56:59], off, off offset:736
	;; [unrolled: 1-line block ×3, first 2 shown]
	s_waitcnt vmcnt(14) lgkmcnt(3)
	v_mul_f64 v[24:25], v[16:17], v[22:23]
	v_fmac_f64_e32 v[24:25], v[18:19], v[20:21]
	v_add_f64 v[28:29], v[24:25], 0
	scratch_load_dwordx4 v[24:27], off, off offset:656
	s_waitcnt vmcnt(0) lgkmcnt(2)
	v_mul_f64 v[30:31], v[12:13], v[26:27]
	v_fmac_f64_e32 v[30:31], v[14:15], v[24:25]
	v_add_f64 v[32:33], v[28:29], v[30:31]
	scratch_load_dwordx4 v[28:31], off, off offset:672
	v_mul_f64 v[14:15], v[14:15], v[26:27]
	v_fma_f64 v[12:13], v[12:13], v[24:25], -v[14:15]
	s_waitcnt vmcnt(0) lgkmcnt(1)
	v_mul_f64 v[34:35], v[8:9], v[30:31]
	v_fmac_f64_e32 v[34:35], v[10:11], v[28:29]
	v_add_f64 v[36:37], v[32:33], v[34:35]
	scratch_load_dwordx4 v[32:35], off, off offset:688
	v_mul_f64 v[10:11], v[10:11], v[30:31]
	v_fma_f64 v[8:9], v[8:9], v[28:29], -v[10:11]
	s_waitcnt vmcnt(0) lgkmcnt(0)
	v_mul_f64 v[38:39], v[4:5], v[34:35]
	v_fmac_f64_e32 v[38:39], v[6:7], v[32:33]
	v_add_f64 v[44:45], v[36:37], v[38:39]
	ds_read_b128 v[36:39], v2 offset:1600
	v_mul_f64 v[6:7], v[6:7], v[34:35]
	v_fma_f64 v[4:5], v[4:5], v[32:33], -v[6:7]
	s_waitcnt lgkmcnt(0)
	v_mul_f64 v[46:47], v[36:37], v[42:43]
	v_fmac_f64_e32 v[46:47], v[38:39], v[40:41]
	v_add_f64 v[52:53], v[44:45], v[46:47]
	ds_read_b128 v[44:47], v2 offset:1616
	s_waitcnt lgkmcnt(0)
	v_mul_f64 v[54:55], v[44:45], v[50:51]
	v_fmac_f64_e32 v[54:55], v[46:47], v[48:49]
	v_add_f64 v[60:61], v[52:53], v[54:55]
	ds_read_b128 v[52:55], v2 offset:1632
	;; [unrolled: 5-line block ×13, first 2 shown]
	s_waitcnt lgkmcnt(0)
	v_mul_f64 v[2:3], v[142:143], v[148:149]
	v_fmac_f64_e32 v[2:3], v[144:145], v[146:147]
	v_add_f64 v[80:81], v[80:81], v[2:3]
	v_mul_f64 v[2:3], v[18:19], v[22:23]
	v_fma_f64 v[2:3], v[16:17], v[20:21], -v[2:3]
	v_add_f64 v[2:3], v[2:3], 0
	v_add_f64 v[2:3], v[2:3], v[12:13]
	;; [unrolled: 1-line block ×4, first 2 shown]
	v_mul_f64 v[4:5], v[38:39], v[42:43]
	v_fma_f64 v[4:5], v[36:37], v[40:41], -v[4:5]
	v_add_f64 v[2:3], v[2:3], v[4:5]
	v_mul_f64 v[4:5], v[46:47], v[50:51]
	v_fma_f64 v[4:5], v[44:45], v[48:49], -v[4:5]
	v_add_f64 v[2:3], v[2:3], v[4:5]
	v_mul_f64 v[4:5], v[54:55], v[58:59]
	v_fma_f64 v[4:5], v[52:53], v[56:57], -v[4:5]
	v_add_f64 v[2:3], v[2:3], v[4:5]
	v_mul_f64 v[4:5], v[62:63], v[66:67]
	v_fma_f64 v[4:5], v[60:61], v[64:65], -v[4:5]
	v_add_f64 v[2:3], v[2:3], v[4:5]
	v_mul_f64 v[4:5], v[70:71], v[74:75]
	v_fma_f64 v[4:5], v[68:69], v[72:73], -v[4:5]
	v_add_f64 v[2:3], v[2:3], v[4:5]
	v_mul_f64 v[4:5], v[78:79], v[84:85]
	v_fma_f64 v[4:5], v[76:77], v[82:83], -v[4:5]
	v_add_f64 v[2:3], v[2:3], v[4:5]
	v_mul_f64 v[4:5], v[88:89], v[92:93]
	v_fma_f64 v[4:5], v[86:87], v[90:91], -v[4:5]
	v_add_f64 v[2:3], v[2:3], v[4:5]
	v_mul_f64 v[4:5], v[96:97], v[100:101]
	v_fma_f64 v[4:5], v[94:95], v[98:99], -v[4:5]
	v_add_f64 v[2:3], v[2:3], v[4:5]
	v_mul_f64 v[4:5], v[104:105], v[108:109]
	v_fma_f64 v[4:5], v[102:103], v[106:107], -v[4:5]
	v_add_f64 v[2:3], v[2:3], v[4:5]
	v_mul_f64 v[4:5], v[112:113], v[116:117]
	v_fma_f64 v[4:5], v[110:111], v[114:115], -v[4:5]
	v_add_f64 v[2:3], v[2:3], v[4:5]
	v_mul_f64 v[4:5], v[120:121], v[124:125]
	v_fma_f64 v[4:5], v[118:119], v[122:123], -v[4:5]
	v_add_f64 v[2:3], v[2:3], v[4:5]
	v_mul_f64 v[4:5], v[128:129], v[132:133]
	v_fma_f64 v[4:5], v[126:127], v[130:131], -v[4:5]
	v_add_f64 v[2:3], v[2:3], v[4:5]
	v_mul_f64 v[4:5], v[136:137], v[140:141]
	v_fma_f64 v[4:5], v[134:135], v[138:139], -v[4:5]
	v_add_f64 v[2:3], v[2:3], v[4:5]
	v_mul_f64 v[4:5], v[144:145], v[148:149]
	v_fma_f64 v[4:5], v[142:143], v[146:147], -v[4:5]
	v_add_f64 v[6:7], v[2:3], v[4:5]
	scratch_load_dwordx4 v[2:5], off, off offset:624
	s_waitcnt vmcnt(0)
	v_add_f64 v[2:3], v[2:3], -v[6:7]
	v_add_f64 v[4:5], v[4:5], -v[80:81]
	scratch_store_dwordx4 off, v[2:5], off offset:624
	s_and_saveexec_b64 s[0:1], vcc
	s_cbranch_execz .LBB120_281
; %bb.280:
	scratch_load_dwordx4 v[2:5], off, s36
	v_mov_b32_e32 v6, 0
	v_mov_b32_e32 v7, v6
	;; [unrolled: 1-line block ×4, first 2 shown]
	v_accvgpr_read_b32 v0, a115
	scratch_store_dwordx4 off, v[6:9], off offset:608
	s_waitcnt vmcnt(1)
	ds_write_b128 v0, v[2:5]
.LBB120_281:
	s_or_b64 exec, exec, s[0:1]
	v_mov_b32_e32 v2, 0
	s_waitcnt lgkmcnt(0)
	; wave barrier
	ds_read_b128 v[16:19], v2 offset:1520
	ds_read_b128 v[12:15], v2 offset:1536
	;; [unrolled: 1-line block ×4, first 2 shown]
	scratch_load_dwordx4 v[20:23], off, off offset:624
	scratch_load_dwordx4 v[40:43], off, off offset:688
	;; [unrolled: 1-line block ×13, first 2 shown]
	v_cmp_lt_u32_e32 vcc, 36, v240
	scratch_load_dwordx4 v[48:51], off, off offset:704
	scratch_load_dwordx4 v[56:59], off, off offset:720
	;; [unrolled: 1-line block ×3, first 2 shown]
	s_waitcnt vmcnt(15) lgkmcnt(3)
	v_mul_f64 v[24:25], v[16:17], v[22:23]
	v_fmac_f64_e32 v[24:25], v[18:19], v[20:21]
	v_add_f64 v[28:29], v[24:25], 0
	scratch_load_dwordx4 v[24:27], off, off offset:640
	v_mul_f64 v[18:19], v[18:19], v[22:23]
	v_fma_f64 v[16:17], v[16:17], v[20:21], -v[18:19]
	v_add_f64 v[16:17], v[16:17], 0
	s_waitcnt vmcnt(0) lgkmcnt(2)
	v_mul_f64 v[30:31], v[12:13], v[26:27]
	v_fmac_f64_e32 v[30:31], v[14:15], v[24:25]
	v_add_f64 v[32:33], v[28:29], v[30:31]
	scratch_load_dwordx4 v[28:31], off, off offset:656
	v_mul_f64 v[14:15], v[14:15], v[26:27]
	v_fma_f64 v[12:13], v[12:13], v[24:25], -v[14:15]
	v_add_f64 v[12:13], v[16:17], v[12:13]
	;; [unrolled: 8-line block ×3, first 2 shown]
	s_waitcnt vmcnt(0) lgkmcnt(0)
	v_mul_f64 v[38:39], v[4:5], v[34:35]
	v_fmac_f64_e32 v[38:39], v[6:7], v[32:33]
	v_add_f64 v[44:45], v[36:37], v[38:39]
	ds_read_b128 v[36:39], v2 offset:1584
	v_mul_f64 v[6:7], v[6:7], v[34:35]
	v_fma_f64 v[4:5], v[4:5], v[32:33], -v[6:7]
	v_add_f64 v[4:5], v[8:9], v[4:5]
	s_waitcnt lgkmcnt(0)
	v_mul_f64 v[46:47], v[36:37], v[42:43]
	v_fmac_f64_e32 v[46:47], v[38:39], v[40:41]
	v_add_f64 v[52:53], v[44:45], v[46:47]
	ds_read_b128 v[44:47], v2 offset:1600
	v_mul_f64 v[6:7], v[38:39], v[42:43]
	v_fma_f64 v[6:7], v[36:37], v[40:41], -v[6:7]
	v_add_f64 v[4:5], v[4:5], v[6:7]
	s_waitcnt lgkmcnt(0)
	;; [unrolled: 8-line block ×15, first 2 shown]
	v_mul_f64 v[6:7], v[152:153], v[156:157]
	v_fma_f64 v[6:7], v[150:151], v[154:155], -v[6:7]
	v_add_f64 v[8:9], v[4:5], v[6:7]
	scratch_load_dwordx4 v[4:7], off, off offset:608
	v_mul_f64 v[158:159], v[150:151], v[156:157]
	v_fmac_f64_e32 v[158:159], v[152:153], v[154:155]
	v_add_f64 v[88:89], v[88:89], v[158:159]
	s_waitcnt vmcnt(0)
	v_add_f64 v[4:5], v[4:5], -v[8:9]
	v_add_f64 v[6:7], v[6:7], -v[88:89]
	scratch_store_dwordx4 off, v[4:7], off offset:608
	s_and_saveexec_b64 s[0:1], vcc
	s_cbranch_execz .LBB120_283
; %bb.282:
	scratch_load_dwordx4 v[6:9], off, s37
	v_mov_b32_e32 v3, v2
	v_mov_b32_e32 v4, v2
	;; [unrolled: 1-line block ×3, first 2 shown]
	v_accvgpr_read_b32 v0, a115
	scratch_store_dwordx4 off, v[2:5], off offset:592
	s_waitcnt vmcnt(1)
	ds_write_b128 v0, v[6:9]
.LBB120_283:
	s_or_b64 exec, exec, s[0:1]
	s_waitcnt lgkmcnt(0)
	; wave barrier
	ds_read_b128 v[16:19], v2 offset:1504
	ds_read_b128 v[12:15], v2 offset:1520
	;; [unrolled: 1-line block ×4, first 2 shown]
	scratch_load_dwordx4 v[20:23], off, off offset:608
	scratch_load_dwordx4 v[40:43], off, off offset:672
	;; [unrolled: 1-line block ×14, first 2 shown]
	v_cmp_lt_u32_e32 vcc, 35, v240
	scratch_load_dwordx4 v[48:51], off, off offset:688
	scratch_load_dwordx4 v[56:59], off, off offset:704
	;; [unrolled: 1-line block ×3, first 2 shown]
	s_waitcnt vmcnt(16) lgkmcnt(3)
	v_mul_f64 v[24:25], v[16:17], v[22:23]
	v_fmac_f64_e32 v[24:25], v[18:19], v[20:21]
	v_add_f64 v[28:29], v[24:25], 0
	scratch_load_dwordx4 v[24:27], off, off offset:624
	s_waitcnt vmcnt(0) lgkmcnt(2)
	v_mul_f64 v[30:31], v[12:13], v[26:27]
	v_fmac_f64_e32 v[30:31], v[14:15], v[24:25]
	v_add_f64 v[32:33], v[28:29], v[30:31]
	scratch_load_dwordx4 v[28:31], off, off offset:640
	v_mul_f64 v[14:15], v[14:15], v[26:27]
	v_fma_f64 v[12:13], v[12:13], v[24:25], -v[14:15]
	s_waitcnt vmcnt(0) lgkmcnt(1)
	v_mul_f64 v[34:35], v[8:9], v[30:31]
	v_fmac_f64_e32 v[34:35], v[10:11], v[28:29]
	v_add_f64 v[36:37], v[32:33], v[34:35]
	scratch_load_dwordx4 v[32:35], off, off offset:656
	v_mul_f64 v[10:11], v[10:11], v[30:31]
	v_fma_f64 v[8:9], v[8:9], v[28:29], -v[10:11]
	s_waitcnt vmcnt(0) lgkmcnt(0)
	v_mul_f64 v[38:39], v[4:5], v[34:35]
	v_fmac_f64_e32 v[38:39], v[6:7], v[32:33]
	v_add_f64 v[44:45], v[36:37], v[38:39]
	ds_read_b128 v[36:39], v2 offset:1568
	v_mul_f64 v[6:7], v[6:7], v[34:35]
	v_fma_f64 v[4:5], v[4:5], v[32:33], -v[6:7]
	s_waitcnt lgkmcnt(0)
	v_mul_f64 v[46:47], v[36:37], v[42:43]
	v_fmac_f64_e32 v[46:47], v[38:39], v[40:41]
	v_add_f64 v[52:53], v[44:45], v[46:47]
	ds_read_b128 v[44:47], v2 offset:1584
	s_waitcnt lgkmcnt(0)
	v_mul_f64 v[54:55], v[44:45], v[50:51]
	v_fmac_f64_e32 v[54:55], v[46:47], v[48:49]
	v_add_f64 v[60:61], v[52:53], v[54:55]
	ds_read_b128 v[52:55], v2 offset:1600
	;; [unrolled: 5-line block ×15, first 2 shown]
	s_waitcnt lgkmcnt(0)
	v_mul_f64 v[2:3], v[158:159], v[164:165]
	v_fmac_f64_e32 v[2:3], v[160:161], v[162:163]
	v_add_f64 v[96:97], v[96:97], v[2:3]
	v_mul_f64 v[2:3], v[18:19], v[22:23]
	v_fma_f64 v[2:3], v[16:17], v[20:21], -v[2:3]
	v_add_f64 v[2:3], v[2:3], 0
	v_add_f64 v[2:3], v[2:3], v[12:13]
	;; [unrolled: 1-line block ×4, first 2 shown]
	v_mul_f64 v[4:5], v[38:39], v[42:43]
	v_fma_f64 v[4:5], v[36:37], v[40:41], -v[4:5]
	v_add_f64 v[2:3], v[2:3], v[4:5]
	v_mul_f64 v[4:5], v[46:47], v[50:51]
	v_fma_f64 v[4:5], v[44:45], v[48:49], -v[4:5]
	v_add_f64 v[2:3], v[2:3], v[4:5]
	;; [unrolled: 3-line block ×16, first 2 shown]
	scratch_load_dwordx4 v[2:5], off, off offset:592
	s_waitcnt vmcnt(0)
	v_add_f64 v[2:3], v[2:3], -v[6:7]
	v_add_f64 v[4:5], v[4:5], -v[96:97]
	scratch_store_dwordx4 off, v[2:5], off offset:592
	s_and_saveexec_b64 s[0:1], vcc
	s_cbranch_execz .LBB120_285
; %bb.284:
	scratch_load_dwordx4 v[2:5], off, s38
	v_mov_b32_e32 v6, 0
	v_mov_b32_e32 v7, v6
	;; [unrolled: 1-line block ×4, first 2 shown]
	v_accvgpr_read_b32 v0, a115
	scratch_store_dwordx4 off, v[6:9], off offset:576
	s_waitcnt vmcnt(1)
	ds_write_b128 v0, v[2:5]
.LBB120_285:
	s_or_b64 exec, exec, s[0:1]
	v_mov_b32_e32 v2, 0
	s_waitcnt lgkmcnt(0)
	; wave barrier
	ds_read_b128 v[16:19], v2 offset:1488
	ds_read_b128 v[12:15], v2 offset:1504
	ds_read_b128 v[8:11], v2 offset:1520
	ds_read_b128 v[4:7], v2 offset:1536
	scratch_load_dwordx4 v[20:23], off, off offset:592
	scratch_load_dwordx4 v[40:43], off, off offset:656
	;; [unrolled: 1-line block ×15, first 2 shown]
	v_cmp_lt_u32_e32 vcc, 34, v240
	scratch_load_dwordx4 v[48:51], off, off offset:672
	scratch_load_dwordx4 v[56:59], off, off offset:688
	;; [unrolled: 1-line block ×3, first 2 shown]
	s_waitcnt vmcnt(17) lgkmcnt(3)
	v_mul_f64 v[24:25], v[16:17], v[22:23]
	v_fmac_f64_e32 v[24:25], v[18:19], v[20:21]
	v_add_f64 v[28:29], v[24:25], 0
	scratch_load_dwordx4 v[24:27], off, off offset:608
	v_mul_f64 v[18:19], v[18:19], v[22:23]
	v_fma_f64 v[16:17], v[16:17], v[20:21], -v[18:19]
	v_add_f64 v[16:17], v[16:17], 0
	s_waitcnt vmcnt(0) lgkmcnt(2)
	v_mul_f64 v[30:31], v[12:13], v[26:27]
	v_fmac_f64_e32 v[30:31], v[14:15], v[24:25]
	v_add_f64 v[32:33], v[28:29], v[30:31]
	scratch_load_dwordx4 v[28:31], off, off offset:624
	v_mul_f64 v[14:15], v[14:15], v[26:27]
	v_fma_f64 v[12:13], v[12:13], v[24:25], -v[14:15]
	v_add_f64 v[12:13], v[16:17], v[12:13]
	;; [unrolled: 8-line block ×3, first 2 shown]
	s_waitcnt vmcnt(0) lgkmcnt(0)
	v_mul_f64 v[38:39], v[4:5], v[34:35]
	v_fmac_f64_e32 v[38:39], v[6:7], v[32:33]
	v_add_f64 v[44:45], v[36:37], v[38:39]
	ds_read_b128 v[36:39], v2 offset:1552
	v_mul_f64 v[6:7], v[6:7], v[34:35]
	v_fma_f64 v[4:5], v[4:5], v[32:33], -v[6:7]
	v_add_f64 v[4:5], v[8:9], v[4:5]
	s_waitcnt lgkmcnt(0)
	v_mul_f64 v[46:47], v[36:37], v[42:43]
	v_fmac_f64_e32 v[46:47], v[38:39], v[40:41]
	v_add_f64 v[52:53], v[44:45], v[46:47]
	ds_read_b128 v[44:47], v2 offset:1568
	v_mul_f64 v[6:7], v[38:39], v[42:43]
	v_fma_f64 v[6:7], v[36:37], v[40:41], -v[6:7]
	v_add_f64 v[4:5], v[4:5], v[6:7]
	s_waitcnt lgkmcnt(0)
	;; [unrolled: 8-line block ×17, first 2 shown]
	v_mul_f64 v[6:7], v[168:169], v[172:173]
	v_fma_f64 v[6:7], v[166:167], v[170:171], -v[6:7]
	v_add_f64 v[8:9], v[4:5], v[6:7]
	scratch_load_dwordx4 v[4:7], off, off offset:576
	v_mul_f64 v[174:175], v[166:167], v[172:173]
	v_fmac_f64_e32 v[174:175], v[168:169], v[170:171]
	v_add_f64 v[104:105], v[104:105], v[174:175]
	s_waitcnt vmcnt(0)
	v_add_f64 v[4:5], v[4:5], -v[8:9]
	v_add_f64 v[6:7], v[6:7], -v[104:105]
	scratch_store_dwordx4 off, v[4:7], off offset:576
	s_and_saveexec_b64 s[0:1], vcc
	s_cbranch_execz .LBB120_287
; %bb.286:
	scratch_load_dwordx4 v[6:9], off, s39
	v_mov_b32_e32 v3, v2
	v_mov_b32_e32 v4, v2
	;; [unrolled: 1-line block ×3, first 2 shown]
	v_accvgpr_read_b32 v0, a115
	scratch_store_dwordx4 off, v[2:5], off offset:560
	s_waitcnt vmcnt(1)
	ds_write_b128 v0, v[6:9]
.LBB120_287:
	s_or_b64 exec, exec, s[0:1]
	s_waitcnt lgkmcnt(0)
	; wave barrier
	ds_read_b128 v[16:19], v2 offset:1472
	ds_read_b128 v[12:15], v2 offset:1488
	;; [unrolled: 1-line block ×4, first 2 shown]
	scratch_load_dwordx4 v[20:23], off, off offset:576
	scratch_load_dwordx4 v[40:43], off, off offset:640
	;; [unrolled: 1-line block ×16, first 2 shown]
	v_cmp_lt_u32_e32 vcc, 33, v240
	scratch_load_dwordx4 v[48:51], off, off offset:656
	scratch_load_dwordx4 v[56:59], off, off offset:672
	;; [unrolled: 1-line block ×3, first 2 shown]
	s_waitcnt vmcnt(18) lgkmcnt(3)
	v_mul_f64 v[24:25], v[16:17], v[22:23]
	v_fmac_f64_e32 v[24:25], v[18:19], v[20:21]
	v_add_f64 v[28:29], v[24:25], 0
	scratch_load_dwordx4 v[24:27], off, off offset:592
	s_waitcnt vmcnt(0) lgkmcnt(2)
	v_mul_f64 v[30:31], v[12:13], v[26:27]
	v_fmac_f64_e32 v[30:31], v[14:15], v[24:25]
	v_add_f64 v[32:33], v[28:29], v[30:31]
	scratch_load_dwordx4 v[28:31], off, off offset:608
	v_mul_f64 v[14:15], v[14:15], v[26:27]
	v_fma_f64 v[12:13], v[12:13], v[24:25], -v[14:15]
	s_waitcnt vmcnt(0) lgkmcnt(1)
	v_mul_f64 v[34:35], v[8:9], v[30:31]
	v_fmac_f64_e32 v[34:35], v[10:11], v[28:29]
	v_add_f64 v[36:37], v[32:33], v[34:35]
	scratch_load_dwordx4 v[32:35], off, off offset:624
	v_mul_f64 v[10:11], v[10:11], v[30:31]
	v_fma_f64 v[8:9], v[8:9], v[28:29], -v[10:11]
	s_waitcnt vmcnt(0) lgkmcnt(0)
	v_mul_f64 v[38:39], v[4:5], v[34:35]
	v_fmac_f64_e32 v[38:39], v[6:7], v[32:33]
	v_add_f64 v[44:45], v[36:37], v[38:39]
	ds_read_b128 v[36:39], v2 offset:1536
	v_mul_f64 v[6:7], v[6:7], v[34:35]
	v_fma_f64 v[4:5], v[4:5], v[32:33], -v[6:7]
	s_waitcnt lgkmcnt(0)
	v_mul_f64 v[46:47], v[36:37], v[42:43]
	v_fmac_f64_e32 v[46:47], v[38:39], v[40:41]
	v_add_f64 v[52:53], v[44:45], v[46:47]
	ds_read_b128 v[44:47], v2 offset:1552
	s_waitcnt lgkmcnt(0)
	v_mul_f64 v[54:55], v[44:45], v[50:51]
	v_fmac_f64_e32 v[54:55], v[46:47], v[48:49]
	v_add_f64 v[60:61], v[52:53], v[54:55]
	ds_read_b128 v[52:55], v2 offset:1568
	;; [unrolled: 5-line block ×17, first 2 shown]
	s_waitcnt lgkmcnt(0)
	v_mul_f64 v[2:3], v[174:175], v[180:181]
	v_fmac_f64_e32 v[2:3], v[176:177], v[178:179]
	v_add_f64 v[120:121], v[120:121], v[2:3]
	v_mul_f64 v[2:3], v[18:19], v[22:23]
	v_fma_f64 v[2:3], v[16:17], v[20:21], -v[2:3]
	v_add_f64 v[2:3], v[2:3], 0
	v_add_f64 v[2:3], v[2:3], v[12:13]
	;; [unrolled: 1-line block ×4, first 2 shown]
	v_mul_f64 v[4:5], v[38:39], v[42:43]
	v_fma_f64 v[4:5], v[36:37], v[40:41], -v[4:5]
	v_add_f64 v[2:3], v[2:3], v[4:5]
	v_mul_f64 v[4:5], v[46:47], v[50:51]
	v_fma_f64 v[4:5], v[44:45], v[48:49], -v[4:5]
	v_add_f64 v[2:3], v[2:3], v[4:5]
	;; [unrolled: 3-line block ×18, first 2 shown]
	scratch_load_dwordx4 v[2:5], off, off offset:560
	s_waitcnt vmcnt(0)
	v_add_f64 v[2:3], v[2:3], -v[6:7]
	v_add_f64 v[4:5], v[4:5], -v[120:121]
	scratch_store_dwordx4 off, v[2:5], off offset:560
	s_and_saveexec_b64 s[0:1], vcc
	s_cbranch_execz .LBB120_289
; %bb.288:
	scratch_load_dwordx4 v[2:5], off, s40
	v_mov_b32_e32 v6, 0
	v_mov_b32_e32 v7, v6
	;; [unrolled: 1-line block ×4, first 2 shown]
	v_accvgpr_read_b32 v0, a115
	scratch_store_dwordx4 off, v[6:9], off offset:544
	s_waitcnt vmcnt(1)
	ds_write_b128 v0, v[2:5]
.LBB120_289:
	s_or_b64 exec, exec, s[0:1]
	v_mov_b32_e32 v2, 0
	s_waitcnt lgkmcnt(0)
	; wave barrier
	ds_read_b128 v[16:19], v2 offset:1456
	ds_read_b128 v[12:15], v2 offset:1472
	;; [unrolled: 1-line block ×4, first 2 shown]
	scratch_load_dwordx4 v[20:23], off, off offset:560
	scratch_load_dwordx4 v[40:43], off, off offset:624
	;; [unrolled: 1-line block ×17, first 2 shown]
	v_cmp_lt_u32_e32 vcc, 32, v240
	scratch_load_dwordx4 v[48:51], off, off offset:640
	scratch_load_dwordx4 v[56:59], off, off offset:656
	;; [unrolled: 1-line block ×3, first 2 shown]
	s_waitcnt vmcnt(19) lgkmcnt(3)
	v_mul_f64 v[24:25], v[16:17], v[22:23]
	v_fmac_f64_e32 v[24:25], v[18:19], v[20:21]
	v_add_f64 v[28:29], v[24:25], 0
	scratch_load_dwordx4 v[24:27], off, off offset:576
	v_mul_f64 v[18:19], v[18:19], v[22:23]
	v_fma_f64 v[16:17], v[16:17], v[20:21], -v[18:19]
	v_add_f64 v[16:17], v[16:17], 0
	s_waitcnt vmcnt(0) lgkmcnt(2)
	v_mul_f64 v[30:31], v[12:13], v[26:27]
	v_fmac_f64_e32 v[30:31], v[14:15], v[24:25]
	v_add_f64 v[32:33], v[28:29], v[30:31]
	scratch_load_dwordx4 v[28:31], off, off offset:592
	v_mul_f64 v[14:15], v[14:15], v[26:27]
	v_fma_f64 v[12:13], v[12:13], v[24:25], -v[14:15]
	v_add_f64 v[12:13], v[16:17], v[12:13]
	;; [unrolled: 8-line block ×3, first 2 shown]
	s_waitcnt vmcnt(0) lgkmcnt(0)
	v_mul_f64 v[38:39], v[4:5], v[34:35]
	v_fmac_f64_e32 v[38:39], v[6:7], v[32:33]
	v_add_f64 v[44:45], v[36:37], v[38:39]
	ds_read_b128 v[36:39], v2 offset:1520
	v_mul_f64 v[6:7], v[6:7], v[34:35]
	v_fma_f64 v[4:5], v[4:5], v[32:33], -v[6:7]
	v_add_f64 v[4:5], v[8:9], v[4:5]
	s_waitcnt lgkmcnt(0)
	v_mul_f64 v[46:47], v[36:37], v[42:43]
	v_fmac_f64_e32 v[46:47], v[38:39], v[40:41]
	v_add_f64 v[52:53], v[44:45], v[46:47]
	ds_read_b128 v[44:47], v2 offset:1536
	v_mul_f64 v[6:7], v[38:39], v[42:43]
	v_fma_f64 v[6:7], v[36:37], v[40:41], -v[6:7]
	v_add_f64 v[4:5], v[4:5], v[6:7]
	s_waitcnt lgkmcnt(0)
	;; [unrolled: 8-line block ×19, first 2 shown]
	v_mul_f64 v[6:7], v[184:185], v[188:189]
	v_fma_f64 v[6:7], v[182:183], v[186:187], -v[6:7]
	v_add_f64 v[8:9], v[4:5], v[6:7]
	scratch_load_dwordx4 v[4:7], off, off offset:544
	v_mul_f64 v[190:191], v[182:183], v[188:189]
	v_fmac_f64_e32 v[190:191], v[184:185], v[186:187]
	v_add_f64 v[128:129], v[128:129], v[190:191]
	s_waitcnt vmcnt(0)
	v_add_f64 v[4:5], v[4:5], -v[8:9]
	v_add_f64 v[6:7], v[6:7], -v[128:129]
	scratch_store_dwordx4 off, v[4:7], off offset:544
	s_and_saveexec_b64 s[0:1], vcc
	s_cbranch_execz .LBB120_291
; %bb.290:
	scratch_load_dwordx4 v[6:9], off, s41
	v_mov_b32_e32 v3, v2
	v_mov_b32_e32 v4, v2
	;; [unrolled: 1-line block ×3, first 2 shown]
	v_accvgpr_read_b32 v0, a115
	scratch_store_dwordx4 off, v[2:5], off offset:528
	s_waitcnt vmcnt(1)
	ds_write_b128 v0, v[6:9]
.LBB120_291:
	s_or_b64 exec, exec, s[0:1]
	s_waitcnt lgkmcnt(0)
	; wave barrier
	ds_read_b128 v[16:19], v2 offset:1440
	ds_read_b128 v[12:15], v2 offset:1456
	ds_read_b128 v[8:11], v2 offset:1472
	ds_read_b128 v[4:7], v2 offset:1488
	scratch_load_dwordx4 v[20:23], off, off offset:544
	scratch_load_dwordx4 v[40:43], off, off offset:608
	;; [unrolled: 1-line block ×18, first 2 shown]
	v_cmp_lt_u32_e32 vcc, 31, v240
	scratch_load_dwordx4 v[48:51], off, off offset:624
	scratch_load_dwordx4 v[56:59], off, off offset:640
	;; [unrolled: 1-line block ×3, first 2 shown]
	s_waitcnt vmcnt(20) lgkmcnt(3)
	v_mul_f64 v[24:25], v[16:17], v[22:23]
	v_fmac_f64_e32 v[24:25], v[18:19], v[20:21]
	v_add_f64 v[28:29], v[24:25], 0
	scratch_load_dwordx4 v[24:27], off, off offset:560
	s_waitcnt vmcnt(0) lgkmcnt(2)
	v_mul_f64 v[30:31], v[12:13], v[26:27]
	v_fmac_f64_e32 v[30:31], v[14:15], v[24:25]
	v_add_f64 v[32:33], v[28:29], v[30:31]
	scratch_load_dwordx4 v[28:31], off, off offset:576
	v_mul_f64 v[14:15], v[14:15], v[26:27]
	v_fma_f64 v[12:13], v[12:13], v[24:25], -v[14:15]
	s_waitcnt vmcnt(0) lgkmcnt(1)
	v_mul_f64 v[34:35], v[8:9], v[30:31]
	v_fmac_f64_e32 v[34:35], v[10:11], v[28:29]
	v_add_f64 v[36:37], v[32:33], v[34:35]
	scratch_load_dwordx4 v[32:35], off, off offset:592
	v_mul_f64 v[10:11], v[10:11], v[30:31]
	v_fma_f64 v[8:9], v[8:9], v[28:29], -v[10:11]
	s_waitcnt vmcnt(0) lgkmcnt(0)
	v_mul_f64 v[38:39], v[4:5], v[34:35]
	v_fmac_f64_e32 v[38:39], v[6:7], v[32:33]
	v_add_f64 v[44:45], v[36:37], v[38:39]
	ds_read_b128 v[36:39], v2 offset:1504
	v_mul_f64 v[6:7], v[6:7], v[34:35]
	v_fma_f64 v[4:5], v[4:5], v[32:33], -v[6:7]
	s_waitcnt lgkmcnt(0)
	v_mul_f64 v[46:47], v[36:37], v[42:43]
	v_fmac_f64_e32 v[46:47], v[38:39], v[40:41]
	v_add_f64 v[52:53], v[44:45], v[46:47]
	ds_read_b128 v[44:47], v2 offset:1520
	s_waitcnt lgkmcnt(0)
	v_mul_f64 v[54:55], v[44:45], v[50:51]
	v_fmac_f64_e32 v[54:55], v[46:47], v[48:49]
	v_add_f64 v[60:61], v[52:53], v[54:55]
	ds_read_b128 v[52:55], v2 offset:1536
	;; [unrolled: 5-line block ×19, first 2 shown]
	s_waitcnt lgkmcnt(0)
	v_mul_f64 v[2:3], v[190:191], v[196:197]
	v_fmac_f64_e32 v[2:3], v[192:193], v[194:195]
	v_add_f64 v[148:149], v[148:149], v[2:3]
	v_mul_f64 v[2:3], v[18:19], v[22:23]
	v_fma_f64 v[2:3], v[16:17], v[20:21], -v[2:3]
	v_add_f64 v[2:3], v[2:3], 0
	v_add_f64 v[2:3], v[2:3], v[12:13]
	;; [unrolled: 1-line block ×4, first 2 shown]
	v_mul_f64 v[4:5], v[38:39], v[42:43]
	v_fma_f64 v[4:5], v[36:37], v[40:41], -v[4:5]
	v_add_f64 v[2:3], v[2:3], v[4:5]
	v_mul_f64 v[4:5], v[46:47], v[50:51]
	v_fma_f64 v[4:5], v[44:45], v[48:49], -v[4:5]
	v_add_f64 v[2:3], v[2:3], v[4:5]
	;; [unrolled: 3-line block ×20, first 2 shown]
	scratch_load_dwordx4 v[2:5], off, off offset:528
	s_waitcnt vmcnt(0)
	v_add_f64 v[2:3], v[2:3], -v[6:7]
	v_add_f64 v[4:5], v[4:5], -v[148:149]
	scratch_store_dwordx4 off, v[2:5], off offset:528
	s_and_saveexec_b64 s[0:1], vcc
	s_cbranch_execz .LBB120_293
; %bb.292:
	scratch_load_dwordx4 v[2:5], off, s42
	v_mov_b32_e32 v6, 0
	v_mov_b32_e32 v7, v6
	;; [unrolled: 1-line block ×4, first 2 shown]
	v_accvgpr_read_b32 v0, a115
	scratch_store_dwordx4 off, v[6:9], off offset:512
	s_waitcnt vmcnt(1)
	ds_write_b128 v0, v[2:5]
.LBB120_293:
	s_or_b64 exec, exec, s[0:1]
	v_mov_b32_e32 v2, 0
	s_waitcnt lgkmcnt(0)
	; wave barrier
	ds_read_b128 v[16:19], v2 offset:1424
	ds_read_b128 v[12:15], v2 offset:1440
	;; [unrolled: 1-line block ×4, first 2 shown]
	scratch_load_dwordx4 v[20:23], off, off offset:528
	scratch_load_dwordx4 v[40:43], off, off offset:592
	;; [unrolled: 1-line block ×19, first 2 shown]
	v_cmp_lt_u32_e32 vcc, 30, v240
	scratch_load_dwordx4 v[48:51], off, off offset:608
	scratch_load_dwordx4 v[56:59], off, off offset:624
	;; [unrolled: 1-line block ×3, first 2 shown]
	s_waitcnt vmcnt(21) lgkmcnt(3)
	v_mul_f64 v[24:25], v[16:17], v[22:23]
	v_fmac_f64_e32 v[24:25], v[18:19], v[20:21]
	v_add_f64 v[28:29], v[24:25], 0
	scratch_load_dwordx4 v[24:27], off, off offset:544
	v_mul_f64 v[18:19], v[18:19], v[22:23]
	v_fma_f64 v[16:17], v[16:17], v[20:21], -v[18:19]
	v_add_f64 v[16:17], v[16:17], 0
	s_waitcnt vmcnt(0) lgkmcnt(2)
	v_mul_f64 v[30:31], v[12:13], v[26:27]
	v_fmac_f64_e32 v[30:31], v[14:15], v[24:25]
	v_add_f64 v[32:33], v[28:29], v[30:31]
	scratch_load_dwordx4 v[28:31], off, off offset:560
	v_mul_f64 v[14:15], v[14:15], v[26:27]
	v_fma_f64 v[12:13], v[12:13], v[24:25], -v[14:15]
	v_add_f64 v[12:13], v[16:17], v[12:13]
	;; [unrolled: 8-line block ×3, first 2 shown]
	s_waitcnt vmcnt(0) lgkmcnt(0)
	v_mul_f64 v[38:39], v[4:5], v[34:35]
	v_fmac_f64_e32 v[38:39], v[6:7], v[32:33]
	v_add_f64 v[44:45], v[36:37], v[38:39]
	ds_read_b128 v[36:39], v2 offset:1488
	v_mul_f64 v[6:7], v[6:7], v[34:35]
	v_fma_f64 v[4:5], v[4:5], v[32:33], -v[6:7]
	v_add_f64 v[4:5], v[8:9], v[4:5]
	s_waitcnt lgkmcnt(0)
	v_mul_f64 v[46:47], v[36:37], v[42:43]
	v_fmac_f64_e32 v[46:47], v[38:39], v[40:41]
	v_add_f64 v[52:53], v[44:45], v[46:47]
	ds_read_b128 v[44:47], v2 offset:1504
	v_mul_f64 v[6:7], v[38:39], v[42:43]
	v_fma_f64 v[6:7], v[36:37], v[40:41], -v[6:7]
	v_add_f64 v[4:5], v[4:5], v[6:7]
	s_waitcnt lgkmcnt(0)
	;; [unrolled: 8-line block ×21, first 2 shown]
	v_mul_f64 v[6:7], v[200:201], v[204:205]
	v_fma_f64 v[6:7], v[198:199], v[202:203], -v[6:7]
	v_add_f64 v[8:9], v[4:5], v[6:7]
	scratch_load_dwordx4 v[4:7], off, off offset:512
	v_mul_f64 v[206:207], v[198:199], v[204:205]
	v_fmac_f64_e32 v[206:207], v[200:201], v[202:203]
	v_add_f64 v[144:145], v[144:145], v[206:207]
	s_waitcnt vmcnt(0)
	v_add_f64 v[4:5], v[4:5], -v[8:9]
	v_add_f64 v[6:7], v[6:7], -v[144:145]
	scratch_store_dwordx4 off, v[4:7], off offset:512
	s_and_saveexec_b64 s[0:1], vcc
	s_cbranch_execz .LBB120_295
; %bb.294:
	scratch_load_dwordx4 v[6:9], off, s43
	v_mov_b32_e32 v3, v2
	v_mov_b32_e32 v4, v2
	;; [unrolled: 1-line block ×3, first 2 shown]
	v_accvgpr_read_b32 v0, a115
	scratch_store_dwordx4 off, v[2:5], off offset:496
	s_waitcnt vmcnt(1)
	ds_write_b128 v0, v[6:9]
.LBB120_295:
	s_or_b64 exec, exec, s[0:1]
	s_waitcnt lgkmcnt(0)
	; wave barrier
	ds_read_b128 v[16:19], v2 offset:1408
	ds_read_b128 v[12:15], v2 offset:1424
	;; [unrolled: 1-line block ×4, first 2 shown]
	scratch_load_dwordx4 v[20:23], off, off offset:512
	scratch_load_dwordx4 v[40:43], off, off offset:576
	;; [unrolled: 1-line block ×20, first 2 shown]
	v_cmp_lt_u32_e32 vcc, 29, v240
	scratch_load_dwordx4 v[48:51], off, off offset:592
	scratch_load_dwordx4 v[56:59], off, off offset:608
	;; [unrolled: 1-line block ×3, first 2 shown]
	s_waitcnt vmcnt(22) lgkmcnt(3)
	v_mul_f64 v[24:25], v[16:17], v[22:23]
	v_fmac_f64_e32 v[24:25], v[18:19], v[20:21]
	v_add_f64 v[28:29], v[24:25], 0
	scratch_load_dwordx4 v[24:27], off, off offset:528
	s_waitcnt vmcnt(0) lgkmcnt(2)
	v_mul_f64 v[30:31], v[12:13], v[26:27]
	v_fmac_f64_e32 v[30:31], v[14:15], v[24:25]
	v_add_f64 v[32:33], v[28:29], v[30:31]
	scratch_load_dwordx4 v[28:31], off, off offset:544
	v_mul_f64 v[14:15], v[14:15], v[26:27]
	v_fma_f64 v[12:13], v[12:13], v[24:25], -v[14:15]
	s_waitcnt vmcnt(0) lgkmcnt(1)
	v_mul_f64 v[34:35], v[8:9], v[30:31]
	v_fmac_f64_e32 v[34:35], v[10:11], v[28:29]
	v_add_f64 v[36:37], v[32:33], v[34:35]
	scratch_load_dwordx4 v[32:35], off, off offset:560
	v_mul_f64 v[10:11], v[10:11], v[30:31]
	v_fma_f64 v[8:9], v[8:9], v[28:29], -v[10:11]
	s_waitcnt vmcnt(0) lgkmcnt(0)
	v_mul_f64 v[38:39], v[4:5], v[34:35]
	v_fmac_f64_e32 v[38:39], v[6:7], v[32:33]
	v_add_f64 v[44:45], v[36:37], v[38:39]
	ds_read_b128 v[36:39], v2 offset:1472
	v_mul_f64 v[6:7], v[6:7], v[34:35]
	v_fma_f64 v[4:5], v[4:5], v[32:33], -v[6:7]
	s_waitcnt lgkmcnt(0)
	v_mul_f64 v[46:47], v[36:37], v[42:43]
	v_fmac_f64_e32 v[46:47], v[38:39], v[40:41]
	v_add_f64 v[52:53], v[44:45], v[46:47]
	ds_read_b128 v[44:47], v2 offset:1488
	s_waitcnt lgkmcnt(0)
	v_mul_f64 v[54:55], v[44:45], v[50:51]
	v_fmac_f64_e32 v[54:55], v[46:47], v[48:49]
	v_add_f64 v[60:61], v[52:53], v[54:55]
	ds_read_b128 v[52:55], v2 offset:1504
	;; [unrolled: 5-line block ×21, first 2 shown]
	s_waitcnt lgkmcnt(0)
	v_mul_f64 v[2:3], v[206:207], v[212:213]
	v_fmac_f64_e32 v[2:3], v[208:209], v[210:211]
	v_add_f64 v[168:169], v[168:169], v[2:3]
	v_mul_f64 v[2:3], v[18:19], v[22:23]
	v_fma_f64 v[2:3], v[16:17], v[20:21], -v[2:3]
	v_add_f64 v[2:3], v[2:3], 0
	v_add_f64 v[2:3], v[2:3], v[12:13]
	;; [unrolled: 1-line block ×4, first 2 shown]
	v_mul_f64 v[4:5], v[38:39], v[42:43]
	v_fma_f64 v[4:5], v[36:37], v[40:41], -v[4:5]
	v_add_f64 v[2:3], v[2:3], v[4:5]
	v_mul_f64 v[4:5], v[46:47], v[50:51]
	v_fma_f64 v[4:5], v[44:45], v[48:49], -v[4:5]
	v_add_f64 v[2:3], v[2:3], v[4:5]
	;; [unrolled: 3-line block ×22, first 2 shown]
	scratch_load_dwordx4 v[2:5], off, off offset:496
	s_waitcnt vmcnt(0)
	v_add_f64 v[2:3], v[2:3], -v[6:7]
	v_add_f64 v[4:5], v[4:5], -v[168:169]
	scratch_store_dwordx4 off, v[2:5], off offset:496
	s_and_saveexec_b64 s[0:1], vcc
	s_cbranch_execz .LBB120_297
; %bb.296:
	scratch_load_dwordx4 v[2:5], off, s44
	v_mov_b32_e32 v6, 0
	v_mov_b32_e32 v7, v6
	;; [unrolled: 1-line block ×4, first 2 shown]
	v_accvgpr_read_b32 v0, a115
	scratch_store_dwordx4 off, v[6:9], off offset:480
	s_waitcnt vmcnt(1)
	ds_write_b128 v0, v[2:5]
.LBB120_297:
	s_or_b64 exec, exec, s[0:1]
	v_mov_b32_e32 v2, 0
	s_waitcnt lgkmcnt(0)
	; wave barrier
	ds_read_b128 v[16:19], v2 offset:1392
	ds_read_b128 v[12:15], v2 offset:1408
	;; [unrolled: 1-line block ×4, first 2 shown]
	scratch_load_dwordx4 v[20:23], off, off offset:496
	scratch_load_dwordx4 v[40:43], off, off offset:560
	;; [unrolled: 1-line block ×21, first 2 shown]
	v_cmp_lt_u32_e32 vcc, 28, v240
	scratch_load_dwordx4 v[48:51], off, off offset:576
	scratch_load_dwordx4 v[56:59], off, off offset:592
	;; [unrolled: 1-line block ×3, first 2 shown]
	s_waitcnt vmcnt(23) lgkmcnt(3)
	v_mul_f64 v[24:25], v[16:17], v[22:23]
	v_fmac_f64_e32 v[24:25], v[18:19], v[20:21]
	v_add_f64 v[28:29], v[24:25], 0
	scratch_load_dwordx4 v[24:27], off, off offset:512
	v_mul_f64 v[18:19], v[18:19], v[22:23]
	v_fma_f64 v[16:17], v[16:17], v[20:21], -v[18:19]
	v_add_f64 v[16:17], v[16:17], 0
	s_waitcnt vmcnt(0) lgkmcnt(2)
	v_mul_f64 v[30:31], v[12:13], v[26:27]
	v_fmac_f64_e32 v[30:31], v[14:15], v[24:25]
	v_add_f64 v[32:33], v[28:29], v[30:31]
	scratch_load_dwordx4 v[28:31], off, off offset:528
	v_mul_f64 v[14:15], v[14:15], v[26:27]
	v_fma_f64 v[12:13], v[12:13], v[24:25], -v[14:15]
	v_add_f64 v[12:13], v[16:17], v[12:13]
	;; [unrolled: 8-line block ×3, first 2 shown]
	s_waitcnt vmcnt(0) lgkmcnt(0)
	v_mul_f64 v[38:39], v[4:5], v[34:35]
	v_fmac_f64_e32 v[38:39], v[6:7], v[32:33]
	v_add_f64 v[44:45], v[36:37], v[38:39]
	ds_read_b128 v[36:39], v2 offset:1456
	v_mul_f64 v[6:7], v[6:7], v[34:35]
	v_fma_f64 v[4:5], v[4:5], v[32:33], -v[6:7]
	v_add_f64 v[4:5], v[8:9], v[4:5]
	s_waitcnt lgkmcnt(0)
	v_mul_f64 v[46:47], v[36:37], v[42:43]
	v_fmac_f64_e32 v[46:47], v[38:39], v[40:41]
	v_add_f64 v[52:53], v[44:45], v[46:47]
	ds_read_b128 v[44:47], v2 offset:1472
	v_mul_f64 v[6:7], v[38:39], v[42:43]
	v_fma_f64 v[6:7], v[36:37], v[40:41], -v[6:7]
	v_add_f64 v[4:5], v[4:5], v[6:7]
	s_waitcnt lgkmcnt(0)
	;; [unrolled: 8-line block ×23, first 2 shown]
	v_mul_f64 v[6:7], v[216:217], v[220:221]
	v_fma_f64 v[6:7], v[214:215], v[218:219], -v[6:7]
	v_add_f64 v[8:9], v[4:5], v[6:7]
	scratch_load_dwordx4 v[4:7], off, off offset:480
	v_mul_f64 v[222:223], v[214:215], v[220:221]
	v_fmac_f64_e32 v[222:223], v[216:217], v[218:219]
	v_add_f64 v[160:161], v[160:161], v[222:223]
	s_waitcnt vmcnt(0)
	v_add_f64 v[4:5], v[4:5], -v[8:9]
	v_add_f64 v[6:7], v[6:7], -v[160:161]
	scratch_store_dwordx4 off, v[4:7], off offset:480
	s_and_saveexec_b64 s[0:1], vcc
	s_cbranch_execz .LBB120_299
; %bb.298:
	scratch_load_dwordx4 v[6:9], off, s45
	v_mov_b32_e32 v3, v2
	v_mov_b32_e32 v4, v2
	;; [unrolled: 1-line block ×3, first 2 shown]
	v_accvgpr_read_b32 v0, a115
	scratch_store_dwordx4 off, v[2:5], off offset:464
	s_waitcnt vmcnt(1)
	ds_write_b128 v0, v[6:9]
.LBB120_299:
	s_or_b64 exec, exec, s[0:1]
	s_waitcnt lgkmcnt(0)
	; wave barrier
	ds_read_b128 v[16:19], v2 offset:1376
	ds_read_b128 v[12:15], v2 offset:1392
	;; [unrolled: 1-line block ×4, first 2 shown]
	scratch_load_dwordx4 v[20:23], off, off offset:480
	scratch_load_dwordx4 v[40:43], off, off offset:544
	;; [unrolled: 1-line block ×22, first 2 shown]
	v_cmp_lt_u32_e32 vcc, 27, v240
	scratch_load_dwordx4 v[48:51], off, off offset:560
	scratch_load_dwordx4 v[56:59], off, off offset:576
	;; [unrolled: 1-line block ×3, first 2 shown]
	s_waitcnt vmcnt(24) lgkmcnt(3)
	v_mul_f64 v[24:25], v[16:17], v[22:23]
	v_fmac_f64_e32 v[24:25], v[18:19], v[20:21]
	v_add_f64 v[28:29], v[24:25], 0
	scratch_load_dwordx4 v[24:27], off, off offset:496
	s_waitcnt vmcnt(0) lgkmcnt(2)
	v_mul_f64 v[30:31], v[12:13], v[26:27]
	v_fmac_f64_e32 v[30:31], v[14:15], v[24:25]
	v_add_f64 v[32:33], v[28:29], v[30:31]
	scratch_load_dwordx4 v[28:31], off, off offset:512
	v_mul_f64 v[14:15], v[14:15], v[26:27]
	v_fma_f64 v[12:13], v[12:13], v[24:25], -v[14:15]
	s_waitcnt vmcnt(0) lgkmcnt(1)
	v_mul_f64 v[34:35], v[8:9], v[30:31]
	v_fmac_f64_e32 v[34:35], v[10:11], v[28:29]
	v_add_f64 v[36:37], v[32:33], v[34:35]
	scratch_load_dwordx4 v[32:35], off, off offset:528
	v_mul_f64 v[10:11], v[10:11], v[30:31]
	v_fma_f64 v[8:9], v[8:9], v[28:29], -v[10:11]
	s_waitcnt vmcnt(0) lgkmcnt(0)
	v_mul_f64 v[38:39], v[4:5], v[34:35]
	v_fmac_f64_e32 v[38:39], v[6:7], v[32:33]
	v_add_f64 v[44:45], v[36:37], v[38:39]
	ds_read_b128 v[36:39], v2 offset:1440
	v_mul_f64 v[6:7], v[6:7], v[34:35]
	v_fma_f64 v[4:5], v[4:5], v[32:33], -v[6:7]
	s_waitcnt lgkmcnt(0)
	v_mul_f64 v[46:47], v[36:37], v[42:43]
	v_fmac_f64_e32 v[46:47], v[38:39], v[40:41]
	v_add_f64 v[52:53], v[44:45], v[46:47]
	ds_read_b128 v[44:47], v2 offset:1456
	s_waitcnt lgkmcnt(0)
	v_mul_f64 v[54:55], v[44:45], v[50:51]
	v_fmac_f64_e32 v[54:55], v[46:47], v[48:49]
	v_add_f64 v[60:61], v[52:53], v[54:55]
	ds_read_b128 v[52:55], v2 offset:1472
	;; [unrolled: 5-line block ×23, first 2 shown]
	s_waitcnt lgkmcnt(0)
	v_mul_f64 v[2:3], v[222:223], v[228:229]
	v_fmac_f64_e32 v[2:3], v[224:225], v[226:227]
	v_add_f64 v[176:177], v[176:177], v[2:3]
	v_mul_f64 v[2:3], v[18:19], v[22:23]
	v_fma_f64 v[2:3], v[16:17], v[20:21], -v[2:3]
	v_add_f64 v[2:3], v[2:3], 0
	v_add_f64 v[2:3], v[2:3], v[12:13]
	;; [unrolled: 1-line block ×4, first 2 shown]
	v_mul_f64 v[4:5], v[38:39], v[42:43]
	v_fma_f64 v[4:5], v[36:37], v[40:41], -v[4:5]
	v_add_f64 v[2:3], v[2:3], v[4:5]
	v_mul_f64 v[4:5], v[46:47], v[50:51]
	v_fma_f64 v[4:5], v[44:45], v[48:49], -v[4:5]
	v_add_f64 v[2:3], v[2:3], v[4:5]
	;; [unrolled: 3-line block ×24, first 2 shown]
	scratch_load_dwordx4 v[2:5], off, off offset:464
	s_waitcnt vmcnt(0)
	v_add_f64 v[2:3], v[2:3], -v[6:7]
	v_add_f64 v[4:5], v[4:5], -v[176:177]
	scratch_store_dwordx4 off, v[2:5], off offset:464
	s_and_saveexec_b64 s[0:1], vcc
	s_cbranch_execz .LBB120_301
; %bb.300:
	scratch_load_dwordx4 v[2:5], off, s46
	v_mov_b32_e32 v6, 0
	v_mov_b32_e32 v7, v6
	;; [unrolled: 1-line block ×4, first 2 shown]
	v_accvgpr_read_b32 v0, a115
	scratch_store_dwordx4 off, v[6:9], off offset:448
	s_waitcnt vmcnt(1)
	ds_write_b128 v0, v[2:5]
.LBB120_301:
	s_or_b64 exec, exec, s[0:1]
	v_mov_b32_e32 v2, 0
	s_waitcnt lgkmcnt(0)
	; wave barrier
	ds_read_b128 v[16:19], v2 offset:1360
	ds_read_b128 v[12:15], v2 offset:1376
	;; [unrolled: 1-line block ×4, first 2 shown]
	scratch_load_dwordx4 v[20:23], off, off offset:464
	scratch_load_dwordx4 v[40:43], off, off offset:528
	;; [unrolled: 1-line block ×23, first 2 shown]
	v_cmp_lt_u32_e32 vcc, 26, v240
	scratch_load_dwordx4 v[48:51], off, off offset:544
	scratch_load_dwordx4 v[56:59], off, off offset:560
	;; [unrolled: 1-line block ×3, first 2 shown]
	s_waitcnt vmcnt(25) lgkmcnt(3)
	v_mul_f64 v[24:25], v[16:17], v[22:23]
	v_fmac_f64_e32 v[24:25], v[18:19], v[20:21]
	v_add_f64 v[28:29], v[24:25], 0
	scratch_load_dwordx4 v[24:27], off, off offset:480
	v_mul_f64 v[18:19], v[18:19], v[22:23]
	v_fma_f64 v[16:17], v[16:17], v[20:21], -v[18:19]
	v_add_f64 v[16:17], v[16:17], 0
	s_waitcnt vmcnt(0) lgkmcnt(2)
	v_mul_f64 v[30:31], v[12:13], v[26:27]
	v_fmac_f64_e32 v[30:31], v[14:15], v[24:25]
	v_add_f64 v[32:33], v[28:29], v[30:31]
	scratch_load_dwordx4 v[28:31], off, off offset:496
	v_mul_f64 v[14:15], v[14:15], v[26:27]
	v_fma_f64 v[12:13], v[12:13], v[24:25], -v[14:15]
	v_add_f64 v[12:13], v[16:17], v[12:13]
	s_waitcnt vmcnt(0) lgkmcnt(1)
	v_mul_f64 v[34:35], v[8:9], v[30:31]
	v_fmac_f64_e32 v[34:35], v[10:11], v[28:29]
	v_add_f64 v[36:37], v[32:33], v[34:35]
	scratch_load_dwordx4 v[32:35], off, off offset:512
	v_mul_f64 v[10:11], v[10:11], v[30:31]
	v_fma_f64 v[8:9], v[8:9], v[28:29], -v[10:11]
	v_add_f64 v[8:9], v[12:13], v[8:9]
	s_waitcnt vmcnt(0) lgkmcnt(0)
	v_mul_f64 v[38:39], v[4:5], v[34:35]
	v_fmac_f64_e32 v[38:39], v[6:7], v[32:33]
	v_add_f64 v[44:45], v[36:37], v[38:39]
	ds_read_b128 v[36:39], v2 offset:1424
	v_mul_f64 v[6:7], v[6:7], v[34:35]
	v_fma_f64 v[4:5], v[4:5], v[32:33], -v[6:7]
	v_add_f64 v[4:5], v[8:9], v[4:5]
	s_waitcnt lgkmcnt(0)
	v_mul_f64 v[46:47], v[36:37], v[42:43]
	v_fmac_f64_e32 v[46:47], v[38:39], v[40:41]
	v_add_f64 v[52:53], v[44:45], v[46:47]
	ds_read_b128 v[44:47], v2 offset:1440
	v_mul_f64 v[6:7], v[38:39], v[42:43]
	v_fma_f64 v[6:7], v[36:37], v[40:41], -v[6:7]
	v_add_f64 v[4:5], v[4:5], v[6:7]
	s_waitcnt lgkmcnt(0)
	;; [unrolled: 8-line block ×25, first 2 shown]
	v_mul_f64 v[6:7], v[232:233], v[236:237]
	v_fma_f64 v[6:7], v[230:231], v[234:235], -v[6:7]
	v_add_f64 v[8:9], v[4:5], v[6:7]
	scratch_load_dwordx4 v[4:7], off, off offset:448
	v_mul_f64 v[238:239], v[230:231], v[236:237]
	v_fmac_f64_e32 v[238:239], v[232:233], v[234:235]
	v_add_f64 v[176:177], v[176:177], v[238:239]
	s_waitcnt vmcnt(0)
	v_add_f64 v[4:5], v[4:5], -v[8:9]
	v_add_f64 v[6:7], v[6:7], -v[176:177]
	scratch_store_dwordx4 off, v[4:7], off offset:448
	s_and_saveexec_b64 s[0:1], vcc
	s_cbranch_execz .LBB120_303
; %bb.302:
	scratch_load_dwordx4 v[6:9], off, s47
	v_mov_b32_e32 v3, v2
	v_mov_b32_e32 v4, v2
	;; [unrolled: 1-line block ×3, first 2 shown]
	v_accvgpr_read_b32 v0, a115
	scratch_store_dwordx4 off, v[2:5], off offset:432
	s_waitcnt vmcnt(1)
	ds_write_b128 v0, v[6:9]
.LBB120_303:
	s_or_b64 exec, exec, s[0:1]
	s_waitcnt lgkmcnt(0)
	; wave barrier
	ds_read_b128 v[16:19], v2 offset:1344
	ds_read_b128 v[12:15], v2 offset:1360
	;; [unrolled: 1-line block ×4, first 2 shown]
	scratch_load_dwordx4 v[20:23], off, off offset:448
	scratch_load_dwordx4 v[40:43], off, off offset:512
	;; [unrolled: 1-line block ×24, first 2 shown]
	v_cmp_lt_u32_e32 vcc, 25, v240
	scratch_load_dwordx4 v[48:51], off, off offset:528
	scratch_load_dwordx4 v[56:59], off, off offset:544
	;; [unrolled: 1-line block ×3, first 2 shown]
	ds_read_b128 v[242:245], v2 offset:1808
	s_waitcnt vmcnt(26) lgkmcnt(4)
	v_mul_f64 v[24:25], v[16:17], v[22:23]
	v_fmac_f64_e32 v[24:25], v[18:19], v[20:21]
	v_add_f64 v[28:29], v[24:25], 0
	scratch_load_dwordx4 v[24:27], off, off offset:464
	s_waitcnt vmcnt(0) lgkmcnt(3)
	v_mul_f64 v[30:31], v[12:13], v[26:27]
	v_fmac_f64_e32 v[30:31], v[14:15], v[24:25]
	v_add_f64 v[32:33], v[28:29], v[30:31]
	scratch_load_dwordx4 v[28:31], off, off offset:480
	v_mul_f64 v[14:15], v[14:15], v[26:27]
	v_fma_f64 v[12:13], v[12:13], v[24:25], -v[14:15]
	s_waitcnt vmcnt(0) lgkmcnt(2)
	v_mul_f64 v[34:35], v[8:9], v[30:31]
	v_fmac_f64_e32 v[34:35], v[10:11], v[28:29]
	v_add_f64 v[36:37], v[32:33], v[34:35]
	scratch_load_dwordx4 v[32:35], off, off offset:496
	v_mul_f64 v[10:11], v[10:11], v[30:31]
	v_fma_f64 v[8:9], v[8:9], v[28:29], -v[10:11]
	s_waitcnt vmcnt(0) lgkmcnt(1)
	v_mul_f64 v[38:39], v[4:5], v[34:35]
	v_fmac_f64_e32 v[38:39], v[6:7], v[32:33]
	v_add_f64 v[44:45], v[36:37], v[38:39]
	ds_read_b128 v[36:39], v2 offset:1408
	v_mul_f64 v[6:7], v[6:7], v[34:35]
	v_fma_f64 v[4:5], v[4:5], v[32:33], -v[6:7]
	s_waitcnt lgkmcnt(0)
	v_mul_f64 v[46:47], v[36:37], v[42:43]
	v_fmac_f64_e32 v[46:47], v[38:39], v[40:41]
	v_add_f64 v[52:53], v[44:45], v[46:47]
	ds_read_b128 v[44:47], v2 offset:1424
	s_waitcnt lgkmcnt(0)
	v_mul_f64 v[54:55], v[44:45], v[50:51]
	v_fmac_f64_e32 v[54:55], v[46:47], v[48:49]
	v_add_f64 v[60:61], v[52:53], v[54:55]
	ds_read_b128 v[52:55], v2 offset:1440
	;; [unrolled: 5-line block ×24, first 2 shown]
	v_mul_f64 v[2:3], v[242:243], v[248:249]
	v_fmac_f64_e32 v[2:3], v[244:245], v[246:247]
	s_waitcnt lgkmcnt(0)
	v_mul_f64 v[238:239], v[230:231], v[236:237]
	v_fmac_f64_e32 v[238:239], v[232:233], v[234:235]
	v_add_f64 v[184:185], v[184:185], v[238:239]
	v_add_f64 v[184:185], v[184:185], v[2:3]
	v_mul_f64 v[2:3], v[18:19], v[22:23]
	v_fma_f64 v[2:3], v[16:17], v[20:21], -v[2:3]
	v_add_f64 v[2:3], v[2:3], 0
	v_add_f64 v[2:3], v[2:3], v[12:13]
	;; [unrolled: 1-line block ×4, first 2 shown]
	v_mul_f64 v[4:5], v[38:39], v[42:43]
	v_fma_f64 v[4:5], v[36:37], v[40:41], -v[4:5]
	v_add_f64 v[2:3], v[2:3], v[4:5]
	v_mul_f64 v[4:5], v[46:47], v[50:51]
	v_fma_f64 v[4:5], v[44:45], v[48:49], -v[4:5]
	v_add_f64 v[2:3], v[2:3], v[4:5]
	;; [unrolled: 3-line block ×26, first 2 shown]
	scratch_load_dwordx4 v[2:5], off, off offset:432
	s_waitcnt vmcnt(0)
	v_add_f64 v[2:3], v[2:3], -v[6:7]
	v_add_f64 v[4:5], v[4:5], -v[184:185]
	scratch_store_dwordx4 off, v[2:5], off offset:432
	s_and_saveexec_b64 s[0:1], vcc
	s_cbranch_execz .LBB120_305
; %bb.304:
	scratch_load_dwordx4 v[2:5], off, s48
	v_mov_b32_e32 v6, 0
	v_mov_b32_e32 v7, v6
	;; [unrolled: 1-line block ×4, first 2 shown]
	v_accvgpr_read_b32 v0, a115
	scratch_store_dwordx4 off, v[6:9], off offset:416
	s_waitcnt vmcnt(1)
	ds_write_b128 v0, v[2:5]
.LBB120_305:
	s_or_b64 exec, exec, s[0:1]
	s_waitcnt lgkmcnt(0)
	; wave barrier
	scratch_load_dwordx4 v[16:19], off, off offset:432
	scratch_load_dwordx4 v[12:15], off, off offset:448
	;; [unrolled: 1-line block ×32, first 2 shown]
	v_mov_b32_e32 v2, 0
	ds_read_b128 v[132:135], v2 offset:1328
	ds_read_b128 v[136:139], v2 offset:1344
	;; [unrolled: 1-line block ×17, first 2 shown]
	v_cmp_lt_u32_e32 vcc, 24, v240
	s_waitcnt vmcnt(31) lgkmcnt(14)
	v_mul_f64 v[200:201], v[132:133], v[18:19]
	s_waitcnt vmcnt(30)
	v_mul_f64 v[202:203], v[136:137], v[14:15]
	v_fmac_f64_e32 v[200:201], v[134:135], v[16:17]
	s_waitcnt vmcnt(29)
	v_mul_f64 v[204:205], v[140:141], v[10:11]
	v_fmac_f64_e32 v[202:203], v[138:139], v[12:13]
	v_add_f64 v[200:201], v[200:201], 0
	s_waitcnt vmcnt(28) lgkmcnt(13)
	v_mul_f64 v[206:207], v[144:145], v[6:7]
	v_fmac_f64_e32 v[204:205], v[142:143], v[8:9]
	v_add_f64 v[200:201], v[200:201], v[202:203]
	s_waitcnt vmcnt(27) lgkmcnt(12)
	;; [unrolled: 4-line block ×12, first 2 shown]
	v_mul_f64 v[228:229], v[188:189], v[62:63]
	v_fmac_f64_e32 v[226:227], v[186:187], v[56:57]
	v_add_f64 v[200:201], v[200:201], v[224:225]
	v_fmac_f64_e32 v[228:229], v[190:191], v[60:61]
	v_add_f64 v[200:201], v[200:201], v[226:227]
	s_waitcnt vmcnt(16) lgkmcnt(1)
	v_mul_f64 v[202:203], v[192:193], v[66:67]
	v_add_f64 v[200:201], v[200:201], v[228:229]
	v_fmac_f64_e32 v[202:203], v[194:195], v[64:65]
	s_waitcnt vmcnt(15) lgkmcnt(0)
	v_mul_f64 v[206:207], v[196:197], v[70:71]
	v_add_f64 v[204:205], v[200:201], v[202:203]
	ds_read_b128 v[200:203], v2 offset:1600
	v_fmac_f64_e32 v[206:207], v[198:199], v[68:69]
	v_add_f64 v[208:209], v[204:205], v[206:207]
	ds_read_b128 v[204:207], v2 offset:1616
	v_mul_f64 v[18:19], v[134:135], v[18:19]
	s_waitcnt vmcnt(14) lgkmcnt(1)
	v_mul_f64 v[210:211], v[200:201], v[74:75]
	v_fmac_f64_e32 v[210:211], v[202:203], v[72:73]
	v_add_f64 v[212:213], v[208:209], v[210:211]
	s_waitcnt vmcnt(13) lgkmcnt(0)
	v_mul_f64 v[214:215], v[204:205], v[78:79]
	ds_read_b128 v[208:211], v2 offset:1632
	v_fmac_f64_e32 v[214:215], v[206:207], v[76:77]
	v_add_f64 v[216:217], v[212:213], v[214:215]
	ds_read_b128 v[212:215], v2 offset:1648
	v_fma_f64 v[244:245], v[132:133], v[16:17], -v[18:19]
	s_waitcnt vmcnt(12) lgkmcnt(1)
	v_mul_f64 v[218:219], v[208:209], v[82:83]
	v_fmac_f64_e32 v[218:219], v[210:211], v[80:81]
	v_add_f64 v[220:221], v[216:217], v[218:219]
	s_waitcnt vmcnt(11) lgkmcnt(0)
	v_mul_f64 v[222:223], v[212:213], v[86:87]
	ds_read_b128 v[216:219], v2 offset:1664
	v_fmac_f64_e32 v[222:223], v[214:215], v[84:85]
	v_add_f64 v[224:225], v[220:221], v[222:223]
	ds_read_b128 v[220:223], v2 offset:1680
	ds_read_b128 v[16:19], v2 offset:1760
	s_waitcnt vmcnt(10) lgkmcnt(2)
	v_mul_f64 v[226:227], v[216:217], v[90:91]
	v_fmac_f64_e32 v[226:227], v[218:219], v[88:89]
	v_add_f64 v[228:229], v[224:225], v[226:227]
	s_waitcnt vmcnt(9) lgkmcnt(1)
	v_mul_f64 v[230:231], v[220:221], v[94:95]
	ds_read_b128 v[224:227], v2 offset:1696
	v_fmac_f64_e32 v[230:231], v[222:223], v[92:93]
	v_add_f64 v[232:233], v[228:229], v[230:231]
	ds_read_b128 v[228:231], v2 offset:1712
	v_mul_f64 v[14:15], v[138:139], v[14:15]
	s_waitcnt vmcnt(8) lgkmcnt(1)
	v_mul_f64 v[234:235], v[224:225], v[98:99]
	v_fmac_f64_e32 v[234:235], v[226:227], v[96:97]
	v_add_f64 v[236:237], v[232:233], v[234:235]
	s_waitcnt vmcnt(7) lgkmcnt(0)
	v_mul_f64 v[238:239], v[228:229], v[102:103]
	ds_read_b128 v[232:235], v2 offset:1728
	v_fmac_f64_e32 v[238:239], v[230:231], v[100:101]
	v_add_f64 v[242:243], v[236:237], v[238:239]
	ds_read_b128 v[236:239], v2 offset:1744
	v_fma_f64 v[136:137], v[136:137], v[12:13], -v[14:15]
	s_waitcnt vmcnt(6) lgkmcnt(1)
	v_mul_f64 v[132:133], v[232:233], v[106:107]
	v_fmac_f64_e32 v[132:133], v[234:235], v[104:105]
	v_add_f64 v[132:133], v[242:243], v[132:133]
	s_waitcnt vmcnt(5) lgkmcnt(0)
	v_mul_f64 v[134:135], v[236:237], v[110:111]
	v_fmac_f64_e32 v[134:135], v[238:239], v[108:109]
	v_add_f64 v[132:133], v[132:133], v[134:135]
	ds_read_b128 v[12:15], v2 offset:1776
	s_waitcnt vmcnt(4)
	v_mul_f64 v[134:135], v[16:17], v[114:115]
	v_fmac_f64_e32 v[134:135], v[18:19], v[112:113]
	v_add_f64 v[138:139], v[132:133], v[134:135]
	ds_read_b128 v[132:135], v2 offset:1792
	v_mul_f64 v[10:11], v[142:143], v[10:11]
	v_fma_f64 v[140:141], v[140:141], v[8:9], -v[10:11]
	ds_read_b128 v[8:11], v2 offset:1808
	s_waitcnt vmcnt(3) lgkmcnt(2)
	v_mul_f64 v[142:143], v[12:13], v[118:119]
	v_fmac_f64_e32 v[142:143], v[14:15], v[116:117]
	v_add_f64 v[138:139], v[138:139], v[142:143]
	s_waitcnt vmcnt(2) lgkmcnt(1)
	v_mul_f64 v[142:143], v[132:133], v[122:123]
	v_fmac_f64_e32 v[142:143], v[134:135], v[120:121]
	v_add_f64 v[138:139], v[138:139], v[142:143]
	;; [unrolled: 4-line block ×3, first 2 shown]
	v_add_f64 v[142:143], v[244:245], 0
	v_add_f64 v[136:137], v[142:143], v[136:137]
	v_mul_f64 v[6:7], v[146:147], v[6:7]
	v_add_f64 v[136:137], v[136:137], v[140:141]
	v_fma_f64 v[4:5], v[144:145], v[4:5], -v[6:7]
	v_mul_f64 v[6:7], v[150:151], v[22:23]
	v_add_f64 v[4:5], v[136:137], v[4:5]
	v_fma_f64 v[6:7], v[148:149], v[20:21], -v[6:7]
	v_add_f64 v[4:5], v[4:5], v[6:7]
	v_mul_f64 v[6:7], v[154:155], v[26:27]
	v_fma_f64 v[6:7], v[152:153], v[24:25], -v[6:7]
	v_add_f64 v[4:5], v[4:5], v[6:7]
	v_mul_f64 v[6:7], v[158:159], v[30:31]
	;; [unrolled: 3-line block ×26, first 2 shown]
	v_fma_f64 v[6:7], v[8:9], v[124:125], -v[6:7]
	v_add_f64 v[4:5], v[4:5], v[6:7]
	s_waitcnt vmcnt(0)
	v_add_f64 v[4:5], v[128:129], -v[4:5]
	v_add_f64 v[6:7], v[130:131], -v[138:139]
	scratch_store_dwordx4 off, v[4:7], off offset:416
	s_and_saveexec_b64 s[0:1], vcc
	s_cbranch_execz .LBB120_307
; %bb.306:
	scratch_load_dwordx4 v[6:9], off, s49
	v_mov_b32_e32 v3, v2
	v_mov_b32_e32 v4, v2
	v_mov_b32_e32 v5, v2
	v_accvgpr_read_b32 v0, a115
	scratch_store_dwordx4 off, v[2:5], off offset:400
	s_waitcnt vmcnt(1)
	ds_write_b128 v0, v[6:9]
.LBB120_307:
	s_or_b64 exec, exec, s[0:1]
	s_waitcnt lgkmcnt(0)
	; wave barrier
	scratch_load_dwordx4 v[140:143], off, off offset:416
	scratch_load_dwordx4 v[148:151], off, off offset:432
	;; [unrolled: 1-line block ×16, first 2 shown]
	ds_read_b128 v[188:191], v2 offset:1312
	ds_read_b128 v[184:187], v2 offset:1328
	scratch_load_dwordx4 v[56:59], off, off offset:672
	ds_read_b128 v[192:195], v2 offset:1344
	ds_read_b128 v[68:71], v2 offset:1360
	scratch_load_dwordx4 v[60:63], off, off offset:688
	ds_read_b128 v[88:91], v2 offset:1376
	ds_read_b128 v[84:87], v2 offset:1392
	;; [unrolled: 1-line block ×4, first 2 shown]
	scratch_load_dwordx4 v[64:67], off, off offset:704
	ds_read_b128 v[100:103], v2 offset:1440
	ds_read_b128 v[96:99], v2 offset:1456
	scratch_load_dwordx4 v[72:75], off, off offset:720
	ds_read_b128 v[116:119], v2 offset:1472
	ds_read_b128 v[112:115], v2 offset:1488
	;; [unrolled: 1-line block ×4, first 2 shown]
	scratch_load_dwordx4 v[92:95], off, off offset:736
	ds_read_b128 v[132:135], v2 offset:1536
	ds_read_b128 v[128:131], v2 offset:1552
	;; [unrolled: 1-line block ×3, first 2 shown]
	scratch_load_dwordx4 v[120:123], off, off offset:752
	scratch_load_dwordx4 v[136:139], off, off offset:768
	;; [unrolled: 1-line block ×11, first 2 shown]
	v_cmp_lt_u32_e32 vcc, 23, v240
	s_waitcnt vmcnt(31) lgkmcnt(14)
	v_mul_f64 v[200:201], v[188:189], v[142:143]
	s_waitcnt vmcnt(30)
	v_mul_f64 v[202:203], v[184:185], v[150:151]
	v_fmac_f64_e32 v[200:201], v[190:191], v[140:141]
	s_waitcnt vmcnt(29)
	v_mul_f64 v[204:205], v[192:193], v[154:155]
	v_fmac_f64_e32 v[202:203], v[186:187], v[148:149]
	v_add_f64 v[200:201], v[200:201], 0
	s_waitcnt vmcnt(28) lgkmcnt(13)
	v_mul_f64 v[206:207], v[68:69], v[6:7]
	v_fmac_f64_e32 v[204:205], v[194:195], v[152:153]
	v_add_f64 v[200:201], v[200:201], v[202:203]
	s_waitcnt vmcnt(27) lgkmcnt(12)
	;; [unrolled: 4-line block ×13, first 2 shown]
	v_mul_f64 v[230:231], v[128:129], v[54:55]
	v_fmac_f64_e32 v[228:229], v[134:135], v[48:49]
	v_add_f64 v[200:201], v[200:201], v[226:227]
	v_add_f64 v[200:201], v[200:201], v[228:229]
	v_fmac_f64_e32 v[230:231], v[130:131], v[52:53]
	v_add_f64 v[204:205], v[200:201], v[230:231]
	ds_read_b128 v[200:203], v2 offset:1584
	s_waitcnt vmcnt(15) lgkmcnt(1)
	v_mul_f64 v[206:207], v[124:125], v[58:59]
	v_fmac_f64_e32 v[206:207], v[126:127], v[56:57]
	v_add_f64 v[208:209], v[204:205], v[206:207]
	ds_read_b128 v[204:207], v2 offset:1600
	s_waitcnt vmcnt(14) lgkmcnt(1)
	v_mul_f64 v[210:211], v[200:201], v[62:63]
	v_fmac_f64_e32 v[210:211], v[202:203], v[60:61]
	v_add_f64 v[212:213], v[208:209], v[210:211]
	ds_read_b128 v[208:211], v2 offset:1616
	s_waitcnt vmcnt(13) lgkmcnt(1)
	v_mul_f64 v[214:215], v[204:205], v[66:67]
	v_fmac_f64_e32 v[214:215], v[206:207], v[64:65]
	v_add_f64 v[216:217], v[212:213], v[214:215]
	ds_read_b128 v[212:215], v2 offset:1632
	s_waitcnt vmcnt(12) lgkmcnt(1)
	v_mul_f64 v[218:219], v[208:209], v[74:75]
	v_fmac_f64_e32 v[218:219], v[210:211], v[72:73]
	v_add_f64 v[220:221], v[216:217], v[218:219]
	ds_read_b128 v[216:219], v2 offset:1648
	s_waitcnt vmcnt(11) lgkmcnt(1)
	v_mul_f64 v[222:223], v[212:213], v[94:95]
	v_fmac_f64_e32 v[222:223], v[214:215], v[92:93]
	v_add_f64 v[224:225], v[220:221], v[222:223]
	ds_read_b128 v[220:223], v2 offset:1664
	s_waitcnt vmcnt(10) lgkmcnt(1)
	v_mul_f64 v[226:227], v[216:217], v[122:123]
	v_fmac_f64_e32 v[226:227], v[218:219], v[120:121]
	v_add_f64 v[228:229], v[224:225], v[226:227]
	ds_read_b128 v[224:227], v2 offset:1680
	s_waitcnt vmcnt(9) lgkmcnt(1)
	v_mul_f64 v[230:231], v[220:221], v[138:139]
	v_fmac_f64_e32 v[230:231], v[222:223], v[136:137]
	v_add_f64 v[232:233], v[228:229], v[230:231]
	ds_read_b128 v[228:231], v2 offset:1696
	s_waitcnt vmcnt(8) lgkmcnt(1)
	v_mul_f64 v[234:235], v[224:225], v[146:147]
	v_fmac_f64_e32 v[234:235], v[226:227], v[144:145]
	v_add_f64 v[236:237], v[232:233], v[234:235]
	ds_read_b128 v[232:235], v2 offset:1712
	s_waitcnt vmcnt(7) lgkmcnt(1)
	v_mul_f64 v[238:239], v[228:229], v[158:159]
	v_fmac_f64_e32 v[238:239], v[230:231], v[156:157]
	v_add_f64 v[242:243], v[236:237], v[238:239]
	ds_read_b128 v[236:239], v2 offset:1728
	s_waitcnt vmcnt(6) lgkmcnt(1)
	v_mul_f64 v[244:245], v[232:233], v[162:163]
	v_fmac_f64_e32 v[244:245], v[234:235], v[160:161]
	v_mul_f64 v[142:143], v[190:191], v[142:143]
	v_add_f64 v[244:245], v[242:243], v[244:245]
	v_fma_f64 v[242:243], v[188:189], v[140:141], -v[142:143]
	ds_read_b128 v[140:143], v2 offset:1744
	s_waitcnt vmcnt(5) lgkmcnt(1)
	v_mul_f64 v[188:189], v[236:237], v[166:167]
	v_fmac_f64_e32 v[188:189], v[238:239], v[164:165]
	v_mul_f64 v[150:151], v[186:187], v[150:151]
	v_add_f64 v[188:189], v[244:245], v[188:189]
	v_fma_f64 v[244:245], v[184:185], v[148:149], -v[150:151]
	ds_read_b128 v[148:151], v2 offset:1760
	s_waitcnt vmcnt(4) lgkmcnt(1)
	v_mul_f64 v[184:185], v[140:141], v[170:171]
	v_fmac_f64_e32 v[184:185], v[142:143], v[168:169]
	v_add_f64 v[188:189], v[188:189], v[184:185]
	ds_read_b128 v[184:187], v2 offset:1776
	v_mul_f64 v[154:155], v[194:195], v[154:155]
	s_waitcnt vmcnt(3) lgkmcnt(1)
	v_mul_f64 v[190:191], v[148:149], v[174:175]
	v_fma_f64 v[248:249], v[192:193], v[152:153], -v[154:155]
	ds_read_b128 v[152:155], v2 offset:1792
	v_fmac_f64_e32 v[190:191], v[150:151], v[172:173]
	v_add_f64 v[246:247], v[188:189], v[190:191]
	ds_read_b128 v[188:191], v2 offset:1808
	s_waitcnt vmcnt(2) lgkmcnt(2)
	v_mul_f64 v[192:193], v[184:185], v[178:179]
	v_fmac_f64_e32 v[192:193], v[186:187], v[176:177]
	v_add_f64 v[2:3], v[246:247], v[192:193]
	s_waitcnt vmcnt(1) lgkmcnt(1)
	v_mul_f64 v[192:193], v[152:153], v[182:183]
	v_fmac_f64_e32 v[192:193], v[154:155], v[180:181]
	v_add_f64 v[2:3], v[2:3], v[192:193]
	;; [unrolled: 4-line block ×3, first 2 shown]
	scratch_load_dwordx4 v[192:195], off, off offset:400
	v_add_f64 v[242:243], v[242:243], 0
	v_add_f64 v[242:243], v[242:243], v[244:245]
	v_mul_f64 v[6:7], v[70:71], v[6:7]
	v_add_f64 v[242:243], v[242:243], v[248:249]
	v_fma_f64 v[4:5], v[68:69], v[4:5], -v[6:7]
	v_mul_f64 v[6:7], v[90:91], v[10:11]
	v_add_f64 v[4:5], v[242:243], v[4:5]
	v_fma_f64 v[6:7], v[88:89], v[8:9], -v[6:7]
	v_add_f64 v[4:5], v[4:5], v[6:7]
	v_mul_f64 v[6:7], v[86:87], v[14:15]
	v_fma_f64 v[6:7], v[84:85], v[12:13], -v[6:7]
	v_add_f64 v[4:5], v[4:5], v[6:7]
	v_mul_f64 v[6:7], v[82:83], v[18:19]
	;; [unrolled: 3-line block ×27, first 2 shown]
	v_fma_f64 v[6:7], v[188:189], v[196:197], -v[6:7]
	v_add_f64 v[4:5], v[4:5], v[6:7]
	s_waitcnt vmcnt(0)
	v_add_f64 v[4:5], v[192:193], -v[4:5]
	v_add_f64 v[6:7], v[194:195], -v[2:3]
	scratch_store_dwordx4 off, v[4:7], off offset:400
	s_and_saveexec_b64 s[0:1], vcc
	s_cbranch_execz .LBB120_309
; %bb.308:
	scratch_load_dwordx4 v[2:5], off, s50
	v_mov_b32_e32 v6, 0
	v_mov_b32_e32 v7, v6
	;; [unrolled: 1-line block ×4, first 2 shown]
	v_accvgpr_read_b32 v0, a115
	scratch_store_dwordx4 off, v[6:9], off offset:384
	s_waitcnt vmcnt(1)
	ds_write_b128 v0, v[2:5]
.LBB120_309:
	s_or_b64 exec, exec, s[0:1]
	s_waitcnt lgkmcnt(0)
	; wave barrier
	scratch_load_dwordx4 v[108:111], off, off offset:400
	scratch_load_dwordx4 v[116:119], off, off offset:416
	scratch_load_dwordx4 v[120:123], off, off offset:432
	scratch_load_dwordx4 v[124:127], off, off offset:448
	scratch_load_dwordx4 v[128:131], off, off offset:464
	scratch_load_dwordx4 v[4:7], off, off offset:480
	scratch_load_dwordx4 v[8:11], off, off offset:496
	scratch_load_dwordx4 v[12:15], off, off offset:512
	scratch_load_dwordx4 v[16:19], off, off offset:528
	scratch_load_dwordx4 v[20:23], off, off offset:544
	scratch_load_dwordx4 v[24:27], off, off offset:560
	scratch_load_dwordx4 v[28:31], off, off offset:576
	scratch_load_dwordx4 v[32:35], off, off offset:592
	scratch_load_dwordx4 v[36:39], off, off offset:608
	scratch_load_dwordx4 v[40:43], off, off offset:624
	scratch_load_dwordx4 v[44:47], off, off offset:640
	scratch_load_dwordx4 v[48:51], off, off offset:656
	scratch_load_dwordx4 v[52:55], off, off offset:672
	scratch_load_dwordx4 v[56:59], off, off offset:688
	scratch_load_dwordx4 v[60:63], off, off offset:704
	scratch_load_dwordx4 v[64:67], off, off offset:720
	scratch_load_dwordx4 v[68:71], off, off offset:736
	scratch_load_dwordx4 v[72:75], off, off offset:752
	scratch_load_dwordx4 v[76:79], off, off offset:768
	scratch_load_dwordx4 v[80:83], off, off offset:784
	scratch_load_dwordx4 v[84:87], off, off offset:800
	scratch_load_dwordx4 v[88:91], off, off offset:816
	scratch_load_dwordx4 v[92:95], off, off offset:832
	scratch_load_dwordx4 v[96:99], off, off offset:848
	scratch_load_dwordx4 v[100:103], off, off offset:864
	scratch_load_dwordx4 v[104:107], off, off offset:880
	scratch_load_dwordx4 v[112:115], off, off offset:896
	scratch_load_dwordx4 v[132:135], off, off offset:912
	v_mov_b32_e32 v2, 0
	ds_read_b128 v[220:223], v2 offset:1296
	ds_read_b128 v[224:227], v2 offset:1312
	ds_read_b128 v[234:237], v2 offset:1328
	ds_read_b128 v[242:245], v2 offset:1344
	ds_read_b128 v[246:249], v2 offset:1360
	ds_read_b128 v[176:179], v2 offset:1376
	ds_read_b128 v[172:175], v2 offset:1392
	ds_read_b128 v[168:171], v2 offset:1408
	ds_read_b128 v[164:167], v2 offset:1424
	ds_read_b128 v[160:163], v2 offset:1440
	ds_read_b128 v[156:159], v2 offset:1456
	ds_read_b128 v[152:155], v2 offset:1472
	ds_read_b128 v[148:151], v2 offset:1488
	ds_read_b128 v[144:147], v2 offset:1504
	ds_read_b128 v[140:143], v2 offset:1520
	ds_read_b128 v[136:139], v2 offset:1536
	v_cmp_lt_u32_e32 vcc, 22, v240
	s_waitcnt vmcnt(32) lgkmcnt(14)
	v_mul_f64 v[180:181], v[220:221], v[110:111]
	s_waitcnt vmcnt(31)
	v_mul_f64 v[182:183], v[224:225], v[118:119]
	v_fmac_f64_e32 v[180:181], v[222:223], v[108:109]
	s_waitcnt vmcnt(30) lgkmcnt(13)
	v_mul_f64 v[184:185], v[234:235], v[122:123]
	v_fmac_f64_e32 v[182:183], v[226:227], v[116:117]
	v_add_f64 v[180:181], v[180:181], 0
	s_waitcnt vmcnt(29) lgkmcnt(12)
	v_mul_f64 v[186:187], v[242:243], v[126:127]
	v_fmac_f64_e32 v[184:185], v[236:237], v[120:121]
	v_add_f64 v[180:181], v[180:181], v[182:183]
	s_waitcnt vmcnt(28) lgkmcnt(11)
	v_mul_f64 v[188:189], v[246:247], v[130:131]
	v_fmac_f64_e32 v[186:187], v[244:245], v[124:125]
	v_add_f64 v[180:181], v[180:181], v[184:185]
	s_waitcnt vmcnt(27) lgkmcnt(10)
	v_mul_f64 v[190:191], v[176:177], v[6:7]
	v_fmac_f64_e32 v[188:189], v[248:249], v[128:129]
	v_add_f64 v[180:181], v[180:181], v[186:187]
	s_waitcnt vmcnt(26) lgkmcnt(9)
	v_mul_f64 v[192:193], v[172:173], v[10:11]
	v_fmac_f64_e32 v[190:191], v[178:179], v[4:5]
	v_add_f64 v[180:181], v[180:181], v[188:189]
	s_waitcnt vmcnt(25) lgkmcnt(8)
	v_mul_f64 v[194:195], v[168:169], v[14:15]
	v_fmac_f64_e32 v[192:193], v[174:175], v[8:9]
	v_add_f64 v[180:181], v[180:181], v[190:191]
	s_waitcnt vmcnt(24) lgkmcnt(7)
	v_mul_f64 v[196:197], v[164:165], v[18:19]
	v_fmac_f64_e32 v[194:195], v[170:171], v[12:13]
	v_add_f64 v[180:181], v[180:181], v[192:193]
	s_waitcnt vmcnt(23) lgkmcnt(6)
	v_mul_f64 v[198:199], v[160:161], v[22:23]
	v_fmac_f64_e32 v[196:197], v[166:167], v[16:17]
	v_add_f64 v[180:181], v[180:181], v[194:195]
	s_waitcnt vmcnt(22) lgkmcnt(5)
	v_mul_f64 v[200:201], v[156:157], v[26:27]
	v_fmac_f64_e32 v[198:199], v[162:163], v[20:21]
	v_add_f64 v[180:181], v[180:181], v[196:197]
	s_waitcnt vmcnt(21) lgkmcnt(4)
	v_mul_f64 v[202:203], v[152:153], v[30:31]
	v_fmac_f64_e32 v[200:201], v[158:159], v[24:25]
	v_add_f64 v[180:181], v[180:181], v[198:199]
	s_waitcnt vmcnt(20) lgkmcnt(3)
	v_mul_f64 v[204:205], v[148:149], v[34:35]
	v_fmac_f64_e32 v[202:203], v[154:155], v[28:29]
	v_add_f64 v[180:181], v[180:181], v[200:201]
	s_waitcnt vmcnt(19) lgkmcnt(2)
	v_mul_f64 v[206:207], v[144:145], v[38:39]
	v_fmac_f64_e32 v[204:205], v[150:151], v[32:33]
	v_add_f64 v[180:181], v[180:181], v[202:203]
	s_waitcnt vmcnt(18) lgkmcnt(1)
	v_mul_f64 v[208:209], v[140:141], v[42:43]
	v_fmac_f64_e32 v[206:207], v[146:147], v[36:37]
	v_add_f64 v[180:181], v[180:181], v[204:205]
	v_fmac_f64_e32 v[208:209], v[142:143], v[40:41]
	v_add_f64 v[180:181], v[180:181], v[206:207]
	v_add_f64 v[184:185], v[180:181], v[208:209]
	ds_read_b128 v[180:183], v2 offset:1552
	s_waitcnt vmcnt(17) lgkmcnt(1)
	v_mul_f64 v[186:187], v[136:137], v[46:47]
	v_fmac_f64_e32 v[186:187], v[138:139], v[44:45]
	v_add_f64 v[188:189], v[184:185], v[186:187]
	ds_read_b128 v[184:187], v2 offset:1568
	s_waitcnt vmcnt(16) lgkmcnt(1)
	v_mul_f64 v[190:191], v[180:181], v[50:51]
	v_fmac_f64_e32 v[190:191], v[182:183], v[48:49]
	;; [unrolled: 5-line block ×10, first 2 shown]
	v_mul_f64 v[110:111], v[222:223], v[110:111]
	v_add_f64 v[228:229], v[228:229], v[230:231]
	v_fma_f64 v[230:231], v[220:221], v[108:109], -v[110:111]
	ds_read_b128 v[108:111], v2 offset:1712
	s_waitcnt vmcnt(7) lgkmcnt(1)
	v_mul_f64 v[220:221], v[216:217], v[86:87]
	v_mul_f64 v[118:119], v[226:227], v[118:119]
	v_fmac_f64_e32 v[220:221], v[218:219], v[84:85]
	v_fma_f64 v[232:233], v[224:225], v[116:117], -v[118:119]
	ds_read_b128 v[116:119], v2 offset:1728
	s_waitcnt vmcnt(6) lgkmcnt(1)
	v_mul_f64 v[222:223], v[108:109], v[90:91]
	v_add_f64 v[220:221], v[228:229], v[220:221]
	v_fmac_f64_e32 v[222:223], v[110:111], v[88:89]
	v_add_f64 v[224:225], v[220:221], v[222:223]
	ds_read_b128 v[220:223], v2 offset:1744
	v_mul_f64 v[122:123], v[236:237], v[122:123]
	v_fma_f64 v[234:235], v[234:235], v[120:121], -v[122:123]
	ds_read_b128 v[120:123], v2 offset:1760
	s_waitcnt vmcnt(5) lgkmcnt(2)
	v_mul_f64 v[226:227], v[116:117], v[94:95]
	v_fmac_f64_e32 v[226:227], v[118:119], v[92:93]
	v_mul_f64 v[126:127], v[244:245], v[126:127]
	v_add_f64 v[224:225], v[224:225], v[226:227]
	s_waitcnt vmcnt(4) lgkmcnt(1)
	v_mul_f64 v[226:227], v[220:221], v[98:99]
	v_fma_f64 v[236:237], v[242:243], v[124:125], -v[126:127]
	ds_read_b128 v[124:127], v2 offset:1776
	v_fmac_f64_e32 v[226:227], v[222:223], v[96:97]
	v_add_f64 v[228:229], v[224:225], v[226:227]
	s_waitcnt vmcnt(3) lgkmcnt(1)
	v_mul_f64 v[238:239], v[120:121], v[102:103]
	ds_read_b128 v[224:227], v2 offset:1792
	v_fmac_f64_e32 v[238:239], v[122:123], v[100:101]
	v_mul_f64 v[130:131], v[248:249], v[130:131]
	v_add_f64 v[228:229], v[228:229], v[238:239]
	v_fma_f64 v[238:239], v[246:247], v[128:129], -v[130:131]
	ds_read_b128 v[128:131], v2 offset:1808
	s_waitcnt vmcnt(2) lgkmcnt(2)
	v_mul_f64 v[242:243], v[124:125], v[106:107]
	v_fmac_f64_e32 v[242:243], v[126:127], v[104:105]
	v_add_f64 v[228:229], v[228:229], v[242:243]
	s_waitcnt vmcnt(1) lgkmcnt(1)
	v_mul_f64 v[242:243], v[224:225], v[114:115]
	v_fmac_f64_e32 v[242:243], v[226:227], v[112:113]
	v_add_f64 v[228:229], v[228:229], v[242:243]
	;; [unrolled: 4-line block ×3, first 2 shown]
	scratch_load_dwordx4 v[242:245], off, off offset:384
	v_add_f64 v[230:231], v[230:231], 0
	v_add_f64 v[230:231], v[230:231], v[232:233]
	;; [unrolled: 1-line block ×4, first 2 shown]
	v_mul_f64 v[6:7], v[178:179], v[6:7]
	v_add_f64 v[230:231], v[230:231], v[238:239]
	v_fma_f64 v[4:5], v[176:177], v[4:5], -v[6:7]
	v_mul_f64 v[6:7], v[174:175], v[10:11]
	v_add_f64 v[4:5], v[230:231], v[4:5]
	v_fma_f64 v[6:7], v[172:173], v[8:9], -v[6:7]
	v_add_f64 v[4:5], v[4:5], v[6:7]
	v_mul_f64 v[6:7], v[170:171], v[14:15]
	v_fma_f64 v[6:7], v[168:169], v[12:13], -v[6:7]
	v_add_f64 v[4:5], v[4:5], v[6:7]
	v_mul_f64 v[6:7], v[166:167], v[18:19]
	;; [unrolled: 3-line block ×26, first 2 shown]
	v_fma_f64 v[6:7], v[128:129], v[132:133], -v[6:7]
	v_add_f64 v[4:5], v[4:5], v[6:7]
	s_waitcnt vmcnt(0)
	v_add_f64 v[4:5], v[242:243], -v[4:5]
	v_add_f64 v[6:7], v[244:245], -v[228:229]
	scratch_store_dwordx4 off, v[4:7], off offset:384
	s_and_saveexec_b64 s[0:1], vcc
	s_cbranch_execz .LBB120_311
; %bb.310:
	scratch_load_dwordx4 v[6:9], off, s51
	v_mov_b32_e32 v3, v2
	v_mov_b32_e32 v4, v2
	;; [unrolled: 1-line block ×3, first 2 shown]
	v_accvgpr_read_b32 v0, a115
	scratch_store_dwordx4 off, v[2:5], off offset:368
	s_waitcnt vmcnt(1)
	ds_write_b128 v0, v[6:9]
.LBB120_311:
	s_or_b64 exec, exec, s[0:1]
	s_waitcnt lgkmcnt(0)
	; wave barrier
	scratch_load_dwordx4 v[144:147], off, off offset:384
	scratch_load_dwordx4 v[152:155], off, off offset:400
	;; [unrolled: 1-line block ×16, first 2 shown]
	ds_read_b128 v[196:199], v2 offset:1280
	ds_read_b128 v[188:191], v2 offset:1296
	ds_read_b128 v[180:183], v2 offset:1312
	scratch_load_dwordx4 v[48:51], off, off offset:640
	ds_read_b128 v[192:195], v2 offset:1328
	ds_read_b128 v[184:187], v2 offset:1344
	ds_read_b128 v[64:67], v2 offset:1360
	scratch_load_dwordx4 v[52:55], off, off offset:656
	;; [unrolled: 4-line block ×5, first 2 shown]
	ds_read_b128 v[116:119], v2 offset:1520
	ds_read_b128 v[112:115], v2 offset:1536
	scratch_load_dwordx4 v[108:111], off, off offset:720
	scratch_load_dwordx4 v[120:123], off, off offset:736
	;; [unrolled: 1-line block ×12, first 2 shown]
	v_cmp_lt_u32_e32 vcc, 21, v240
	s_waitcnt vmcnt(32) lgkmcnt(14)
	v_mul_f64 v[204:205], v[196:197], v[146:147]
	s_waitcnt vmcnt(31)
	v_mul_f64 v[206:207], v[188:189], v[154:155]
	v_fmac_f64_e32 v[204:205], v[198:199], v[144:145]
	s_waitcnt vmcnt(30)
	v_mul_f64 v[208:209], v[180:181], v[158:159]
	v_fmac_f64_e32 v[206:207], v[190:191], v[152:153]
	v_add_f64 v[204:205], v[204:205], 0
	s_waitcnt vmcnt(29) lgkmcnt(13)
	v_mul_f64 v[210:211], v[192:193], v[162:163]
	v_fmac_f64_e32 v[208:209], v[182:183], v[156:157]
	v_add_f64 v[204:205], v[204:205], v[206:207]
	s_waitcnt vmcnt(28) lgkmcnt(12)
	;; [unrolled: 4-line block ×12, first 2 shown]
	v_mul_f64 v[232:233], v[96:97], v[42:43]
	v_fmac_f64_e32 v[230:231], v[102:103], v[36:37]
	v_add_f64 v[204:205], v[204:205], v[228:229]
	v_fmac_f64_e32 v[232:233], v[98:99], v[40:41]
	v_add_f64 v[204:205], v[204:205], v[230:231]
	s_waitcnt vmcnt(17) lgkmcnt(1)
	v_mul_f64 v[206:207], v[116:117], v[46:47]
	v_add_f64 v[204:205], v[204:205], v[232:233]
	v_fmac_f64_e32 v[206:207], v[118:119], v[44:45]
	s_waitcnt vmcnt(16) lgkmcnt(0)
	v_mul_f64 v[210:211], v[112:113], v[50:51]
	v_add_f64 v[208:209], v[204:205], v[206:207]
	ds_read_b128 v[204:207], v2 offset:1552
	v_fmac_f64_e32 v[210:211], v[114:115], v[48:49]
	v_add_f64 v[212:213], v[208:209], v[210:211]
	ds_read_b128 v[208:211], v2 offset:1568
	v_mul_f64 v[146:147], v[198:199], v[146:147]
	s_waitcnt vmcnt(15) lgkmcnt(1)
	v_mul_f64 v[214:215], v[204:205], v[54:55]
	v_fmac_f64_e32 v[214:215], v[206:207], v[52:53]
	v_add_f64 v[216:217], v[212:213], v[214:215]
	s_waitcnt vmcnt(14) lgkmcnt(0)
	v_mul_f64 v[218:219], v[208:209], v[58:59]
	ds_read_b128 v[212:215], v2 offset:1584
	v_fmac_f64_e32 v[218:219], v[210:211], v[56:57]
	v_add_f64 v[220:221], v[216:217], v[218:219]
	ds_read_b128 v[216:219], v2 offset:1600
	v_mul_f64 v[154:155], v[190:191], v[154:155]
	s_waitcnt vmcnt(13) lgkmcnt(1)
	v_mul_f64 v[222:223], v[212:213], v[62:63]
	v_fmac_f64_e32 v[222:223], v[214:215], v[60:61]
	v_add_f64 v[224:225], v[220:221], v[222:223]
	s_waitcnt vmcnt(12) lgkmcnt(0)
	v_mul_f64 v[226:227], v[216:217], v[94:95]
	ds_read_b128 v[220:223], v2 offset:1616
	v_fmac_f64_e32 v[226:227], v[218:219], v[92:93]
	v_add_f64 v[228:229], v[224:225], v[226:227]
	ds_read_b128 v[224:227], v2 offset:1632
	v_fma_f64 v[246:247], v[188:189], v[152:153], -v[154:155]
	s_waitcnt vmcnt(11) lgkmcnt(1)
	v_mul_f64 v[230:231], v[220:221], v[110:111]
	v_fmac_f64_e32 v[230:231], v[222:223], v[108:109]
	v_add_f64 v[232:233], v[228:229], v[230:231]
	s_waitcnt vmcnt(10) lgkmcnt(0)
	v_mul_f64 v[234:235], v[224:225], v[122:123]
	ds_read_b128 v[228:231], v2 offset:1648
	v_fmac_f64_e32 v[234:235], v[226:227], v[120:121]
	v_add_f64 v[236:237], v[232:233], v[234:235]
	ds_read_b128 v[232:235], v2 offset:1664
	ds_read_b128 v[152:155], v2 offset:1712
	s_waitcnt vmcnt(9) lgkmcnt(2)
	v_mul_f64 v[238:239], v[228:229], v[126:127]
	v_fmac_f64_e32 v[238:239], v[230:231], v[124:125]
	v_add_f64 v[242:243], v[236:237], v[238:239]
	s_waitcnt vmcnt(8) lgkmcnt(1)
	v_mul_f64 v[244:245], v[232:233], v[130:131]
	ds_read_b128 v[236:239], v2 offset:1680
	v_fmac_f64_e32 v[244:245], v[234:235], v[128:129]
	v_add_f64 v[242:243], v[242:243], v[244:245]
	v_fma_f64 v[244:245], v[196:197], v[144:145], -v[146:147]
	ds_read_b128 v[144:147], v2 offset:1696
	s_waitcnt vmcnt(7) lgkmcnt(1)
	v_mul_f64 v[196:197], v[236:237], v[134:135]
	v_fmac_f64_e32 v[196:197], v[238:239], v[132:133]
	v_add_f64 v[188:189], v[242:243], v[196:197]
	v_mul_f64 v[158:159], v[182:183], v[158:159]
	s_waitcnt vmcnt(6) lgkmcnt(0)
	v_mul_f64 v[190:191], v[144:145], v[138:139]
	v_fmac_f64_e32 v[190:191], v[146:147], v[136:137]
	v_add_f64 v[196:197], v[188:189], v[190:191]
	ds_read_b128 v[188:191], v2 offset:1728
	v_fma_f64 v[242:243], v[180:181], v[156:157], -v[158:159]
	ds_read_b128 v[156:159], v2 offset:1744
	s_waitcnt vmcnt(5)
	v_mul_f64 v[198:199], v[152:153], v[142:143]
	v_fmac_f64_e32 v[198:199], v[154:155], v[140:141]
	s_waitcnt vmcnt(4) lgkmcnt(1)
	v_mul_f64 v[180:181], v[188:189], v[150:151]
	v_add_f64 v[196:197], v[196:197], v[198:199]
	v_fmac_f64_e32 v[180:181], v[190:191], v[148:149]
	v_mul_f64 v[162:163], v[194:195], v[162:163]
	v_add_f64 v[198:199], v[196:197], v[180:181]
	v_fma_f64 v[196:197], v[192:193], v[160:161], -v[162:163]
	ds_read_b128 v[160:163], v2 offset:1760
	s_waitcnt vmcnt(3) lgkmcnt(1)
	v_mul_f64 v[192:193], v[156:157], v[166:167]
	ds_read_b128 v[180:183], v2 offset:1776
	v_fmac_f64_e32 v[192:193], v[158:159], v[164:165]
	v_mul_f64 v[170:171], v[186:187], v[170:171]
	v_add_f64 v[192:193], v[198:199], v[192:193]
	v_fma_f64 v[198:199], v[184:185], v[168:169], -v[170:171]
	ds_read_b128 v[168:171], v2 offset:1792
	s_waitcnt vmcnt(2) lgkmcnt(2)
	v_mul_f64 v[184:185], v[160:161], v[174:175]
	v_fmac_f64_e32 v[184:185], v[162:163], v[172:173]
	s_waitcnt vmcnt(1) lgkmcnt(1)
	v_mul_f64 v[186:187], v[180:181], v[178:179]
	v_add_f64 v[184:185], v[192:193], v[184:185]
	v_fmac_f64_e32 v[186:187], v[182:183], v[176:177]
	v_add_f64 v[184:185], v[184:185], v[186:187]
	s_waitcnt vmcnt(0) lgkmcnt(0)
	v_mul_f64 v[186:187], v[168:169], v[202:203]
	v_fmac_f64_e32 v[186:187], v[170:171], v[200:201]
	v_add_f64 v[248:249], v[184:185], v[186:187]
	scratch_load_dwordx4 v[184:187], off, off offset:912
	v_add_f64 v[244:245], v[244:245], 0
	v_add_f64 v[244:245], v[244:245], v[246:247]
	;; [unrolled: 1-line block ×3, first 2 shown]
	scratch_load_dwordx4 v[244:247], off, off offset:368
	v_add_f64 v[196:197], v[242:243], v[196:197]
	v_mul_f64 v[6:7], v[66:67], v[6:7]
	v_add_f64 v[196:197], v[196:197], v[198:199]
	v_fma_f64 v[4:5], v[64:65], v[4:5], -v[6:7]
	v_mul_f64 v[6:7], v[78:79], v[10:11]
	v_add_f64 v[4:5], v[196:197], v[4:5]
	v_fma_f64 v[6:7], v[76:77], v[8:9], -v[6:7]
	v_add_f64 v[4:5], v[4:5], v[6:7]
	v_mul_f64 v[6:7], v[74:75], v[14:15]
	v_fma_f64 v[6:7], v[72:73], v[12:13], -v[6:7]
	v_add_f64 v[4:5], v[4:5], v[6:7]
	v_mul_f64 v[6:7], v[70:71], v[18:19]
	;; [unrolled: 3-line block ×24, first 2 shown]
	ds_read_b128 v[192:195], v2 offset:1808
	v_fma_f64 v[6:7], v[160:161], v[172:173], -v[6:7]
	v_add_f64 v[4:5], v[4:5], v[6:7]
	v_mul_f64 v[6:7], v[182:183], v[178:179]
	v_fma_f64 v[6:7], v[180:181], v[176:177], -v[6:7]
	v_add_f64 v[4:5], v[4:5], v[6:7]
	v_mul_f64 v[6:7], v[170:171], v[202:203]
	v_fma_f64 v[6:7], v[168:169], v[200:201], -v[6:7]
	s_waitcnt vmcnt(1) lgkmcnt(0)
	v_mul_f64 v[2:3], v[192:193], v[186:187]
	v_add_f64 v[4:5], v[4:5], v[6:7]
	v_mul_f64 v[6:7], v[194:195], v[186:187]
	v_fmac_f64_e32 v[2:3], v[194:195], v[184:185]
	v_fma_f64 v[6:7], v[192:193], v[184:185], -v[6:7]
	v_add_f64 v[2:3], v[248:249], v[2:3]
	v_add_f64 v[4:5], v[4:5], v[6:7]
	s_waitcnt vmcnt(0)
	v_add_f64 v[4:5], v[244:245], -v[4:5]
	v_add_f64 v[6:7], v[246:247], -v[2:3]
	scratch_store_dwordx4 off, v[4:7], off offset:368
	s_and_saveexec_b64 s[0:1], vcc
	s_cbranch_execz .LBB120_313
; %bb.312:
	scratch_load_dwordx4 v[2:5], off, s52
	v_mov_b32_e32 v6, 0
	v_mov_b32_e32 v7, v6
	;; [unrolled: 1-line block ×4, first 2 shown]
	v_accvgpr_read_b32 v0, a115
	scratch_store_dwordx4 off, v[6:9], off offset:352
	s_waitcnt vmcnt(1)
	ds_write_b128 v0, v[2:5]
.LBB120_313:
	s_or_b64 exec, exec, s[0:1]
	s_waitcnt lgkmcnt(0)
	; wave barrier
	scratch_load_dwordx4 v[184:187], off, off offset:368
	scratch_load_dwordx4 v[188:191], off, off offset:384
	;; [unrolled: 1-line block ×32, first 2 shown]
	v_mov_b32_e32 v2, 0
	ds_read_b128 v[192:195], v2 offset:1264
	ds_read_b128 v[204:207], v2 offset:1280
	;; [unrolled: 1-line block ×16, first 2 shown]
	v_cmp_lt_u32_e32 vcc, 20, v240
	s_waitcnt vmcnt(31) lgkmcnt(14)
	v_mul_f64 v[104:105], v[192:193], v[186:187]
	s_waitcnt vmcnt(30)
	v_mul_f64 v[106:107], v[204:205], v[190:191]
	v_fmac_f64_e32 v[104:105], v[194:195], v[184:185]
	s_waitcnt vmcnt(29) lgkmcnt(13)
	v_mul_f64 v[112:113], v[216:217], v[198:199]
	v_fmac_f64_e32 v[106:107], v[206:207], v[188:189]
	v_add_f64 v[104:105], v[104:105], 0
	s_waitcnt vmcnt(28) lgkmcnt(12)
	v_mul_f64 v[114:115], v[224:225], v[202:203]
	v_fmac_f64_e32 v[112:113], v[218:219], v[196:197]
	v_add_f64 v[104:105], v[104:105], v[106:107]
	;; [unrolled: 4-line block ×10, first 2 shown]
	ds_read_b128 v[152:155], v2 offset:1520
	ds_read_b128 v[156:159], v2 offset:1536
	s_waitcnt vmcnt(19) lgkmcnt(5)
	v_mul_f64 v[164:165], v[124:125], v[26:27]
	v_fmac_f64_e32 v[162:163], v[134:135], v[20:21]
	v_add_f64 v[104:105], v[104:105], v[160:161]
	s_waitcnt vmcnt(18) lgkmcnt(4)
	v_mul_f64 v[166:167], v[120:121], v[30:31]
	v_fmac_f64_e32 v[164:165], v[126:127], v[24:25]
	v_add_f64 v[104:105], v[104:105], v[162:163]
	;; [unrolled: 4-line block ×4, first 2 shown]
	v_add_f64 v[112:113], v[104:105], v[168:169]
	v_fmac_f64_e32 v[170:171], v[110:111], v[36:37]
	scratch_load_dwordx4 v[104:107], off, off offset:880
	s_waitcnt vmcnt(16) lgkmcnt(1)
	v_mul_f64 v[114:115], v[152:153], v[42:43]
	v_add_f64 v[112:113], v[112:113], v[170:171]
	v_fmac_f64_e32 v[114:115], v[154:155], v[40:41]
	v_add_f64 v[128:129], v[112:113], v[114:115]
	scratch_load_dwordx4 v[112:115], off, off offset:896
	s_waitcnt vmcnt(16) lgkmcnt(0)
	v_mul_f64 v[130:131], v[156:157], v[46:47]
	v_fmac_f64_e32 v[130:131], v[158:159], v[44:45]
	v_add_f64 v[168:169], v[128:129], v[130:131]
	scratch_load_dwordx4 v[128:131], off, off offset:912
	ds_read_b128 v[160:163], v2 offset:1552
	ds_read_b128 v[164:167], v2 offset:1568
	v_mul_f64 v[186:187], v[194:195], v[186:187]
	v_fma_f64 v[250:251], v[192:193], v[184:185], -v[186:187]
	ds_read_b128 v[184:187], v2 offset:1648
	s_waitcnt vmcnt(16) lgkmcnt(2)
	v_mul_f64 v[170:171], v[160:161], v[50:51]
	v_fmac_f64_e32 v[170:171], v[162:163], v[48:49]
	s_waitcnt vmcnt(15) lgkmcnt(1)
	v_mul_f64 v[174:175], v[164:165], v[54:55]
	v_add_f64 v[172:173], v[168:169], v[170:171]
	ds_read_b128 v[168:171], v2 offset:1584
	v_fmac_f64_e32 v[174:175], v[166:167], v[52:53]
	v_add_f64 v[176:177], v[172:173], v[174:175]
	ds_read_b128 v[172:175], v2 offset:1600
	v_mul_f64 v[190:191], v[206:207], v[190:191]
	s_waitcnt vmcnt(14) lgkmcnt(1)
	v_mul_f64 v[178:179], v[168:169], v[58:59]
	v_fmac_f64_e32 v[178:179], v[170:171], v[56:57]
	v_add_f64 v[180:181], v[176:177], v[178:179]
	s_waitcnt vmcnt(13) lgkmcnt(0)
	v_mul_f64 v[182:183], v[172:173], v[62:63]
	ds_read_b128 v[176:179], v2 offset:1616
	v_fmac_f64_e32 v[182:183], v[174:175], v[60:61]
	v_add_f64 v[232:233], v[180:181], v[182:183]
	ds_read_b128 v[180:183], v2 offset:1632
	v_fma_f64 v[252:253], v[204:205], v[188:189], -v[190:191]
	s_waitcnt vmcnt(12) lgkmcnt(1)
	v_mul_f64 v[234:235], v[176:177], v[66:67]
	v_fmac_f64_e32 v[234:235], v[178:179], v[64:65]
	v_add_f64 v[232:233], v[232:233], v[234:235]
	s_waitcnt vmcnt(11) lgkmcnt(0)
	v_mul_f64 v[192:193], v[180:181], v[70:71]
	v_fmac_f64_e32 v[192:193], v[182:183], v[68:69]
	ds_read_b128 v[188:191], v2 offset:1664
	s_waitcnt vmcnt(10)
	v_mul_f64 v[194:195], v[184:185], v[74:75]
	v_add_f64 v[192:193], v[232:233], v[192:193]
	v_fmac_f64_e32 v[194:195], v[186:187], v[72:73]
	v_add_f64 v[204:205], v[192:193], v[194:195]
	ds_read_b128 v[192:195], v2 offset:1680
	v_mul_f64 v[198:199], v[218:219], v[198:199]
	v_fma_f64 v[254:255], v[216:217], v[196:197], -v[198:199]
	ds_read_b128 v[196:199], v2 offset:1696
	s_waitcnt vmcnt(9) lgkmcnt(2)
	v_mul_f64 v[206:207], v[188:189], v[78:79]
	v_fmac_f64_e32 v[206:207], v[190:191], v[76:77]
	v_add_f64 v[204:205], v[204:205], v[206:207]
	s_waitcnt vmcnt(8) lgkmcnt(1)
	v_mul_f64 v[206:207], v[192:193], v[82:83]
	v_fmac_f64_e32 v[206:207], v[194:195], v[80:81]
	v_mul_f64 v[202:203], v[226:227], v[202:203]
	v_add_f64 v[204:205], v[204:205], v[206:207]
	v_fma_f64 v[234:235], v[224:225], v[200:201], -v[202:203]
	ds_read_b128 v[200:203], v2 offset:1712
	s_waitcnt vmcnt(7) lgkmcnt(1)
	v_mul_f64 v[206:207], v[196:197], v[86:87]
	v_fmac_f64_e32 v[206:207], v[198:199], v[84:85]
	v_add_f64 v[216:217], v[204:205], v[206:207]
	ds_read_b128 v[204:207], v2 offset:1728
	v_mul_f64 v[210:211], v[230:231], v[210:211]
	v_fma_f64 v[236:237], v[228:229], v[208:209], -v[210:211]
	ds_read_b128 v[208:211], v2 offset:1744
	s_waitcnt vmcnt(6) lgkmcnt(2)
	v_mul_f64 v[218:219], v[200:201], v[90:91]
	v_fmac_f64_e32 v[218:219], v[202:203], v[88:89]
	v_add_f64 v[216:217], v[216:217], v[218:219]
	s_waitcnt vmcnt(5) lgkmcnt(1)
	v_mul_f64 v[218:219], v[204:205], v[94:95]
	v_fmac_f64_e32 v[218:219], v[206:207], v[92:93]
	v_mul_f64 v[214:215], v[244:245], v[214:215]
	v_fma_f64 v[238:239], v[242:243], v[212:213], -v[214:215]
	ds_read_b128 v[212:215], v2 offset:1760
	v_add_f64 v[216:217], v[216:217], v[218:219]
	s_waitcnt vmcnt(4) lgkmcnt(1)
	v_mul_f64 v[218:219], v[208:209], v[102:103]
	v_fmac_f64_e32 v[218:219], v[210:211], v[100:101]
	v_add_f64 v[224:225], v[216:217], v[218:219]
	ds_read_b128 v[216:219], v2 offset:1776
	v_mul_f64 v[222:223], v[248:249], v[222:223]
	v_fma_f64 v[242:243], v[246:247], v[220:221], -v[222:223]
	ds_read_b128 v[220:223], v2 offset:1792
	s_waitcnt vmcnt(3) lgkmcnt(2)
	v_mul_f64 v[226:227], v[212:213], v[98:99]
	v_fmac_f64_e32 v[226:227], v[214:215], v[96:97]
	v_add_f64 v[224:225], v[224:225], v[226:227]
	s_waitcnt vmcnt(2) lgkmcnt(1)
	v_mul_f64 v[226:227], v[216:217], v[106:107]
	v_fmac_f64_e32 v[226:227], v[218:219], v[104:105]
	v_add_f64 v[224:225], v[224:225], v[226:227]
	;; [unrolled: 4-line block ×3, first 2 shown]
	ds_read_b128 v[224:227], v2 offset:1808
	v_mul_f64 v[6:7], v[150:151], v[6:7]
	v_fma_f64 v[4:5], v[148:149], v[4:5], -v[6:7]
	v_mul_f64 v[6:7], v[146:147], v[10:11]
	v_fma_f64 v[6:7], v[144:145], v[8:9], -v[6:7]
	s_waitcnt vmcnt(0) lgkmcnt(0)
	v_mul_f64 v[230:231], v[224:225], v[130:131]
	v_fmac_f64_e32 v[230:231], v[226:227], v[128:129]
	v_add_f64 v[232:233], v[228:229], v[230:231]
	v_add_f64 v[228:229], v[250:251], 0
	;; [unrolled: 1-line block ×4, first 2 shown]
	scratch_load_dwordx4 v[228:231], off, off offset:352
	v_add_f64 v[234:235], v[244:245], v[234:235]
	v_add_f64 v[234:235], v[234:235], v[236:237]
	;; [unrolled: 1-line block ×6, first 2 shown]
	v_mul_f64 v[6:7], v[142:143], v[14:15]
	v_fma_f64 v[6:7], v[140:141], v[12:13], -v[6:7]
	v_add_f64 v[4:5], v[4:5], v[6:7]
	v_mul_f64 v[6:7], v[138:139], v[18:19]
	v_fma_f64 v[6:7], v[136:137], v[16:17], -v[6:7]
	v_add_f64 v[4:5], v[4:5], v[6:7]
	;; [unrolled: 3-line block ×26, first 2 shown]
	s_waitcnt vmcnt(0)
	v_add_f64 v[4:5], v[228:229], -v[4:5]
	v_add_f64 v[6:7], v[230:231], -v[232:233]
	scratch_store_dwordx4 off, v[4:7], off offset:352
	s_and_saveexec_b64 s[0:1], vcc
	s_cbranch_execz .LBB120_315
; %bb.314:
	scratch_load_dwordx4 v[6:9], off, s53
	v_mov_b32_e32 v3, v2
	v_mov_b32_e32 v4, v2
	;; [unrolled: 1-line block ×3, first 2 shown]
	v_accvgpr_read_b32 v0, a115
	scratch_store_dwordx4 off, v[2:5], off offset:336
	s_waitcnt vmcnt(1)
	ds_write_b128 v0, v[6:9]
.LBB120_315:
	s_or_b64 exec, exec, s[0:1]
	s_waitcnt lgkmcnt(0)
	; wave barrier
	scratch_load_dwordx4 v[140:143], off, off offset:352
	scratch_load_dwordx4 v[144:147], off, off offset:368
	;; [unrolled: 1-line block ×16, first 2 shown]
	ds_read_b128 v[208:211], v2 offset:1248
	ds_read_b128 v[200:203], v2 offset:1264
	;; [unrolled: 1-line block ×3, first 2 shown]
	scratch_load_dwordx4 v[40:43], off, off offset:608
	ds_read_b128 v[204:207], v2 offset:1296
	ds_read_b128 v[192:195], v2 offset:1312
	;; [unrolled: 1-line block ×3, first 2 shown]
	scratch_load_dwordx4 v[44:47], off, off offset:624
	ds_read_b128 v[196:199], v2 offset:1344
	ds_read_b128 v[64:67], v2 offset:1360
	;; [unrolled: 1-line block ×4, first 2 shown]
	scratch_load_dwordx4 v[48:51], off, off offset:640
	ds_read_b128 v[72:75], v2 offset:1408
	ds_read_b128 v[68:71], v2 offset:1424
	scratch_load_dwordx4 v[56:59], off, off offset:656
	ds_read_b128 v[92:95], v2 offset:1440
	ds_read_b128 v[88:91], v2 offset:1456
	;; [unrolled: 1-line block ×4, first 2 shown]
	scratch_load_dwordx4 v[76:79], off, off offset:672
	scratch_load_dwordx4 v[96:99], off, off offset:688
	;; [unrolled: 1-line block ×12, first 2 shown]
	ds_read_b128 v[168:171], v2 offset:1504
	v_accvgpr_write_b32 a114, v240
	v_cmp_lt_u32_e32 vcc, 19, v240
	s_waitcnt vmcnt(31) lgkmcnt(14)
	v_mul_f64 v[172:173], v[208:209], v[142:143]
	s_waitcnt vmcnt(30)
	v_mul_f64 v[174:175], v[200:201], v[146:147]
	v_fmac_f64_e32 v[172:173], v[210:211], v[140:141]
	s_waitcnt vmcnt(29)
	v_mul_f64 v[176:177], v[188:189], v[150:151]
	v_fmac_f64_e32 v[174:175], v[202:203], v[144:145]
	v_add_f64 v[172:173], v[172:173], 0
	s_waitcnt vmcnt(28) lgkmcnt(13)
	v_mul_f64 v[178:179], v[204:205], v[154:155]
	v_fmac_f64_e32 v[176:177], v[190:191], v[148:149]
	v_add_f64 v[172:173], v[172:173], v[174:175]
	s_waitcnt vmcnt(27) lgkmcnt(12)
	;; [unrolled: 4-line block ×10, first 2 shown]
	v_mul_f64 v[224:225], v[92:93], v[26:27]
	v_fmac_f64_e32 v[222:223], v[70:71], v[20:21]
	v_add_f64 v[172:173], v[172:173], v[220:221]
	ds_read_b128 v[212:215], v2 offset:1520
	s_waitcnt vmcnt(18) lgkmcnt(4)
	v_mul_f64 v[226:227], v[88:89], v[30:31]
	v_fmac_f64_e32 v[224:225], v[94:95], v[24:25]
	v_add_f64 v[172:173], v[172:173], v[222:223]
	ds_read_b128 v[216:219], v2 offset:1536
	ds_read_b128 v[220:223], v2 offset:1552
	s_waitcnt vmcnt(17) lgkmcnt(5)
	v_mul_f64 v[228:229], v[84:85], v[34:35]
	v_fmac_f64_e32 v[226:227], v[90:91], v[28:29]
	v_add_f64 v[172:173], v[172:173], v[224:225]
	s_waitcnt vmcnt(16) lgkmcnt(4)
	v_mul_f64 v[230:231], v[80:81], v[38:39]
	v_fmac_f64_e32 v[228:229], v[86:87], v[32:33]
	v_add_f64 v[172:173], v[172:173], v[226:227]
	v_add_f64 v[176:177], v[172:173], v[228:229]
	v_fmac_f64_e32 v[230:231], v[82:83], v[36:37]
	s_waitcnt vmcnt(15) lgkmcnt(3)
	v_mul_f64 v[178:179], v[168:169], v[42:43]
	v_add_f64 v[176:177], v[176:177], v[230:231]
	v_fmac_f64_e32 v[178:179], v[170:171], v[40:41]
	s_waitcnt vmcnt(14) lgkmcnt(2)
	v_mul_f64 v[182:183], v[212:213], v[46:47]
	v_add_f64 v[180:181], v[176:177], v[178:179]
	v_fmac_f64_e32 v[182:183], v[214:215], v[44:45]
	s_waitcnt vmcnt(13) lgkmcnt(1)
	v_mul_f64 v[226:227], v[216:217], v[50:51]
	v_add_f64 v[224:225], v[180:181], v[182:183]
	v_fmac_f64_e32 v[226:227], v[218:219], v[48:49]
	v_add_f64 v[228:229], v[224:225], v[226:227]
	ds_read_b128 v[224:227], v2 offset:1568
	s_waitcnt vmcnt(12) lgkmcnt(1)
	v_mul_f64 v[230:231], v[220:221], v[58:59]
	v_fmac_f64_e32 v[230:231], v[222:223], v[56:57]
	v_add_f64 v[232:233], v[228:229], v[230:231]
	ds_read_b128 v[228:231], v2 offset:1584
	s_waitcnt vmcnt(11) lgkmcnt(1)
	v_mul_f64 v[234:235], v[224:225], v[78:79]
	;; [unrolled: 5-line block ×4, first 2 shown]
	v_fmac_f64_e32 v[244:245], v[234:235], v[100:101]
	v_mul_f64 v[142:143], v[210:211], v[142:143]
	v_add_f64 v[242:243], v[242:243], v[244:245]
	v_fma_f64 v[244:245], v[208:209], v[140:141], -v[142:143]
	ds_read_b128 v[140:143], v2 offset:1632
	s_waitcnt vmcnt(8) lgkmcnt(1)
	v_mul_f64 v[208:209], v[236:237], v[106:107]
	v_fmac_f64_e32 v[208:209], v[238:239], v[104:105]
	v_mul_f64 v[146:147], v[202:203], v[146:147]
	v_add_f64 v[208:209], v[242:243], v[208:209]
	v_fma_f64 v[242:243], v[200:201], v[144:145], -v[146:147]
	ds_read_b128 v[144:147], v2 offset:1648
	s_waitcnt vmcnt(7) lgkmcnt(1)
	v_mul_f64 v[200:201], v[140:141], v[110:111]
	scratch_load_dwordx4 v[172:175], off, off offset:864
	v_fmac_f64_e32 v[200:201], v[142:143], v[108:109]
	v_add_f64 v[208:209], v[208:209], v[200:201]
	ds_read_b128 v[200:203], v2 offset:1664
	v_mul_f64 v[150:151], v[190:191], v[150:151]
	scratch_load_dwordx4 v[176:179], off, off offset:880
	scratch_load_dwordx4 v[180:183], off, off offset:896
	v_fma_f64 v[246:247], v[188:189], v[148:149], -v[150:151]
	ds_read_b128 v[148:151], v2 offset:1680
	s_waitcnt vmcnt(9) lgkmcnt(2)
	v_mul_f64 v[210:211], v[144:145], v[114:115]
	v_fmac_f64_e32 v[210:211], v[146:147], v[112:113]
	s_waitcnt vmcnt(8) lgkmcnt(1)
	v_mul_f64 v[188:189], v[200:201], v[118:119]
	v_add_f64 v[208:209], v[208:209], v[210:211]
	v_fmac_f64_e32 v[188:189], v[202:203], v[116:117]
	v_mul_f64 v[154:155], v[206:207], v[154:155]
	s_waitcnt vmcnt(7) lgkmcnt(0)
	v_mul_f64 v[190:191], v[148:149], v[122:123]
	v_add_f64 v[188:189], v[208:209], v[188:189]
	v_fma_f64 v[248:249], v[204:205], v[152:153], -v[154:155]
	ds_read_b128 v[152:155], v2 offset:1696
	v_fmac_f64_e32 v[190:191], v[150:151], v[120:121]
	v_add_f64 v[204:205], v[188:189], v[190:191]
	ds_read_b128 v[188:191], v2 offset:1712
	v_mul_f64 v[158:159], v[194:195], v[158:159]
	s_waitcnt vmcnt(6) lgkmcnt(1)
	v_mul_f64 v[206:207], v[152:153], v[126:127]
	v_fmac_f64_e32 v[206:207], v[154:155], v[124:125]
	v_fma_f64 v[250:251], v[192:193], v[156:157], -v[158:159]
	s_waitcnt vmcnt(5) lgkmcnt(0)
	v_mul_f64 v[192:193], v[188:189], v[130:131]
	v_add_f64 v[204:205], v[204:205], v[206:207]
	v_fmac_f64_e32 v[192:193], v[190:191], v[128:129]
	v_mul_f64 v[162:163], v[186:187], v[162:163]
	v_fma_f64 v[208:209], v[184:185], v[160:161], -v[162:163]
	v_add_f64 v[184:185], v[204:205], v[192:193]
	scratch_load_dwordx4 v[204:207], off, off offset:912
	v_add_f64 v[244:245], v[244:245], 0
	v_add_f64 v[242:243], v[244:245], v[242:243]
	;; [unrolled: 1-line block ×3, first 2 shown]
	scratch_load_dwordx4 v[244:247], off, off offset:336
	v_add_f64 v[242:243], v[242:243], v[248:249]
	v_mul_f64 v[166:167], v[198:199], v[166:167]
	v_add_f64 v[242:243], v[242:243], v[250:251]
	v_fma_f64 v[210:211], v[196:197], v[164:165], -v[166:167]
	v_add_f64 v[208:209], v[242:243], v[208:209]
	v_mul_f64 v[6:7], v[66:67], v[6:7]
	v_add_f64 v[208:209], v[208:209], v[210:211]
	v_fma_f64 v[4:5], v[64:65], v[4:5], -v[6:7]
	v_mul_f64 v[6:7], v[62:63], v[10:11]
	v_add_f64 v[4:5], v[208:209], v[4:5]
	v_fma_f64 v[6:7], v[60:61], v[8:9], -v[6:7]
	v_add_f64 v[4:5], v[4:5], v[6:7]
	v_mul_f64 v[6:7], v[54:55], v[14:15]
	v_fma_f64 v[6:7], v[52:53], v[12:13], -v[6:7]
	v_add_f64 v[4:5], v[4:5], v[6:7]
	v_mul_f64 v[6:7], v[74:75], v[18:19]
	;; [unrolled: 3-line block ×12, first 2 shown]
	v_fma_f64 v[6:7], v[224:225], v[76:77], -v[6:7]
	ds_read_b128 v[156:159], v2 offset:1728
	ds_read_b128 v[160:163], v2 offset:1744
	v_add_f64 v[4:5], v[4:5], v[6:7]
	v_mul_f64 v[6:7], v[230:231], v[98:99]
	v_fma_f64 v[6:7], v[228:229], v[96:97], -v[6:7]
	v_add_f64 v[4:5], v[4:5], v[6:7]
	v_mul_f64 v[6:7], v[234:235], v[102:103]
	v_fma_f64 v[6:7], v[232:233], v[100:101], -v[6:7]
	v_add_f64 v[4:5], v[4:5], v[6:7]
	v_mul_f64 v[6:7], v[238:239], v[106:107]
	s_waitcnt vmcnt(6) lgkmcnt(1)
	v_mul_f64 v[186:187], v[156:157], v[138:139]
	v_fma_f64 v[6:7], v[236:237], v[104:105], -v[6:7]
	v_fmac_f64_e32 v[186:187], v[158:159], v[136:137]
	v_add_f64 v[4:5], v[4:5], v[6:7]
	v_mul_f64 v[6:7], v[142:143], v[110:111]
	v_add_f64 v[192:193], v[184:185], v[186:187]
	ds_read_b128 v[184:187], v2 offset:1760
	ds_read_b128 v[164:167], v2 offset:1776
	v_fma_f64 v[6:7], v[140:141], v[108:109], -v[6:7]
	v_add_f64 v[4:5], v[4:5], v[6:7]
	v_mul_f64 v[6:7], v[146:147], v[114:115]
	v_fma_f64 v[6:7], v[144:145], v[112:113], -v[6:7]
	s_waitcnt vmcnt(5) lgkmcnt(2)
	v_mul_f64 v[194:195], v[160:161], v[134:135]
	v_add_f64 v[4:5], v[4:5], v[6:7]
	v_mul_f64 v[6:7], v[202:203], v[118:119]
	v_fmac_f64_e32 v[194:195], v[162:163], v[132:133]
	v_fma_f64 v[6:7], v[200:201], v[116:117], -v[6:7]
	v_add_f64 v[192:193], v[192:193], v[194:195]
	s_waitcnt vmcnt(4) lgkmcnt(1)
	v_mul_f64 v[194:195], v[184:185], v[174:175]
	v_add_f64 v[4:5], v[4:5], v[6:7]
	v_mul_f64 v[6:7], v[150:151], v[122:123]
	v_fmac_f64_e32 v[194:195], v[186:187], v[172:173]
	v_fma_f64 v[6:7], v[148:149], v[120:121], -v[6:7]
	v_add_f64 v[192:193], v[192:193], v[194:195]
	;; [unrolled: 7-line block ×3, first 2 shown]
	ds_read_b128 v[192:195], v2 offset:1792
	v_add_f64 v[4:5], v[4:5], v[6:7]
	v_mul_f64 v[6:7], v[190:191], v[130:131]
	v_fma_f64 v[6:7], v[188:189], v[128:129], -v[6:7]
	v_add_f64 v[4:5], v[4:5], v[6:7]
	v_mul_f64 v[6:7], v[158:159], v[138:139]
	v_fma_f64 v[6:7], v[156:157], v[136:137], -v[6:7]
	v_add_f64 v[4:5], v[4:5], v[6:7]
	v_mul_f64 v[6:7], v[162:163], v[134:135]
	s_waitcnt vmcnt(2) lgkmcnt(0)
	v_mul_f64 v[198:199], v[192:193], v[182:183]
	v_fma_f64 v[6:7], v[160:161], v[132:133], -v[6:7]
	v_fmac_f64_e32 v[198:199], v[194:195], v[180:181]
	v_add_f64 v[4:5], v[4:5], v[6:7]
	v_mul_f64 v[6:7], v[186:187], v[174:175]
	v_add_f64 v[252:253], v[196:197], v[198:199]
	ds_read_b128 v[196:199], v2 offset:1808
	v_fma_f64 v[6:7], v[184:185], v[172:173], -v[6:7]
	v_add_f64 v[4:5], v[4:5], v[6:7]
	v_mul_f64 v[6:7], v[166:167], v[178:179]
	v_fma_f64 v[6:7], v[164:165], v[176:177], -v[6:7]
	v_add_f64 v[4:5], v[4:5], v[6:7]
	v_mul_f64 v[6:7], v[194:195], v[182:183]
	v_fma_f64 v[6:7], v[192:193], v[180:181], -v[6:7]
	s_waitcnt vmcnt(1) lgkmcnt(0)
	v_mul_f64 v[2:3], v[196:197], v[206:207]
	v_add_f64 v[4:5], v[4:5], v[6:7]
	v_mul_f64 v[6:7], v[198:199], v[206:207]
	v_fmac_f64_e32 v[2:3], v[198:199], v[204:205]
	v_fma_f64 v[6:7], v[196:197], v[204:205], -v[6:7]
	v_add_f64 v[2:3], v[252:253], v[2:3]
	v_add_f64 v[4:5], v[4:5], v[6:7]
	s_waitcnt vmcnt(0)
	v_add_f64 v[4:5], v[244:245], -v[4:5]
	v_add_f64 v[6:7], v[246:247], -v[2:3]
	scratch_store_dwordx4 off, v[4:7], off offset:336
	s_and_saveexec_b64 s[0:1], vcc
	s_cbranch_execz .LBB120_317
; %bb.316:
	scratch_load_dwordx4 v[2:5], off, s54
	v_mov_b32_e32 v6, 0
	v_mov_b32_e32 v7, v6
	;; [unrolled: 1-line block ×4, first 2 shown]
	v_accvgpr_read_b32 v0, a115
	scratch_store_dwordx4 off, v[6:9], off offset:320
	s_waitcnt vmcnt(1)
	ds_write_b128 v0, v[2:5]
.LBB120_317:
	s_or_b64 exec, exec, s[0:1]
	s_waitcnt lgkmcnt(0)
	; wave barrier
	scratch_load_dwordx4 v[168:171], off, off offset:336
	scratch_load_dwordx4 v[172:175], off, off offset:352
	;; [unrolled: 1-line block ×32, first 2 shown]
	v_mov_b32_e32 v2, 0
	ds_read_b128 v[176:179], v2 offset:1232
	ds_read_b128 v[188:191], v2 offset:1248
	;; [unrolled: 1-line block ×17, first 2 shown]
	v_accvgpr_read_b32 v0, a114
	v_cmp_lt_u32_e32 vcc, 18, v0
	s_waitcnt vmcnt(31) lgkmcnt(14)
	v_mul_f64 v[104:105], v[176:177], v[170:171]
	s_waitcnt vmcnt(30)
	v_mul_f64 v[106:107], v[188:189], v[174:175]
	v_fmac_f64_e32 v[104:105], v[178:179], v[168:169]
	s_waitcnt vmcnt(29)
	v_mul_f64 v[108:109], v[200:201], v[182:183]
	v_fmac_f64_e32 v[106:107], v[190:191], v[172:173]
	v_add_f64 v[104:105], v[104:105], 0
	s_waitcnt vmcnt(28) lgkmcnt(13)
	v_mul_f64 v[110:111], v[212:213], v[186:187]
	v_fmac_f64_e32 v[108:109], v[202:203], v[180:181]
	v_add_f64 v[104:105], v[104:105], v[106:107]
	s_waitcnt vmcnt(27) lgkmcnt(12)
	v_mul_f64 v[120:121], v[220:221], v[194:195]
	v_fmac_f64_e32 v[110:111], v[214:215], v[184:185]
	v_add_f64 v[104:105], v[104:105], v[108:109]
	s_waitcnt vmcnt(26) lgkmcnt(11)
	v_mul_f64 v[122:123], v[224:225], v[198:199]
	v_fmac_f64_e32 v[120:121], v[222:223], v[192:193]
	v_add_f64 v[104:105], v[104:105], v[110:111]
	s_waitcnt vmcnt(25) lgkmcnt(10)
	v_mul_f64 v[132:133], v[228:229], v[206:207]
	v_fmac_f64_e32 v[122:123], v[226:227], v[196:197]
	v_add_f64 v[104:105], v[104:105], v[120:121]
	s_waitcnt vmcnt(24) lgkmcnt(9)
	v_mul_f64 v[134:135], v[242:243], v[210:211]
	v_fmac_f64_e32 v[132:133], v[230:231], v[204:205]
	v_add_f64 v[104:105], v[104:105], v[122:123]
	s_waitcnt vmcnt(23) lgkmcnt(8)
	v_mul_f64 v[144:145], v[246:247], v[218:219]
	v_fmac_f64_e32 v[134:135], v[244:245], v[208:209]
	v_add_f64 v[104:105], v[104:105], v[132:133]
	s_waitcnt vmcnt(22) lgkmcnt(7)
	v_mul_f64 v[146:147], v[140:141], v[6:7]
	v_fmac_f64_e32 v[144:145], v[248:249], v[216:217]
	v_add_f64 v[104:105], v[104:105], v[134:135]
	s_waitcnt vmcnt(21) lgkmcnt(6)
	v_mul_f64 v[148:149], v[136:137], v[10:11]
	v_fmac_f64_e32 v[146:147], v[142:143], v[4:5]
	v_add_f64 v[104:105], v[104:105], v[144:145]
	s_waitcnt vmcnt(20) lgkmcnt(5)
	v_mul_f64 v[150:151], v[128:129], v[14:15]
	v_fmac_f64_e32 v[148:149], v[138:139], v[8:9]
	v_add_f64 v[104:105], v[104:105], v[146:147]
	s_waitcnt vmcnt(19) lgkmcnt(4)
	v_mul_f64 v[152:153], v[124:125], v[18:19]
	v_fmac_f64_e32 v[150:151], v[130:131], v[12:13]
	v_add_f64 v[104:105], v[104:105], v[148:149]
	s_waitcnt vmcnt(18) lgkmcnt(3)
	v_mul_f64 v[154:155], v[116:117], v[22:23]
	v_fmac_f64_e32 v[152:153], v[126:127], v[16:17]
	v_add_f64 v[104:105], v[104:105], v[150:151]
	s_waitcnt vmcnt(17) lgkmcnt(2)
	v_mul_f64 v[156:157], v[112:113], v[26:27]
	v_fmac_f64_e32 v[154:155], v[118:119], v[20:21]
	v_add_f64 v[104:105], v[104:105], v[152:153]
	v_fmac_f64_e32 v[156:157], v[114:115], v[24:25]
	v_add_f64 v[104:105], v[104:105], v[154:155]
	s_waitcnt vmcnt(16) lgkmcnt(1)
	v_mul_f64 v[106:107], v[100:101], v[30:31]
	v_add_f64 v[104:105], v[104:105], v[156:157]
	v_fmac_f64_e32 v[106:107], v[102:103], v[28:29]
	v_add_f64 v[108:109], v[104:105], v[106:107]
	ds_read_b128 v[144:147], v2 offset:1504
	ds_read_b128 v[148:151], v2 offset:1520
	scratch_load_dwordx4 v[104:107], off, off offset:848
	s_waitcnt vmcnt(16) lgkmcnt(2)
	v_mul_f64 v[110:111], v[96:97], v[34:35]
	v_fmac_f64_e32 v[110:111], v[98:99], v[32:33]
	v_add_f64 v[120:121], v[108:109], v[110:111]
	scratch_load_dwordx4 v[108:111], off, off offset:864
	s_waitcnt vmcnt(16) lgkmcnt(1)
	v_mul_f64 v[122:123], v[144:145], v[38:39]
	v_fmac_f64_e32 v[122:123], v[146:147], v[36:37]
	v_add_f64 v[132:133], v[120:121], v[122:123]
	s_waitcnt vmcnt(15) lgkmcnt(0)
	v_mul_f64 v[134:135], v[148:149], v[42:43]
	scratch_load_dwordx4 v[120:123], off, off offset:880
	v_fmac_f64_e32 v[134:135], v[150:151], v[40:41]
	v_add_f64 v[160:161], v[132:133], v[134:135]
	scratch_load_dwordx4 v[132:135], off, off offset:896
	ds_read_b128 v[152:155], v2 offset:1536
	ds_read_b128 v[156:159], v2 offset:1552
	v_mul_f64 v[170:171], v[178:179], v[170:171]
	v_fma_f64 v[250:251], v[176:177], v[168:169], -v[170:171]
	ds_read_b128 v[168:171], v2 offset:1600
	s_waitcnt vmcnt(16) lgkmcnt(2)
	v_mul_f64 v[162:163], v[152:153], v[46:47]
	v_fmac_f64_e32 v[162:163], v[154:155], v[44:45]
	s_waitcnt vmcnt(15) lgkmcnt(1)
	v_mul_f64 v[166:167], v[156:157], v[50:51]
	v_add_f64 v[164:165], v[160:161], v[162:163]
	ds_read_b128 v[160:163], v2 offset:1568
	v_fmac_f64_e32 v[166:167], v[158:159], v[48:49]
	v_add_f64 v[232:233], v[164:165], v[166:167]
	ds_read_b128 v[164:167], v2 offset:1584
	v_mul_f64 v[174:175], v[190:191], v[174:175]
	s_waitcnt vmcnt(14) lgkmcnt(1)
	v_mul_f64 v[234:235], v[160:161], v[54:55]
	v_fmac_f64_e32 v[234:235], v[162:163], v[52:53]
	v_add_f64 v[232:233], v[232:233], v[234:235]
	s_waitcnt vmcnt(13) lgkmcnt(0)
	v_mul_f64 v[176:177], v[164:165], v[58:59]
	v_fmac_f64_e32 v[176:177], v[166:167], v[56:57]
	v_fma_f64 v[252:253], v[188:189], v[172:173], -v[174:175]
	ds_read_b128 v[172:175], v2 offset:1616
	s_waitcnt vmcnt(12)
	v_mul_f64 v[178:179], v[168:169], v[62:63]
	v_add_f64 v[176:177], v[232:233], v[176:177]
	v_fmac_f64_e32 v[178:179], v[170:171], v[60:61]
	v_add_f64 v[188:189], v[176:177], v[178:179]
	ds_read_b128 v[176:179], v2 offset:1632
	v_mul_f64 v[182:183], v[202:203], v[182:183]
	v_fma_f64 v[254:255], v[200:201], v[180:181], -v[182:183]
	ds_read_b128 v[180:183], v2 offset:1648
	s_waitcnt vmcnt(11) lgkmcnt(2)
	v_mul_f64 v[190:191], v[172:173], v[66:67]
	v_fmac_f64_e32 v[190:191], v[174:175], v[64:65]
	v_add_f64 v[188:189], v[188:189], v[190:191]
	s_waitcnt vmcnt(10) lgkmcnt(1)
	v_mul_f64 v[190:191], v[176:177], v[70:71]
	v_fmac_f64_e32 v[190:191], v[178:179], v[68:69]
	v_mul_f64 v[186:187], v[214:215], v[186:187]
	v_fma_f64 v[240:241], v[212:213], v[184:185], -v[186:187]
	ds_read_b128 v[184:187], v2 offset:1664
	v_add_f64 v[188:189], v[188:189], v[190:191]
	s_waitcnt vmcnt(9) lgkmcnt(1)
	v_mul_f64 v[190:191], v[180:181], v[74:75]
	v_fmac_f64_e32 v[190:191], v[182:183], v[72:73]
	v_add_f64 v[200:201], v[188:189], v[190:191]
	ds_read_b128 v[188:191], v2 offset:1680
	v_mul_f64 v[194:195], v[222:223], v[194:195]
	v_fma_f64 v[232:233], v[220:221], v[192:193], -v[194:195]
	ds_read_b128 v[192:195], v2 offset:1696
	s_waitcnt vmcnt(8) lgkmcnt(2)
	v_mul_f64 v[202:203], v[184:185], v[78:79]
	v_fmac_f64_e32 v[202:203], v[186:187], v[76:77]
	v_add_f64 v[200:201], v[200:201], v[202:203]
	s_waitcnt vmcnt(7) lgkmcnt(1)
	v_mul_f64 v[202:203], v[188:189], v[82:83]
	v_fmac_f64_e32 v[202:203], v[190:191], v[80:81]
	v_mul_f64 v[198:199], v[226:227], v[198:199]
	v_add_f64 v[200:201], v[200:201], v[202:203]
	v_fma_f64 v[234:235], v[224:225], v[196:197], -v[198:199]
	ds_read_b128 v[196:199], v2 offset:1712
	s_waitcnt vmcnt(6) lgkmcnt(1)
	v_mul_f64 v[202:203], v[192:193], v[86:87]
	v_fmac_f64_e32 v[202:203], v[194:195], v[84:85]
	v_add_f64 v[212:213], v[200:201], v[202:203]
	ds_read_b128 v[200:203], v2 offset:1728
	v_mul_f64 v[206:207], v[230:231], v[206:207]
	v_fma_f64 v[236:237], v[228:229], v[204:205], -v[206:207]
	ds_read_b128 v[204:207], v2 offset:1744
	s_waitcnt vmcnt(5) lgkmcnt(2)
	v_mul_f64 v[214:215], v[196:197], v[94:95]
	v_fmac_f64_e32 v[214:215], v[198:199], v[92:93]
	v_add_f64 v[212:213], v[212:213], v[214:215]
	s_waitcnt vmcnt(4) lgkmcnt(1)
	v_mul_f64 v[214:215], v[200:201], v[90:91]
	v_fmac_f64_e32 v[214:215], v[202:203], v[88:89]
	v_mul_f64 v[210:211], v[244:245], v[210:211]
	v_fma_f64 v[238:239], v[242:243], v[208:209], -v[210:211]
	ds_read_b128 v[208:211], v2 offset:1760
	v_add_f64 v[212:213], v[212:213], v[214:215]
	s_waitcnt vmcnt(3) lgkmcnt(1)
	v_mul_f64 v[214:215], v[204:205], v[106:107]
	v_fmac_f64_e32 v[214:215], v[206:207], v[104:105]
	v_add_f64 v[220:221], v[212:213], v[214:215]
	ds_read_b128 v[212:215], v2 offset:1776
	v_mul_f64 v[218:219], v[248:249], v[218:219]
	v_fma_f64 v[242:243], v[246:247], v[216:217], -v[218:219]
	ds_read_b128 v[216:219], v2 offset:1792
	ds_read_b128 v[224:227], v2 offset:1808
	s_waitcnt vmcnt(2) lgkmcnt(3)
	v_mul_f64 v[222:223], v[208:209], v[110:111]
	v_fmac_f64_e32 v[222:223], v[210:211], v[108:109]
	v_add_f64 v[220:221], v[220:221], v[222:223]
	s_waitcnt vmcnt(1) lgkmcnt(2)
	v_mul_f64 v[222:223], v[212:213], v[122:123]
	v_fmac_f64_e32 v[222:223], v[214:215], v[120:121]
	v_add_f64 v[220:221], v[220:221], v[222:223]
	;; [unrolled: 4-line block ×3, first 2 shown]
	scratch_load_dwordx4 v[220:223], off, off offset:912
	v_mul_f64 v[6:7], v[142:143], v[6:7]
	v_fma_f64 v[4:5], v[140:141], v[4:5], -v[6:7]
	v_mul_f64 v[6:7], v[138:139], v[10:11]
	v_fma_f64 v[6:7], v[136:137], v[8:9], -v[6:7]
	s_waitcnt vmcnt(0) lgkmcnt(0)
	v_mul_f64 v[230:231], v[224:225], v[222:223]
	v_fmac_f64_e32 v[230:231], v[226:227], v[220:221]
	v_add_f64 v[246:247], v[228:229], v[230:231]
	v_add_f64 v[228:229], v[250:251], 0
	v_add_f64 v[228:229], v[228:229], v[252:253]
	v_add_f64 v[228:229], v[228:229], v[254:255]
	v_add_f64 v[228:229], v[228:229], v[240:241]
	v_add_f64 v[244:245], v[228:229], v[232:233]
	scratch_load_dwordx4 v[228:231], off, off offset:320
	v_add_f64 v[232:233], v[244:245], v[234:235]
	v_add_f64 v[232:233], v[232:233], v[236:237]
	;; [unrolled: 1-line block ×6, first 2 shown]
	v_mul_f64 v[6:7], v[130:131], v[14:15]
	v_fma_f64 v[6:7], v[128:129], v[12:13], -v[6:7]
	v_add_f64 v[4:5], v[4:5], v[6:7]
	v_mul_f64 v[6:7], v[126:127], v[18:19]
	v_fma_f64 v[6:7], v[124:125], v[16:17], -v[6:7]
	v_add_f64 v[4:5], v[4:5], v[6:7]
	v_mul_f64 v[6:7], v[118:119], v[22:23]
	v_fma_f64 v[6:7], v[116:117], v[20:21], -v[6:7]
	v_add_f64 v[4:5], v[4:5], v[6:7]
	v_mul_f64 v[6:7], v[114:115], v[26:27]
	v_fma_f64 v[6:7], v[112:113], v[24:25], -v[6:7]
	v_add_f64 v[4:5], v[4:5], v[6:7]
	v_mul_f64 v[6:7], v[102:103], v[30:31]
	v_fma_f64 v[6:7], v[100:101], v[28:29], -v[6:7]
	v_add_f64 v[4:5], v[4:5], v[6:7]
	v_mul_f64 v[6:7], v[98:99], v[34:35]
	v_fma_f64 v[6:7], v[96:97], v[32:33], -v[6:7]
	v_add_f64 v[4:5], v[4:5], v[6:7]
	v_mul_f64 v[6:7], v[146:147], v[38:39]
	v_fma_f64 v[6:7], v[144:145], v[36:37], -v[6:7]
	v_add_f64 v[4:5], v[4:5], v[6:7]
	v_mul_f64 v[6:7], v[150:151], v[42:43]
	v_fma_f64 v[6:7], v[148:149], v[40:41], -v[6:7]
	v_add_f64 v[4:5], v[4:5], v[6:7]
	v_mul_f64 v[6:7], v[154:155], v[46:47]
	v_fma_f64 v[6:7], v[152:153], v[44:45], -v[6:7]
	v_add_f64 v[4:5], v[4:5], v[6:7]
	v_mul_f64 v[6:7], v[158:159], v[50:51]
	v_fma_f64 v[6:7], v[156:157], v[48:49], -v[6:7]
	v_add_f64 v[4:5], v[4:5], v[6:7]
	v_mul_f64 v[6:7], v[162:163], v[54:55]
	v_fma_f64 v[6:7], v[160:161], v[52:53], -v[6:7]
	v_add_f64 v[4:5], v[4:5], v[6:7]
	v_mul_f64 v[6:7], v[166:167], v[58:59]
	v_fma_f64 v[6:7], v[164:165], v[56:57], -v[6:7]
	v_add_f64 v[4:5], v[4:5], v[6:7]
	v_mul_f64 v[6:7], v[170:171], v[62:63]
	v_fma_f64 v[6:7], v[168:169], v[60:61], -v[6:7]
	v_add_f64 v[4:5], v[4:5], v[6:7]
	v_mul_f64 v[6:7], v[174:175], v[66:67]
	v_fma_f64 v[6:7], v[172:173], v[64:65], -v[6:7]
	v_add_f64 v[4:5], v[4:5], v[6:7]
	v_mul_f64 v[6:7], v[178:179], v[70:71]
	v_fma_f64 v[6:7], v[176:177], v[68:69], -v[6:7]
	v_add_f64 v[4:5], v[4:5], v[6:7]
	v_mul_f64 v[6:7], v[182:183], v[74:75]
	v_fma_f64 v[6:7], v[180:181], v[72:73], -v[6:7]
	v_add_f64 v[4:5], v[4:5], v[6:7]
	v_mul_f64 v[6:7], v[186:187], v[78:79]
	v_fma_f64 v[6:7], v[184:185], v[76:77], -v[6:7]
	v_add_f64 v[4:5], v[4:5], v[6:7]
	v_mul_f64 v[6:7], v[190:191], v[82:83]
	v_fma_f64 v[6:7], v[188:189], v[80:81], -v[6:7]
	v_add_f64 v[4:5], v[4:5], v[6:7]
	v_mul_f64 v[6:7], v[194:195], v[86:87]
	v_fma_f64 v[6:7], v[192:193], v[84:85], -v[6:7]
	v_add_f64 v[4:5], v[4:5], v[6:7]
	v_mul_f64 v[6:7], v[198:199], v[94:95]
	v_fma_f64 v[6:7], v[196:197], v[92:93], -v[6:7]
	v_add_f64 v[4:5], v[4:5], v[6:7]
	v_mul_f64 v[6:7], v[202:203], v[90:91]
	v_fma_f64 v[6:7], v[200:201], v[88:89], -v[6:7]
	v_add_f64 v[4:5], v[4:5], v[6:7]
	v_mul_f64 v[6:7], v[206:207], v[106:107]
	v_fma_f64 v[6:7], v[204:205], v[104:105], -v[6:7]
	v_add_f64 v[4:5], v[4:5], v[6:7]
	v_mul_f64 v[6:7], v[210:211], v[110:111]
	v_fma_f64 v[6:7], v[208:209], v[108:109], -v[6:7]
	v_add_f64 v[4:5], v[4:5], v[6:7]
	v_mul_f64 v[6:7], v[214:215], v[122:123]
	v_fma_f64 v[6:7], v[212:213], v[120:121], -v[6:7]
	v_add_f64 v[4:5], v[4:5], v[6:7]
	v_mul_f64 v[6:7], v[218:219], v[134:135]
	v_fma_f64 v[6:7], v[216:217], v[132:133], -v[6:7]
	v_add_f64 v[4:5], v[4:5], v[6:7]
	v_mul_f64 v[6:7], v[226:227], v[222:223]
	v_fma_f64 v[6:7], v[224:225], v[220:221], -v[6:7]
	v_add_f64 v[4:5], v[4:5], v[6:7]
	s_waitcnt vmcnt(0)
	v_add_f64 v[4:5], v[228:229], -v[4:5]
	v_add_f64 v[6:7], v[230:231], -v[246:247]
	scratch_store_dwordx4 off, v[4:7], off offset:320
	s_and_saveexec_b64 s[0:1], vcc
	s_cbranch_execz .LBB120_319
; %bb.318:
	scratch_load_dwordx4 v[6:9], off, s55
	v_mov_b32_e32 v3, v2
	v_mov_b32_e32 v4, v2
	;; [unrolled: 1-line block ×3, first 2 shown]
	v_accvgpr_read_b32 v0, a115
	scratch_store_dwordx4 off, v[2:5], off offset:304
	s_waitcnt vmcnt(1)
	ds_write_b128 v0, v[6:9]
.LBB120_319:
	s_or_b64 exec, exec, s[0:1]
	s_waitcnt lgkmcnt(0)
	; wave barrier
	scratch_load_dwordx4 v[168:171], off, off offset:320
	scratch_load_dwordx4 v[172:175], off, off offset:336
	;; [unrolled: 1-line block ×16, first 2 shown]
	ds_read_b128 v[232:235], v2 offset:1216
	ds_read_b128 v[176:179], v2 offset:1232
	scratch_load_dwordx4 v[32:35], off, off offset:576
	ds_read_b128 v[236:239], v2 offset:1248
	ds_read_b128 v[188:191], v2 offset:1264
	;; [unrolled: 1-line block ×5, first 2 shown]
	scratch_load_dwordx4 v[36:39], off, off offset:592
	ds_read_b128 v[224:227], v2 offset:1328
	ds_read_b128 v[220:223], v2 offset:1344
	;; [unrolled: 1-line block ×3, first 2 shown]
	scratch_load_dwordx4 v[40:43], off, off offset:608
	ds_read_b128 v[64:67], v2 offset:1376
	ds_read_b128 v[60:63], v2 offset:1392
	;; [unrolled: 1-line block ×4, first 2 shown]
	scratch_load_dwordx4 v[48:51], off, off offset:624
	ds_read_b128 v[80:83], v2 offset:1440
	ds_read_b128 v[72:75], v2 offset:1456
	;; [unrolled: 1-line block ×3, first 2 shown]
	scratch_load_dwordx4 v[76:79], off, off offset:640
	scratch_load_dwordx4 v[84:87], off, off offset:656
	;; [unrolled: 1-line block ×12, first 2 shown]
	v_accvgpr_read_b32 v0, a114
	v_cmp_lt_u32_e32 vcc, 17, v0
	s_waitcnt vmcnt(31) lgkmcnt(14)
	v_mul_f64 v[128:129], v[232:233], v[170:171]
	s_waitcnt vmcnt(30)
	v_mul_f64 v[130:131], v[176:177], v[174:175]
	v_fmac_f64_e32 v[128:129], v[234:235], v[168:169]
	s_waitcnt vmcnt(29)
	v_mul_f64 v[132:133], v[236:237], v[182:183]
	v_fmac_f64_e32 v[130:131], v[178:179], v[172:173]
	v_add_f64 v[128:129], v[128:129], 0
	s_waitcnt vmcnt(28) lgkmcnt(13)
	v_mul_f64 v[134:135], v[188:189], v[186:187]
	v_fmac_f64_e32 v[132:133], v[238:239], v[180:181]
	v_add_f64 v[128:129], v[128:129], v[130:131]
	s_waitcnt vmcnt(27) lgkmcnt(12)
	;; [unrolled: 4-line block ×13, first 2 shown]
	v_mul_f64 v[158:159], v[72:73], v[30:31]
	v_fmac_f64_e32 v[156:157], v[82:83], v[24:25]
	v_add_f64 v[128:129], v[128:129], v[154:155]
	v_add_f64 v[128:129], v[128:129], v[156:157]
	v_fmac_f64_e32 v[158:159], v[74:75], v[28:29]
	v_add_f64 v[132:133], v[128:129], v[158:159]
	ds_read_b128 v[144:147], v2 offset:1488
	ds_read_b128 v[148:151], v2 offset:1504
	scratch_load_dwordx4 v[128:131], off, off offset:832
	s_waitcnt vmcnt(16) lgkmcnt(2)
	v_mul_f64 v[134:135], v[68:69], v[34:35]
	v_fmac_f64_e32 v[134:135], v[70:71], v[32:33]
	s_waitcnt vmcnt(15) lgkmcnt(1)
	v_mul_f64 v[138:139], v[144:145], v[38:39]
	v_add_f64 v[136:137], v[132:133], v[134:135]
	scratch_load_dwordx4 v[132:135], off, off offset:848
	v_fmac_f64_e32 v[138:139], v[146:147], v[36:37]
	v_add_f64 v[140:141], v[136:137], v[138:139]
	s_waitcnt vmcnt(15) lgkmcnt(0)
	v_mul_f64 v[142:143], v[148:149], v[42:43]
	scratch_load_dwordx4 v[136:139], off, off offset:864
	v_fmac_f64_e32 v[142:143], v[150:151], v[40:41]
	v_add_f64 v[160:161], v[140:141], v[142:143]
	scratch_load_dwordx4 v[140:143], off, off offset:880
	ds_read_b128 v[152:155], v2 offset:1520
	ds_read_b128 v[156:159], v2 offset:1536
	v_mul_f64 v[170:171], v[234:235], v[170:171]
	v_fma_f64 v[246:247], v[232:233], v[168:169], -v[170:171]
	ds_read_b128 v[168:171], v2 offset:1584
	s_waitcnt vmcnt(16) lgkmcnt(2)
	v_mul_f64 v[162:163], v[152:153], v[50:51]
	v_fmac_f64_e32 v[162:163], v[154:155], v[48:49]
	s_waitcnt vmcnt(15) lgkmcnt(1)
	v_mul_f64 v[166:167], v[156:157], v[78:79]
	v_add_f64 v[164:165], v[160:161], v[162:163]
	ds_read_b128 v[160:163], v2 offset:1552
	v_fmac_f64_e32 v[166:167], v[158:159], v[76:77]
	v_add_f64 v[240:241], v[164:165], v[166:167]
	ds_read_b128 v[164:167], v2 offset:1568
	v_mul_f64 v[174:175], v[178:179], v[174:175]
	s_waitcnt vmcnt(14) lgkmcnt(1)
	v_mul_f64 v[242:243], v[160:161], v[86:87]
	v_fmac_f64_e32 v[242:243], v[162:163], v[84:85]
	v_add_f64 v[240:241], v[240:241], v[242:243]
	s_waitcnt vmcnt(13) lgkmcnt(0)
	v_mul_f64 v[232:233], v[164:165], v[90:91]
	v_fmac_f64_e32 v[232:233], v[166:167], v[88:89]
	v_add_f64 v[232:233], v[240:241], v[232:233]
	v_fma_f64 v[240:241], v[176:177], v[172:173], -v[174:175]
	ds_read_b128 v[172:175], v2 offset:1600
	s_waitcnt vmcnt(12)
	v_mul_f64 v[176:177], v[168:169], v[94:95]
	v_fmac_f64_e32 v[176:177], v[170:171], v[92:93]
	v_add_f64 v[232:233], v[232:233], v[176:177]
	ds_read_b128 v[176:179], v2 offset:1616
	v_mul_f64 v[182:183], v[238:239], v[182:183]
	v_fma_f64 v[236:237], v[236:237], v[180:181], -v[182:183]
	ds_read_b128 v[180:183], v2 offset:1632
	s_waitcnt vmcnt(11) lgkmcnt(2)
	v_mul_f64 v[234:235], v[172:173], v[98:99]
	v_fmac_f64_e32 v[234:235], v[174:175], v[96:97]
	v_add_f64 v[232:233], v[232:233], v[234:235]
	s_waitcnt vmcnt(10) lgkmcnt(1)
	v_mul_f64 v[234:235], v[176:177], v[102:103]
	v_fmac_f64_e32 v[234:235], v[178:179], v[100:101]
	v_mul_f64 v[186:187], v[190:191], v[186:187]
	s_waitcnt vmcnt(9) lgkmcnt(0)
	v_mul_f64 v[190:191], v[180:181], v[106:107]
	v_fma_f64 v[238:239], v[188:189], v[184:185], -v[186:187]
	ds_read_b128 v[184:187], v2 offset:1648
	v_add_f64 v[188:189], v[232:233], v[234:235]
	v_fmac_f64_e32 v[190:191], v[182:183], v[104:105]
	v_add_f64 v[232:233], v[188:189], v[190:191]
	ds_read_b128 v[188:191], v2 offset:1664
	v_mul_f64 v[194:195], v[230:231], v[194:195]
	v_fma_f64 v[248:249], v[228:229], v[192:193], -v[194:195]
	ds_read_b128 v[192:195], v2 offset:1680
	s_waitcnt vmcnt(8) lgkmcnt(2)
	v_mul_f64 v[234:235], v[184:185], v[110:111]
	v_fmac_f64_e32 v[234:235], v[186:187], v[108:109]
	s_waitcnt vmcnt(7) lgkmcnt(1)
	v_mul_f64 v[228:229], v[188:189], v[114:115]
	v_mul_f64 v[198:199], v[202:203], v[198:199]
	v_add_f64 v[232:233], v[232:233], v[234:235]
	v_fmac_f64_e32 v[228:229], v[190:191], v[112:113]
	v_fma_f64 v[250:251], v[200:201], v[196:197], -v[198:199]
	ds_read_b128 v[196:199], v2 offset:1696
	s_waitcnt vmcnt(6) lgkmcnt(1)
	v_mul_f64 v[200:201], v[192:193], v[118:119]
	v_add_f64 v[228:229], v[232:233], v[228:229]
	v_fmac_f64_e32 v[200:201], v[194:195], v[116:117]
	v_add_f64 v[228:229], v[228:229], v[200:201]
	ds_read_b128 v[200:203], v2 offset:1712
	v_mul_f64 v[206:207], v[214:215], v[206:207]
	v_add_f64 v[246:247], v[246:247], 0
	v_fma_f64 v[252:253], v[212:213], v[204:205], -v[206:207]
	ds_read_b128 v[204:207], v2 offset:1728
	v_add_f64 v[240:241], v[246:247], v[240:241]
	v_add_f64 v[236:237], v[240:241], v[236:237]
	;; [unrolled: 1-line block ×3, first 2 shown]
	s_waitcnt vmcnt(5) lgkmcnt(2)
	v_mul_f64 v[230:231], v[196:197], v[126:127]
	v_add_f64 v[236:237], v[236:237], v[248:249]
	v_fmac_f64_e32 v[230:231], v[198:199], v[124:125]
	s_waitcnt vmcnt(4) lgkmcnt(1)
	v_mul_f64 v[212:213], v[200:201], v[122:123]
	v_add_f64 v[236:237], v[236:237], v[250:251]
	v_add_f64 v[228:229], v[228:229], v[230:231]
	v_fmac_f64_e32 v[212:213], v[202:203], v[120:121]
	v_mul_f64 v[210:211], v[226:227], v[210:211]
	v_add_f64 v[246:247], v[236:237], v[252:253]
	scratch_load_dwordx4 v[236:239], off, off offset:304
	s_waitcnt vmcnt(4) lgkmcnt(0)
	v_mul_f64 v[214:215], v[204:205], v[130:131]
	v_fma_f64 v[242:243], v[224:225], v[208:209], -v[210:211]
	ds_read_b128 v[208:211], v2 offset:1744
	v_add_f64 v[212:213], v[228:229], v[212:213]
	v_fmac_f64_e32 v[214:215], v[206:207], v[128:129]
	v_add_f64 v[224:225], v[212:213], v[214:215]
	ds_read_b128 v[212:215], v2 offset:1760
	v_mul_f64 v[218:219], v[222:223], v[218:219]
	v_fma_f64 v[244:245], v[220:221], v[216:217], -v[218:219]
	ds_read_b128 v[216:219], v2 offset:1776
	s_waitcnt vmcnt(3) lgkmcnt(2)
	v_mul_f64 v[220:221], v[208:209], v[134:135]
	v_fmac_f64_e32 v[220:221], v[210:211], v[132:133]
	s_waitcnt vmcnt(2) lgkmcnt(1)
	v_mul_f64 v[222:223], v[212:213], v[138:139]
	v_add_f64 v[220:221], v[224:225], v[220:221]
	v_fmac_f64_e32 v[222:223], v[214:215], v[136:137]
	v_add_f64 v[220:221], v[220:221], v[222:223]
	ds_read_b128 v[224:227], v2 offset:1792
	scratch_load_dwordx4 v[232:235], off, off offset:912
	s_waitcnt vmcnt(2) lgkmcnt(1)
	v_mul_f64 v[222:223], v[216:217], v[142:143]
	v_fmac_f64_e32 v[222:223], v[218:219], v[140:141]
	v_add_f64 v[228:229], v[220:221], v[222:223]
	scratch_load_dwordx4 v[220:223], off, off offset:896
	v_add_f64 v[240:241], v[246:247], v[242:243]
	v_mul_f64 v[6:7], v[46:47], v[6:7]
	v_add_f64 v[240:241], v[240:241], v[244:245]
	v_fma_f64 v[4:5], v[44:45], v[4:5], -v[6:7]
	v_mul_f64 v[6:7], v[66:67], v[10:11]
	v_add_f64 v[4:5], v[240:241], v[4:5]
	v_fma_f64 v[6:7], v[64:65], v[8:9], -v[6:7]
	v_add_f64 v[4:5], v[4:5], v[6:7]
	v_mul_f64 v[6:7], v[62:63], v[14:15]
	v_fma_f64 v[6:7], v[60:61], v[12:13], -v[6:7]
	v_add_f64 v[4:5], v[4:5], v[6:7]
	v_mul_f64 v[6:7], v[58:59], v[18:19]
	v_fma_f64 v[6:7], v[56:57], v[16:17], -v[6:7]
	v_add_f64 v[4:5], v[4:5], v[6:7]
	v_mul_f64 v[6:7], v[54:55], v[22:23]
	v_fma_f64 v[6:7], v[52:53], v[20:21], -v[6:7]
	v_add_f64 v[4:5], v[4:5], v[6:7]
	v_mul_f64 v[6:7], v[82:83], v[26:27]
	v_fma_f64 v[6:7], v[80:81], v[24:25], -v[6:7]
	v_add_f64 v[4:5], v[4:5], v[6:7]
	v_mul_f64 v[6:7], v[74:75], v[30:31]
	v_fma_f64 v[6:7], v[72:73], v[28:29], -v[6:7]
	v_add_f64 v[4:5], v[4:5], v[6:7]
	v_mul_f64 v[6:7], v[70:71], v[34:35]
	v_fma_f64 v[6:7], v[68:69], v[32:33], -v[6:7]
	v_add_f64 v[4:5], v[4:5], v[6:7]
	v_mul_f64 v[6:7], v[146:147], v[38:39]
	v_fma_f64 v[6:7], v[144:145], v[36:37], -v[6:7]
	v_add_f64 v[4:5], v[4:5], v[6:7]
	v_mul_f64 v[6:7], v[150:151], v[42:43]
	v_fma_f64 v[6:7], v[148:149], v[40:41], -v[6:7]
	v_add_f64 v[4:5], v[4:5], v[6:7]
	v_mul_f64 v[6:7], v[154:155], v[50:51]
	v_fma_f64 v[6:7], v[152:153], v[48:49], -v[6:7]
	v_add_f64 v[4:5], v[4:5], v[6:7]
	v_mul_f64 v[6:7], v[158:159], v[78:79]
	v_fma_f64 v[6:7], v[156:157], v[76:77], -v[6:7]
	v_add_f64 v[4:5], v[4:5], v[6:7]
	v_mul_f64 v[6:7], v[162:163], v[86:87]
	v_fma_f64 v[6:7], v[160:161], v[84:85], -v[6:7]
	v_add_f64 v[4:5], v[4:5], v[6:7]
	v_mul_f64 v[6:7], v[166:167], v[90:91]
	v_fma_f64 v[6:7], v[164:165], v[88:89], -v[6:7]
	v_add_f64 v[4:5], v[4:5], v[6:7]
	v_mul_f64 v[6:7], v[170:171], v[94:95]
	v_fma_f64 v[6:7], v[168:169], v[92:93], -v[6:7]
	v_add_f64 v[4:5], v[4:5], v[6:7]
	v_mul_f64 v[6:7], v[174:175], v[98:99]
	v_fma_f64 v[6:7], v[172:173], v[96:97], -v[6:7]
	v_add_f64 v[4:5], v[4:5], v[6:7]
	v_mul_f64 v[6:7], v[178:179], v[102:103]
	v_fma_f64 v[6:7], v[176:177], v[100:101], -v[6:7]
	v_add_f64 v[4:5], v[4:5], v[6:7]
	v_mul_f64 v[6:7], v[182:183], v[106:107]
	v_fma_f64 v[6:7], v[180:181], v[104:105], -v[6:7]
	v_add_f64 v[4:5], v[4:5], v[6:7]
	v_mul_f64 v[6:7], v[186:187], v[110:111]
	v_fma_f64 v[6:7], v[184:185], v[108:109], -v[6:7]
	v_add_f64 v[4:5], v[4:5], v[6:7]
	v_mul_f64 v[6:7], v[190:191], v[114:115]
	v_fma_f64 v[6:7], v[188:189], v[112:113], -v[6:7]
	v_add_f64 v[4:5], v[4:5], v[6:7]
	v_mul_f64 v[6:7], v[194:195], v[118:119]
	v_fma_f64 v[6:7], v[192:193], v[116:117], -v[6:7]
	v_add_f64 v[4:5], v[4:5], v[6:7]
	v_mul_f64 v[6:7], v[198:199], v[126:127]
	v_fma_f64 v[6:7], v[196:197], v[124:125], -v[6:7]
	v_add_f64 v[4:5], v[4:5], v[6:7]
	v_mul_f64 v[6:7], v[202:203], v[122:123]
	v_fma_f64 v[6:7], v[200:201], v[120:121], -v[6:7]
	v_add_f64 v[4:5], v[4:5], v[6:7]
	v_mul_f64 v[6:7], v[206:207], v[130:131]
	v_fma_f64 v[6:7], v[204:205], v[128:129], -v[6:7]
	v_add_f64 v[4:5], v[4:5], v[6:7]
	v_mul_f64 v[6:7], v[210:211], v[134:135]
	v_fma_f64 v[6:7], v[208:209], v[132:133], -v[6:7]
	v_add_f64 v[4:5], v[4:5], v[6:7]
	v_mul_f64 v[6:7], v[214:215], v[138:139]
	v_fma_f64 v[6:7], v[212:213], v[136:137], -v[6:7]
	s_waitcnt vmcnt(0) lgkmcnt(0)
	v_mul_f64 v[230:231], v[224:225], v[222:223]
	v_fmac_f64_e32 v[230:231], v[226:227], v[220:221]
	v_add_f64 v[254:255], v[228:229], v[230:231]
	ds_read_b128 v[228:231], v2 offset:1808
	v_add_f64 v[4:5], v[4:5], v[6:7]
	v_mul_f64 v[6:7], v[218:219], v[142:143]
	v_fma_f64 v[6:7], v[216:217], v[140:141], -v[6:7]
	v_add_f64 v[4:5], v[4:5], v[6:7]
	v_mul_f64 v[6:7], v[226:227], v[222:223]
	v_fma_f64 v[6:7], v[224:225], v[220:221], -v[6:7]
	s_waitcnt lgkmcnt(0)
	v_mul_f64 v[2:3], v[228:229], v[234:235]
	v_add_f64 v[4:5], v[4:5], v[6:7]
	v_mul_f64 v[6:7], v[230:231], v[234:235]
	v_fmac_f64_e32 v[2:3], v[230:231], v[232:233]
	v_fma_f64 v[6:7], v[228:229], v[232:233], -v[6:7]
	v_add_f64 v[2:3], v[254:255], v[2:3]
	v_add_f64 v[4:5], v[4:5], v[6:7]
	v_add_f64 v[4:5], v[236:237], -v[4:5]
	v_add_f64 v[6:7], v[238:239], -v[2:3]
	scratch_store_dwordx4 off, v[4:7], off offset:304
	s_and_saveexec_b64 s[0:1], vcc
	s_cbranch_execz .LBB120_321
; %bb.320:
	scratch_load_dwordx4 v[2:5], off, s56
	v_mov_b32_e32 v6, 0
	v_mov_b32_e32 v7, v6
	v_mov_b32_e32 v8, v6
	v_mov_b32_e32 v9, v6
	v_accvgpr_read_b32 v0, a115
	scratch_store_dwordx4 off, v[6:9], off offset:288
	s_waitcnt vmcnt(1)
	ds_write_b128 v0, v[2:5]
.LBB120_321:
	s_or_b64 exec, exec, s[0:1]
	s_waitcnt lgkmcnt(0)
	; wave barrier
	scratch_load_dwordx4 v[80:83], off, off offset:304
	scratch_load_dwordx4 v[84:87], off, off offset:320
	;; [unrolled: 1-line block ×31, first 2 shown]
	v_mov_b32_e32 v2, 0
	ds_read_b128 v[196:199], v2 offset:1200
	ds_read_b128 v[200:203], v2 offset:1216
	ds_read_b128 v[204:207], v2 offset:1232
	ds_read_b128 v[208:211], v2 offset:1248
	ds_read_b128 v[212:215], v2 offset:1264
	ds_read_b128 v[216:219], v2 offset:1280
	ds_read_b128 v[220:223], v2 offset:1296
	ds_read_b128 v[224:227], v2 offset:1312
	ds_read_b128 v[228:231], v2 offset:1328
	ds_read_b128 v[242:245], v2 offset:1344
	ds_read_b128 v[246:249], v2 offset:1360
	ds_read_b128 v[156:159], v2 offset:1376
	ds_read_b128 v[148:151], v2 offset:1392
	ds_read_b128 v[144:147], v2 offset:1408
	ds_read_b128 v[136:139], v2 offset:1424
	ds_read_b128 v[132:135], v2 offset:1440
	ds_read_b128 v[128:131], v2 offset:1456
	ds_read_b128 v[184:187], v2 offset:1504
	ds_read_b128 v[188:191], v2 offset:1520
	ds_read_b128 v[192:195], v2 offset:1536
	s_waitcnt vmcnt(30) lgkmcnt(14)
	v_mul_f64 v[140:141], v[196:197], v[82:83]
	s_waitcnt vmcnt(29)
	v_mul_f64 v[142:143], v[200:201], v[86:87]
	v_fmac_f64_e32 v[140:141], v[198:199], v[80:81]
	s_waitcnt vmcnt(28)
	v_mul_f64 v[152:153], v[204:205], v[90:91]
	v_fmac_f64_e32 v[142:143], v[202:203], v[84:85]
	v_add_f64 v[140:141], v[140:141], 0
	s_waitcnt vmcnt(27)
	v_mul_f64 v[154:155], v[208:209], v[94:95]
	v_fmac_f64_e32 v[152:153], v[206:207], v[88:89]
	v_add_f64 v[140:141], v[140:141], v[142:143]
	;; [unrolled: 4-line block ×4, first 2 shown]
	s_waitcnt vmcnt(24) lgkmcnt(13)
	v_mul_f64 v[164:165], v[220:221], v[106:107]
	v_fmac_f64_e32 v[162:163], v[218:219], v[100:101]
	v_add_f64 v[140:141], v[140:141], v[160:161]
	s_waitcnt vmcnt(23) lgkmcnt(12)
	v_mul_f64 v[166:167], v[224:225], v[110:111]
	v_fmac_f64_e32 v[164:165], v[222:223], v[104:105]
	v_add_f64 v[140:141], v[140:141], v[162:163]
	;; [unrolled: 4-line block ×8, first 2 shown]
	v_fmac_f64_e32 v[178:179], v[146:147], v[12:13]
	v_add_f64 v[140:141], v[140:141], v[176:177]
	v_add_f64 v[140:141], v[140:141], v[178:179]
	ds_read_b128 v[176:179], v2 offset:1472
	s_waitcnt vmcnt(16) lgkmcnt(6)
	v_mul_f64 v[180:181], v[136:137], v[18:19]
	s_waitcnt vmcnt(15) lgkmcnt(5)
	v_mul_f64 v[182:183], v[132:133], v[22:23]
	v_fmac_f64_e32 v[180:181], v[138:139], v[16:17]
	v_add_f64 v[152:153], v[140:141], v[180:181]
	v_fmac_f64_e32 v[182:183], v[134:135], v[20:21]
	scratch_load_dwordx4 v[140:143], off, off offset:800
	s_waitcnt vmcnt(15) lgkmcnt(4)
	v_mul_f64 v[154:155], v[128:129], v[26:27]
	v_add_f64 v[152:153], v[152:153], v[182:183]
	v_fmac_f64_e32 v[154:155], v[130:131], v[24:25]
	v_add_f64 v[160:161], v[152:153], v[154:155]
	ds_read_b128 v[180:183], v2 offset:1488
	s_waitcnt vmcnt(14) lgkmcnt(1)
	v_mul_f64 v[162:163], v[176:177], v[30:31]
	scratch_load_dwordx4 v[152:155], off, off offset:816
	v_fmac_f64_e32 v[162:163], v[178:179], v[28:29]
	v_add_f64 v[164:165], v[160:161], v[162:163]
	scratch_load_dwordx4 v[160:163], off, off offset:832
	s_waitcnt vmcnt(15) lgkmcnt(0)
	v_mul_f64 v[166:167], v[180:181], v[34:35]
	v_fmac_f64_e32 v[166:167], v[182:183], v[32:33]
	v_add_f64 v[168:169], v[164:165], v[166:167]
	s_waitcnt vmcnt(14)
	v_mul_f64 v[170:171], v[184:185], v[38:39]
	scratch_load_dwordx4 v[164:167], off, off offset:848
	v_fmac_f64_e32 v[170:171], v[186:187], v[36:37]
	v_add_f64 v[168:169], v[168:169], v[170:171]
	s_waitcnt vmcnt(14)
	v_mul_f64 v[170:171], v[188:189], v[42:43]
	scratch_load_dwordx4 v[172:175], off, off offset:864
	v_fmac_f64_e32 v[170:171], v[190:191], v[40:41]
	v_add_f64 v[232:233], v[168:169], v[170:171]
	scratch_load_dwordx4 v[168:171], off, off offset:880
	v_mul_f64 v[82:83], v[198:199], v[82:83]
	v_fma_f64 v[240:241], v[196:197], v[80:81], -v[82:83]
	ds_read_b128 v[196:199], v2 offset:1552
	s_waitcnt vmcnt(15)
	v_mul_f64 v[80:81], v[192:193], v[46:47]
	v_fmac_f64_e32 v[80:81], v[194:195], v[44:45]
	v_add_f64 v[232:233], v[232:233], v[80:81]
	v_mul_f64 v[80:81], v[202:203], v[86:87]
	v_fma_f64 v[250:251], v[200:201], v[84:85], -v[80:81]
	scratch_load_dwordx4 v[80:83], off, off offset:896
	ds_read_b128 v[84:87], v2 offset:1568
	v_mul_f64 v[90:91], v[206:207], v[90:91]
	v_fma_f64 v[252:253], v[204:205], v[88:89], -v[90:91]
	ds_read_b128 v[88:91], v2 offset:1584
	s_waitcnt vmcnt(15) lgkmcnt(2)
	v_mul_f64 v[200:201], v[196:197], v[50:51]
	v_fmac_f64_e32 v[200:201], v[198:199], v[48:49]
	s_waitcnt vmcnt(14) lgkmcnt(1)
	v_mul_f64 v[202:203], v[84:85], v[54:55]
	v_add_f64 v[200:201], v[232:233], v[200:201]
	v_fmac_f64_e32 v[202:203], v[86:87], v[52:53]
	v_mul_f64 v[94:95], v[210:211], v[94:95]
	v_fma_f64 v[254:255], v[208:209], v[92:93], -v[94:95]
	ds_read_b128 v[92:95], v2 offset:1600
	v_add_f64 v[200:201], v[200:201], v[202:203]
	s_waitcnt vmcnt(13) lgkmcnt(1)
	v_mul_f64 v[202:203], v[88:89], v[58:59]
	v_fmac_f64_e32 v[202:203], v[90:91], v[56:57]
	v_add_f64 v[204:205], v[200:201], v[202:203]
	ds_read_b128 v[200:203], v2 offset:1616
	v_mul_f64 v[98:99], v[214:215], v[98:99]
	v_fma_f64 v[232:233], v[212:213], v[96:97], -v[98:99]
	ds_read_b128 v[96:99], v2 offset:1632
	s_waitcnt vmcnt(12) lgkmcnt(2)
	v_mul_f64 v[206:207], v[92:93], v[62:63]
	v_fmac_f64_e32 v[206:207], v[94:95], v[60:61]
	v_add_f64 v[204:205], v[204:205], v[206:207]
	s_waitcnt vmcnt(11) lgkmcnt(1)
	v_mul_f64 v[206:207], v[200:201], v[66:67]
	v_fmac_f64_e32 v[206:207], v[202:203], v[64:65]
	v_mul_f64 v[102:103], v[218:219], v[102:103]
	v_add_f64 v[204:205], v[204:205], v[206:207]
	v_fma_f64 v[4:5], v[216:217], v[100:101], -v[102:103]
	ds_read_b128 v[100:103], v2 offset:1648
	s_waitcnt vmcnt(10) lgkmcnt(1)
	v_mul_f64 v[206:207], v[96:97], v[70:71]
	v_fmac_f64_e32 v[206:207], v[98:99], v[68:69]
	v_add_f64 v[208:209], v[204:205], v[206:207]
	ds_read_b128 v[204:207], v2 offset:1664
	v_mul_f64 v[106:107], v[222:223], v[106:107]
	v_fma_f64 v[0:1], v[220:221], v[104:105], -v[106:107]
	ds_read_b128 v[104:107], v2 offset:1680
	s_waitcnt vmcnt(9) lgkmcnt(2)
	v_mul_f64 v[210:211], v[100:101], v[74:75]
	v_fmac_f64_e32 v[210:211], v[102:103], v[72:73]
	v_add_f64 v[208:209], v[208:209], v[210:211]
	s_waitcnt vmcnt(8) lgkmcnt(1)
	v_mul_f64 v[210:211], v[204:205], v[78:79]
	v_fmac_f64_e32 v[210:211], v[206:207], v[76:77]
	v_mul_f64 v[6:7], v[226:227], v[110:111]
	v_fma_f64 v[6:7], v[224:225], v[108:109], -v[6:7]
	ds_read_b128 v[108:111], v2 offset:1696
	v_add_f64 v[208:209], v[208:209], v[210:211]
	s_waitcnt vmcnt(7) lgkmcnt(1)
	v_mul_f64 v[210:211], v[104:105], v[126:127]
	v_fmac_f64_e32 v[210:211], v[106:107], v[124:125]
	v_mul_f64 v[114:115], v[230:231], v[114:115]
	v_add_f64 v[212:213], v[208:209], v[210:211]
	ds_read_b128 v[208:211], v2 offset:1712
	v_fma_f64 v[112:113], v[228:229], v[112:113], -v[114:115]
	v_accvgpr_write_b32 a117, v113
	v_accvgpr_write_b32 a116, v112
	ds_read_b128 v[112:115], v2 offset:1728
	s_waitcnt vmcnt(6) lgkmcnt(2)
	v_mul_f64 v[214:215], v[108:109], v[142:143]
	v_fmac_f64_e32 v[214:215], v[110:111], v[140:141]
	v_add_f64 v[212:213], v[212:213], v[214:215]
	s_waitcnt vmcnt(5) lgkmcnt(1)
	v_mul_f64 v[214:215], v[208:209], v[154:155]
	v_fmac_f64_e32 v[214:215], v[210:211], v[152:153]
	v_mul_f64 v[118:119], v[244:245], v[118:119]
	v_add_f64 v[212:213], v[212:213], v[214:215]
	v_fma_f64 v[238:239], v[242:243], v[116:117], -v[118:119]
	ds_read_b128 v[116:119], v2 offset:1744
	s_waitcnt vmcnt(4) lgkmcnt(1)
	v_mul_f64 v[214:215], v[112:113], v[162:163]
	v_fmac_f64_e32 v[214:215], v[114:115], v[160:161]
	v_add_f64 v[216:217], v[212:213], v[214:215]
	ds_read_b128 v[212:215], v2 offset:1760
	v_mul_f64 v[122:123], v[248:249], v[122:123]
	v_fma_f64 v[242:243], v[246:247], v[120:121], -v[122:123]
	ds_read_b128 v[120:123], v2 offset:1776
	s_waitcnt vmcnt(3) lgkmcnt(2)
	v_mul_f64 v[218:219], v[116:117], v[166:167]
	v_fmac_f64_e32 v[218:219], v[118:119], v[164:165]
	v_add_f64 v[216:217], v[216:217], v[218:219]
	s_waitcnt vmcnt(2) lgkmcnt(1)
	v_mul_f64 v[218:219], v[212:213], v[174:175]
	v_fmac_f64_e32 v[218:219], v[214:215], v[172:173]
	v_add_f64 v[216:217], v[216:217], v[218:219]
	;; [unrolled: 4-line block ×3, first 2 shown]
	ds_read_b128 v[216:219], v2 offset:1792
	ds_read_b128 v[224:227], v2 offset:1808
	s_waitcnt vmcnt(0) lgkmcnt(1)
	v_mul_f64 v[222:223], v[216:217], v[82:83]
	v_fmac_f64_e32 v[222:223], v[218:219], v[80:81]
	v_add_f64 v[228:229], v[220:221], v[222:223]
	scratch_load_dwordx4 v[220:223], off, off offset:912
	s_waitcnt vmcnt(0) lgkmcnt(0)
	v_mul_f64 v[230:231], v[224:225], v[222:223]
	v_fmac_f64_e32 v[230:231], v[226:227], v[220:221]
	v_add_f64 v[246:247], v[228:229], v[230:231]
	v_add_f64 v[228:229], v[240:241], 0
	;; [unrolled: 1-line block ×7, first 2 shown]
	scratch_load_dwordx4 v[228:231], off, off offset:288
	v_add_f64 v[244:245], v[4:5], v[0:1]
	v_accvgpr_read_b32 v4, a116
	v_add_f64 v[0:1], v[244:245], v[6:7]
	v_accvgpr_read_b32 v5, a117
	v_add_f64 v[0:1], v[0:1], v[4:5]
	v_add_f64 v[0:1], v[0:1], v[238:239]
	v_mul_f64 v[4:5], v[158:159], v[236:237]
	v_add_f64 v[0:1], v[0:1], v[242:243]
	v_fma_f64 v[4:5], v[156:157], v[234:235], -v[4:5]
	v_add_f64 v[0:1], v[0:1], v[4:5]
	v_mul_f64 v[4:5], v[150:151], v[10:11]
	v_fma_f64 v[4:5], v[148:149], v[8:9], -v[4:5]
	v_add_f64 v[0:1], v[0:1], v[4:5]
	v_mul_f64 v[4:5], v[146:147], v[14:15]
	;; [unrolled: 3-line block ×27, first 2 shown]
	v_fma_f64 v[4:5], v[224:225], v[220:221], -v[4:5]
	v_add_f64 v[0:1], v[0:1], v[4:5]
	s_waitcnt vmcnt(0)
	v_add_f64 v[4:5], v[228:229], -v[0:1]
	v_accvgpr_read_b32 v0, a114
	v_add_f64 v[6:7], v[230:231], -v[246:247]
	v_cmp_lt_u32_e32 vcc, 16, v0
	scratch_store_dwordx4 off, v[4:7], off offset:288
	s_and_saveexec_b64 s[0:1], vcc
	s_cbranch_execz .LBB120_323
; %bb.322:
	scratch_load_dwordx4 v[6:9], off, s57
	v_mov_b32_e32 v3, v2
	v_mov_b32_e32 v4, v2
	v_mov_b32_e32 v5, v2
	v_accvgpr_read_b32 v0, a115
	scratch_store_dwordx4 off, v[2:5], off offset:272
	s_waitcnt vmcnt(1)
	ds_write_b128 v0, v[6:9]
.LBB120_323:
	s_or_b64 exec, exec, s[0:1]
	s_waitcnt lgkmcnt(0)
	; wave barrier
	scratch_load_dwordx4 v[132:135], off, off offset:288
	scratch_load_dwordx4 v[160:163], off, off offset:304
	;; [unrolled: 1-line block ×16, first 2 shown]
	ds_read_b128 v[156:159], v2 offset:1184
	ds_read_b128 v[172:175], v2 offset:1200
	scratch_load_dwordx4 v[24:27], off, off offset:544
	ds_read_b128 v[232:235], v2 offset:1216
	ds_read_b128 v[228:231], v2 offset:1232
	scratch_load_dwordx4 v[28:31], off, off offset:560
	ds_read_b128 v[236:239], v2 offset:1248
	ds_read_b128 v[184:187], v2 offset:1264
	;; [unrolled: 1-line block ×5, first 2 shown]
	scratch_load_dwordx4 v[32:35], off, off offset:576
	ds_read_b128 v[220:223], v2 offset:1328
	ds_read_b128 v[216:219], v2 offset:1344
	;; [unrolled: 1-line block ×3, first 2 shown]
	scratch_load_dwordx4 v[36:39], off, off offset:592
	ds_read_b128 v[64:67], v2 offset:1376
	ds_read_b128 v[60:63], v2 offset:1392
	;; [unrolled: 1-line block ×5, first 2 shown]
	scratch_load_dwordx4 v[52:55], off, off offset:608
	scratch_load_dwordx4 v[68:71], off, off offset:624
	;; [unrolled: 1-line block ×11, first 2 shown]
	ds_read_b128 v[144:147], v2 offset:1488
	ds_read_b128 v[148:151], v2 offset:1504
	;; [unrolled: 1-line block ×3, first 2 shown]
	s_waitcnt vmcnt(30) lgkmcnt(14)
	v_mul_f64 v[0:1], v[156:157], v[134:135]
	s_waitcnt vmcnt(29)
	v_mul_f64 v[108:109], v[172:173], v[162:163]
	v_fmac_f64_e32 v[0:1], v[158:159], v[132:133]
	s_waitcnt vmcnt(28)
	v_mul_f64 v[110:111], v[232:233], v[166:167]
	v_fmac_f64_e32 v[108:109], v[174:175], v[160:161]
	v_add_f64 v[0:1], v[0:1], 0
	s_waitcnt vmcnt(27)
	v_mul_f64 v[112:113], v[228:229], v[170:171]
	v_fmac_f64_e32 v[110:111], v[234:235], v[164:165]
	v_add_f64 v[0:1], v[0:1], v[108:109]
	;; [unrolled: 4-line block ×4, first 2 shown]
	s_waitcnt vmcnt(24) lgkmcnt(13)
	v_mul_f64 v[118:119], v[224:225], v[190:191]
	v_fmac_f64_e32 v[116:117], v[186:187], v[180:181]
	v_add_f64 v[0:1], v[0:1], v[114:115]
	s_waitcnt vmcnt(23) lgkmcnt(12)
	v_mul_f64 v[120:121], v[196:197], v[194:195]
	v_fmac_f64_e32 v[118:119], v[226:227], v[188:189]
	v_add_f64 v[0:1], v[0:1], v[116:117]
	;; [unrolled: 4-line block ×9, first 2 shown]
	v_fmac_f64_e32 v[138:139], v[58:59], v[16:17]
	v_add_f64 v[0:1], v[0:1], v[136:137]
	v_add_f64 v[0:1], v[0:1], v[138:139]
	ds_read_b128 v[136:139], v2 offset:1456
	s_waitcnt vmcnt(15) lgkmcnt(5)
	v_mul_f64 v[140:141], v[48:49], v[22:23]
	v_fmac_f64_e32 v[140:141], v[50:51], v[20:21]
	s_waitcnt vmcnt(14) lgkmcnt(4)
	v_mul_f64 v[112:113], v[44:45], v[26:27]
	scratch_load_dwordx4 v[108:111], off, off offset:784
	v_add_f64 v[0:1], v[0:1], v[140:141]
	v_fmac_f64_e32 v[112:113], v[46:47], v[24:25]
	v_add_f64 v[0:1], v[0:1], v[112:113]
	scratch_load_dwordx4 v[112:115], off, off offset:800
	ds_read_b128 v[140:143], v2 offset:1472
	s_waitcnt vmcnt(15) lgkmcnt(1)
	v_mul_f64 v[116:117], v[136:137], v[30:31]
	v_fmac_f64_e32 v[116:117], v[138:139], v[28:29]
	v_add_f64 v[0:1], v[0:1], v[116:117]
	scratch_load_dwordx4 v[116:119], off, off offset:816
	s_waitcnt vmcnt(15) lgkmcnt(0)
	v_mul_f64 v[120:121], v[140:141], v[34:35]
	v_fmac_f64_e32 v[120:121], v[142:143], v[32:33]
	s_waitcnt vmcnt(14)
	v_mul_f64 v[124:125], v[144:145], v[38:39]
	v_add_f64 v[0:1], v[0:1], v[120:121]
	scratch_load_dwordx4 v[120:123], off, off offset:832
	v_fmac_f64_e32 v[124:125], v[146:147], v[36:37]
	v_add_f64 v[0:1], v[0:1], v[124:125]
	s_waitcnt vmcnt(14)
	v_mul_f64 v[124:125], v[148:149], v[54:55]
	scratch_load_dwordx4 v[128:131], off, off offset:848
	v_fmac_f64_e32 v[124:125], v[150:151], v[52:53]
	v_add_f64 v[0:1], v[0:1], v[124:125]
	scratch_load_dwordx4 v[124:127], off, off offset:864
	v_mul_f64 v[134:135], v[158:159], v[134:135]
	v_fma_f64 v[240:241], v[156:157], v[132:133], -v[134:135]
	ds_read_b128 v[156:159], v2 offset:1536
	s_waitcnt vmcnt(15)
	v_mul_f64 v[132:133], v[152:153], v[70:71]
	v_fmac_f64_e32 v[132:133], v[154:155], v[68:69]
	v_add_f64 v[0:1], v[0:1], v[132:133]
	v_mul_f64 v[132:133], v[174:175], v[162:163]
	v_fma_f64 v[246:247], v[172:173], v[160:161], -v[132:133]
	scratch_load_dwordx4 v[132:135], off, off offset:880
	ds_read_b128 v[160:163], v2 offset:1552
	v_mul_f64 v[166:167], v[234:235], v[166:167]
	v_fma_f64 v[248:249], v[232:233], v[164:165], -v[166:167]
	ds_read_b128 v[164:167], v2 offset:1568
	s_waitcnt vmcnt(15) lgkmcnt(2)
	v_mul_f64 v[172:173], v[156:157], v[74:75]
	v_fmac_f64_e32 v[172:173], v[158:159], v[72:73]
	v_add_f64 v[0:1], v[0:1], v[172:173]
	s_waitcnt vmcnt(14) lgkmcnt(1)
	v_mul_f64 v[172:173], v[160:161], v[78:79]
	v_fmac_f64_e32 v[172:173], v[162:163], v[76:77]
	v_mul_f64 v[170:171], v[230:231], v[170:171]
	v_fma_f64 v[250:251], v[228:229], v[168:169], -v[170:171]
	ds_read_b128 v[168:171], v2 offset:1584
	v_add_f64 v[0:1], v[0:1], v[172:173]
	s_waitcnt vmcnt(13) lgkmcnt(1)
	v_mul_f64 v[172:173], v[164:165], v[82:83]
	v_fmac_f64_e32 v[172:173], v[166:167], v[80:81]
	v_add_f64 v[0:1], v[0:1], v[172:173]
	ds_read_b128 v[172:175], v2 offset:1600
	v_mul_f64 v[178:179], v[238:239], v[178:179]
	v_fma_f64 v[236:237], v[236:237], v[176:177], -v[178:179]
	ds_read_b128 v[176:179], v2 offset:1616
	s_waitcnt vmcnt(12) lgkmcnt(2)
	v_mul_f64 v[228:229], v[168:169], v[86:87]
	v_fmac_f64_e32 v[228:229], v[170:171], v[84:85]
	v_add_f64 v[0:1], v[0:1], v[228:229]
	s_waitcnt vmcnt(11) lgkmcnt(1)
	v_mul_f64 v[228:229], v[172:173], v[90:91]
	v_mul_f64 v[182:183], v[186:187], v[182:183]
	v_fmac_f64_e32 v[228:229], v[174:175], v[88:89]
	v_fma_f64 v[238:239], v[184:185], v[180:181], -v[182:183]
	ds_read_b128 v[180:183], v2 offset:1632
	s_waitcnt vmcnt(10) lgkmcnt(1)
	v_mul_f64 v[184:185], v[176:177], v[94:95]
	v_add_f64 v[0:1], v[0:1], v[228:229]
	v_fmac_f64_e32 v[184:185], v[178:179], v[92:93]
	v_add_f64 v[0:1], v[0:1], v[184:185]
	ds_read_b128 v[184:187], v2 offset:1648
	v_mul_f64 v[190:191], v[226:227], v[190:191]
	v_fma_f64 v[252:253], v[224:225], v[188:189], -v[190:191]
	ds_read_b128 v[188:191], v2 offset:1664
	s_waitcnt vmcnt(9) lgkmcnt(2)
	v_mul_f64 v[228:229], v[180:181], v[98:99]
	v_fmac_f64_e32 v[228:229], v[182:183], v[96:97]
	s_waitcnt vmcnt(8) lgkmcnt(1)
	v_mul_f64 v[224:225], v[184:185], v[102:103]
	v_mul_f64 v[194:195], v[198:199], v[194:195]
	v_add_f64 v[0:1], v[0:1], v[228:229]
	v_fmac_f64_e32 v[224:225], v[186:187], v[100:101]
	v_fma_f64 v[254:255], v[196:197], v[192:193], -v[194:195]
	s_waitcnt vmcnt(7) lgkmcnt(0)
	v_mul_f64 v[196:197], v[188:189], v[106:107]
	ds_read_b128 v[192:195], v2 offset:1680
	v_add_f64 v[0:1], v[0:1], v[224:225]
	v_fmac_f64_e32 v[196:197], v[190:191], v[104:105]
	v_add_f64 v[0:1], v[0:1], v[196:197]
	ds_read_b128 v[196:199], v2 offset:1696
	v_mul_f64 v[202:203], v[210:211], v[202:203]
	v_fma_f64 v[242:243], v[208:209], v[200:201], -v[202:203]
	ds_read_b128 v[200:203], v2 offset:1712
	s_waitcnt vmcnt(6) lgkmcnt(2)
	v_mul_f64 v[224:225], v[192:193], v[110:111]
	v_fmac_f64_e32 v[224:225], v[194:195], v[108:109]
	s_waitcnt vmcnt(5) lgkmcnt(1)
	v_mul_f64 v[208:209], v[196:197], v[114:115]
	v_add_f64 v[0:1], v[0:1], v[224:225]
	v_fmac_f64_e32 v[208:209], v[198:199], v[112:113]
	v_add_f64 v[208:209], v[0:1], v[208:209]
	v_mul_f64 v[0:1], v[222:223], v[206:207]
	v_fma_f64 v[0:1], v[220:221], v[204:205], -v[0:1]
	ds_read_b128 v[204:207], v2 offset:1728
	s_waitcnt vmcnt(4) lgkmcnt(1)
	v_mul_f64 v[210:211], v[200:201], v[118:119]
	v_fmac_f64_e32 v[210:211], v[202:203], v[116:117]
	v_add_f64 v[220:221], v[208:209], v[210:211]
	ds_read_b128 v[208:211], v2 offset:1744
	v_mul_f64 v[214:215], v[218:219], v[214:215]
	v_fma_f64 v[244:245], v[216:217], v[212:213], -v[214:215]
	ds_read_b128 v[212:215], v2 offset:1760
	s_waitcnt vmcnt(3) lgkmcnt(2)
	v_mul_f64 v[216:217], v[204:205], v[122:123]
	v_fmac_f64_e32 v[216:217], v[206:207], v[120:121]
	s_waitcnt vmcnt(2) lgkmcnt(1)
	v_mul_f64 v[218:219], v[208:209], v[130:131]
	v_add_f64 v[216:217], v[220:221], v[216:217]
	v_fmac_f64_e32 v[218:219], v[210:211], v[128:129]
	v_add_f64 v[216:217], v[216:217], v[218:219]
	s_waitcnt vmcnt(1) lgkmcnt(0)
	v_mul_f64 v[218:219], v[212:213], v[126:127]
	v_fmac_f64_e32 v[218:219], v[214:215], v[124:125]
	v_add_f64 v[220:221], v[216:217], v[218:219]
	ds_read_b128 v[216:219], v2 offset:1776
	ds_read_b128 v[224:227], v2 offset:1792
	scratch_load_dwordx4 v[232:235], off, off offset:912
	v_accvgpr_write_b32 a117, v1
	v_accvgpr_write_b32 a116, v0
	s_waitcnt vmcnt(1) lgkmcnt(1)
	v_mul_f64 v[222:223], v[216:217], v[134:135]
	v_fmac_f64_e32 v[222:223], v[218:219], v[132:133]
	v_add_f64 v[228:229], v[220:221], v[222:223]
	scratch_load_dwordx4 v[220:223], off, off offset:896
	v_mul_f64 v[6:7], v[42:43], v[6:7]
	v_fma_f64 v[4:5], v[40:41], v[4:5], -v[6:7]
	s_waitcnt vmcnt(0) lgkmcnt(0)
	v_mul_f64 v[230:231], v[224:225], v[222:223]
	v_fmac_f64_e32 v[230:231], v[226:227], v[220:221]
	v_add_f64 v[0:1], v[228:229], v[230:231]
	ds_read_b128 v[228:231], v2 offset:1808
	s_waitcnt lgkmcnt(0)
	v_mul_f64 v[2:3], v[228:229], v[234:235]
	v_fmac_f64_e32 v[2:3], v[230:231], v[232:233]
	v_add_f64 v[2:3], v[0:1], v[2:3]
	v_add_f64 v[0:1], v[240:241], 0
	;; [unrolled: 1-line block ×7, first 2 shown]
	scratch_load_dwordx4 v[236:239], off, off offset:272
	v_add_f64 v[0:1], v[0:1], v[252:253]
	v_add_f64 v[0:1], v[0:1], v[254:255]
	v_add_f64 v[246:247], v[0:1], v[242:243]
	v_accvgpr_read_b32 v0, a116
	v_accvgpr_read_b32 v1, a117
	v_add_f64 v[0:1], v[246:247], v[0:1]
	v_add_f64 v[0:1], v[0:1], v[244:245]
	;; [unrolled: 1-line block ×3, first 2 shown]
	v_mul_f64 v[4:5], v[66:67], v[10:11]
	v_fma_f64 v[4:5], v[64:65], v[8:9], -v[4:5]
	v_add_f64 v[0:1], v[0:1], v[4:5]
	v_mul_f64 v[4:5], v[62:63], v[14:15]
	v_fma_f64 v[4:5], v[60:61], v[12:13], -v[4:5]
	v_add_f64 v[0:1], v[0:1], v[4:5]
	v_mul_f64 v[4:5], v[58:59], v[18:19]
	v_fma_f64 v[4:5], v[56:57], v[16:17], -v[4:5]
	v_add_f64 v[0:1], v[0:1], v[4:5]
	v_mul_f64 v[4:5], v[50:51], v[22:23]
	v_fma_f64 v[4:5], v[48:49], v[20:21], -v[4:5]
	v_add_f64 v[0:1], v[0:1], v[4:5]
	v_mul_f64 v[4:5], v[46:47], v[26:27]
	v_fma_f64 v[4:5], v[44:45], v[24:25], -v[4:5]
	v_add_f64 v[0:1], v[0:1], v[4:5]
	v_mul_f64 v[4:5], v[138:139], v[30:31]
	v_fma_f64 v[4:5], v[136:137], v[28:29], -v[4:5]
	v_add_f64 v[0:1], v[0:1], v[4:5]
	v_mul_f64 v[4:5], v[142:143], v[34:35]
	v_fma_f64 v[4:5], v[140:141], v[32:33], -v[4:5]
	v_add_f64 v[0:1], v[0:1], v[4:5]
	v_mul_f64 v[4:5], v[146:147], v[38:39]
	v_fma_f64 v[4:5], v[144:145], v[36:37], -v[4:5]
	v_add_f64 v[0:1], v[0:1], v[4:5]
	v_mul_f64 v[4:5], v[150:151], v[54:55]
	v_fma_f64 v[4:5], v[148:149], v[52:53], -v[4:5]
	v_add_f64 v[0:1], v[0:1], v[4:5]
	v_mul_f64 v[4:5], v[154:155], v[70:71]
	v_fma_f64 v[4:5], v[152:153], v[68:69], -v[4:5]
	v_add_f64 v[0:1], v[0:1], v[4:5]
	v_mul_f64 v[4:5], v[158:159], v[74:75]
	v_fma_f64 v[4:5], v[156:157], v[72:73], -v[4:5]
	v_add_f64 v[0:1], v[0:1], v[4:5]
	v_mul_f64 v[4:5], v[162:163], v[78:79]
	v_fma_f64 v[4:5], v[160:161], v[76:77], -v[4:5]
	v_add_f64 v[0:1], v[0:1], v[4:5]
	v_mul_f64 v[4:5], v[166:167], v[82:83]
	v_fma_f64 v[4:5], v[164:165], v[80:81], -v[4:5]
	v_add_f64 v[0:1], v[0:1], v[4:5]
	v_mul_f64 v[4:5], v[170:171], v[86:87]
	v_fma_f64 v[4:5], v[168:169], v[84:85], -v[4:5]
	v_add_f64 v[0:1], v[0:1], v[4:5]
	v_mul_f64 v[4:5], v[174:175], v[90:91]
	v_fma_f64 v[4:5], v[172:173], v[88:89], -v[4:5]
	v_add_f64 v[0:1], v[0:1], v[4:5]
	v_mul_f64 v[4:5], v[178:179], v[94:95]
	v_fma_f64 v[4:5], v[176:177], v[92:93], -v[4:5]
	v_add_f64 v[0:1], v[0:1], v[4:5]
	v_mul_f64 v[4:5], v[182:183], v[98:99]
	v_fma_f64 v[4:5], v[180:181], v[96:97], -v[4:5]
	v_add_f64 v[0:1], v[0:1], v[4:5]
	v_mul_f64 v[4:5], v[186:187], v[102:103]
	v_fma_f64 v[4:5], v[184:185], v[100:101], -v[4:5]
	v_add_f64 v[0:1], v[0:1], v[4:5]
	v_mul_f64 v[4:5], v[190:191], v[106:107]
	v_fma_f64 v[4:5], v[188:189], v[104:105], -v[4:5]
	v_add_f64 v[0:1], v[0:1], v[4:5]
	v_mul_f64 v[4:5], v[194:195], v[110:111]
	v_fma_f64 v[4:5], v[192:193], v[108:109], -v[4:5]
	v_add_f64 v[0:1], v[0:1], v[4:5]
	v_mul_f64 v[4:5], v[198:199], v[114:115]
	v_fma_f64 v[4:5], v[196:197], v[112:113], -v[4:5]
	v_add_f64 v[0:1], v[0:1], v[4:5]
	v_mul_f64 v[4:5], v[202:203], v[118:119]
	v_fma_f64 v[4:5], v[200:201], v[116:117], -v[4:5]
	v_add_f64 v[0:1], v[0:1], v[4:5]
	v_mul_f64 v[4:5], v[206:207], v[122:123]
	v_fma_f64 v[4:5], v[204:205], v[120:121], -v[4:5]
	v_add_f64 v[0:1], v[0:1], v[4:5]
	v_mul_f64 v[4:5], v[210:211], v[130:131]
	v_fma_f64 v[4:5], v[208:209], v[128:129], -v[4:5]
	v_add_f64 v[0:1], v[0:1], v[4:5]
	v_mul_f64 v[4:5], v[214:215], v[126:127]
	v_fma_f64 v[4:5], v[212:213], v[124:125], -v[4:5]
	v_add_f64 v[0:1], v[0:1], v[4:5]
	v_mul_f64 v[4:5], v[218:219], v[134:135]
	v_fma_f64 v[4:5], v[216:217], v[132:133], -v[4:5]
	v_add_f64 v[0:1], v[0:1], v[4:5]
	v_mul_f64 v[4:5], v[226:227], v[222:223]
	v_fma_f64 v[4:5], v[224:225], v[220:221], -v[4:5]
	v_add_f64 v[0:1], v[0:1], v[4:5]
	v_mul_f64 v[4:5], v[230:231], v[234:235]
	v_fma_f64 v[4:5], v[228:229], v[232:233], -v[4:5]
	v_add_f64 v[0:1], v[0:1], v[4:5]
	s_waitcnt vmcnt(0)
	v_add_f64 v[4:5], v[236:237], -v[0:1]
	v_accvgpr_read_b32 v0, a114
	v_add_f64 v[6:7], v[238:239], -v[2:3]
	v_cmp_lt_u32_e32 vcc, 15, v0
	scratch_store_dwordx4 off, v[4:7], off offset:272
	s_and_saveexec_b64 s[0:1], vcc
	s_cbranch_execz .LBB120_325
; %bb.324:
	scratch_load_dwordx4 v[2:5], off, s58
	v_mov_b32_e32 v6, 0
	v_mov_b32_e32 v7, v6
	;; [unrolled: 1-line block ×4, first 2 shown]
	v_accvgpr_read_b32 v0, a115
	scratch_store_dwordx4 off, v[6:9], off offset:256
	s_waitcnt vmcnt(1)
	ds_write_b128 v0, v[2:5]
.LBB120_325:
	s_or_b64 exec, exec, s[0:1]
	s_waitcnt lgkmcnt(0)
	; wave barrier
	scratch_load_dwordx4 v[112:115], off, off offset:272
	scratch_load_dwordx4 v[116:119], off, off offset:288
	;; [unrolled: 1-line block ×30, first 2 shown]
	v_mov_b32_e32 v2, 0
	ds_read_b128 v[144:147], v2 offset:1168
	ds_read_b128 v[156:159], v2 offset:1184
	;; [unrolled: 1-line block ×20, first 2 shown]
	s_waitcnt vmcnt(29) lgkmcnt(14)
	v_mul_f64 v[0:1], v[144:145], v[114:115]
	s_waitcnt vmcnt(28)
	v_mul_f64 v[88:89], v[156:157], v[118:119]
	v_fmac_f64_e32 v[0:1], v[146:147], v[112:113]
	s_waitcnt vmcnt(27)
	v_mul_f64 v[90:91], v[168:169], v[122:123]
	v_fmac_f64_e32 v[88:89], v[158:159], v[116:117]
	v_add_f64 v[0:1], v[0:1], 0
	s_waitcnt vmcnt(26)
	v_mul_f64 v[92:93], v[180:181], v[154:155]
	v_fmac_f64_e32 v[90:91], v[170:171], v[120:121]
	v_add_f64 v[0:1], v[0:1], v[88:89]
	;; [unrolled: 4-line block ×4, first 2 shown]
	s_waitcnt vmcnt(23) lgkmcnt(13)
	v_mul_f64 v[98:99], v[212:213], v[174:175]
	v_fmac_f64_e32 v[96:97], v[206:207], v[164:165]
	v_add_f64 v[0:1], v[0:1], v[94:95]
	s_waitcnt vmcnt(22) lgkmcnt(12)
	v_mul_f64 v[100:101], v[216:217], v[178:179]
	v_fmac_f64_e32 v[98:99], v[214:215], v[172:173]
	v_add_f64 v[0:1], v[0:1], v[96:97]
	;; [unrolled: 4-line block ×9, first 2 shown]
	v_fmac_f64_e32 v[126:127], v[82:83], v[8:9]
	v_add_f64 v[0:1], v[0:1], v[124:125]
	scratch_load_dwordx4 v[88:91], off, off offset:752
	s_waitcnt vmcnt(15) lgkmcnt(4)
	v_mul_f64 v[128:129], v[76:77], v[236:237]
	v_add_f64 v[0:1], v[0:1], v[126:127]
	ds_read_b128 v[124:127], v2 offset:1440
	v_fmac_f64_e32 v[128:129], v[78:79], v[234:235]
	v_add_f64 v[0:1], v[0:1], v[128:129]
	ds_read_b128 v[128:131], v2 offset:1456
	s_waitcnt vmcnt(14) lgkmcnt(5)
	v_mul_f64 v[92:93], v[72:73], v[18:19]
	v_fmac_f64_e32 v[92:93], v[74:75], v[16:17]
	v_add_f64 v[0:1], v[0:1], v[92:93]
	s_waitcnt vmcnt(13) lgkmcnt(1)
	v_mul_f64 v[96:97], v[124:125], v[22:23]
	scratch_load_dwordx4 v[92:95], off, off offset:768
	v_fmac_f64_e32 v[96:97], v[126:127], v[20:21]
	v_add_f64 v[0:1], v[0:1], v[96:97]
	s_waitcnt vmcnt(13) lgkmcnt(0)
	v_mul_f64 v[100:101], v[128:129], v[26:27]
	scratch_load_dwordx4 v[96:99], off, off offset:784
	v_fmac_f64_e32 v[100:101], v[130:131], v[24:25]
	v_add_f64 v[0:1], v[0:1], v[100:101]
	scratch_load_dwordx4 v[100:103], off, off offset:800
	s_waitcnt vmcnt(14)
	v_mul_f64 v[104:105], v[132:133], v[30:31]
	v_fmac_f64_e32 v[104:105], v[134:135], v[28:29]
	v_add_f64 v[0:1], v[0:1], v[104:105]
	s_waitcnt vmcnt(13)
	v_mul_f64 v[104:105], v[136:137], v[34:35]
	v_fmac_f64_e32 v[104:105], v[138:139], v[32:33]
	v_add_f64 v[0:1], v[0:1], v[104:105]
	scratch_load_dwordx4 v[104:107], off, off offset:816
	s_waitcnt vmcnt(13)
	v_mul_f64 v[108:109], v[140:141], v[38:39]
	v_fmac_f64_e32 v[108:109], v[142:143], v[36:37]
	v_add_f64 v[0:1], v[0:1], v[108:109]
	scratch_load_dwordx4 v[108:111], off, off offset:832
	v_mul_f64 v[114:115], v[146:147], v[114:115]
	v_fma_f64 v[240:241], v[144:145], v[112:113], -v[114:115]
	v_mul_f64 v[112:113], v[158:159], v[118:119]
	ds_read_b128 v[148:151], v2 offset:1520
	ds_read_b128 v[144:147], v2 offset:1536
	v_fma_f64 v[250:251], v[156:157], v[116:117], -v[112:113]
	scratch_load_dwordx4 v[116:119], off, off offset:848
	scratch_load_dwordx4 v[112:115], off, off offset:864
	v_mul_f64 v[122:123], v[170:171], v[122:123]
	v_fma_f64 v[252:253], v[168:169], v[120:121], -v[122:123]
	scratch_load_dwordx4 v[120:123], off, off offset:880
	s_waitcnt vmcnt(16) lgkmcnt(1)
	v_mul_f64 v[156:157], v[148:149], v[42:43]
	v_fmac_f64_e32 v[156:157], v[150:151], v[40:41]
	v_mul_f64 v[154:155], v[182:183], v[154:155]
	v_add_f64 v[0:1], v[0:1], v[156:157]
	v_fma_f64 v[254:255], v[180:181], v[152:153], -v[154:155]
	ds_read_b128 v[152:155], v2 offset:1552
	s_waitcnt vmcnt(15) lgkmcnt(1)
	v_mul_f64 v[156:157], v[144:145], v[46:47]
	v_fmac_f64_e32 v[156:157], v[146:147], v[44:45]
	v_add_f64 v[0:1], v[0:1], v[156:157]
	ds_read_b128 v[156:159], v2 offset:1568
	v_mul_f64 v[162:163], v[194:195], v[162:163]
	v_fma_f64 v[232:233], v[192:193], v[160:161], -v[162:163]
	ds_read_b128 v[160:163], v2 offset:1584
	s_waitcnt vmcnt(14) lgkmcnt(2)
	v_mul_f64 v[168:169], v[152:153], v[50:51]
	v_fmac_f64_e32 v[168:169], v[154:155], v[48:49]
	v_mul_f64 v[166:167], v[206:207], v[166:167]
	v_add_f64 v[0:1], v[0:1], v[168:169]
	s_waitcnt vmcnt(13) lgkmcnt(1)
	v_mul_f64 v[168:169], v[156:157], v[54:55]
	v_fma_f64 v[12:13], v[204:205], v[164:165], -v[166:167]
	ds_read_b128 v[164:167], v2 offset:1600
	v_accvgpr_write_b32 a119, v7
	v_fmac_f64_e32 v[168:169], v[158:159], v[52:53]
	v_accvgpr_write_b32 a118, v6
	v_accvgpr_write_b32 a117, v5
	;; [unrolled: 1-line block ×3, first 2 shown]
	v_add_f64 v[0:1], v[0:1], v[168:169]
	s_waitcnt vmcnt(12) lgkmcnt(1)
	v_mul_f64 v[6:7], v[160:161], v[58:59]
	ds_read_b128 v[168:171], v2 offset:1616
	v_fmac_f64_e32 v[6:7], v[162:163], v[56:57]
	v_accvgpr_write_b32 a123, v11
	v_add_f64 v[0:1], v[0:1], v[6:7]
	v_mul_f64 v[6:7], v[214:215], v[174:175]
	v_accvgpr_write_b32 a122, v10
	v_accvgpr_write_b32 a121, v9
	;; [unrolled: 1-line block ×3, first 2 shown]
	v_fma_f64 v[8:9], v[212:213], v[172:173], -v[6:7]
	s_waitcnt vmcnt(11) lgkmcnt(1)
	v_mul_f64 v[6:7], v[164:165], v[62:63]
	v_fmac_f64_e32 v[6:7], v[166:167], v[60:61]
	ds_read_b128 v[172:175], v2 offset:1632
	v_add_f64 v[0:1], v[0:1], v[6:7]
	s_waitcnt vmcnt(10) lgkmcnt(1)
	v_mul_f64 v[6:7], v[168:169], v[66:67]
	v_fmac_f64_e32 v[6:7], v[170:171], v[64:65]
	v_add_f64 v[0:1], v[0:1], v[6:7]
	v_mul_f64 v[6:7], v[218:219], v[178:179]
	v_fma_f64 v[10:11], v[216:217], v[176:177], -v[6:7]
	ds_read_b128 v[176:179], v2 offset:1648
	ds_read_b128 v[180:183], v2 offset:1664
	s_waitcnt vmcnt(9) lgkmcnt(2)
	v_mul_f64 v[6:7], v[172:173], v[70:71]
	v_fmac_f64_e32 v[6:7], v[174:175], v[68:69]
	v_add_f64 v[0:1], v[0:1], v[6:7]
	s_waitcnt vmcnt(8) lgkmcnt(1)
	v_mul_f64 v[6:7], v[176:177], v[90:91]
	v_fmac_f64_e32 v[6:7], v[178:179], v[88:89]
	v_add_f64 v[0:1], v[0:1], v[6:7]
	v_mul_f64 v[6:7], v[222:223], v[186:187]
	v_fma_f64 v[4:5], v[220:221], v[184:185], -v[6:7]
	ds_read_b128 v[184:187], v2 offset:1680
	v_mul_f64 v[6:7], v[226:227], v[190:191]
	v_fma_f64 v[6:7], v[224:225], v[188:189], -v[6:7]
	ds_read_b128 v[188:191], v2 offset:1696
	s_waitcnt vmcnt(7) lgkmcnt(2)
	v_mul_f64 v[14:15], v[180:181], v[94:95]
	v_fmac_f64_e32 v[14:15], v[182:183], v[92:93]
	v_add_f64 v[0:1], v[0:1], v[14:15]
	s_waitcnt vmcnt(6) lgkmcnt(1)
	v_mul_f64 v[14:15], v[184:185], v[98:99]
	v_fmac_f64_e32 v[14:15], v[186:187], v[96:97]
	v_add_f64 v[0:1], v[0:1], v[14:15]
	s_waitcnt vmcnt(5) lgkmcnt(0)
	v_mul_f64 v[14:15], v[188:189], v[102:103]
	ds_read_b128 v[192:195], v2 offset:1712
	v_fmac_f64_e32 v[14:15], v[190:191], v[100:101]
	v_add_f64 v[14:15], v[0:1], v[14:15]
	v_mul_f64 v[0:1], v[230:231], v[198:199]
	v_fma_f64 v[0:1], v[228:229], v[196:197], -v[0:1]
	ds_read_b128 v[196:199], v2 offset:1728
	v_mul_f64 v[202:203], v[244:245], v[202:203]
	s_waitcnt vmcnt(4) lgkmcnt(1)
	v_mul_f64 v[204:205], v[192:193], v[106:107]
	v_fma_f64 v[238:239], v[242:243], v[200:201], -v[202:203]
	ds_read_b128 v[200:203], v2 offset:1744
	v_fmac_f64_e32 v[204:205], v[194:195], v[104:105]
	v_add_f64 v[14:15], v[14:15], v[204:205]
	ds_read_b128 v[204:207], v2 offset:1760
	s_waitcnt vmcnt(3) lgkmcnt(2)
	v_mul_f64 v[212:213], v[196:197], v[110:111]
	v_mul_f64 v[210:211], v[248:249], v[210:211]
	v_fmac_f64_e32 v[212:213], v[198:199], v[108:109]
	v_fma_f64 v[242:243], v[246:247], v[208:209], -v[210:211]
	ds_read_b128 v[208:211], v2 offset:1776
	ds_read_b128 v[216:219], v2 offset:1792
	v_add_f64 v[14:15], v[14:15], v[212:213]
	s_waitcnt vmcnt(2) lgkmcnt(3)
	v_mul_f64 v[212:213], v[200:201], v[118:119]
	v_fmac_f64_e32 v[212:213], v[202:203], v[116:117]
	v_add_f64 v[14:15], v[14:15], v[212:213]
	s_waitcnt vmcnt(1) lgkmcnt(2)
	v_mul_f64 v[212:213], v[204:205], v[114:115]
	v_fmac_f64_e32 v[212:213], v[206:207], v[112:113]
	;; [unrolled: 4-line block ×3, first 2 shown]
	v_add_f64 v[14:15], v[14:15], v[212:213]
	scratch_load_dwordx4 v[212:215], off, off offset:896
	ds_read_b128 v[224:227], v2 offset:1808
	s_waitcnt vmcnt(0) lgkmcnt(1)
	v_mul_f64 v[220:221], v[216:217], v[214:215]
	v_fmac_f64_e32 v[220:221], v[218:219], v[212:213]
	v_add_f64 v[14:15], v[14:15], v[220:221]
	scratch_load_dwordx4 v[220:223], off, off offset:912
	s_waitcnt vmcnt(0) lgkmcnt(0)
	v_mul_f64 v[228:229], v[224:225], v[222:223]
	v_fmac_f64_e32 v[228:229], v[226:227], v[220:221]
	v_add_f64 v[246:247], v[14:15], v[228:229]
	scratch_load_dwordx4 v[228:231], off, off offset:256
	v_add_f64 v[14:15], v[240:241], 0
	v_add_f64 v[14:15], v[14:15], v[250:251]
	;; [unrolled: 1-line block ×10, first 2 shown]
	v_accvgpr_read_b32 v6, a116
	v_accvgpr_read_b32 v8, a118
	;; [unrolled: 1-line block ×3, first 2 shown]
	v_add_f64 v[0:1], v[4:5], v[0:1]
	v_accvgpr_read_b32 v7, a117
	v_mul_f64 v[4:5], v[86:87], v[8:9]
	v_add_f64 v[0:1], v[0:1], v[238:239]
	v_fma_f64 v[4:5], v[84:85], v[6:7], -v[4:5]
	v_accvgpr_read_b32 v6, a120
	v_add_f64 v[0:1], v[0:1], v[242:243]
	v_accvgpr_read_b32 v8, a122
	v_accvgpr_read_b32 v9, a123
	v_add_f64 v[0:1], v[0:1], v[4:5]
	v_accvgpr_read_b32 v7, a121
	v_mul_f64 v[4:5], v[82:83], v[8:9]
	v_fma_f64 v[4:5], v[80:81], v[6:7], -v[4:5]
	v_add_f64 v[0:1], v[0:1], v[4:5]
	v_mul_f64 v[4:5], v[78:79], v[236:237]
	v_fma_f64 v[4:5], v[76:77], v[234:235], -v[4:5]
	v_add_f64 v[0:1], v[0:1], v[4:5]
	;; [unrolled: 3-line block ×27, first 2 shown]
	s_waitcnt vmcnt(0)
	v_add_f64 v[4:5], v[228:229], -v[0:1]
	v_accvgpr_read_b32 v0, a114
	v_add_f64 v[6:7], v[230:231], -v[246:247]
	v_cmp_lt_u32_e32 vcc, 14, v0
	scratch_store_dwordx4 off, v[4:7], off offset:256
	s_and_saveexec_b64 s[0:1], vcc
	s_cbranch_execz .LBB120_327
; %bb.326:
	scratch_load_dwordx4 v[6:9], off, s59
	v_mov_b32_e32 v3, v2
	v_mov_b32_e32 v4, v2
	;; [unrolled: 1-line block ×3, first 2 shown]
	v_accvgpr_read_b32 v0, a115
	scratch_store_dwordx4 off, v[2:5], off offset:240
	s_waitcnt vmcnt(1)
	ds_write_b128 v0, v[6:9]
.LBB120_327:
	s_or_b64 exec, exec, s[0:1]
	s_waitcnt lgkmcnt(0)
	; wave barrier
	scratch_load_dwordx4 v[88:91], off, off offset:256
	scratch_load_dwordx4 v[92:95], off, off offset:272
	;; [unrolled: 1-line block ×17, first 2 shown]
	ds_read_b128 v[212:215], v2 offset:1152
	ds_read_b128 v[204:207], v2 offset:1168
	ds_read_b128 v[196:199], v2 offset:1184
	scratch_load_dwordx4 v[20:23], off, off offset:528
	ds_read_b128 v[216:219], v2 offset:1200
	ds_read_b128 v[208:211], v2 offset:1216
	;; [unrolled: 1-line block ×5, first 2 shown]
	scratch_load_dwordx4 v[24:27], off, off offset:544
	ds_read_b128 v[180:183], v2 offset:1280
	ds_read_b128 v[160:163], v2 offset:1296
	;; [unrolled: 1-line block ×3, first 2 shown]
	scratch_load_dwordx4 v[28:31], off, off offset:560
	ds_read_b128 v[172:175], v2 offset:1328
	ds_read_b128 v[148:151], v2 offset:1344
	;; [unrolled: 1-line block ×5, first 2 shown]
	scratch_load_dwordx4 v[36:39], off, off offset:576
	ds_read_b128 v[48:51], v2 offset:1408
	scratch_load_dwordx4 v[52:55], off, off offset:592
	scratch_load_dwordx4 v[56:59], off, off offset:608
	;; [unrolled: 1-line block ×9, first 2 shown]
	ds_read_b128 v[140:143], v2 offset:1424
	ds_read_b128 v[232:235], v2 offset:1488
	ds_read_b128 v[228:231], v2 offset:1472
	s_waitcnt vmcnt(29) lgkmcnt(14)
	v_mul_f64 v[0:1], v[212:213], v[90:91]
	s_waitcnt vmcnt(28)
	v_mul_f64 v[152:153], v[204:205], v[94:95]
	v_fmac_f64_e32 v[0:1], v[214:215], v[88:89]
	s_waitcnt vmcnt(27)
	v_mul_f64 v[154:155], v[196:197], v[98:99]
	v_fmac_f64_e32 v[152:153], v[206:207], v[92:93]
	v_add_f64 v[0:1], v[0:1], 0
	s_waitcnt vmcnt(26)
	v_mul_f64 v[164:165], v[216:217], v[102:103]
	v_fmac_f64_e32 v[154:155], v[198:199], v[96:97]
	v_add_f64 v[0:1], v[0:1], v[152:153]
	;; [unrolled: 4-line block ×4, first 2 shown]
	s_waitcnt vmcnt(23) lgkmcnt(13)
	v_mul_f64 v[170:171], v[184:185], v[114:115]
	v_fmac_f64_e32 v[168:169], v[202:203], v[108:109]
	v_add_f64 v[0:1], v[0:1], v[166:167]
	s_waitcnt vmcnt(22) lgkmcnt(12)
	v_mul_f64 v[176:177], v[156:157], v[118:119]
	v_fmac_f64_e32 v[170:171], v[186:187], v[112:113]
	v_add_f64 v[0:1], v[0:1], v[168:169]
	;; [unrolled: 4-line block ×10, first 2 shown]
	v_fmac_f64_e32 v[224:225], v[34:35], v[12:13]
	v_add_f64 v[0:1], v[0:1], v[222:223]
	ds_read_b128 v[220:223], v2 offset:1440
	v_add_f64 v[0:1], v[0:1], v[224:225]
	ds_read_b128 v[224:227], v2 offset:1456
	s_waitcnt vmcnt(13) lgkmcnt(5)
	v_mul_f64 v[164:165], v[48:49], v[18:19]
	scratch_load_dwordx4 v[152:155], off, off offset:736
	v_fmac_f64_e32 v[164:165], v[50:51], v[16:17]
	s_waitcnt vmcnt(13) lgkmcnt(4)
	v_mul_f64 v[168:169], v[140:141], v[22:23]
	v_add_f64 v[0:1], v[0:1], v[164:165]
	v_fmac_f64_e32 v[168:169], v[142:143], v[20:21]
	scratch_load_dwordx4 v[164:167], off, off offset:752
	v_add_f64 v[0:1], v[0:1], v[168:169]
	s_waitcnt vmcnt(13) lgkmcnt(1)
	v_mul_f64 v[176:177], v[220:221], v[26:27]
	scratch_load_dwordx4 v[168:171], off, off offset:768
	v_fmac_f64_e32 v[176:177], v[222:223], v[24:25]
	s_waitcnt vmcnt(13) lgkmcnt(0)
	v_mul_f64 v[188:189], v[224:225], v[30:31]
	v_add_f64 v[0:1], v[0:1], v[176:177]
	scratch_load_dwordx4 v[176:179], off, off offset:784
	v_fmac_f64_e32 v[188:189], v[226:227], v[28:29]
	v_add_f64 v[0:1], v[0:1], v[188:189]
	s_waitcnt vmcnt(13)
	v_mul_f64 v[188:189], v[228:229], v[38:39]
	v_fmac_f64_e32 v[188:189], v[230:231], v[36:37]
	v_add_f64 v[0:1], v[0:1], v[188:189]
	scratch_load_dwordx4 v[188:191], off, off offset:800
	s_waitcnt vmcnt(13)
	v_mul_f64 v[192:193], v[232:233], v[54:55]
	v_fmac_f64_e32 v[192:193], v[234:235], v[52:53]
	v_mul_f64 v[90:91], v[214:215], v[90:91]
	v_add_f64 v[0:1], v[0:1], v[192:193]
	scratch_load_dwordx4 v[192:195], off, off offset:816
	v_fma_f64 v[240:241], v[212:213], v[88:89], -v[90:91]
	v_mul_f64 v[88:89], v[206:207], v[94:95]
	ds_read_b128 v[236:239], v2 offset:1504
	ds_read_b128 v[212:215], v2 offset:1520
	v_fma_f64 v[246:247], v[204:205], v[92:93], -v[88:89]
	scratch_load_dwordx4 v[92:95], off, off offset:832
	scratch_load_dwordx4 v[88:91], off, off offset:848
	v_mul_f64 v[98:99], v[198:199], v[98:99]
	v_fma_f64 v[248:249], v[196:197], v[96:97], -v[98:99]
	scratch_load_dwordx4 v[96:99], off, off offset:864
	s_waitcnt vmcnt(16) lgkmcnt(1)
	v_mul_f64 v[204:205], v[236:237], v[58:59]
	v_mul_f64 v[102:103], v[218:219], v[102:103]
	v_fmac_f64_e32 v[204:205], v[238:239], v[56:57]
	v_fma_f64 v[216:217], v[216:217], v[100:101], -v[102:103]
	ds_read_b128 v[100:103], v2 offset:1536
	s_waitcnt vmcnt(15) lgkmcnt(1)
	v_mul_f64 v[196:197], v[212:213], v[62:63]
	v_add_f64 v[0:1], v[0:1], v[204:205]
	v_fmac_f64_e32 v[196:197], v[214:215], v[60:61]
	v_add_f64 v[0:1], v[0:1], v[196:197]
	ds_read_b128 v[196:199], v2 offset:1552
	v_mul_f64 v[106:107], v[210:211], v[106:107]
	v_fma_f64 v[218:219], v[208:209], v[104:105], -v[106:107]
	ds_read_b128 v[104:107], v2 offset:1568
	s_waitcnt vmcnt(14) lgkmcnt(2)
	v_mul_f64 v[204:205], v[100:101], v[66:67]
	v_fmac_f64_e32 v[204:205], v[102:103], v[64:65]
	v_add_f64 v[0:1], v[0:1], v[204:205]
	s_waitcnt vmcnt(13) lgkmcnt(1)
	v_mul_f64 v[204:205], v[196:197], v[70:71]
	v_mul_f64 v[110:111], v[202:203], v[110:111]
	v_fmac_f64_e32 v[204:205], v[198:199], v[68:69]
	v_fma_f64 v[250:251], v[200:201], v[108:109], -v[110:111]
	ds_read_b128 v[108:111], v2 offset:1584
	s_waitcnt vmcnt(12) lgkmcnt(1)
	v_mul_f64 v[200:201], v[104:105], v[74:75]
	v_add_f64 v[0:1], v[0:1], v[204:205]
	v_fmac_f64_e32 v[200:201], v[106:107], v[72:73]
	v_add_f64 v[0:1], v[0:1], v[200:201]
	ds_read_b128 v[200:203], v2 offset:1600
	v_mul_f64 v[114:115], v[186:187], v[114:115]
	v_fma_f64 v[252:253], v[184:185], v[112:113], -v[114:115]
	ds_read_b128 v[112:115], v2 offset:1616
	s_waitcnt vmcnt(11) lgkmcnt(2)
	v_mul_f64 v[184:185], v[108:109], v[78:79]
	v_fmac_f64_e32 v[184:185], v[110:111], v[76:77]
	v_add_f64 v[0:1], v[0:1], v[184:185]
	s_waitcnt vmcnt(10) lgkmcnt(1)
	v_mul_f64 v[184:185], v[200:201], v[82:83]
	v_mul_f64 v[118:119], v[158:159], v[118:119]
	v_fmac_f64_e32 v[184:185], v[202:203], v[80:81]
	v_fma_f64 v[254:255], v[156:157], v[116:117], -v[118:119]
	s_waitcnt vmcnt(9) lgkmcnt(0)
	v_mul_f64 v[156:157], v[112:113], v[86:87]
	v_add_f64 v[0:1], v[0:1], v[184:185]
	ds_read_b128 v[116:119], v2 offset:1632
	v_fmac_f64_e32 v[156:157], v[114:115], v[84:85]
	v_add_f64 v[0:1], v[0:1], v[156:157]
	ds_read_b128 v[156:159], v2 offset:1648
	v_mul_f64 v[122:123], v[182:183], v[122:123]
	v_fma_f64 v[242:243], v[180:181], v[120:121], -v[122:123]
	ds_read_b128 v[120:123], v2 offset:1664
	v_accvgpr_write_b32 a119, v7
	v_mul_f64 v[126:127], v[162:163], v[126:127]
	v_accvgpr_write_b32 a118, v6
	v_accvgpr_write_b32 a117, v5
	;; [unrolled: 1-line block ×3, first 2 shown]
	v_fma_f64 v[4:5], v[160:161], v[124:125], -v[126:127]
	ds_read_b128 v[124:127], v2 offset:1680
	s_waitcnt vmcnt(8) lgkmcnt(3)
	v_mul_f64 v[184:185], v[116:117], v[154:155]
	v_fmac_f64_e32 v[184:185], v[118:119], v[152:153]
	s_waitcnt vmcnt(7) lgkmcnt(2)
	v_mul_f64 v[180:181], v[156:157], v[166:167]
	v_add_f64 v[0:1], v[0:1], v[184:185]
	v_fmac_f64_e32 v[180:181], v[158:159], v[164:165]
	s_waitcnt vmcnt(6) lgkmcnt(1)
	v_mul_f64 v[6:7], v[120:121], v[170:171]
	ds_read_b128 v[160:163], v2 offset:1696
	v_add_f64 v[0:1], v[0:1], v[180:181]
	v_fmac_f64_e32 v[6:7], v[122:123], v[168:169]
	v_add_f64 v[0:1], v[0:1], v[6:7]
	s_waitcnt vmcnt(5) lgkmcnt(1)
	v_mul_f64 v[6:7], v[124:125], v[178:179]
	v_fmac_f64_e32 v[6:7], v[126:127], v[176:177]
	v_add_f64 v[0:1], v[0:1], v[6:7]
	v_mul_f64 v[6:7], v[146:147], v[130:131]
	v_fma_f64 v[6:7], v[144:145], v[128:129], -v[6:7]
	ds_read_b128 v[128:131], v2 offset:1712
	s_waitcnt vmcnt(4) lgkmcnt(1)
	v_mul_f64 v[144:145], v[160:161], v[190:191]
	v_fmac_f64_e32 v[144:145], v[162:163], v[188:189]
	v_add_f64 v[180:181], v[0:1], v[144:145]
	v_mul_f64 v[0:1], v[174:175], v[134:135]
	v_fma_f64 v[0:1], v[172:173], v[132:133], -v[0:1]
	ds_read_b128 v[132:135], v2 offset:1728
	ds_read_b128 v[144:147], v2 offset:1744
	v_mul_f64 v[138:139], v[150:151], v[138:139]
	v_fma_f64 v[244:245], v[148:149], v[136:137], -v[138:139]
	ds_read_b128 v[136:139], v2 offset:1760
	s_waitcnt vmcnt(3) lgkmcnt(3)
	v_mul_f64 v[172:173], v[128:129], v[194:195]
	v_fmac_f64_e32 v[172:173], v[130:131], v[192:193]
	s_waitcnt vmcnt(2) lgkmcnt(2)
	v_mul_f64 v[148:149], v[132:133], v[94:95]
	v_add_f64 v[172:173], v[180:181], v[172:173]
	v_fmac_f64_e32 v[148:149], v[134:135], v[92:93]
	s_waitcnt vmcnt(1) lgkmcnt(1)
	v_mul_f64 v[150:151], v[144:145], v[90:91]
	v_add_f64 v[148:149], v[172:173], v[148:149]
	v_fmac_f64_e32 v[150:151], v[146:147], v[88:89]
	v_add_f64 v[148:149], v[148:149], v[150:151]
	ds_read_b128 v[172:175], v2 offset:1776
	scratch_load_dwordx4 v[208:211], off, off offset:912
	s_waitcnt vmcnt(1) lgkmcnt(1)
	v_mul_f64 v[150:151], v[136:137], v[98:99]
	v_fmac_f64_e32 v[150:151], v[138:139], v[96:97]
	v_add_f64 v[180:181], v[148:149], v[150:151]
	scratch_load_dwordx4 v[148:151], off, off offset:880
	ds_read_b128 v[184:187], v2 offset:1792
	v_accvgpr_write_b32 a121, v1
	v_accvgpr_write_b32 a120, v0
	s_waitcnt vmcnt(0) lgkmcnt(1)
	v_mul_f64 v[182:183], v[172:173], v[150:151]
	v_fmac_f64_e32 v[182:183], v[174:175], v[148:149]
	v_add_f64 v[204:205], v[180:181], v[182:183]
	scratch_load_dwordx4 v[180:183], off, off offset:896
	s_waitcnt vmcnt(0) lgkmcnt(0)
	v_mul_f64 v[206:207], v[184:185], v[182:183]
	v_fmac_f64_e32 v[206:207], v[186:187], v[180:181]
	v_add_f64 v[0:1], v[204:205], v[206:207]
	ds_read_b128 v[204:207], v2 offset:1808
	s_waitcnt lgkmcnt(0)
	v_mul_f64 v[2:3], v[204:205], v[210:211]
	v_fmac_f64_e32 v[2:3], v[206:207], v[208:209]
	v_add_f64 v[2:3], v[0:1], v[2:3]
	v_add_f64 v[0:1], v[240:241], 0
	;; [unrolled: 1-line block ×6, first 2 shown]
	scratch_load_dwordx4 v[216:219], off, off offset:240
	v_add_f64 v[0:1], v[0:1], v[250:251]
	v_add_f64 v[0:1], v[0:1], v[252:253]
	;; [unrolled: 1-line block ×6, first 2 shown]
	v_accvgpr_read_b32 v0, a120
	v_accvgpr_read_b32 v243, a119
	;; [unrolled: 1-line block ×4, first 2 shown]
	v_add_f64 v[0:1], v[246:247], v[0:1]
	v_accvgpr_read_b32 v241, a117
	v_accvgpr_read_b32 v240, a116
	v_mul_f64 v[4:5], v[46:47], v[242:243]
	v_add_f64 v[0:1], v[0:1], v[244:245]
	v_fma_f64 v[4:5], v[44:45], v[240:241], -v[4:5]
	v_add_f64 v[0:1], v[0:1], v[4:5]
	v_mul_f64 v[4:5], v[42:43], v[10:11]
	v_fma_f64 v[4:5], v[40:41], v[8:9], -v[4:5]
	v_add_f64 v[0:1], v[0:1], v[4:5]
	v_mul_f64 v[4:5], v[34:35], v[14:15]
	v_fma_f64 v[4:5], v[32:33], v[12:13], -v[4:5]
	v_add_f64 v[0:1], v[0:1], v[4:5]
	v_mul_f64 v[4:5], v[50:51], v[18:19]
	v_fma_f64 v[4:5], v[48:49], v[16:17], -v[4:5]
	v_add_f64 v[0:1], v[0:1], v[4:5]
	v_mul_f64 v[4:5], v[142:143], v[22:23]
	v_fma_f64 v[4:5], v[140:141], v[20:21], -v[4:5]
	v_add_f64 v[0:1], v[0:1], v[4:5]
	v_mul_f64 v[4:5], v[222:223], v[26:27]
	v_fma_f64 v[4:5], v[220:221], v[24:25], -v[4:5]
	v_add_f64 v[0:1], v[0:1], v[4:5]
	v_mul_f64 v[4:5], v[226:227], v[30:31]
	v_fma_f64 v[4:5], v[224:225], v[28:29], -v[4:5]
	v_add_f64 v[0:1], v[0:1], v[4:5]
	v_mul_f64 v[4:5], v[230:231], v[38:39]
	v_fma_f64 v[4:5], v[228:229], v[36:37], -v[4:5]
	v_add_f64 v[0:1], v[0:1], v[4:5]
	v_mul_f64 v[4:5], v[234:235], v[54:55]
	v_fma_f64 v[4:5], v[232:233], v[52:53], -v[4:5]
	v_add_f64 v[0:1], v[0:1], v[4:5]
	v_mul_f64 v[4:5], v[238:239], v[58:59]
	v_fma_f64 v[4:5], v[236:237], v[56:57], -v[4:5]
	v_add_f64 v[0:1], v[0:1], v[4:5]
	v_mul_f64 v[4:5], v[214:215], v[62:63]
	v_fma_f64 v[4:5], v[212:213], v[60:61], -v[4:5]
	v_add_f64 v[0:1], v[0:1], v[4:5]
	v_mul_f64 v[4:5], v[102:103], v[66:67]
	v_fma_f64 v[4:5], v[100:101], v[64:65], -v[4:5]
	v_add_f64 v[0:1], v[0:1], v[4:5]
	v_mul_f64 v[4:5], v[198:199], v[70:71]
	v_fma_f64 v[4:5], v[196:197], v[68:69], -v[4:5]
	v_add_f64 v[0:1], v[0:1], v[4:5]
	v_mul_f64 v[4:5], v[106:107], v[74:75]
	v_fma_f64 v[4:5], v[104:105], v[72:73], -v[4:5]
	v_add_f64 v[0:1], v[0:1], v[4:5]
	v_mul_f64 v[4:5], v[110:111], v[78:79]
	v_fma_f64 v[4:5], v[108:109], v[76:77], -v[4:5]
	v_add_f64 v[0:1], v[0:1], v[4:5]
	v_mul_f64 v[4:5], v[202:203], v[82:83]
	v_fma_f64 v[4:5], v[200:201], v[80:81], -v[4:5]
	v_add_f64 v[0:1], v[0:1], v[4:5]
	v_mul_f64 v[4:5], v[114:115], v[86:87]
	v_fma_f64 v[4:5], v[112:113], v[84:85], -v[4:5]
	v_add_f64 v[0:1], v[0:1], v[4:5]
	v_mul_f64 v[4:5], v[118:119], v[154:155]
	v_fma_f64 v[4:5], v[116:117], v[152:153], -v[4:5]
	v_add_f64 v[0:1], v[0:1], v[4:5]
	v_mul_f64 v[4:5], v[158:159], v[166:167]
	v_fma_f64 v[4:5], v[156:157], v[164:165], -v[4:5]
	v_add_f64 v[0:1], v[0:1], v[4:5]
	v_mul_f64 v[4:5], v[122:123], v[170:171]
	v_fma_f64 v[4:5], v[120:121], v[168:169], -v[4:5]
	v_add_f64 v[0:1], v[0:1], v[4:5]
	v_mul_f64 v[4:5], v[126:127], v[178:179]
	v_fma_f64 v[4:5], v[124:125], v[176:177], -v[4:5]
	v_add_f64 v[0:1], v[0:1], v[4:5]
	v_mul_f64 v[4:5], v[162:163], v[190:191]
	v_fma_f64 v[4:5], v[160:161], v[188:189], -v[4:5]
	v_add_f64 v[0:1], v[0:1], v[4:5]
	v_mul_f64 v[4:5], v[130:131], v[194:195]
	v_fma_f64 v[4:5], v[128:129], v[192:193], -v[4:5]
	v_add_f64 v[0:1], v[0:1], v[4:5]
	v_mul_f64 v[4:5], v[134:135], v[94:95]
	v_fma_f64 v[4:5], v[132:133], v[92:93], -v[4:5]
	v_add_f64 v[0:1], v[0:1], v[4:5]
	v_mul_f64 v[4:5], v[146:147], v[90:91]
	v_fma_f64 v[4:5], v[144:145], v[88:89], -v[4:5]
	v_add_f64 v[0:1], v[0:1], v[4:5]
	v_mul_f64 v[4:5], v[138:139], v[98:99]
	v_fma_f64 v[4:5], v[136:137], v[96:97], -v[4:5]
	v_add_f64 v[0:1], v[0:1], v[4:5]
	v_mul_f64 v[4:5], v[174:175], v[150:151]
	v_fma_f64 v[4:5], v[172:173], v[148:149], -v[4:5]
	v_add_f64 v[0:1], v[0:1], v[4:5]
	v_mul_f64 v[4:5], v[186:187], v[182:183]
	v_fma_f64 v[4:5], v[184:185], v[180:181], -v[4:5]
	v_add_f64 v[0:1], v[0:1], v[4:5]
	v_mul_f64 v[4:5], v[206:207], v[210:211]
	v_fma_f64 v[4:5], v[204:205], v[208:209], -v[4:5]
	v_add_f64 v[0:1], v[0:1], v[4:5]
	s_waitcnt vmcnt(0)
	v_add_f64 v[4:5], v[216:217], -v[0:1]
	v_accvgpr_read_b32 v0, a114
	v_add_f64 v[6:7], v[218:219], -v[2:3]
	v_cmp_lt_u32_e32 vcc, 13, v0
	scratch_store_dwordx4 off, v[4:7], off offset:240
	s_and_saveexec_b64 s[0:1], vcc
	s_cbranch_execz .LBB120_329
; %bb.328:
	scratch_load_dwordx4 v[2:5], off, s60
	v_mov_b32_e32 v6, 0
	v_mov_b32_e32 v7, v6
	;; [unrolled: 1-line block ×4, first 2 shown]
	v_accvgpr_read_b32 v0, a115
	scratch_store_dwordx4 off, v[6:9], off offset:224
	s_waitcnt vmcnt(1)
	ds_write_b128 v0, v[2:5]
.LBB120_329:
	s_or_b64 exec, exec, s[0:1]
	s_waitcnt lgkmcnt(0)
	; wave barrier
	scratch_load_dwordx4 v[96:99], off, off offset:240
	scratch_load_dwordx4 v[100:103], off, off offset:256
	;; [unrolled: 1-line block ×30, first 2 shown]
	v_mov_b32_e32 v2, 0
	ds_read_b128 v[136:139], v2 offset:1136
	ds_read_b128 v[144:147], v2 offset:1152
	;; [unrolled: 1-line block ×20, first 2 shown]
	s_waitcnt vmcnt(29) lgkmcnt(14)
	v_mul_f64 v[0:1], v[136:137], v[98:99]
	s_waitcnt vmcnt(28)
	v_mul_f64 v[72:73], v[144:145], v[102:103]
	v_fmac_f64_e32 v[0:1], v[138:139], v[96:97]
	s_waitcnt vmcnt(27)
	v_mul_f64 v[74:75], v[148:149], v[106:107]
	v_fmac_f64_e32 v[72:73], v[146:147], v[100:101]
	v_add_f64 v[0:1], v[0:1], 0
	s_waitcnt vmcnt(26)
	v_mul_f64 v[76:77], v[164:165], v[110:111]
	v_fmac_f64_e32 v[74:75], v[150:151], v[104:105]
	v_add_f64 v[0:1], v[0:1], v[72:73]
	;; [unrolled: 4-line block ×4, first 2 shown]
	s_waitcnt vmcnt(23) lgkmcnt(13)
	v_mul_f64 v[82:83], v[200:201], v[158:159]
	v_fmac_f64_e32 v[80:81], v[190:191], v[152:153]
	v_add_f64 v[0:1], v[0:1], v[78:79]
	s_waitcnt vmcnt(22) lgkmcnt(12)
	v_mul_f64 v[84:85], v[208:209], v[162:163]
	v_fmac_f64_e32 v[82:83], v[202:203], v[156:157]
	v_add_f64 v[0:1], v[0:1], v[80:81]
	;; [unrolled: 4-line block ×9, first 2 shown]
	s_waitcnt vmcnt(14) lgkmcnt(4)
	v_mul_f64 v[120:121], v[68:69], v[6:7]
	v_fmac_f64_e32 v[118:119], v[248:249], v[204:205]
	v_accvgpr_write_b32 a119, v7
	v_add_f64 v[0:1], v[0:1], v[116:117]
	v_fmac_f64_e32 v[120:121], v[70:71], v[4:5]
	v_accvgpr_write_b32 a118, v6
	v_accvgpr_write_b32 a117, v5
	;; [unrolled: 1-line block ×3, first 2 shown]
	v_add_f64 v[0:1], v[0:1], v[118:119]
	ds_read_b128 v[116:119], v2 offset:1408
	s_waitcnt vmcnt(13)
	v_mov_b64_e32 v[4:5], v[8:9]
	v_mov_b64_e32 v[6:7], v[10:11]
	s_waitcnt lgkmcnt(4)
	v_mul_f64 v[76:77], v[64:65], v[6:7]
	scratch_load_dwordx4 v[72:75], off, off offset:720
	v_add_f64 v[0:1], v[0:1], v[120:121]
	v_fmac_f64_e32 v[76:77], v[66:67], v[4:5]
	s_waitcnt vmcnt(13)
	v_mov_b64_e32 v[4:5], v[12:13]
	v_add_f64 v[0:1], v[0:1], v[76:77]
	v_mov_b64_e32 v[6:7], v[14:15]
	scratch_load_dwordx4 v[76:79], off, off offset:736
	ds_read_b128 v[120:123], v2 offset:1424
	s_waitcnt lgkmcnt(1)
	v_mul_f64 v[80:81], v[116:117], v[6:7]
	v_fmac_f64_e32 v[80:81], v[118:119], v[4:5]
	v_add_f64 v[0:1], v[0:1], v[80:81]
	scratch_load_dwordx4 v[80:83], off, off offset:752
	s_waitcnt vmcnt(14) lgkmcnt(0)
	v_mul_f64 v[84:85], v[120:121], v[236:237]
	v_fmac_f64_e32 v[84:85], v[122:123], v[234:235]
	s_waitcnt vmcnt(13)
	v_mul_f64 v[88:89], v[124:125], v[22:23]
	v_add_f64 v[0:1], v[0:1], v[84:85]
	v_fmac_f64_e32 v[88:89], v[126:127], v[20:21]
	scratch_load_dwordx4 v[84:87], off, off offset:768
	v_add_f64 v[0:1], v[0:1], v[88:89]
	s_waitcnt vmcnt(13)
	v_mul_f64 v[88:89], v[128:129], v[26:27]
	v_fmac_f64_e32 v[88:89], v[130:131], v[24:25]
	v_add_f64 v[0:1], v[0:1], v[88:89]
	scratch_load_dwordx4 v[88:91], off, off offset:784
	s_waitcnt vmcnt(13)
	v_mul_f64 v[92:93], v[132:133], v[30:31]
	v_fmac_f64_e32 v[92:93], v[134:135], v[28:29]
	v_add_f64 v[0:1], v[0:1], v[92:93]
	scratch_load_dwordx4 v[92:95], off, off offset:800
	v_mul_f64 v[98:99], v[138:139], v[98:99]
	v_fma_f64 v[240:241], v[136:137], v[96:97], -v[98:99]
	v_mul_f64 v[96:97], v[146:147], v[102:103]
	ds_read_b128 v[140:143], v2 offset:1488
	ds_read_b128 v[136:139], v2 offset:1504
	v_fma_f64 v[250:251], v[144:145], v[100:101], -v[96:97]
	scratch_load_dwordx4 v[100:103], off, off offset:816
	scratch_load_dwordx4 v[96:99], off, off offset:832
	s_waitcnt vmcnt(15) lgkmcnt(1)
	v_mul_f64 v[144:145], v[140:141], v[34:35]
	v_fmac_f64_e32 v[144:145], v[142:143], v[32:33]
	v_mul_f64 v[106:107], v[150:151], v[106:107]
	v_add_f64 v[0:1], v[0:1], v[144:145]
	s_waitcnt vmcnt(14) lgkmcnt(0)
	v_mul_f64 v[144:145], v[136:137], v[38:39]
	v_fma_f64 v[252:253], v[148:149], v[104:105], -v[106:107]
	v_mul_f64 v[104:105], v[166:167], v[110:111]
	v_fmac_f64_e32 v[144:145], v[138:139], v[36:37]
	v_fma_f64 v[254:255], v[164:165], v[108:109], -v[104:105]
	scratch_load_dwordx4 v[104:107], off, off offset:848
	v_add_f64 v[0:1], v[0:1], v[144:145]
	ds_read_b128 v[144:147], v2 offset:1520
	ds_read_b128 v[148:151], v2 offset:1536
	v_mul_f64 v[108:109], v[178:179], v[114:115]
	v_fma_f64 v[232:233], v[176:177], v[112:113], -v[108:109]
	scratch_load_dwordx4 v[108:111], off, off offset:864
	s_waitcnt vmcnt(15) lgkmcnt(1)
	v_mul_f64 v[112:113], v[144:145], v[42:43]
	v_fmac_f64_e32 v[112:113], v[146:147], v[40:41]
	v_add_f64 v[0:1], v[0:1], v[112:113]
	v_mul_f64 v[112:113], v[190:191], v[154:155]
	v_fma_f64 v[16:17], v[188:189], v[152:153], -v[112:113]
	scratch_load_dwordx4 v[112:115], off, off offset:880
	ds_read_b128 v[152:155], v2 offset:1552
	s_waitcnt vmcnt(15) lgkmcnt(1)
	v_mul_f64 v[6:7], v[148:149], v[46:47]
	v_fmac_f64_e32 v[6:7], v[150:151], v[44:45]
	v_accvgpr_write_b32 a127, v15
	v_add_f64 v[0:1], v[0:1], v[6:7]
	v_mul_f64 v[6:7], v[202:203], v[158:159]
	v_accvgpr_write_b32 a126, v14
	v_accvgpr_write_b32 a125, v13
	;; [unrolled: 1-line block ×3, first 2 shown]
	v_fma_f64 v[12:13], v[200:201], v[156:157], -v[6:7]
	ds_read_b128 v[156:159], v2 offset:1568
	s_waitcnt vmcnt(14) lgkmcnt(1)
	v_mul_f64 v[6:7], v[152:153], v[50:51]
	v_fmac_f64_e32 v[6:7], v[154:155], v[48:49]
	v_accvgpr_write_b32 a123, v11
	v_add_f64 v[0:1], v[0:1], v[6:7]
	v_mul_f64 v[6:7], v[210:211], v[162:163]
	v_accvgpr_write_b32 a122, v10
	v_accvgpr_write_b32 a121, v9
	;; [unrolled: 1-line block ×3, first 2 shown]
	v_fma_f64 v[10:11], v[208:209], v[160:161], -v[6:7]
	ds_read_b128 v[160:163], v2 offset:1584
	ds_read_b128 v[164:167], v2 offset:1600
	s_waitcnt vmcnt(13) lgkmcnt(2)
	v_mul_f64 v[6:7], v[156:157], v[54:55]
	v_fmac_f64_e32 v[6:7], v[158:159], v[52:53]
	v_add_f64 v[0:1], v[0:1], v[6:7]
	s_waitcnt vmcnt(12) lgkmcnt(1)
	v_mul_f64 v[6:7], v[160:161], v[62:63]
	v_fmac_f64_e32 v[6:7], v[162:163], v[60:61]
	v_add_f64 v[0:1], v[0:1], v[6:7]
	v_mul_f64 v[6:7], v[214:215], v[170:171]
	v_fma_f64 v[8:9], v[212:213], v[168:169], -v[6:7]
	s_waitcnt vmcnt(11) lgkmcnt(0)
	v_mul_f64 v[6:7], v[164:165], v[58:59]
	v_fmac_f64_e32 v[6:7], v[166:167], v[56:57]
	ds_read_b128 v[168:171], v2 offset:1616
	v_add_f64 v[0:1], v[0:1], v[6:7]
	v_mul_f64 v[6:7], v[218:219], v[174:175]
	v_fma_f64 v[14:15], v[216:217], v[172:173], -v[6:7]
	ds_read_b128 v[172:175], v2 offset:1632
	s_waitcnt vmcnt(10) lgkmcnt(1)
	v_mul_f64 v[6:7], v[168:169], v[74:75]
	ds_read_b128 v[176:179], v2 offset:1648
	v_fmac_f64_e32 v[6:7], v[170:171], v[72:73]
	v_add_f64 v[0:1], v[0:1], v[6:7]
	s_waitcnt vmcnt(9) lgkmcnt(1)
	v_mul_f64 v[6:7], v[172:173], v[78:79]
	v_fmac_f64_e32 v[6:7], v[174:175], v[76:77]
	v_add_f64 v[0:1], v[0:1], v[6:7]
	v_mul_f64 v[6:7], v[222:223], v[182:183]
	v_fma_f64 v[4:5], v[220:221], v[180:181], -v[6:7]
	ds_read_b128 v[180:183], v2 offset:1664
	s_waitcnt vmcnt(8) lgkmcnt(1)
	v_mul_f64 v[6:7], v[176:177], v[82:83]
	v_fmac_f64_e32 v[6:7], v[178:179], v[80:81]
	v_add_f64 v[0:1], v[0:1], v[6:7]
	v_mul_f64 v[6:7], v[226:227], v[186:187]
	v_fma_f64 v[6:7], v[224:225], v[184:185], -v[6:7]
	ds_read_b128 v[184:187], v2 offset:1680
	ds_read_b128 v[188:191], v2 offset:1696
	s_waitcnt vmcnt(7) lgkmcnt(2)
	v_mul_f64 v[18:19], v[180:181], v[86:87]
	v_fmac_f64_e32 v[18:19], v[182:183], v[84:85]
	v_add_f64 v[0:1], v[0:1], v[18:19]
	s_waitcnt vmcnt(6) lgkmcnt(1)
	v_mul_f64 v[18:19], v[184:185], v[90:91]
	v_fmac_f64_e32 v[18:19], v[186:187], v[88:89]
	v_add_f64 v[18:19], v[0:1], v[18:19]
	v_mul_f64 v[0:1], v[230:231], v[194:195]
	v_fma_f64 v[0:1], v[228:229], v[192:193], -v[0:1]
	ds_read_b128 v[192:195], v2 offset:1712
	s_waitcnt vmcnt(5) lgkmcnt(1)
	v_mul_f64 v[200:201], v[188:189], v[94:95]
	v_fmac_f64_e32 v[200:201], v[190:191], v[92:93]
	v_mul_f64 v[198:199], v[244:245], v[198:199]
	v_fma_f64 v[238:239], v[242:243], v[196:197], -v[198:199]
	ds_read_b128 v[196:199], v2 offset:1728
	v_add_f64 v[18:19], v[18:19], v[200:201]
	s_waitcnt vmcnt(4) lgkmcnt(1)
	v_mul_f64 v[200:201], v[192:193], v[102:103]
	v_fmac_f64_e32 v[200:201], v[194:195], v[100:101]
	v_add_f64 v[18:19], v[18:19], v[200:201]
	ds_read_b128 v[200:203], v2 offset:1744
	v_mul_f64 v[206:207], v[248:249], v[206:207]
	v_fma_f64 v[242:243], v[246:247], v[204:205], -v[206:207]
	ds_read_b128 v[204:207], v2 offset:1760
	s_waitcnt vmcnt(3) lgkmcnt(2)
	v_mul_f64 v[208:209], v[196:197], v[98:99]
	v_fmac_f64_e32 v[208:209], v[198:199], v[96:97]
	v_add_f64 v[18:19], v[18:19], v[208:209]
	s_waitcnt vmcnt(2) lgkmcnt(1)
	v_mul_f64 v[208:209], v[200:201], v[106:107]
	v_fmac_f64_e32 v[208:209], v[202:203], v[104:105]
	v_add_f64 v[18:19], v[18:19], v[208:209]
	;; [unrolled: 4-line block ×3, first 2 shown]
	ds_read_b128 v[208:211], v2 offset:1776
	ds_read_b128 v[216:219], v2 offset:1792
	;; [unrolled: 1-line block ×3, first 2 shown]
	s_waitcnt vmcnt(0) lgkmcnt(2)
	v_mul_f64 v[212:213], v[208:209], v[114:115]
	v_fmac_f64_e32 v[212:213], v[210:211], v[112:113]
	v_add_f64 v[18:19], v[18:19], v[212:213]
	scratch_load_dwordx4 v[212:215], off, off offset:896
	s_waitcnt vmcnt(0) lgkmcnt(1)
	v_mul_f64 v[220:221], v[216:217], v[214:215]
	v_fmac_f64_e32 v[220:221], v[218:219], v[212:213]
	v_add_f64 v[18:19], v[18:19], v[220:221]
	scratch_load_dwordx4 v[220:223], off, off offset:912
	;; [unrolled: 5-line block ×3, first 2 shown]
	v_add_f64 v[18:19], v[240:241], 0
	v_add_f64 v[18:19], v[18:19], v[250:251]
	v_add_f64 v[18:19], v[18:19], v[252:253]
	v_add_f64 v[18:19], v[18:19], v[254:255]
	v_add_f64 v[18:19], v[18:19], v[232:233]
	v_add_f64 v[16:17], v[18:19], v[16:17]
	v_add_f64 v[12:13], v[16:17], v[12:13]
	v_add_f64 v[10:11], v[12:13], v[10:11]
	v_add_f64 v[8:9], v[10:11], v[8:9]
	v_add_f64 v[8:9], v[8:9], v[14:15]
	v_add_f64 v[244:245], v[8:9], v[4:5]
	v_add_f64 v[4:5], v[244:245], v[6:7]
	v_accvgpr_read_b32 v6, a116
	v_accvgpr_read_b32 v8, a118
	;; [unrolled: 1-line block ×3, first 2 shown]
	v_add_f64 v[0:1], v[4:5], v[0:1]
	v_accvgpr_read_b32 v7, a117
	v_mul_f64 v[4:5], v[70:71], v[8:9]
	v_add_f64 v[0:1], v[0:1], v[238:239]
	v_fma_f64 v[4:5], v[68:69], v[6:7], -v[4:5]
	v_accvgpr_read_b32 v6, a120
	v_add_f64 v[0:1], v[0:1], v[242:243]
	v_accvgpr_read_b32 v8, a122
	v_accvgpr_read_b32 v9, a123
	v_add_f64 v[0:1], v[0:1], v[4:5]
	v_accvgpr_read_b32 v7, a121
	v_mul_f64 v[4:5], v[66:67], v[8:9]
	v_fma_f64 v[4:5], v[64:65], v[6:7], -v[4:5]
	v_accvgpr_read_b32 v6, a124
	v_accvgpr_read_b32 v8, a126
	;; [unrolled: 1-line block ×3, first 2 shown]
	v_add_f64 v[0:1], v[0:1], v[4:5]
	v_accvgpr_read_b32 v7, a125
	v_mul_f64 v[4:5], v[118:119], v[8:9]
	v_fma_f64 v[4:5], v[116:117], v[6:7], -v[4:5]
	v_add_f64 v[0:1], v[0:1], v[4:5]
	v_mul_f64 v[4:5], v[122:123], v[236:237]
	v_fma_f64 v[4:5], v[120:121], v[234:235], -v[4:5]
	v_add_f64 v[0:1], v[0:1], v[4:5]
	;; [unrolled: 3-line block ×26, first 2 shown]
	s_waitcnt vmcnt(0)
	v_add_f64 v[4:5], v[228:229], -v[0:1]
	v_accvgpr_read_b32 v0, a114
	v_add_f64 v[6:7], v[230:231], -v[246:247]
	v_cmp_lt_u32_e32 vcc, 12, v0
	scratch_store_dwordx4 off, v[4:7], off offset:224
	s_and_saveexec_b64 s[0:1], vcc
	s_cbranch_execz .LBB120_331
; %bb.330:
	scratch_load_dwordx4 v[6:9], off, s61
	v_mov_b32_e32 v3, v2
	v_mov_b32_e32 v4, v2
	;; [unrolled: 1-line block ×3, first 2 shown]
	v_accvgpr_read_b32 v0, a115
	scratch_store_dwordx4 off, v[2:5], off offset:208
	s_waitcnt vmcnt(1)
	ds_write_b128 v0, v[6:9]
.LBB120_331:
	s_or_b64 exec, exec, s[0:1]
	s_waitcnt lgkmcnt(0)
	; wave barrier
	scratch_load_dwordx4 v[72:75], off, off offset:224
	scratch_load_dwordx4 v[76:79], off, off offset:240
	;; [unrolled: 1-line block ×17, first 2 shown]
	ds_read_b128 v[176:179], v2 offset:1120
	ds_read_b128 v[192:195], v2 offset:1136
	ds_read_b128 v[188:191], v2 offset:1152
	scratch_load_dwordx4 v[20:23], off, off offset:496
	ds_read_b128 v[236:239], v2 offset:1168
	ds_read_b128 v[232:235], v2 offset:1184
	ds_read_b128 v[228:231], v2 offset:1200
	ds_read_b128 v[220:223], v2 offset:1216
	ds_read_b128 v[208:211], v2 offset:1232
	scratch_load_dwordx4 v[168:171], off, off offset:512
	ds_read_b128 v[224:227], v2 offset:1248
	ds_read_b128 v[212:215], v2 offset:1264
	;; [unrolled: 1-line block ×3, first 2 shown]
	scratch_load_dwordx4 v[12:15], off, off offset:528
	ds_read_b128 v[216:219], v2 offset:1296
	ds_read_b128 v[204:207], v2 offset:1312
	ds_read_b128 v[196:199], v2 offset:1328
	ds_read_b128 v[184:187], v2 offset:1344
	ds_read_b128 v[16:19], v2 offset:1360
	scratch_load_dwordx4 v[28:31], off, off offset:544
	ds_read_b128 v[32:35], v2 offset:1376
	scratch_load_dwordx4 v[36:39], off, off offset:560
	scratch_load_dwordx4 v[40:43], off, off offset:576
	;; [unrolled: 1-line block ×9, first 2 shown]
	ds_read_b128 v[132:135], v2 offset:1392
	s_waitcnt lgkmcnt(2)
	v_accvgpr_write_b32 a123, v19
	v_accvgpr_write_b32 a122, v18
	;; [unrolled: 1-line block ×4, first 2 shown]
	ds_read_b128 v[172:175], v2 offset:1456
	s_waitcnt vmcnt(29)
	v_mul_f64 v[0:1], v[176:177], v[74:75]
	s_waitcnt vmcnt(28)
	v_mul_f64 v[136:137], v[192:193], v[78:79]
	v_fmac_f64_e32 v[0:1], v[178:179], v[72:73]
	s_waitcnt vmcnt(27)
	v_mul_f64 v[138:139], v[188:189], v[82:83]
	v_fmac_f64_e32 v[136:137], v[194:195], v[76:77]
	v_add_f64 v[0:1], v[0:1], 0
	s_waitcnt vmcnt(26)
	v_mul_f64 v[140:141], v[236:237], v[86:87]
	v_fmac_f64_e32 v[138:139], v[190:191], v[80:81]
	v_add_f64 v[0:1], v[0:1], v[136:137]
	s_waitcnt vmcnt(25)
	v_mul_f64 v[142:143], v[232:233], v[90:91]
	v_fmac_f64_e32 v[140:141], v[238:239], v[84:85]
	v_add_f64 v[0:1], v[0:1], v[138:139]
	s_waitcnt vmcnt(24)
	v_mul_f64 v[144:145], v[228:229], v[94:95]
	v_fmac_f64_e32 v[142:143], v[234:235], v[88:89]
	v_add_f64 v[0:1], v[0:1], v[140:141]
	s_waitcnt vmcnt(23)
	v_mul_f64 v[146:147], v[220:221], v[98:99]
	v_fmac_f64_e32 v[144:145], v[230:231], v[92:93]
	v_add_f64 v[0:1], v[0:1], v[142:143]
	s_waitcnt vmcnt(22)
	v_mul_f64 v[148:149], v[208:209], v[102:103]
	v_fmac_f64_e32 v[146:147], v[222:223], v[96:97]
	v_add_f64 v[0:1], v[0:1], v[144:145]
	s_waitcnt vmcnt(21)
	v_mul_f64 v[150:151], v[224:225], v[106:107]
	v_fmac_f64_e32 v[148:149], v[210:211], v[100:101]
	v_add_f64 v[0:1], v[0:1], v[146:147]
	s_waitcnt vmcnt(20)
	v_mul_f64 v[152:153], v[212:213], v[110:111]
	v_fmac_f64_e32 v[150:151], v[226:227], v[104:105]
	v_add_f64 v[0:1], v[0:1], v[148:149]
	s_waitcnt vmcnt(19)
	v_mul_f64 v[154:155], v[200:201], v[114:115]
	v_fmac_f64_e32 v[152:153], v[214:215], v[108:109]
	v_add_f64 v[0:1], v[0:1], v[150:151]
	s_waitcnt vmcnt(18)
	v_mul_f64 v[156:157], v[216:217], v[118:119]
	v_fmac_f64_e32 v[154:155], v[202:203], v[112:113]
	v_add_f64 v[0:1], v[0:1], v[152:153]
	s_waitcnt vmcnt(17)
	v_mul_f64 v[158:159], v[204:205], v[122:123]
	v_fmac_f64_e32 v[156:157], v[218:219], v[116:117]
	v_add_f64 v[0:1], v[0:1], v[154:155]
	s_waitcnt vmcnt(16)
	v_mul_f64 v[160:161], v[196:197], v[126:127]
	v_fmac_f64_e32 v[158:159], v[206:207], v[120:121]
	v_add_f64 v[0:1], v[0:1], v[156:157]
	s_waitcnt vmcnt(15)
	v_mul_f64 v[162:163], v[184:185], v[130:131]
	v_fmac_f64_e32 v[160:161], v[198:199], v[124:125]
	v_add_f64 v[0:1], v[0:1], v[158:159]
	s_waitcnt vmcnt(14)
	v_mul_f64 v[164:165], v[16:17], v[6:7]
	v_fmac_f64_e32 v[162:163], v[186:187], v[128:129]
	v_add_f64 v[0:1], v[0:1], v[160:161]
	v_fmac_f64_e32 v[164:165], v[18:19], v[4:5]
	v_add_f64 v[0:1], v[0:1], v[162:163]
	s_waitcnt vmcnt(13) lgkmcnt(2)
	v_mul_f64 v[140:141], v[32:33], v[26:27]
	scratch_load_dwordx4 v[136:139], off, off offset:704
	v_add_f64 v[0:1], v[0:1], v[164:165]
	v_fmac_f64_e32 v[140:141], v[34:35], v[24:25]
	v_add_f64 v[0:1], v[0:1], v[140:141]
	ds_read_b128 v[160:163], v2 offset:1408
	scratch_load_dwordx4 v[140:143], off, off offset:720
	ds_read_b128 v[164:167], v2 offset:1424
	s_waitcnt vmcnt(13)
	v_mov_b64_e32 v[16:17], v[168:169]
	v_mov_b64_e32 v[18:19], v[170:171]
	ds_read_b128 v[168:171], v2 offset:1440
	s_waitcnt lgkmcnt(4)
	v_mul_f64 v[144:145], v[132:133], v[22:23]
	v_fmac_f64_e32 v[144:145], v[134:135], v[20:21]
	s_waitcnt lgkmcnt(2)
	v_mul_f64 v[148:149], v[160:161], v[18:19]
	v_add_f64 v[0:1], v[0:1], v[144:145]
	v_fmac_f64_e32 v[148:149], v[162:163], v[16:17]
	s_waitcnt vmcnt(12) lgkmcnt(1)
	v_mul_f64 v[152:153], v[164:165], v[14:15]
	scratch_load_dwordx4 v[144:147], off, off offset:736
	v_add_f64 v[0:1], v[0:1], v[148:149]
	v_fmac_f64_e32 v[152:153], v[166:167], v[12:13]
	scratch_load_dwordx4 v[148:151], off, off offset:752
	v_add_f64 v[0:1], v[0:1], v[152:153]
	s_waitcnt vmcnt(13) lgkmcnt(0)
	v_mul_f64 v[152:153], v[168:169], v[30:31]
	v_fmac_f64_e32 v[152:153], v[170:171], v[28:29]
	v_add_f64 v[0:1], v[0:1], v[152:153]
	scratch_load_dwordx4 v[152:155], off, off offset:768
	s_waitcnt vmcnt(13)
	v_mul_f64 v[156:157], v[172:173], v[38:39]
	v_fmac_f64_e32 v[156:157], v[174:175], v[36:37]
	v_mul_f64 v[74:75], v[178:179], v[74:75]
	v_add_f64 v[0:1], v[0:1], v[156:157]
	scratch_load_dwordx4 v[156:159], off, off offset:784
	v_fma_f64 v[240:241], v[176:177], v[72:73], -v[74:75]
	v_mul_f64 v[72:73], v[194:195], v[78:79]
	ds_read_b128 v[180:183], v2 offset:1472
	ds_read_b128 v[176:179], v2 offset:1488
	v_fma_f64 v[246:247], v[192:193], v[76:77], -v[72:73]
	scratch_load_dwordx4 v[76:79], off, off offset:800
	scratch_load_dwordx4 v[72:75], off, off offset:816
	v_mul_f64 v[82:83], v[190:191], v[82:83]
	v_fma_f64 v[248:249], v[188:189], v[80:81], -v[82:83]
	v_mul_f64 v[80:81], v[238:239], v[86:87]
	v_fma_f64 v[236:237], v[236:237], v[84:85], -v[80:81]
	scratch_load_dwordx4 v[80:83], off, off offset:832
	ds_read_b128 v[188:191], v2 offset:1504
	v_mul_f64 v[84:85], v[234:235], v[90:91]
	s_waitcnt vmcnt(16) lgkmcnt(2)
	v_mul_f64 v[192:193], v[180:181], v[42:43]
	v_fma_f64 v[238:239], v[232:233], v[88:89], -v[84:85]
	scratch_load_dwordx4 v[84:87], off, off offset:848
	v_fmac_f64_e32 v[192:193], v[182:183], v[40:41]
	v_add_f64 v[0:1], v[0:1], v[192:193]
	s_waitcnt vmcnt(16) lgkmcnt(1)
	v_mul_f64 v[192:193], v[176:177], v[46:47]
	v_fmac_f64_e32 v[192:193], v[178:179], v[44:45]
	v_add_f64 v[0:1], v[0:1], v[192:193]
	ds_read_b128 v[192:195], v2 offset:1520
	s_waitcnt vmcnt(15) lgkmcnt(1)
	v_mul_f64 v[88:89], v[188:189], v[50:51]
	v_fmac_f64_e32 v[88:89], v[190:191], v[48:49]
	v_add_f64 v[0:1], v[0:1], v[88:89]
	v_mul_f64 v[88:89], v[230:231], v[94:95]
	v_fma_f64 v[250:251], v[228:229], v[92:93], -v[88:89]
	scratch_load_dwordx4 v[88:91], off, off offset:864
	scratch_load_dwordx4 v[232:235], off, off offset:912
	ds_read_b128 v[92:95], v2 offset:1536
	v_mul_f64 v[98:99], v[222:223], v[98:99]
	v_fma_f64 v[252:253], v[220:221], v[96:97], -v[98:99]
	ds_read_b128 v[96:99], v2 offset:1552
	v_mul_f64 v[102:103], v[210:211], v[102:103]
	s_waitcnt vmcnt(16) lgkmcnt(2)
	v_mul_f64 v[228:229], v[192:193], v[54:55]
	v_fma_f64 v[254:255], v[208:209], v[100:101], -v[102:103]
	ds_read_b128 v[100:103], v2 offset:1568
	ds_read_b128 v[208:211], v2 offset:1584
	v_fmac_f64_e32 v[228:229], v[194:195], v[52:53]
	s_waitcnt vmcnt(15) lgkmcnt(3)
	v_mul_f64 v[220:221], v[92:93], v[58:59]
	v_add_f64 v[0:1], v[0:1], v[228:229]
	v_fmac_f64_e32 v[220:221], v[94:95], v[56:57]
	v_mul_f64 v[106:107], v[226:227], v[106:107]
	v_add_f64 v[0:1], v[0:1], v[220:221]
	s_waitcnt vmcnt(14) lgkmcnt(2)
	v_mul_f64 v[220:221], v[96:97], v[62:63]
	v_fma_f64 v[242:243], v[224:225], v[104:105], -v[106:107]
	ds_read_b128 v[104:107], v2 offset:1600
	v_fmac_f64_e32 v[220:221], v[98:99], v[60:61]
	v_mul_f64 v[110:111], v[214:215], v[110:111]
	v_add_f64 v[0:1], v[0:1], v[220:221]
	s_waitcnt vmcnt(13) lgkmcnt(2)
	v_mul_f64 v[220:221], v[100:101], v[70:71]
	v_fma_f64 v[8:9], v[212:213], v[108:109], -v[110:111]
	ds_read_b128 v[108:111], v2 offset:1616
	v_fmac_f64_e32 v[220:221], v[102:103], v[68:69]
	v_accvgpr_write_b32 a119, v7
	v_add_f64 v[0:1], v[0:1], v[220:221]
	s_waitcnt vmcnt(12) lgkmcnt(2)
	v_mul_f64 v[220:221], v[208:209], v[66:67]
	v_accvgpr_write_b32 a118, v6
	v_accvgpr_write_b32 a117, v5
	;; [unrolled: 1-line block ×3, first 2 shown]
	v_fmac_f64_e32 v[220:221], v[210:211], v[64:65]
	s_waitcnt vmcnt(11) lgkmcnt(1)
	v_mul_f64 v[6:7], v[104:105], v[138:139]
	v_add_f64 v[0:1], v[0:1], v[220:221]
	v_fmac_f64_e32 v[6:7], v[106:107], v[136:137]
	v_add_f64 v[0:1], v[0:1], v[6:7]
	s_waitcnt vmcnt(10) lgkmcnt(0)
	v_mul_f64 v[6:7], v[108:109], v[142:143]
	v_fmac_f64_e32 v[6:7], v[110:111], v[140:141]
	ds_read_b128 v[212:215], v2 offset:1632
	v_add_f64 v[0:1], v[0:1], v[6:7]
	v_mul_f64 v[6:7], v[202:203], v[114:115]
	v_fma_f64 v[6:7], v[200:201], v[112:113], -v[6:7]
	ds_read_b128 v[112:115], v2 offset:1648
	v_mul_f64 v[118:119], v[218:219], v[118:119]
	v_fma_f64 v[4:5], v[216:217], v[116:117], -v[118:119]
	ds_read_b128 v[116:119], v2 offset:1664
	s_waitcnt vmcnt(9) lgkmcnt(2)
	v_mul_f64 v[200:201], v[212:213], v[146:147]
	v_fmac_f64_e32 v[200:201], v[214:215], v[144:145]
	s_waitcnt vmcnt(8) lgkmcnt(1)
	v_mul_f64 v[10:11], v[112:113], v[150:151]
	v_add_f64 v[0:1], v[0:1], v[200:201]
	v_fmac_f64_e32 v[10:11], v[114:115], v[148:149]
	v_add_f64 v[0:1], v[0:1], v[10:11]
	ds_read_b128 v[200:203], v2 offset:1680
	s_waitcnt vmcnt(7) lgkmcnt(1)
	v_mul_f64 v[10:11], v[116:117], v[154:155]
	v_fmac_f64_e32 v[10:11], v[118:119], v[152:153]
	v_add_f64 v[10:11], v[0:1], v[10:11]
	v_mul_f64 v[0:1], v[206:207], v[122:123]
	v_fma_f64 v[0:1], v[204:205], v[120:121], -v[0:1]
	ds_read_b128 v[120:123], v2 offset:1696
	v_mul_f64 v[126:127], v[198:199], v[126:127]
	v_fma_f64 v[124:125], v[196:197], v[124:125], -v[126:127]
	s_waitcnt vmcnt(6) lgkmcnt(1)
	v_mul_f64 v[204:205], v[200:201], v[158:159]
	v_accvgpr_write_b32 a124, v124
	v_fmac_f64_e32 v[204:205], v[202:203], v[156:157]
	v_accvgpr_write_b32 a125, v125
	ds_read_b128 v[124:127], v2 offset:1712
	s_waitcnt vmcnt(5) lgkmcnt(1)
	v_mul_f64 v[196:197], v[120:121], v[78:79]
	v_add_f64 v[10:11], v[10:11], v[204:205]
	v_fmac_f64_e32 v[196:197], v[122:123], v[76:77]
	v_add_f64 v[10:11], v[10:11], v[196:197]
	ds_read_b128 v[196:199], v2 offset:1728
	v_mul_f64 v[130:131], v[186:187], v[130:131]
	v_fma_f64 v[244:245], v[184:185], v[128:129], -v[130:131]
	ds_read_b128 v[128:131], v2 offset:1744
	s_waitcnt vmcnt(4) lgkmcnt(2)
	v_mul_f64 v[184:185], v[124:125], v[74:75]
	v_fmac_f64_e32 v[184:185], v[126:127], v[72:73]
	v_add_f64 v[10:11], v[10:11], v[184:185]
	s_waitcnt vmcnt(3) lgkmcnt(1)
	v_mul_f64 v[184:185], v[196:197], v[82:83]
	v_fmac_f64_e32 v[184:185], v[198:199], v[80:81]
	v_add_f64 v[10:11], v[10:11], v[184:185]
	;; [unrolled: 4-line block ×3, first 2 shown]
	ds_read_b128 v[184:187], v2 offset:1760
	ds_read_b128 v[216:219], v2 offset:1776
	;; [unrolled: 1-line block ×3, first 2 shown]
	s_waitcnt vmcnt(1) lgkmcnt(2)
	v_mul_f64 v[204:205], v[184:185], v[90:91]
	v_fmac_f64_e32 v[204:205], v[186:187], v[88:89]
	v_add_f64 v[10:11], v[10:11], v[204:205]
	scratch_load_dwordx4 v[204:207], off, off offset:880
	s_waitcnt vmcnt(0) lgkmcnt(1)
	v_mul_f64 v[220:221], v[216:217], v[206:207]
	v_fmac_f64_e32 v[220:221], v[218:219], v[204:205]
	v_add_f64 v[10:11], v[10:11], v[220:221]
	scratch_load_dwordx4 v[220:223], off, off offset:896
	s_waitcnt vmcnt(0) lgkmcnt(0)
	v_mul_f64 v[228:229], v[224:225], v[222:223]
	v_fmac_f64_e32 v[228:229], v[226:227], v[220:221]
	v_add_f64 v[10:11], v[10:11], v[228:229]
	ds_read_b128 v[228:231], v2 offset:1808
	s_waitcnt lgkmcnt(0)
	v_mul_f64 v[2:3], v[228:229], v[234:235]
	v_fmac_f64_e32 v[2:3], v[230:231], v[232:233]
	v_add_f64 v[2:3], v[10:11], v[2:3]
	v_add_f64 v[10:11], v[240:241], 0
	;; [unrolled: 1-line block ×6, first 2 shown]
	scratch_load_dwordx4 v[236:239], off, off offset:208
	v_add_f64 v[10:11], v[10:11], v[250:251]
	v_add_f64 v[10:11], v[10:11], v[252:253]
	;; [unrolled: 1-line block ×8, first 2 shown]
	v_accvgpr_read_b32 v0, a124
	v_accvgpr_read_b32 v6, a116
	;; [unrolled: 1-line block ×7, first 2 shown]
	v_add_f64 v[0:1], v[246:247], v[0:1]
	v_accvgpr_read_b32 v7, a117
	v_accvgpr_read_b32 v241, a121
	;; [unrolled: 1-line block ×3, first 2 shown]
	v_mul_f64 v[4:5], v[242:243], v[8:9]
	v_add_f64 v[0:1], v[0:1], v[244:245]
	v_fma_f64 v[4:5], v[240:241], v[6:7], -v[4:5]
	v_add_f64 v[0:1], v[0:1], v[4:5]
	v_mul_f64 v[4:5], v[34:35], v[26:27]
	v_fma_f64 v[4:5], v[32:33], v[24:25], -v[4:5]
	v_add_f64 v[0:1], v[0:1], v[4:5]
	v_mul_f64 v[4:5], v[134:135], v[22:23]
	;; [unrolled: 3-line block ×28, first 2 shown]
	v_fma_f64 v[4:5], v[228:229], v[232:233], -v[4:5]
	v_add_f64 v[0:1], v[0:1], v[4:5]
	s_waitcnt vmcnt(0)
	v_add_f64 v[4:5], v[236:237], -v[0:1]
	v_accvgpr_read_b32 v0, a114
	v_add_f64 v[6:7], v[238:239], -v[2:3]
	v_cmp_lt_u32_e32 vcc, 11, v0
	scratch_store_dwordx4 off, v[4:7], off offset:208
	s_and_saveexec_b64 s[0:1], vcc
	s_cbranch_execz .LBB120_333
; %bb.332:
	scratch_load_dwordx4 v[2:5], off, s62
	v_mov_b32_e32 v6, 0
	v_mov_b32_e32 v7, v6
	;; [unrolled: 1-line block ×4, first 2 shown]
	v_accvgpr_read_b32 v0, a115
	scratch_store_dwordx4 off, v[6:9], off offset:192
	s_waitcnt vmcnt(1)
	ds_write_b128 v0, v[2:5]
.LBB120_333:
	s_or_b64 exec, exec, s[0:1]
	s_waitcnt lgkmcnt(0)
	; wave barrier
	scratch_load_dwordx4 v[80:83], off, off offset:208
	scratch_load_dwordx4 v[84:87], off, off offset:224
	;; [unrolled: 1-line block ×29, first 2 shown]
	v_mov_b32_e32 v2, 0
	ds_read_b128 v[132:135], v2 offset:1104
	ds_read_b128 v[136:139], v2 offset:1120
	ds_read_b128 v[140:143], v2 offset:1136
	ds_read_b128 v[148:151], v2 offset:1152
	ds_read_b128 v[160:163], v2 offset:1168
	ds_read_b128 v[172:175], v2 offset:1184
	ds_read_b128 v[184:187], v2 offset:1200
	ds_read_b128 v[196:199], v2 offset:1216
	ds_read_b128 v[204:207], v2 offset:1232
	ds_read_b128 v[208:211], v2 offset:1248
	ds_read_b128 v[212:215], v2 offset:1264
	ds_read_b128 v[216:219], v2 offset:1280
	ds_read_b128 v[220:223], v2 offset:1296
	ds_read_b128 v[224:227], v2 offset:1312
	ds_read_b128 v[228:231], v2 offset:1328
	ds_read_b128 v[242:245], v2 offset:1344
	ds_read_b128 v[246:249], v2 offset:1360
	ds_read_b128 v[52:55], v2 offset:1376
	ds_read_b128 v[116:119], v2 offset:1424
	ds_read_b128 v[120:123], v2 offset:1440
	ds_read_b128 v[124:127], v2 offset:1456
	ds_read_b128 v[128:131], v2 offset:1472
	s_waitcnt vmcnt(28) lgkmcnt(14)
	v_mul_f64 v[0:1], v[132:133], v[82:83]
	s_waitcnt vmcnt(27)
	v_mul_f64 v[56:57], v[136:137], v[86:87]
	v_fmac_f64_e32 v[0:1], v[134:135], v[80:81]
	s_waitcnt vmcnt(26)
	v_mul_f64 v[58:59], v[140:141], v[90:91]
	v_fmac_f64_e32 v[56:57], v[138:139], v[84:85]
	v_add_f64 v[0:1], v[0:1], 0
	s_waitcnt vmcnt(25)
	v_mul_f64 v[60:61], v[148:149], v[94:95]
	v_fmac_f64_e32 v[58:59], v[142:143], v[88:89]
	v_add_f64 v[0:1], v[0:1], v[56:57]
	;; [unrolled: 4-line block ×6, first 2 shown]
	s_waitcnt vmcnt(20) lgkmcnt(13)
	v_mul_f64 v[70:71], v[204:205], v[154:155]
	v_fmac_f64_e32 v[68:69], v[198:199], v[144:145]
	v_add_f64 v[0:1], v[0:1], v[66:67]
	s_waitcnt vmcnt(19) lgkmcnt(12)
	v_mul_f64 v[72:73], v[208:209], v[158:159]
	v_fmac_f64_e32 v[70:71], v[206:207], v[152:153]
	v_add_f64 v[0:1], v[0:1], v[68:69]
	;; [unrolled: 4-line block ×8, first 2 shown]
	v_fmac_f64_e32 v[112:113], v[244:245], v[192:193]
	v_add_f64 v[0:1], v[0:1], v[110:111]
	s_waitcnt vmcnt(12) lgkmcnt(5)
	v_mul_f64 v[60:61], v[246:247], v[202:203]
	scratch_load_dwordx4 v[56:59], off, off offset:672
	ds_read_b128 v[108:111], v2 offset:1392
	v_add_f64 v[0:1], v[0:1], v[112:113]
	v_fmac_f64_e32 v[60:61], v[248:249], v[200:201]
	v_add_f64 v[0:1], v[0:1], v[60:61]
	s_waitcnt vmcnt(12) lgkmcnt(5)
	v_mul_f64 v[64:65], v[52:53], v[6:7]
	scratch_load_dwordx4 v[60:63], off, off offset:688
	v_accvgpr_write_b32 a119, v7
	v_fmac_f64_e32 v[64:65], v[54:55], v[4:5]
	v_accvgpr_write_b32 a118, v6
	v_accvgpr_write_b32 a117, v5
	;; [unrolled: 1-line block ×3, first 2 shown]
	ds_read_b128 v[112:115], v2 offset:1408
	s_waitcnt vmcnt(12)
	v_mov_b64_e32 v[4:5], v[8:9]
	v_mov_b64_e32 v[6:7], v[10:11]
	s_waitcnt lgkmcnt(1)
	v_mul_f64 v[68:69], v[108:109], v[6:7]
	v_fmac_f64_e32 v[68:69], v[110:111], v[4:5]
	s_waitcnt vmcnt(11)
	v_mov_b64_e32 v[4:5], v[12:13]
	v_add_f64 v[0:1], v[0:1], v[64:65]
	v_mov_b64_e32 v[6:7], v[14:15]
	scratch_load_dwordx4 v[64:67], off, off offset:704
	v_add_f64 v[0:1], v[0:1], v[68:69]
	s_waitcnt lgkmcnt(0)
	v_mul_f64 v[68:69], v[112:113], v[6:7]
	v_fmac_f64_e32 v[68:69], v[114:115], v[4:5]
	s_waitcnt vmcnt(11)
	v_mov_b64_e32 v[4:5], v[16:17]
	v_add_f64 v[0:1], v[0:1], v[68:69]
	scratch_load_dwordx4 v[68:71], off, off offset:720
	v_mov_b64_e32 v[6:7], v[18:19]
	v_mul_f64 v[76:77], v[116:117], v[6:7]
	scratch_load_dwordx4 v[72:75], off, off offset:736
	v_fmac_f64_e32 v[76:77], v[118:119], v[4:5]
	v_add_f64 v[0:1], v[0:1], v[76:77]
	s_waitcnt vmcnt(12)
	v_mul_f64 v[76:77], v[120:121], v[236:237]
	v_fmac_f64_e32 v[76:77], v[122:123], v[234:235]
	v_add_f64 v[0:1], v[0:1], v[76:77]
	scratch_load_dwordx4 v[76:79], off, off offset:752
	v_mul_f64 v[82:83], v[134:135], v[82:83]
	v_fma_f64 v[240:241], v[132:133], v[80:81], -v[82:83]
	scratch_load_dwordx4 v[80:83], off, off offset:768
	v_mul_f64 v[86:87], v[138:139], v[86:87]
	v_fma_f64 v[250:251], v[136:137], v[84:85], -v[86:87]
	scratch_load_dwordx4 v[84:87], off, off offset:784
	v_mul_f64 v[90:91], v[142:143], v[90:91]
	s_waitcnt vmcnt(14)
	v_mul_f64 v[132:133], v[124:125], v[26:27]
	v_fma_f64 v[252:253], v[140:141], v[88:89], -v[90:91]
	scratch_load_dwordx4 v[88:91], off, off offset:800
	v_fmac_f64_e32 v[132:133], v[126:127], v[24:25]
	s_waitcnt vmcnt(14)
	v_mul_f64 v[136:137], v[128:129], v[30:31]
	v_mul_f64 v[94:95], v[150:151], v[94:95]
	v_add_f64 v[0:1], v[0:1], v[132:133]
	v_fmac_f64_e32 v[136:137], v[130:131], v[28:29]
	v_fma_f64 v[254:255], v[148:149], v[92:93], -v[94:95]
	v_mul_f64 v[92:93], v[162:163], v[98:99]
	ds_read_b128 v[132:135], v2 offset:1488
	v_add_f64 v[0:1], v[0:1], v[136:137]
	ds_read_b128 v[136:139], v2 offset:1504
	v_fma_f64 v[232:233], v[160:161], v[96:97], -v[92:93]
	scratch_load_dwordx4 v[96:99], off, off offset:816
	scratch_load_dwordx4 v[92:95], off, off offset:832
	v_mul_f64 v[102:103], v[174:175], v[102:103]
	v_fma_f64 v[20:21], v[172:173], v[100:101], -v[102:103]
	scratch_load_dwordx4 v[100:103], off, off offset:848
	v_accvgpr_write_b32 a131, v19
	v_mul_f64 v[6:7], v[186:187], v[106:107]
	v_accvgpr_write_b32 a130, v18
	v_accvgpr_write_b32 a129, v17
	;; [unrolled: 1-line block ×3, first 2 shown]
	v_fma_f64 v[16:17], v[184:185], v[104:105], -v[6:7]
	scratch_load_dwordx4 v[104:107], off, off offset:864
	s_waitcnt vmcnt(17) lgkmcnt(1)
	v_mul_f64 v[140:141], v[132:133], v[34:35]
	v_fmac_f64_e32 v[140:141], v[134:135], v[32:33]
	v_add_f64 v[0:1], v[0:1], v[140:141]
	ds_read_b128 v[140:143], v2 offset:1520
	v_accvgpr_write_b32 a127, v15
	v_mul_f64 v[6:7], v[198:199], v[146:147]
	v_accvgpr_write_b32 a126, v14
	v_accvgpr_write_b32 a125, v13
	;; [unrolled: 1-line block ×3, first 2 shown]
	v_fma_f64 v[12:13], v[196:197], v[144:145], -v[6:7]
	ds_read_b128 v[144:147], v2 offset:1536
	s_waitcnt vmcnt(16) lgkmcnt(2)
	v_mul_f64 v[148:149], v[136:137], v[38:39]
	v_fmac_f64_e32 v[148:149], v[138:139], v[36:37]
	v_add_f64 v[0:1], v[0:1], v[148:149]
	s_waitcnt vmcnt(15) lgkmcnt(1)
	v_mul_f64 v[6:7], v[140:141], v[42:43]
	ds_read_b128 v[148:151], v2 offset:1552
	v_fmac_f64_e32 v[6:7], v[142:143], v[40:41]
	v_add_f64 v[0:1], v[0:1], v[6:7]
	s_waitcnt vmcnt(14) lgkmcnt(1)
	v_mul_f64 v[6:7], v[144:145], v[46:47]
	v_fmac_f64_e32 v[6:7], v[146:147], v[44:45]
	v_accvgpr_write_b32 a123, v11
	v_add_f64 v[0:1], v[0:1], v[6:7]
	v_mul_f64 v[6:7], v[206:207], v[154:155]
	v_accvgpr_write_b32 a122, v10
	v_accvgpr_write_b32 a121, v9
	;; [unrolled: 1-line block ×3, first 2 shown]
	v_fma_f64 v[10:11], v[204:205], v[152:153], -v[6:7]
	ds_read_b128 v[152:155], v2 offset:1568
	s_waitcnt vmcnt(13) lgkmcnt(1)
	v_mul_f64 v[6:7], v[148:149], v[50:51]
	v_fmac_f64_e32 v[6:7], v[150:151], v[48:49]
	v_add_f64 v[0:1], v[0:1], v[6:7]
	v_mul_f64 v[6:7], v[210:211], v[158:159]
	v_fma_f64 v[14:15], v[208:209], v[156:157], -v[6:7]
	ds_read_b128 v[156:159], v2 offset:1584
	ds_read_b128 v[160:163], v2 offset:1600
	s_waitcnt vmcnt(12) lgkmcnt(2)
	v_mul_f64 v[6:7], v[152:153], v[58:59]
	v_fmac_f64_e32 v[6:7], v[154:155], v[56:57]
	v_add_f64 v[0:1], v[0:1], v[6:7]
	s_waitcnt vmcnt(11) lgkmcnt(1)
	v_mul_f64 v[6:7], v[156:157], v[62:63]
	v_fmac_f64_e32 v[6:7], v[158:159], v[60:61]
	v_add_f64 v[0:1], v[0:1], v[6:7]
	v_mul_f64 v[6:7], v[214:215], v[166:167]
	v_fma_f64 v[8:9], v[212:213], v[164:165], -v[6:7]
	ds_read_b128 v[164:167], v2 offset:1616
	v_mul_f64 v[18:19], v[218:219], v[170:171]
	v_fma_f64 v[18:19], v[216:217], v[168:169], -v[18:19]
	ds_read_b128 v[168:171], v2 offset:1632
	s_waitcnt vmcnt(10) lgkmcnt(2)
	v_mul_f64 v[6:7], v[160:161], v[66:67]
	v_fmac_f64_e32 v[6:7], v[162:163], v[64:65]
	v_add_f64 v[0:1], v[0:1], v[6:7]
	s_waitcnt vmcnt(9) lgkmcnt(1)
	v_mul_f64 v[6:7], v[164:165], v[70:71]
	ds_read_b128 v[172:175], v2 offset:1648
	v_fmac_f64_e32 v[6:7], v[166:167], v[68:69]
	v_add_f64 v[0:1], v[0:1], v[6:7]
	s_waitcnt vmcnt(8) lgkmcnt(1)
	v_mul_f64 v[6:7], v[168:169], v[74:75]
	v_fmac_f64_e32 v[6:7], v[170:171], v[72:73]
	v_add_f64 v[0:1], v[0:1], v[6:7]
	v_mul_f64 v[6:7], v[222:223], v[178:179]
	v_fma_f64 v[4:5], v[220:221], v[176:177], -v[6:7]
	ds_read_b128 v[176:179], v2 offset:1664
	s_waitcnt vmcnt(7) lgkmcnt(1)
	v_mul_f64 v[6:7], v[172:173], v[78:79]
	v_fmac_f64_e32 v[6:7], v[174:175], v[76:77]
	v_add_f64 v[0:1], v[0:1], v[6:7]
	v_mul_f64 v[6:7], v[226:227], v[182:183]
	v_fma_f64 v[6:7], v[224:225], v[180:181], -v[6:7]
	ds_read_b128 v[180:183], v2 offset:1680
	ds_read_b128 v[184:187], v2 offset:1696
	s_waitcnt vmcnt(6) lgkmcnt(2)
	v_mul_f64 v[22:23], v[176:177], v[82:83]
	v_fmac_f64_e32 v[22:23], v[178:179], v[80:81]
	v_add_f64 v[0:1], v[0:1], v[22:23]
	s_waitcnt vmcnt(5) lgkmcnt(1)
	v_mul_f64 v[22:23], v[180:181], v[86:87]
	v_fmac_f64_e32 v[22:23], v[182:183], v[84:85]
	v_add_f64 v[22:23], v[0:1], v[22:23]
	v_mul_f64 v[0:1], v[230:231], v[190:191]
	v_fma_f64 v[0:1], v[228:229], v[188:189], -v[0:1]
	ds_read_b128 v[188:191], v2 offset:1712
	s_waitcnt vmcnt(4) lgkmcnt(1)
	v_mul_f64 v[196:197], v[184:185], v[90:91]
	v_fmac_f64_e32 v[196:197], v[186:187], v[88:89]
	v_mul_f64 v[194:195], v[244:245], v[194:195]
	v_fma_f64 v[238:239], v[242:243], v[192:193], -v[194:195]
	ds_read_b128 v[192:195], v2 offset:1728
	v_add_f64 v[22:23], v[22:23], v[196:197]
	s_waitcnt vmcnt(3) lgkmcnt(1)
	v_mul_f64 v[196:197], v[188:189], v[98:99]
	v_fmac_f64_e32 v[196:197], v[190:191], v[96:97]
	v_add_f64 v[22:23], v[22:23], v[196:197]
	ds_read_b128 v[196:199], v2 offset:1744
	v_mul_f64 v[202:203], v[248:249], v[202:203]
	v_fma_f64 v[242:243], v[246:247], v[200:201], -v[202:203]
	ds_read_b128 v[200:203], v2 offset:1760
	s_waitcnt vmcnt(2) lgkmcnt(2)
	v_mul_f64 v[204:205], v[192:193], v[94:95]
	v_fmac_f64_e32 v[204:205], v[194:195], v[92:93]
	v_add_f64 v[22:23], v[22:23], v[204:205]
	s_waitcnt vmcnt(1) lgkmcnt(1)
	v_mul_f64 v[204:205], v[196:197], v[102:103]
	v_fmac_f64_e32 v[204:205], v[198:199], v[100:101]
	v_add_f64 v[22:23], v[22:23], v[204:205]
	;; [unrolled: 4-line block ×3, first 2 shown]
	scratch_load_dwordx4 v[204:207], off, off offset:880
	ds_read_b128 v[208:211], v2 offset:1776
	ds_read_b128 v[216:219], v2 offset:1792
	;; [unrolled: 1-line block ×3, first 2 shown]
	s_waitcnt vmcnt(0) lgkmcnt(2)
	v_mul_f64 v[212:213], v[208:209], v[206:207]
	v_fmac_f64_e32 v[212:213], v[210:211], v[204:205]
	v_add_f64 v[22:23], v[22:23], v[212:213]
	scratch_load_dwordx4 v[212:215], off, off offset:896
	s_waitcnt vmcnt(0) lgkmcnt(1)
	v_mul_f64 v[220:221], v[216:217], v[214:215]
	v_fmac_f64_e32 v[220:221], v[218:219], v[212:213]
	v_add_f64 v[22:23], v[22:23], v[220:221]
	scratch_load_dwordx4 v[220:223], off, off offset:912
	;; [unrolled: 5-line block ×3, first 2 shown]
	v_add_f64 v[22:23], v[240:241], 0
	v_add_f64 v[22:23], v[22:23], v[250:251]
	;; [unrolled: 1-line block ×14, first 2 shown]
	v_accvgpr_read_b32 v6, a116
	v_accvgpr_read_b32 v8, a118
	v_accvgpr_read_b32 v9, a119
	v_add_f64 v[0:1], v[4:5], v[0:1]
	v_accvgpr_read_b32 v7, a117
	v_mul_f64 v[4:5], v[54:55], v[8:9]
	v_add_f64 v[0:1], v[0:1], v[238:239]
	v_fma_f64 v[4:5], v[52:53], v[6:7], -v[4:5]
	v_accvgpr_read_b32 v6, a120
	v_add_f64 v[0:1], v[0:1], v[242:243]
	v_accvgpr_read_b32 v8, a122
	v_accvgpr_read_b32 v9, a123
	v_add_f64 v[0:1], v[0:1], v[4:5]
	v_accvgpr_read_b32 v7, a121
	v_mul_f64 v[4:5], v[110:111], v[8:9]
	v_fma_f64 v[4:5], v[108:109], v[6:7], -v[4:5]
	v_accvgpr_read_b32 v6, a124
	v_accvgpr_read_b32 v8, a126
	;; [unrolled: 1-line block ×3, first 2 shown]
	v_add_f64 v[0:1], v[0:1], v[4:5]
	v_accvgpr_read_b32 v7, a125
	v_mul_f64 v[4:5], v[114:115], v[8:9]
	v_fma_f64 v[4:5], v[112:113], v[6:7], -v[4:5]
	v_accvgpr_read_b32 v6, a128
	v_accvgpr_read_b32 v8, a130
	;; [unrolled: 1-line block ×3, first 2 shown]
	v_add_f64 v[0:1], v[0:1], v[4:5]
	v_accvgpr_read_b32 v7, a129
	v_mul_f64 v[4:5], v[118:119], v[8:9]
	v_fma_f64 v[4:5], v[116:117], v[6:7], -v[4:5]
	v_add_f64 v[0:1], v[0:1], v[4:5]
	v_mul_f64 v[4:5], v[122:123], v[236:237]
	v_fma_f64 v[4:5], v[120:121], v[234:235], -v[4:5]
	v_add_f64 v[0:1], v[0:1], v[4:5]
	v_mul_f64 v[4:5], v[126:127], v[26:27]
	v_fma_f64 v[4:5], v[124:125], v[24:25], -v[4:5]
	v_add_f64 v[0:1], v[0:1], v[4:5]
	v_mul_f64 v[4:5], v[130:131], v[30:31]
	v_fma_f64 v[4:5], v[128:129], v[28:29], -v[4:5]
	v_add_f64 v[0:1], v[0:1], v[4:5]
	v_mul_f64 v[4:5], v[134:135], v[34:35]
	v_fma_f64 v[4:5], v[132:133], v[32:33], -v[4:5]
	v_add_f64 v[0:1], v[0:1], v[4:5]
	v_mul_f64 v[4:5], v[138:139], v[38:39]
	v_fma_f64 v[4:5], v[136:137], v[36:37], -v[4:5]
	v_add_f64 v[0:1], v[0:1], v[4:5]
	v_mul_f64 v[4:5], v[142:143], v[42:43]
	v_fma_f64 v[4:5], v[140:141], v[40:41], -v[4:5]
	v_add_f64 v[0:1], v[0:1], v[4:5]
	v_mul_f64 v[4:5], v[146:147], v[46:47]
	v_fma_f64 v[4:5], v[144:145], v[44:45], -v[4:5]
	v_add_f64 v[0:1], v[0:1], v[4:5]
	v_mul_f64 v[4:5], v[150:151], v[50:51]
	v_fma_f64 v[4:5], v[148:149], v[48:49], -v[4:5]
	v_add_f64 v[0:1], v[0:1], v[4:5]
	v_mul_f64 v[4:5], v[154:155], v[58:59]
	v_fma_f64 v[4:5], v[152:153], v[56:57], -v[4:5]
	v_add_f64 v[0:1], v[0:1], v[4:5]
	v_mul_f64 v[4:5], v[158:159], v[62:63]
	v_fma_f64 v[4:5], v[156:157], v[60:61], -v[4:5]
	v_add_f64 v[0:1], v[0:1], v[4:5]
	v_mul_f64 v[4:5], v[162:163], v[66:67]
	v_fma_f64 v[4:5], v[160:161], v[64:65], -v[4:5]
	v_add_f64 v[0:1], v[0:1], v[4:5]
	v_mul_f64 v[4:5], v[166:167], v[70:71]
	v_fma_f64 v[4:5], v[164:165], v[68:69], -v[4:5]
	v_add_f64 v[0:1], v[0:1], v[4:5]
	v_mul_f64 v[4:5], v[170:171], v[74:75]
	v_fma_f64 v[4:5], v[168:169], v[72:73], -v[4:5]
	v_add_f64 v[0:1], v[0:1], v[4:5]
	v_mul_f64 v[4:5], v[174:175], v[78:79]
	v_fma_f64 v[4:5], v[172:173], v[76:77], -v[4:5]
	v_add_f64 v[0:1], v[0:1], v[4:5]
	v_mul_f64 v[4:5], v[178:179], v[82:83]
	v_fma_f64 v[4:5], v[176:177], v[80:81], -v[4:5]
	v_add_f64 v[0:1], v[0:1], v[4:5]
	v_mul_f64 v[4:5], v[182:183], v[86:87]
	v_fma_f64 v[4:5], v[180:181], v[84:85], -v[4:5]
	v_add_f64 v[0:1], v[0:1], v[4:5]
	v_mul_f64 v[4:5], v[186:187], v[90:91]
	v_fma_f64 v[4:5], v[184:185], v[88:89], -v[4:5]
	v_add_f64 v[0:1], v[0:1], v[4:5]
	v_mul_f64 v[4:5], v[190:191], v[98:99]
	v_fma_f64 v[4:5], v[188:189], v[96:97], -v[4:5]
	v_add_f64 v[0:1], v[0:1], v[4:5]
	v_mul_f64 v[4:5], v[194:195], v[94:95]
	v_fma_f64 v[4:5], v[192:193], v[92:93], -v[4:5]
	v_add_f64 v[0:1], v[0:1], v[4:5]
	v_mul_f64 v[4:5], v[198:199], v[102:103]
	v_fma_f64 v[4:5], v[196:197], v[100:101], -v[4:5]
	v_add_f64 v[0:1], v[0:1], v[4:5]
	v_mul_f64 v[4:5], v[202:203], v[106:107]
	v_fma_f64 v[4:5], v[200:201], v[104:105], -v[4:5]
	v_add_f64 v[0:1], v[0:1], v[4:5]
	v_mul_f64 v[4:5], v[210:211], v[206:207]
	v_fma_f64 v[4:5], v[208:209], v[204:205], -v[4:5]
	v_add_f64 v[0:1], v[0:1], v[4:5]
	v_mul_f64 v[4:5], v[218:219], v[214:215]
	v_fma_f64 v[4:5], v[216:217], v[212:213], -v[4:5]
	v_add_f64 v[0:1], v[0:1], v[4:5]
	v_mul_f64 v[4:5], v[226:227], v[222:223]
	v_fma_f64 v[4:5], v[224:225], v[220:221], -v[4:5]
	v_add_f64 v[0:1], v[0:1], v[4:5]
	s_waitcnt vmcnt(0)
	v_add_f64 v[4:5], v[228:229], -v[0:1]
	v_accvgpr_read_b32 v0, a114
	v_add_f64 v[6:7], v[230:231], -v[246:247]
	v_cmp_lt_u32_e32 vcc, 10, v0
	scratch_store_dwordx4 off, v[4:7], off offset:192
	s_and_saveexec_b64 s[0:1], vcc
	s_cbranch_execz .LBB120_335
; %bb.334:
	scratch_load_dwordx4 v[6:9], off, s63
	v_mov_b32_e32 v3, v2
	v_mov_b32_e32 v4, v2
	v_mov_b32_e32 v5, v2
	v_accvgpr_read_b32 v0, a115
	scratch_store_dwordx4 off, v[2:5], off offset:176
	s_waitcnt vmcnt(1)
	ds_write_b128 v0, v[6:9]
.LBB120_335:
	s_or_b64 exec, exec, s[0:1]
	s_waitcnt lgkmcnt(0)
	; wave barrier
	scratch_load_dwordx4 v[80:83], off, off offset:192
	scratch_load_dwordx4 v[84:87], off, off offset:208
	;; [unrolled: 1-line block ×17, first 2 shown]
	ds_read_b128 v[136:139], v2 offset:1088
	ds_read_b128 v[132:135], v2 offset:1104
	scratch_load_dwordx4 v[4:7], off, off offset:464
	ds_read_b128 v[236:239], v2 offset:1120
	ds_read_b128 v[228:231], v2 offset:1136
	;; [unrolled: 1-line block ×5, first 2 shown]
	scratch_load_dwordx4 v[8:11], off, off offset:480
	ds_read_b128 v[232:235], v2 offset:1200
	ds_read_b128 v[216:219], v2 offset:1216
	;; [unrolled: 1-line block ×3, first 2 shown]
	scratch_load_dwordx4 v[12:15], off, off offset:496
	ds_read_b128 v[220:223], v2 offset:1248
	ds_read_b128 v[172:175], v2 offset:1264
	;; [unrolled: 1-line block ×5, first 2 shown]
	scratch_load_dwordx4 v[16:19], off, off offset:512
	ds_read_b128 v[208:211], v2 offset:1328
	ds_read_b128 v[204:207], v2 offset:1344
	;; [unrolled: 1-line block ×3, first 2 shown]
	scratch_load_dwordx4 v[24:27], off, off offset:528
	scratch_load_dwordx4 v[28:31], off, off offset:544
	;; [unrolled: 1-line block ×8, first 2 shown]
	ds_read_b128 v[116:119], v2 offset:1408
	ds_read_b128 v[120:123], v2 offset:1424
	;; [unrolled: 1-line block ×4, first 2 shown]
	s_waitcnt vmcnt(28) lgkmcnt(14)
	v_mul_f64 v[0:1], v[136:137], v[82:83]
	s_waitcnt vmcnt(27)
	v_mul_f64 v[56:57], v[132:133], v[86:87]
	v_fmac_f64_e32 v[0:1], v[138:139], v[80:81]
	s_waitcnt vmcnt(26)
	v_mul_f64 v[58:59], v[236:237], v[90:91]
	v_fmac_f64_e32 v[56:57], v[134:135], v[84:85]
	v_add_f64 v[0:1], v[0:1], 0
	s_waitcnt vmcnt(25)
	v_mul_f64 v[60:61], v[228:229], v[94:95]
	v_fmac_f64_e32 v[58:59], v[238:239], v[88:89]
	v_add_f64 v[0:1], v[0:1], v[56:57]
	;; [unrolled: 4-line block ×6, first 2 shown]
	s_waitcnt vmcnt(20) lgkmcnt(13)
	v_mul_f64 v[70:71], v[216:217], v[154:155]
	v_fmac_f64_e32 v[68:69], v[234:235], v[144:145]
	v_add_f64 v[0:1], v[0:1], v[66:67]
	s_waitcnt vmcnt(19) lgkmcnt(12)
	v_mul_f64 v[72:73], v[160:161], v[158:159]
	v_fmac_f64_e32 v[70:71], v[218:219], v[152:153]
	v_add_f64 v[0:1], v[0:1], v[68:69]
	;; [unrolled: 4-line block ×7, first 2 shown]
	v_fmac_f64_e32 v[110:111], v[198:199], v[188:189]
	v_add_f64 v[0:1], v[0:1], v[108:109]
	s_waitcnt vmcnt(13) lgkmcnt(6)
	v_mul_f64 v[112:113], v[208:209], v[194:195]
	v_add_f64 v[0:1], v[0:1], v[110:111]
	scratch_load_dwordx4 v[56:59], off, off offset:656
	scratch_load_dwordx4 v[60:63], off, off offset:672
	ds_read_b128 v[108:111], v2 offset:1376
	s_waitcnt vmcnt(14) lgkmcnt(6)
	v_mul_f64 v[114:115], v[204:205], v[202:203]
	v_fmac_f64_e32 v[112:113], v[210:211], v[192:193]
	v_add_f64 v[0:1], v[0:1], v[112:113]
	v_fmac_f64_e32 v[114:115], v[206:207], v[200:201]
	s_waitcnt vmcnt(13) lgkmcnt(5)
	v_mul_f64 v[64:65], v[20:21], v[6:7]
	v_accvgpr_write_b32 a119, v7
	v_add_f64 v[0:1], v[0:1], v[114:115]
	v_fmac_f64_e32 v[64:65], v[22:23], v[4:5]
	v_accvgpr_write_b32 a118, v6
	v_accvgpr_write_b32 a117, v5
	;; [unrolled: 1-line block ×3, first 2 shown]
	ds_read_b128 v[112:115], v2 offset:1392
	s_waitcnt vmcnt(12)
	v_mov_b64_e32 v[4:5], v[8:9]
	v_mov_b64_e32 v[6:7], v[10:11]
	s_waitcnt lgkmcnt(1)
	v_mul_f64 v[68:69], v[108:109], v[6:7]
	v_fmac_f64_e32 v[68:69], v[110:111], v[4:5]
	s_waitcnt vmcnt(11)
	v_mov_b64_e32 v[4:5], v[12:13]
	v_add_f64 v[0:1], v[0:1], v[64:65]
	v_mov_b64_e32 v[6:7], v[14:15]
	v_add_f64 v[0:1], v[0:1], v[68:69]
	s_waitcnt lgkmcnt(0)
	v_mul_f64 v[68:69], v[112:113], v[6:7]
	scratch_load_dwordx4 v[64:67], off, off offset:688
	v_fmac_f64_e32 v[68:69], v[114:115], v[4:5]
	v_add_f64 v[0:1], v[0:1], v[68:69]
	scratch_load_dwordx4 v[68:71], off, off offset:704
	scratch_load_dwordx4 v[72:75], off, off offset:720
	s_waitcnt vmcnt(13)
	v_mul_f64 v[76:77], v[116:117], v[18:19]
	v_fmac_f64_e32 v[76:77], v[118:119], v[16:17]
	v_add_f64 v[0:1], v[0:1], v[76:77]
	s_waitcnt vmcnt(12)
	v_mul_f64 v[76:77], v[120:121], v[26:27]
	v_fmac_f64_e32 v[76:77], v[122:123], v[24:25]
	v_add_f64 v[0:1], v[0:1], v[76:77]
	scratch_load_dwordx4 v[76:79], off, off offset:736
	v_mul_f64 v[82:83], v[138:139], v[82:83]
	v_fma_f64 v[240:241], v[136:137], v[80:81], -v[82:83]
	scratch_load_dwordx4 v[80:83], off, off offset:752
	v_mul_f64 v[86:87], v[134:135], v[86:87]
	v_fma_f64 v[246:247], v[132:133], v[84:85], -v[86:87]
	scratch_load_dwordx4 v[84:87], off, off offset:768
	s_waitcnt vmcnt(14)
	v_mul_f64 v[136:137], v[124:125], v[30:31]
	v_mul_f64 v[90:91], v[238:239], v[90:91]
	v_fmac_f64_e32 v[136:137], v[126:127], v[28:29]
	v_fma_f64 v[236:237], v[236:237], v[88:89], -v[90:91]
	scratch_load_dwordx4 v[88:91], off, off offset:784
	v_add_f64 v[0:1], v[0:1], v[136:137]
	s_waitcnt vmcnt(14)
	v_mul_f64 v[136:137], v[128:129], v[34:35]
	v_mul_f64 v[94:95], v[230:231], v[94:95]
	v_fmac_f64_e32 v[136:137], v[130:131], v[32:33]
	v_fma_f64 v[238:239], v[228:229], v[92:93], -v[94:95]
	v_mul_f64 v[92:93], v[226:227], v[98:99]
	ds_read_b128 v[132:135], v2 offset:1472
	v_add_f64 v[0:1], v[0:1], v[136:137]
	ds_read_b128 v[136:139], v2 offset:1488
	v_fma_f64 v[248:249], v[224:225], v[96:97], -v[92:93]
	scratch_load_dwordx4 v[96:99], off, off offset:800
	scratch_load_dwordx4 v[92:95], off, off offset:816
	v_mul_f64 v[102:103], v[150:151], v[102:103]
	v_fma_f64 v[250:251], v[148:149], v[100:101], -v[102:103]
	scratch_load_dwordx4 v[100:103], off, off offset:832
	v_mul_f64 v[106:107], v[142:143], v[106:107]
	v_fma_f64 v[252:253], v[140:141], v[104:105], -v[106:107]
	v_mul_f64 v[104:105], v[234:235], v[146:147]
	v_fma_f64 v[254:255], v[232:233], v[144:145], -v[104:105]
	scratch_load_dwordx4 v[104:107], off, off offset:848
	ds_read_b128 v[140:143], v2 offset:1504
	ds_read_b128 v[144:147], v2 offset:1520
	s_waitcnt vmcnt(17) lgkmcnt(3)
	v_mul_f64 v[228:229], v[132:133], v[38:39]
	v_fmac_f64_e32 v[228:229], v[134:135], v[36:37]
	s_waitcnt vmcnt(16) lgkmcnt(2)
	v_mul_f64 v[224:225], v[136:137], v[42:43]
	v_add_f64 v[0:1], v[0:1], v[228:229]
	v_fmac_f64_e32 v[224:225], v[138:139], v[40:41]
	s_waitcnt vmcnt(15) lgkmcnt(1)
	v_mul_f64 v[148:149], v[140:141], v[46:47]
	v_add_f64 v[0:1], v[0:1], v[224:225]
	v_fmac_f64_e32 v[148:149], v[142:143], v[44:45]
	v_add_f64 v[0:1], v[0:1], v[148:149]
	ds_read_b128 v[148:151], v2 offset:1536
	v_mul_f64 v[154:155], v[218:219], v[154:155]
	v_fma_f64 v[242:243], v[216:217], v[152:153], -v[154:155]
	ds_read_b128 v[152:155], v2 offset:1552
	v_accvgpr_write_b32 a127, v15
	v_mul_f64 v[158:159], v[162:163], v[158:159]
	v_accvgpr_write_b32 a126, v14
	v_accvgpr_write_b32 a125, v13
	;; [unrolled: 1-line block ×3, first 2 shown]
	v_fma_f64 v[12:13], v[160:161], v[156:157], -v[158:159]
	ds_read_b128 v[156:159], v2 offset:1568
	ds_read_b128 v[160:163], v2 offset:1584
	s_waitcnt vmcnt(14) lgkmcnt(4)
	v_mul_f64 v[224:225], v[144:145], v[50:51]
	v_fmac_f64_e32 v[224:225], v[146:147], v[48:49]
	s_waitcnt vmcnt(13) lgkmcnt(3)
	v_mul_f64 v[216:217], v[148:149], v[54:55]
	v_add_f64 v[0:1], v[0:1], v[224:225]
	v_fmac_f64_e32 v[216:217], v[150:151], v[52:53]
	s_waitcnt vmcnt(12) lgkmcnt(2)
	v_mul_f64 v[6:7], v[152:153], v[58:59]
	v_add_f64 v[0:1], v[0:1], v[216:217]
	v_fmac_f64_e32 v[6:7], v[154:155], v[56:57]
	v_add_f64 v[0:1], v[0:1], v[6:7]
	s_waitcnt vmcnt(11) lgkmcnt(1)
	v_mul_f64 v[6:7], v[156:157], v[62:63]
	v_fmac_f64_e32 v[6:7], v[158:159], v[60:61]
	v_accvgpr_write_b32 a123, v11
	v_add_f64 v[0:1], v[0:1], v[6:7]
	v_mul_f64 v[6:7], v[222:223], v[166:167]
	v_accvgpr_write_b32 a122, v10
	v_accvgpr_write_b32 a121, v9
	v_accvgpr_write_b32 a120, v8
	v_fma_f64 v[8:9], v[220:221], v[164:165], -v[6:7]
	ds_read_b128 v[164:167], v2 offset:1600
	v_mul_f64 v[170:171], v[174:175], v[170:171]
	v_fma_f64 v[6:7], v[172:173], v[168:169], -v[170:171]
	ds_read_b128 v[168:171], v2 offset:1616
	s_waitcnt vmcnt(10) lgkmcnt(2)
	v_mul_f64 v[216:217], v[160:161], v[66:67]
	v_fmac_f64_e32 v[216:217], v[162:163], v[64:65]
	s_waitcnt vmcnt(9) lgkmcnt(1)
	v_mul_f64 v[10:11], v[164:165], v[70:71]
	v_add_f64 v[0:1], v[0:1], v[216:217]
	v_fmac_f64_e32 v[10:11], v[166:167], v[68:69]
	v_add_f64 v[0:1], v[0:1], v[10:11]
	s_waitcnt vmcnt(8) lgkmcnt(0)
	v_mul_f64 v[10:11], v[168:169], v[74:75]
	v_fmac_f64_e32 v[10:11], v[170:171], v[72:73]
	ds_read_b128 v[172:175], v2 offset:1632
	v_add_f64 v[0:1], v[0:1], v[10:11]
	v_mul_f64 v[10:11], v[214:215], v[178:179]
	v_fma_f64 v[10:11], v[212:213], v[176:177], -v[10:11]
	ds_read_b128 v[176:179], v2 offset:1648
	v_mul_f64 v[182:183], v[186:187], v[182:183]
	v_fma_f64 v[4:5], v[184:185], v[180:181], -v[182:183]
	ds_read_b128 v[180:183], v2 offset:1664
	ds_read_b128 v[184:187], v2 offset:1680
	s_waitcnt vmcnt(7) lgkmcnt(3)
	v_mul_f64 v[212:213], v[172:173], v[78:79]
	v_fmac_f64_e32 v[212:213], v[174:175], v[76:77]
	s_waitcnt vmcnt(6) lgkmcnt(2)
	v_mul_f64 v[14:15], v[176:177], v[82:83]
	v_add_f64 v[0:1], v[0:1], v[212:213]
	v_fmac_f64_e32 v[14:15], v[178:179], v[80:81]
	v_add_f64 v[0:1], v[0:1], v[14:15]
	s_waitcnt vmcnt(5) lgkmcnt(1)
	v_mul_f64 v[14:15], v[180:181], v[86:87]
	v_fmac_f64_e32 v[14:15], v[182:183], v[84:85]
	v_add_f64 v[14:15], v[0:1], v[14:15]
	v_mul_f64 v[0:1], v[198:199], v[190:191]
	v_fma_f64 v[0:1], v[196:197], v[188:189], -v[0:1]
	ds_read_b128 v[188:191], v2 offset:1696
	v_mul_f64 v[194:195], v[210:211], v[194:195]
	s_waitcnt vmcnt(4) lgkmcnt(1)
	v_mul_f64 v[196:197], v[184:185], v[90:91]
	v_fma_f64 v[192:193], v[208:209], v[192:193], -v[194:195]
	v_fmac_f64_e32 v[196:197], v[186:187], v[88:89]
	v_accvgpr_write_b32 a128, v192
	v_accvgpr_write_b32 a129, v193
	ds_read_b128 v[192:195], v2 offset:1712
	v_add_f64 v[14:15], v[14:15], v[196:197]
	s_waitcnt vmcnt(3) lgkmcnt(1)
	v_mul_f64 v[196:197], v[188:189], v[98:99]
	v_fmac_f64_e32 v[196:197], v[190:191], v[96:97]
	v_add_f64 v[14:15], v[14:15], v[196:197]
	ds_read_b128 v[196:199], v2 offset:1728
	v_mul_f64 v[202:203], v[206:207], v[202:203]
	v_fma_f64 v[244:245], v[204:205], v[200:201], -v[202:203]
	ds_read_b128 v[200:203], v2 offset:1744
	s_waitcnt vmcnt(2) lgkmcnt(2)
	v_mul_f64 v[204:205], v[192:193], v[94:95]
	v_fmac_f64_e32 v[204:205], v[194:195], v[92:93]
	v_add_f64 v[14:15], v[14:15], v[204:205]
	s_waitcnt vmcnt(1) lgkmcnt(1)
	v_mul_f64 v[204:205], v[196:197], v[102:103]
	v_fmac_f64_e32 v[204:205], v[198:199], v[100:101]
	v_add_f64 v[14:15], v[14:15], v[204:205]
	;; [unrolled: 4-line block ×3, first 2 shown]
	scratch_load_dwordx4 v[204:207], off, off offset:864
	scratch_load_dwordx4 v[232:235], off, off offset:912
	ds_read_b128 v[208:211], v2 offset:1760
	ds_read_b128 v[216:219], v2 offset:1776
	;; [unrolled: 1-line block ×3, first 2 shown]
	s_waitcnt vmcnt(1) lgkmcnt(2)
	v_mul_f64 v[212:213], v[208:209], v[206:207]
	v_fmac_f64_e32 v[212:213], v[210:211], v[204:205]
	v_add_f64 v[14:15], v[14:15], v[212:213]
	scratch_load_dwordx4 v[212:215], off, off offset:880
	s_waitcnt vmcnt(0) lgkmcnt(1)
	v_mul_f64 v[220:221], v[216:217], v[214:215]
	v_fmac_f64_e32 v[220:221], v[218:219], v[212:213]
	v_add_f64 v[14:15], v[14:15], v[220:221]
	scratch_load_dwordx4 v[220:223], off, off offset:896
	s_waitcnt vmcnt(0) lgkmcnt(0)
	v_mul_f64 v[228:229], v[224:225], v[222:223]
	v_fmac_f64_e32 v[228:229], v[226:227], v[220:221]
	v_add_f64 v[14:15], v[14:15], v[228:229]
	ds_read_b128 v[228:231], v2 offset:1808
	s_waitcnt lgkmcnt(0)
	v_mul_f64 v[2:3], v[228:229], v[234:235]
	v_fmac_f64_e32 v[2:3], v[230:231], v[232:233]
	v_add_f64 v[2:3], v[14:15], v[2:3]
	v_add_f64 v[14:15], v[240:241], 0
	;; [unrolled: 1-line block ×5, first 2 shown]
	scratch_load_dwordx4 v[236:239], off, off offset:176
	v_add_f64 v[14:15], v[14:15], v[248:249]
	v_add_f64 v[14:15], v[14:15], v[250:251]
	;; [unrolled: 1-line block ×10, first 2 shown]
	v_accvgpr_read_b32 v6, a116
	v_add_f64 v[246:247], v[4:5], v[0:1]
	v_accvgpr_read_b32 v0, a128
	v_accvgpr_read_b32 v8, a118
	;; [unrolled: 1-line block ×5, first 2 shown]
	v_mul_f64 v[4:5], v[22:23], v[8:9]
	v_add_f64 v[0:1], v[246:247], v[0:1]
	v_fma_f64 v[4:5], v[20:21], v[6:7], -v[4:5]
	v_accvgpr_read_b32 v6, a120
	v_add_f64 v[0:1], v[0:1], v[244:245]
	v_accvgpr_read_b32 v8, a122
	v_accvgpr_read_b32 v9, a123
	v_add_f64 v[0:1], v[0:1], v[4:5]
	v_accvgpr_read_b32 v7, a121
	v_mul_f64 v[4:5], v[110:111], v[8:9]
	v_fma_f64 v[4:5], v[108:109], v[6:7], -v[4:5]
	v_accvgpr_read_b32 v6, a124
	v_accvgpr_read_b32 v8, a126
	;; [unrolled: 1-line block ×3, first 2 shown]
	v_add_f64 v[0:1], v[0:1], v[4:5]
	v_accvgpr_read_b32 v7, a125
	v_mul_f64 v[4:5], v[114:115], v[8:9]
	v_fma_f64 v[4:5], v[112:113], v[6:7], -v[4:5]
	v_add_f64 v[0:1], v[0:1], v[4:5]
	v_mul_f64 v[4:5], v[118:119], v[18:19]
	v_fma_f64 v[4:5], v[116:117], v[16:17], -v[4:5]
	v_add_f64 v[0:1], v[0:1], v[4:5]
	;; [unrolled: 3-line block ×27, first 2 shown]
	s_waitcnt vmcnt(0)
	v_add_f64 v[4:5], v[236:237], -v[0:1]
	v_accvgpr_read_b32 v0, a114
	v_add_f64 v[6:7], v[238:239], -v[2:3]
	v_cmp_lt_u32_e32 vcc, 9, v0
	scratch_store_dwordx4 off, v[4:7], off offset:176
	s_and_saveexec_b64 s[0:1], vcc
	s_cbranch_execz .LBB120_337
; %bb.336:
	scratch_load_dwordx4 v[2:5], off, s64
	v_mov_b32_e32 v6, 0
	v_mov_b32_e32 v7, v6
	v_mov_b32_e32 v8, v6
	v_mov_b32_e32 v9, v6
	v_accvgpr_read_b32 v0, a115
	scratch_store_dwordx4 off, v[6:9], off offset:160
	s_waitcnt vmcnt(1)
	ds_write_b128 v0, v[2:5]
.LBB120_337:
	s_or_b64 exec, exec, s[0:1]
	s_waitcnt lgkmcnt(0)
	; wave barrier
	scratch_load_dwordx4 v[68:71], off, off offset:176
	scratch_load_dwordx4 v[72:75], off, off offset:192
	;; [unrolled: 1-line block ×28, first 2 shown]
	v_mov_b32_e32 v2, 0
	ds_read_b128 v[124:127], v2 offset:1072
	ds_read_b128 v[128:131], v2 offset:1088
	;; [unrolled: 1-line block ×23, first 2 shown]
	s_waitcnt vmcnt(27) lgkmcnt(14)
	v_mul_f64 v[0:1], v[124:125], v[70:71]
	s_waitcnt vmcnt(26)
	v_mul_f64 v[40:41], v[128:129], v[74:75]
	v_fmac_f64_e32 v[0:1], v[126:127], v[68:69]
	s_waitcnt vmcnt(25)
	v_mul_f64 v[42:43], v[132:133], v[78:79]
	v_fmac_f64_e32 v[40:41], v[130:131], v[72:73]
	v_add_f64 v[0:1], v[0:1], 0
	s_waitcnt vmcnt(24)
	v_mul_f64 v[44:45], v[136:137], v[82:83]
	v_fmac_f64_e32 v[42:43], v[134:135], v[76:77]
	v_add_f64 v[0:1], v[0:1], v[40:41]
	;; [unrolled: 4-line block ×7, first 2 shown]
	s_waitcnt vmcnt(18) lgkmcnt(13)
	v_mul_f64 v[56:57], v[200:201], v[146:147]
	v_fmac_f64_e32 v[54:55], v[194:195], v[112:113]
	v_add_f64 v[0:1], v[0:1], v[52:53]
	s_waitcnt vmcnt(17) lgkmcnt(12)
	v_mul_f64 v[58:59], v[204:205], v[150:151]
	v_fmac_f64_e32 v[56:57], v[202:203], v[144:145]
	v_add_f64 v[0:1], v[0:1], v[54:55]
	;; [unrolled: 4-line block ×7, first 2 shown]
	scratch_load_dwordx4 v[40:43], off, off offset:624
	scratch_load_dwordx4 v[44:47], off, off offset:640
	s_waitcnt vmcnt(13) lgkmcnt(6)
	v_mul_f64 v[102:103], v[228:229], v[186:187]
	v_fmac_f64_e32 v[100:101], v[226:227], v[176:177]
	v_add_f64 v[0:1], v[0:1], v[66:67]
	v_add_f64 v[0:1], v[0:1], v[100:101]
	v_fmac_f64_e32 v[102:103], v[230:231], v[184:185]
	v_add_f64 v[0:1], v[0:1], v[102:103]
	ds_read_b128 v[100:103], v2 offset:1376
	s_waitcnt vmcnt(12) lgkmcnt(6)
	v_mul_f64 v[48:49], v[242:243], v[190:191]
	v_fmac_f64_e32 v[48:49], v[244:245], v[188:189]
	v_add_f64 v[0:1], v[0:1], v[48:49]
	s_waitcnt vmcnt(11) lgkmcnt(5)
	v_mul_f64 v[48:49], v[246:247], v[198:199]
	v_fmac_f64_e32 v[48:49], v[248:249], v[196:197]
	v_add_f64 v[0:1], v[0:1], v[48:49]
	scratch_load_dwordx4 v[48:51], off, off offset:656
	scratch_load_dwordx4 v[52:55], off, off offset:672
	s_waitcnt vmcnt(12) lgkmcnt(0)
	v_mul_f64 v[56:57], v[100:101], v[6:7]
	v_accvgpr_write_b32 a119, v7
	v_fmac_f64_e32 v[56:57], v[102:103], v[4:5]
	v_accvgpr_write_b32 a118, v6
	v_accvgpr_write_b32 a117, v5
	;; [unrolled: 1-line block ×3, first 2 shown]
	s_waitcnt vmcnt(11)
	v_mov_b64_e32 v[4:5], v[8:9]
	v_mov_b64_e32 v[6:7], v[10:11]
	v_add_f64 v[0:1], v[0:1], v[56:57]
	v_mul_f64 v[56:57], v[104:105], v[6:7]
	v_fmac_f64_e32 v[56:57], v[106:107], v[4:5]
	v_add_f64 v[0:1], v[0:1], v[56:57]
	scratch_load_dwordx4 v[56:59], off, off offset:688
	s_waitcnt vmcnt(11)
	v_mov_b64_e32 v[4:5], v[12:13]
	v_mov_b64_e32 v[6:7], v[14:15]
	v_mul_f64 v[60:61], v[108:109], v[6:7]
	v_fmac_f64_e32 v[60:61], v[110:111], v[4:5]
	s_waitcnt vmcnt(10)
	v_mov_b64_e32 v[4:5], v[16:17]
	v_mov_b64_e32 v[6:7], v[18:19]
	v_add_f64 v[0:1], v[0:1], v[60:61]
	scratch_load_dwordx4 v[60:63], off, off offset:704
	v_mul_f64 v[64:65], v[116:117], v[6:7]
	v_fmac_f64_e32 v[64:65], v[118:119], v[4:5]
	v_add_f64 v[0:1], v[0:1], v[64:65]
	scratch_load_dwordx4 v[64:67], off, off offset:720
	v_mul_f64 v[70:71], v[126:127], v[70:71]
	s_waitcnt vmcnt(11)
	v_mov_b64_e32 v[4:5], v[20:21]
	v_fma_f64 v[240:241], v[124:125], v[68:69], -v[70:71]
	v_mov_b64_e32 v[6:7], v[22:23]
	scratch_load_dwordx4 v[68:71], off, off offset:736
	v_mul_f64 v[124:125], v[120:121], v[6:7]
	v_mul_f64 v[74:75], v[130:131], v[74:75]
	v_fmac_f64_e32 v[124:125], v[122:123], v[4:5]
	v_fma_f64 v[250:251], v[128:129], v[72:73], -v[74:75]
	scratch_load_dwordx4 v[72:75], off, off offset:752
	v_mul_f64 v[78:79], v[134:135], v[78:79]
	v_add_f64 v[0:1], v[0:1], v[124:125]
	ds_read_b128 v[124:127], v2 offset:1456
	ds_read_b128 v[128:131], v2 offset:1472
	v_fma_f64 v[252:253], v[132:133], v[76:77], -v[78:79]
	v_mul_f64 v[76:77], v[138:139], v[82:83]
	v_fma_f64 v[254:255], v[136:137], v[80:81], -v[76:77]
	scratch_load_dwordx4 v[76:79], off, off offset:768
	s_waitcnt vmcnt(13) lgkmcnt(1)
	v_mul_f64 v[132:133], v[124:125], v[236:237]
	v_fmac_f64_e32 v[132:133], v[126:127], v[234:235]
	v_add_f64 v[0:1], v[0:1], v[132:133]
	s_waitcnt vmcnt(12) lgkmcnt(0)
	v_mul_f64 v[132:133], v[128:129], v[30:31]
	scratch_load_dwordx4 v[80:83], off, off offset:784
	v_fmac_f64_e32 v[132:133], v[130:131], v[28:29]
	v_mul_f64 v[86:87], v[142:143], v[86:87]
	v_add_f64 v[0:1], v[0:1], v[132:133]
	v_fma_f64 v[232:233], v[140:141], v[84:85], -v[86:87]
	ds_read_b128 v[132:135], v2 offset:1488
	v_mul_f64 v[84:85], v[158:159], v[90:91]
	v_fma_f64 v[24:25], v[156:157], v[88:89], -v[84:85]
	scratch_load_dwordx4 v[88:91], off, off offset:800
	scratch_load_dwordx4 v[84:87], off, off offset:816
	v_accvgpr_write_b32 a135, v23
	v_mul_f64 v[6:7], v[170:171], v[94:95]
	v_accvgpr_write_b32 a134, v22
	v_accvgpr_write_b32 a133, v21
	;; [unrolled: 1-line block ×3, first 2 shown]
	v_fma_f64 v[20:21], v[168:169], v[92:93], -v[6:7]
	s_waitcnt vmcnt(14) lgkmcnt(0)
	v_mul_f64 v[6:7], v[132:133], v[34:35]
	v_fmac_f64_e32 v[6:7], v[134:135], v[32:33]
	v_accvgpr_write_b32 a131, v19
	v_add_f64 v[0:1], v[0:1], v[6:7]
	v_mul_f64 v[6:7], v[182:183], v[98:99]
	v_accvgpr_write_b32 a130, v18
	v_accvgpr_write_b32 a129, v17
	;; [unrolled: 1-line block ×3, first 2 shown]
	ds_read_b128 v[136:139], v2 offset:1504
	v_fma_f64 v[16:17], v[180:181], v[96:97], -v[6:7]
	scratch_load_dwordx4 v[96:99], off, off offset:832
	scratch_load_dwordx4 v[92:95], off, off offset:848
	v_accvgpr_write_b32 a127, v15
	v_mul_f64 v[6:7], v[194:195], v[114:115]
	v_accvgpr_write_b32 a126, v14
	v_accvgpr_write_b32 a125, v13
	;; [unrolled: 1-line block ×3, first 2 shown]
	v_fma_f64 v[12:13], v[192:193], v[112:113], -v[6:7]
	scratch_load_dwordx4 v[112:115], off, off offset:864
	ds_read_b128 v[140:143], v2 offset:1520
	s_waitcnt vmcnt(16) lgkmcnt(1)
	v_mul_f64 v[6:7], v[136:137], v[38:39]
	v_fmac_f64_e32 v[6:7], v[138:139], v[36:37]
	v_add_f64 v[0:1], v[0:1], v[6:7]
	v_mul_f64 v[6:7], v[202:203], v[146:147]
	v_fma_f64 v[14:15], v[200:201], v[144:145], -v[6:7]
	ds_read_b128 v[144:147], v2 offset:1536
	s_waitcnt vmcnt(15) lgkmcnt(1)
	v_mul_f64 v[6:7], v[140:141], v[42:43]
	v_fmac_f64_e32 v[6:7], v[142:143], v[40:41]
	v_accvgpr_write_b32 a123, v11
	v_add_f64 v[0:1], v[0:1], v[6:7]
	v_mul_f64 v[6:7], v[206:207], v[150:151]
	v_accvgpr_write_b32 a122, v10
	v_accvgpr_write_b32 a121, v9
	;; [unrolled: 1-line block ×3, first 2 shown]
	v_fma_f64 v[10:11], v[204:205], v[148:149], -v[6:7]
	ds_read_b128 v[148:151], v2 offset:1552
	v_mul_f64 v[18:19], v[210:211], v[154:155]
	v_fma_f64 v[18:19], v[208:209], v[152:153], -v[18:19]
	ds_read_b128 v[152:155], v2 offset:1568
	s_waitcnt vmcnt(14) lgkmcnt(2)
	v_mul_f64 v[6:7], v[144:145], v[46:47]
	v_fmac_f64_e32 v[6:7], v[146:147], v[44:45]
	v_add_f64 v[0:1], v[0:1], v[6:7]
	s_waitcnt vmcnt(13) lgkmcnt(1)
	v_mul_f64 v[6:7], v[148:149], v[50:51]
	ds_read_b128 v[156:159], v2 offset:1584
	v_fmac_f64_e32 v[6:7], v[150:151], v[48:49]
	v_add_f64 v[0:1], v[0:1], v[6:7]
	s_waitcnt vmcnt(12) lgkmcnt(1)
	v_mul_f64 v[6:7], v[152:153], v[54:55]
	v_fmac_f64_e32 v[6:7], v[154:155], v[52:53]
	v_add_f64 v[0:1], v[0:1], v[6:7]
	v_mul_f64 v[6:7], v[214:215], v[162:163]
	v_fma_f64 v[8:9], v[212:213], v[160:161], -v[6:7]
	ds_read_b128 v[160:163], v2 offset:1600
	s_waitcnt vmcnt(11) lgkmcnt(1)
	v_mul_f64 v[6:7], v[156:157], v[58:59]
	v_fmac_f64_e32 v[6:7], v[158:159], v[56:57]
	v_add_f64 v[0:1], v[0:1], v[6:7]
	v_mul_f64 v[6:7], v[218:219], v[166:167]
	v_fma_f64 v[22:23], v[216:217], v[164:165], -v[6:7]
	ds_read_b128 v[164:167], v2 offset:1616
	ds_read_b128 v[168:171], v2 offset:1632
	s_waitcnt vmcnt(10) lgkmcnt(2)
	v_mul_f64 v[6:7], v[160:161], v[62:63]
	v_fmac_f64_e32 v[6:7], v[162:163], v[60:61]
	v_add_f64 v[0:1], v[0:1], v[6:7]
	s_waitcnt vmcnt(9) lgkmcnt(1)
	v_mul_f64 v[6:7], v[164:165], v[66:67]
	v_fmac_f64_e32 v[6:7], v[166:167], v[64:65]
	v_add_f64 v[0:1], v[0:1], v[6:7]
	v_mul_f64 v[6:7], v[222:223], v[174:175]
	v_fma_f64 v[4:5], v[220:221], v[172:173], -v[6:7]
	ds_read_b128 v[172:175], v2 offset:1648
	v_mul_f64 v[6:7], v[226:227], v[178:179]
	v_fma_f64 v[6:7], v[224:225], v[176:177], -v[6:7]
	ds_read_b128 v[176:179], v2 offset:1664
	s_waitcnt vmcnt(8) lgkmcnt(2)
	v_mul_f64 v[26:27], v[168:169], v[70:71]
	v_fmac_f64_e32 v[26:27], v[170:171], v[68:69]
	v_add_f64 v[0:1], v[0:1], v[26:27]
	s_waitcnt vmcnt(7) lgkmcnt(1)
	v_mul_f64 v[26:27], v[172:173], v[74:75]
	v_fmac_f64_e32 v[26:27], v[174:175], v[72:73]
	v_add_f64 v[0:1], v[0:1], v[26:27]
	s_waitcnt vmcnt(6) lgkmcnt(0)
	v_mul_f64 v[26:27], v[176:177], v[78:79]
	v_fmac_f64_e32 v[26:27], v[178:179], v[76:77]
	ds_read_b128 v[180:183], v2 offset:1680
	v_add_f64 v[26:27], v[0:1], v[26:27]
	v_mul_f64 v[0:1], v[230:231], v[186:187]
	v_fma_f64 v[0:1], v[228:229], v[184:185], -v[0:1]
	ds_read_b128 v[184:187], v2 offset:1696
	s_waitcnt vmcnt(5) lgkmcnt(1)
	v_mul_f64 v[192:193], v[180:181], v[82:83]
	v_fmac_f64_e32 v[192:193], v[182:183], v[80:81]
	v_mul_f64 v[190:191], v[244:245], v[190:191]
	v_add_f64 v[26:27], v[26:27], v[192:193]
	v_fma_f64 v[238:239], v[242:243], v[188:189], -v[190:191]
	ds_read_b128 v[188:191], v2 offset:1712
	s_waitcnt vmcnt(4) lgkmcnt(1)
	v_mul_f64 v[192:193], v[184:185], v[90:91]
	v_fmac_f64_e32 v[192:193], v[186:187], v[88:89]
	v_add_f64 v[26:27], v[26:27], v[192:193]
	ds_read_b128 v[192:195], v2 offset:1728
	v_mul_f64 v[198:199], v[248:249], v[198:199]
	v_fma_f64 v[242:243], v[246:247], v[196:197], -v[198:199]
	ds_read_b128 v[196:199], v2 offset:1744
	ds_read_b128 v[208:211], v2 offset:1776
	s_waitcnt vmcnt(3) lgkmcnt(3)
	v_mul_f64 v[200:201], v[188:189], v[86:87]
	v_fmac_f64_e32 v[200:201], v[190:191], v[84:85]
	v_add_f64 v[26:27], v[26:27], v[200:201]
	s_waitcnt vmcnt(2) lgkmcnt(2)
	v_mul_f64 v[200:201], v[192:193], v[98:99]
	v_fmac_f64_e32 v[200:201], v[194:195], v[96:97]
	v_add_f64 v[26:27], v[26:27], v[200:201]
	;; [unrolled: 4-line block ×3, first 2 shown]
	ds_read_b128 v[200:203], v2 offset:1760
	ds_read_b128 v[216:219], v2 offset:1792
	;; [unrolled: 1-line block ×3, first 2 shown]
	s_waitcnt vmcnt(0) lgkmcnt(2)
	v_mul_f64 v[204:205], v[200:201], v[114:115]
	v_fmac_f64_e32 v[204:205], v[202:203], v[112:113]
	v_add_f64 v[26:27], v[26:27], v[204:205]
	scratch_load_dwordx4 v[204:207], off, off offset:880
	s_waitcnt vmcnt(0)
	v_mul_f64 v[212:213], v[208:209], v[206:207]
	v_fmac_f64_e32 v[212:213], v[210:211], v[204:205]
	v_add_f64 v[26:27], v[26:27], v[212:213]
	scratch_load_dwordx4 v[212:215], off, off offset:896
	s_waitcnt vmcnt(0) lgkmcnt(1)
	v_mul_f64 v[220:221], v[216:217], v[214:215]
	v_fmac_f64_e32 v[220:221], v[218:219], v[212:213]
	v_add_f64 v[26:27], v[26:27], v[220:221]
	scratch_load_dwordx4 v[220:223], off, off offset:912
	s_waitcnt vmcnt(0) lgkmcnt(0)
	v_mul_f64 v[228:229], v[224:225], v[222:223]
	v_fmac_f64_e32 v[228:229], v[226:227], v[220:221]
	v_add_f64 v[246:247], v[26:27], v[228:229]
	scratch_load_dwordx4 v[228:231], off, off offset:160
	v_add_f64 v[26:27], v[240:241], 0
	v_add_f64 v[26:27], v[26:27], v[250:251]
	;; [unrolled: 1-line block ×16, first 2 shown]
	v_accvgpr_read_b32 v6, a116
	v_accvgpr_read_b32 v8, a118
	;; [unrolled: 1-line block ×3, first 2 shown]
	v_add_f64 v[0:1], v[4:5], v[0:1]
	v_accvgpr_read_b32 v7, a117
	v_mul_f64 v[4:5], v[102:103], v[8:9]
	v_add_f64 v[0:1], v[0:1], v[238:239]
	v_fma_f64 v[4:5], v[100:101], v[6:7], -v[4:5]
	v_accvgpr_read_b32 v6, a120
	v_add_f64 v[0:1], v[0:1], v[242:243]
	v_accvgpr_read_b32 v8, a122
	v_accvgpr_read_b32 v9, a123
	v_add_f64 v[0:1], v[0:1], v[4:5]
	v_accvgpr_read_b32 v7, a121
	v_mul_f64 v[4:5], v[106:107], v[8:9]
	v_fma_f64 v[4:5], v[104:105], v[6:7], -v[4:5]
	v_accvgpr_read_b32 v6, a124
	v_accvgpr_read_b32 v8, a126
	v_accvgpr_read_b32 v9, a127
	v_add_f64 v[0:1], v[0:1], v[4:5]
	v_accvgpr_read_b32 v7, a125
	v_mul_f64 v[4:5], v[110:111], v[8:9]
	v_fma_f64 v[4:5], v[108:109], v[6:7], -v[4:5]
	v_accvgpr_read_b32 v6, a128
	;; [unrolled: 7-line block ×3, first 2 shown]
	v_accvgpr_read_b32 v8, a134
	v_accvgpr_read_b32 v9, a135
	v_add_f64 v[0:1], v[0:1], v[4:5]
	v_accvgpr_read_b32 v7, a133
	v_mul_f64 v[4:5], v[122:123], v[8:9]
	v_fma_f64 v[4:5], v[120:121], v[6:7], -v[4:5]
	v_add_f64 v[0:1], v[0:1], v[4:5]
	v_mul_f64 v[4:5], v[126:127], v[236:237]
	v_fma_f64 v[4:5], v[124:125], v[234:235], -v[4:5]
	v_add_f64 v[0:1], v[0:1], v[4:5]
	;; [unrolled: 3-line block ×24, first 2 shown]
	s_waitcnt vmcnt(0)
	v_add_f64 v[4:5], v[228:229], -v[0:1]
	v_accvgpr_read_b32 v0, a114
	v_add_f64 v[6:7], v[230:231], -v[246:247]
	v_cmp_lt_u32_e32 vcc, 8, v0
	scratch_store_dwordx4 off, v[4:7], off offset:160
	s_and_saveexec_b64 s[0:1], vcc
	s_cbranch_execz .LBB120_339
; %bb.338:
	scratch_load_dwordx4 v[6:9], off, s65
	v_mov_b32_e32 v3, v2
	v_mov_b32_e32 v4, v2
	;; [unrolled: 1-line block ×3, first 2 shown]
	v_accvgpr_read_b32 v0, a115
	scratch_store_dwordx4 off, v[2:5], off offset:144
	s_waitcnt vmcnt(1)
	ds_write_b128 v0, v[6:9]
.LBB120_339:
	s_or_b64 exec, exec, s[0:1]
	s_waitcnt lgkmcnt(0)
	; wave barrier
	scratch_load_dwordx4 v[40:43], off, off offset:160
	scratch_load_dwordx4 v[44:47], off, off offset:176
	;; [unrolled: 1-line block ×18, first 2 shown]
	ds_read_b128 v[164:167], v2 offset:1056
	ds_read_b128 v[232:235], v2 offset:1072
	;; [unrolled: 1-line block ×6, first 2 shown]
	scratch_load_dwordx4 v[140:143], off, off offset:448
	ds_read_b128 v[224:227], v2 offset:1152
	ds_read_b128 v[212:215], v2 offset:1168
	;; [unrolled: 1-line block ×3, first 2 shown]
	scratch_load_dwordx4 v[4:7], off, off offset:464
	ds_read_b128 v[228:231], v2 offset:1200
	ds_read_b128 v[216:219], v2 offset:1216
	;; [unrolled: 1-line block ×5, first 2 shown]
	scratch_load_dwordx4 v[8:11], off, off offset:480
	ds_read_b128 v[208:211], v2 offset:1280
	ds_read_b128 v[196:199], v2 offset:1296
	;; [unrolled: 1-line block ×3, first 2 shown]
	scratch_load_dwordx4 v[12:15], off, off offset:496
	ds_read_b128 v[200:203], v2 offset:1328
	scratch_load_dwordx4 v[16:19], off, off offset:512
	scratch_load_dwordx4 v[20:23], off, off offset:528
	;; [unrolled: 1-line block ×7, first 2 shown]
	ds_read_b128 v[236:239], v2 offset:1344
	ds_read_b128 v[156:159], v2 offset:1408
	;; [unrolled: 1-line block ×4, first 2 shown]
	s_waitcnt vmcnt(28) lgkmcnt(14)
	v_mul_f64 v[0:1], v[164:165], v[42:43]
	s_waitcnt vmcnt(27)
	v_mul_f64 v[108:109], v[232:233], v[46:47]
	v_fmac_f64_e32 v[0:1], v[166:167], v[40:41]
	s_waitcnt vmcnt(26)
	v_mul_f64 v[110:111], v[168:169], v[50:51]
	v_fmac_f64_e32 v[108:109], v[234:235], v[44:45]
	v_add_f64 v[0:1], v[0:1], 0
	s_waitcnt vmcnt(25)
	v_mul_f64 v[116:117], v[220:221], v[54:55]
	v_fmac_f64_e32 v[110:111], v[170:171], v[48:49]
	v_add_f64 v[0:1], v[0:1], v[108:109]
	;; [unrolled: 4-line block ×6, first 2 shown]
	s_waitcnt vmcnt(20) lgkmcnt(13)
	v_mul_f64 v[126:127], v[180:181], v[78:79]
	v_fmac_f64_e32 v[124:125], v[214:215], v[68:69]
	v_add_f64 v[0:1], v[0:1], v[122:123]
	s_waitcnt vmcnt(19) lgkmcnt(12)
	v_mul_f64 v[128:129], v[228:229], v[82:83]
	v_fmac_f64_e32 v[126:127], v[182:183], v[76:77]
	v_add_f64 v[0:1], v[0:1], v[124:125]
	;; [unrolled: 4-line block ×9, first 2 shown]
	v_add_f64 v[0:1], v[0:1], v[148:149]
	v_fmac_f64_e32 v[150:151], v[186:187], v[112:113]
	s_waitcnt vmcnt(11) lgkmcnt(4)
	v_mul_f64 v[116:117], v[200:201], v[138:139]
	v_add_f64 v[0:1], v[0:1], v[150:151]
	v_fmac_f64_e32 v[116:117], v[202:203], v[136:137]
	v_add_f64 v[0:1], v[0:1], v[116:117]
	ds_read_b128 v[144:147], v2 offset:1360
	s_waitcnt vmcnt(10) lgkmcnt(4)
	v_mul_f64 v[116:117], v[236:237], v[142:143]
	scratch_load_dwordx4 v[108:111], off, off offset:624
	v_fmac_f64_e32 v[116:117], v[238:239], v[140:141]
	v_add_f64 v[0:1], v[0:1], v[116:117]
	scratch_load_dwordx4 v[116:119], off, off offset:640
	ds_read_b128 v[148:151], v2 offset:1376
	scratch_load_dwordx4 v[120:123], off, off offset:656
	s_waitcnt vmcnt(12) lgkmcnt(1)
	v_mul_f64 v[124:125], v[144:145], v[6:7]
	v_fmac_f64_e32 v[124:125], v[146:147], v[4:5]
	v_add_f64 v[0:1], v[0:1], v[124:125]
	s_waitcnt vmcnt(11) lgkmcnt(0)
	v_mul_f64 v[124:125], v[148:149], v[10:11]
	v_fmac_f64_e32 v[124:125], v[150:151], v[8:9]
	s_waitcnt vmcnt(10)
	v_mul_f64 v[128:129], v[152:153], v[14:15]
	v_add_f64 v[0:1], v[0:1], v[124:125]
	scratch_load_dwordx4 v[124:127], off, off offset:672
	v_fmac_f64_e32 v[128:129], v[154:155], v[12:13]
	v_add_f64 v[0:1], v[0:1], v[128:129]
	scratch_load_dwordx4 v[128:131], off, off offset:688
	s_waitcnt vmcnt(11)
	v_mul_f64 v[132:133], v[156:157], v[18:19]
	v_fmac_f64_e32 v[132:133], v[158:159], v[16:17]
	v_add_f64 v[0:1], v[0:1], v[132:133]
	scratch_load_dwordx4 v[132:135], off, off offset:704
	v_mul_f64 v[42:43], v[166:167], v[42:43]
	v_fma_f64 v[240:241], v[164:165], v[40:41], -v[42:43]
	scratch_load_dwordx4 v[40:43], off, off offset:720
	v_mul_f64 v[46:47], v[234:235], v[46:47]
	v_fma_f64 v[246:247], v[232:233], v[44:45], -v[46:47]
	;; [unrolled: 3-line block ×3, first 2 shown]
	v_mul_f64 v[48:49], v[222:223], v[54:55]
	v_fma_f64 v[250:251], v[220:221], v[52:53], -v[48:49]
	scratch_load_dwordx4 v[48:51], off, off offset:752
	scratch_load_dwordx4 v[52:55], off, off offset:768
	s_waitcnt vmcnt(15)
	v_mul_f64 v[164:165], v[160:161], v[22:23]
	v_fmac_f64_e32 v[164:165], v[162:163], v[20:21]
	v_add_f64 v[0:1], v[0:1], v[164:165]
	ds_read_b128 v[164:167], v2 offset:1440
	ds_read_b128 v[168:171], v2 offset:1456
	v_mul_f64 v[58:59], v[174:175], v[58:59]
	v_fma_f64 v[252:253], v[172:173], v[56:57], -v[58:59]
	ds_read_b128 v[172:175], v2 offset:1472
	v_mul_f64 v[56:57], v[178:179], v[62:63]
	v_fma_f64 v[254:255], v[176:177], v[60:61], -v[56:57]
	scratch_load_dwordx4 v[60:63], off, off offset:784
	scratch_load_dwordx4 v[56:59], off, off offset:800
	s_waitcnt vmcnt(16) lgkmcnt(2)
	v_mul_f64 v[232:233], v[164:165], v[34:35]
	v_fmac_f64_e32 v[232:233], v[166:167], v[32:33]
	s_waitcnt vmcnt(15) lgkmcnt(1)
	v_mul_f64 v[220:221], v[168:169], v[38:39]
	v_mul_f64 v[66:67], v[226:227], v[66:67]
	v_add_f64 v[0:1], v[0:1], v[232:233]
	v_fmac_f64_e32 v[220:221], v[170:171], v[36:37]
	v_fma_f64 v[242:243], v[224:225], v[64:65], -v[66:67]
	s_waitcnt vmcnt(14) lgkmcnt(0)
	v_mul_f64 v[64:65], v[172:173], v[30:31]
	v_add_f64 v[0:1], v[0:1], v[220:221]
	v_fmac_f64_e32 v[64:65], v[174:175], v[28:29]
	v_accvgpr_write_b32 a143, v23
	v_add_f64 v[0:1], v[0:1], v[64:65]
	v_mul_f64 v[64:65], v[214:215], v[70:71]
	v_accvgpr_write_b32 a142, v22
	v_accvgpr_write_b32 a141, v21
	;; [unrolled: 1-line block ×3, first 2 shown]
	ds_read_b128 v[176:179], v2 offset:1488
	v_fma_f64 v[20:21], v[212:213], v[68:69], -v[64:65]
	scratch_load_dwordx4 v[68:71], off, off offset:816
	scratch_load_dwordx4 v[64:67], off, off offset:832
	v_accvgpr_write_b32 a127, v7
	v_accvgpr_write_b32 a126, v6
	v_accvgpr_write_b32 a125, v5
	v_accvgpr_write_b32 a124, v4
	v_accvgpr_write_b32 a139, v19
	v_mul_f64 v[6:7], v[182:183], v[78:79]
	v_accvgpr_write_b32 a138, v18
	v_accvgpr_write_b32 a137, v17
	;; [unrolled: 1-line block ×3, first 2 shown]
	v_fma_f64 v[16:17], v[180:181], v[76:77], -v[6:7]
	s_waitcnt vmcnt(15) lgkmcnt(0)
	v_mul_f64 v[76:77], v[176:177], v[26:27]
	v_fmac_f64_e32 v[76:77], v[178:179], v[24:25]
	v_accvgpr_write_b32 a135, v15
	v_add_f64 v[0:1], v[0:1], v[76:77]
	v_mul_f64 v[76:77], v[230:231], v[82:83]
	v_accvgpr_write_b32 a134, v14
	v_accvgpr_write_b32 a133, v13
	;; [unrolled: 1-line block ×3, first 2 shown]
	v_fma_f64 v[12:13], v[228:229], v[80:81], -v[76:77]
	scratch_load_dwordx4 v[76:79], off, off offset:848
	scratch_load_dwordx4 v[232:235], off, off offset:912
	ds_read_b128 v[180:183], v2 offset:1504
	ds_read_b128 v[80:83], v2 offset:1520
	v_accvgpr_write_b32 a131, v11
	v_accvgpr_write_b32 a130, v10
	v_accvgpr_write_b32 a129, v9
	v_accvgpr_write_b32 a128, v8
	s_waitcnt vmcnt(16) lgkmcnt(1)
	v_mul_f64 v[10:11], v[180:181], v[74:75]
	v_fmac_f64_e32 v[10:11], v[182:183], v[72:73]
	v_add_f64 v[0:1], v[0:1], v[10:11]
	v_mul_f64 v[10:11], v[218:219], v[86:87]
	v_fma_f64 v[10:11], v[216:217], v[84:85], -v[10:11]
	ds_read_b128 v[84:87], v2 offset:1536
	v_mul_f64 v[90:91], v[190:191], v[90:91]
	v_fma_f64 v[8:9], v[188:189], v[88:89], -v[90:91]
	ds_read_b128 v[88:91], v2 offset:1552
	s_waitcnt vmcnt(15) lgkmcnt(2)
	v_mul_f64 v[212:213], v[80:81], v[110:111]
	v_fmac_f64_e32 v[212:213], v[82:83], v[108:109]
	s_waitcnt vmcnt(14) lgkmcnt(1)
	v_mul_f64 v[14:15], v[84:85], v[118:119]
	v_add_f64 v[0:1], v[0:1], v[212:213]
	v_fmac_f64_e32 v[14:15], v[86:87], v[116:117]
	v_add_f64 v[0:1], v[0:1], v[14:15]
	s_waitcnt vmcnt(13) lgkmcnt(0)
	v_mul_f64 v[14:15], v[88:89], v[122:123]
	v_fmac_f64_e32 v[14:15], v[90:91], v[120:121]
	ds_read_b128 v[188:191], v2 offset:1568
	v_add_f64 v[0:1], v[0:1], v[14:15]
	v_mul_f64 v[14:15], v[206:207], v[94:95]
	v_fma_f64 v[14:15], v[204:205], v[92:93], -v[14:15]
	ds_read_b128 v[92:95], v2 offset:1584
	v_mul_f64 v[98:99], v[194:195], v[98:99]
	v_fma_f64 v[6:7], v[192:193], v[96:97], -v[98:99]
	ds_read_b128 v[96:99], v2 offset:1600
	ds_read_b128 v[192:195], v2 offset:1616
	s_waitcnt vmcnt(12) lgkmcnt(3)
	v_mul_f64 v[204:205], v[188:189], v[126:127]
	v_fmac_f64_e32 v[204:205], v[190:191], v[124:125]
	s_waitcnt vmcnt(11) lgkmcnt(2)
	v_mul_f64 v[18:19], v[92:93], v[130:131]
	v_add_f64 v[0:1], v[0:1], v[204:205]
	v_fmac_f64_e32 v[18:19], v[94:95], v[128:129]
	v_add_f64 v[0:1], v[0:1], v[18:19]
	s_waitcnt vmcnt(10) lgkmcnt(1)
	v_mul_f64 v[18:19], v[96:97], v[134:135]
	v_fmac_f64_e32 v[18:19], v[98:99], v[132:133]
	v_add_f64 v[0:1], v[0:1], v[18:19]
	v_mul_f64 v[18:19], v[210:211], v[102:103]
	v_fma_f64 v[18:19], v[208:209], v[100:101], -v[18:19]
	ds_read_b128 v[100:103], v2 offset:1632
	v_mul_f64 v[106:107], v[198:199], v[106:107]
	v_fma_f64 v[4:5], v[196:197], v[104:105], -v[106:107]
	ds_read_b128 v[104:107], v2 offset:1648
	s_waitcnt vmcnt(9) lgkmcnt(2)
	v_mul_f64 v[204:205], v[192:193], v[42:43]
	v_fmac_f64_e32 v[204:205], v[194:195], v[40:41]
	s_waitcnt vmcnt(8) lgkmcnt(1)
	v_mul_f64 v[22:23], v[100:101], v[46:47]
	v_add_f64 v[0:1], v[0:1], v[204:205]
	v_fmac_f64_e32 v[22:23], v[102:103], v[44:45]
	v_add_f64 v[0:1], v[0:1], v[22:23]
	s_waitcnt vmcnt(7) lgkmcnt(0)
	v_mul_f64 v[22:23], v[104:105], v[50:51]
	ds_read_b128 v[196:199], v2 offset:1664
	v_fmac_f64_e32 v[22:23], v[106:107], v[48:49]
	v_add_f64 v[0:1], v[0:1], v[22:23]
	v_mul_f64 v[22:23], v[186:187], v[114:115]
	v_fma_f64 v[22:23], v[184:185], v[112:113], -v[22:23]
	ds_read_b128 v[112:115], v2 offset:1680
	s_waitcnt vmcnt(6) lgkmcnt(1)
	v_mul_f64 v[184:185], v[196:197], v[54:55]
	v_fmac_f64_e32 v[184:185], v[198:199], v[52:53]
	v_add_f64 v[184:185], v[0:1], v[184:185]
	v_mul_f64 v[0:1], v[202:203], v[138:139]
	v_fma_f64 v[0:1], v[200:201], v[136:137], -v[0:1]
	ds_read_b128 v[136:139], v2 offset:1696
	s_waitcnt vmcnt(5) lgkmcnt(1)
	v_mul_f64 v[186:187], v[112:113], v[62:63]
	v_fmac_f64_e32 v[186:187], v[114:115], v[60:61]
	v_add_f64 v[200:201], v[184:185], v[186:187]
	ds_read_b128 v[184:187], v2 offset:1712
	v_mul_f64 v[142:143], v[238:239], v[142:143]
	v_fma_f64 v[244:245], v[236:237], v[140:141], -v[142:143]
	ds_read_b128 v[140:143], v2 offset:1728
	ds_read_b128 v[208:211], v2 offset:1760
	s_waitcnt vmcnt(4) lgkmcnt(3)
	v_mul_f64 v[202:203], v[136:137], v[58:59]
	v_fmac_f64_e32 v[202:203], v[138:139], v[56:57]
	v_add_f64 v[200:201], v[200:201], v[202:203]
	s_waitcnt vmcnt(3) lgkmcnt(2)
	v_mul_f64 v[202:203], v[184:185], v[70:71]
	v_fmac_f64_e32 v[202:203], v[186:187], v[68:69]
	v_add_f64 v[200:201], v[200:201], v[202:203]
	;; [unrolled: 4-line block ×3, first 2 shown]
	ds_read_b128 v[200:203], v2 offset:1744
	ds_read_b128 v[216:219], v2 offset:1776
	;; [unrolled: 1-line block ×3, first 2 shown]
	s_waitcnt vmcnt(1) lgkmcnt(2)
	v_mul_f64 v[206:207], v[200:201], v[78:79]
	v_fmac_f64_e32 v[206:207], v[202:203], v[76:77]
	v_add_f64 v[212:213], v[204:205], v[206:207]
	scratch_load_dwordx4 v[204:207], off, off offset:864
	s_waitcnt vmcnt(0)
	v_mul_f64 v[214:215], v[208:209], v[206:207]
	v_fmac_f64_e32 v[214:215], v[210:211], v[204:205]
	v_add_f64 v[220:221], v[212:213], v[214:215]
	scratch_load_dwordx4 v[212:215], off, off offset:880
	s_waitcnt vmcnt(0) lgkmcnt(1)
	v_mul_f64 v[222:223], v[216:217], v[214:215]
	v_fmac_f64_e32 v[222:223], v[218:219], v[212:213]
	v_add_f64 v[228:229], v[220:221], v[222:223]
	scratch_load_dwordx4 v[220:223], off, off offset:896
	s_waitcnt vmcnt(0) lgkmcnt(0)
	v_mul_f64 v[230:231], v[224:225], v[222:223]
	v_fmac_f64_e32 v[230:231], v[226:227], v[220:221]
	v_add_f64 v[236:237], v[228:229], v[230:231]
	ds_read_b128 v[228:231], v2 offset:1808
	s_waitcnt lgkmcnt(0)
	v_mul_f64 v[2:3], v[228:229], v[234:235]
	v_fmac_f64_e32 v[2:3], v[230:231], v[232:233]
	v_add_f64 v[2:3], v[236:237], v[2:3]
	v_add_f64 v[236:237], v[240:241], 0
	v_add_f64 v[236:237], v[236:237], v[246:247]
	v_add_f64 v[236:237], v[236:237], v[248:249]
	v_add_f64 v[236:237], v[236:237], v[250:251]
	v_add_f64 v[236:237], v[236:237], v[252:253]
	v_add_f64 v[236:237], v[236:237], v[254:255]
	v_add_f64 v[236:237], v[236:237], v[242:243]
	v_add_f64 v[20:21], v[236:237], v[20:21]
	scratch_load_dwordx4 v[236:239], off, off offset:144
	v_add_f64 v[16:17], v[20:21], v[16:17]
	v_add_f64 v[12:13], v[16:17], v[12:13]
	;; [unrolled: 1-line block ×8, first 2 shown]
	v_accvgpr_read_b32 v6, a124
	v_accvgpr_read_b32 v8, a126
	;; [unrolled: 1-line block ×3, first 2 shown]
	v_add_f64 v[246:247], v[4:5], v[22:23]
	v_accvgpr_read_b32 v7, a125
	v_mul_f64 v[4:5], v[146:147], v[8:9]
	v_add_f64 v[0:1], v[246:247], v[0:1]
	v_fma_f64 v[4:5], v[144:145], v[6:7], -v[4:5]
	v_accvgpr_read_b32 v6, a128
	v_add_f64 v[0:1], v[0:1], v[244:245]
	v_accvgpr_read_b32 v8, a130
	v_accvgpr_read_b32 v9, a131
	v_add_f64 v[0:1], v[0:1], v[4:5]
	v_accvgpr_read_b32 v7, a129
	v_mul_f64 v[4:5], v[150:151], v[8:9]
	v_fma_f64 v[4:5], v[148:149], v[6:7], -v[4:5]
	v_accvgpr_read_b32 v6, a132
	v_accvgpr_read_b32 v8, a134
	v_accvgpr_read_b32 v9, a135
	v_add_f64 v[0:1], v[0:1], v[4:5]
	v_accvgpr_read_b32 v7, a133
	v_mul_f64 v[4:5], v[154:155], v[8:9]
	v_fma_f64 v[4:5], v[152:153], v[6:7], -v[4:5]
	v_accvgpr_read_b32 v6, a136
	;; [unrolled: 7-line block ×3, first 2 shown]
	v_accvgpr_read_b32 v8, a142
	v_accvgpr_read_b32 v9, a143
	v_add_f64 v[0:1], v[0:1], v[4:5]
	v_accvgpr_read_b32 v7, a141
	v_mul_f64 v[4:5], v[162:163], v[8:9]
	v_fma_f64 v[4:5], v[160:161], v[6:7], -v[4:5]
	v_add_f64 v[0:1], v[0:1], v[4:5]
	v_mul_f64 v[4:5], v[166:167], v[34:35]
	v_fma_f64 v[4:5], v[164:165], v[32:33], -v[4:5]
	v_add_f64 v[0:1], v[0:1], v[4:5]
	;; [unrolled: 3-line block ×25, first 2 shown]
	s_waitcnt vmcnt(0)
	v_add_f64 v[4:5], v[236:237], -v[0:1]
	v_accvgpr_read_b32 v0, a114
	v_add_f64 v[6:7], v[238:239], -v[2:3]
	v_cmp_lt_u32_e32 vcc, 7, v0
	scratch_store_dwordx4 off, v[4:7], off offset:144
	s_and_saveexec_b64 s[0:1], vcc
	s_cbranch_execz .LBB120_341
; %bb.340:
	scratch_load_dwordx4 v[2:5], off, s66
	v_mov_b32_e32 v6, 0
	v_mov_b32_e32 v7, v6
	;; [unrolled: 1-line block ×4, first 2 shown]
	v_accvgpr_read_b32 v0, a115
	scratch_store_dwordx4 off, v[6:9], off offset:128
	s_waitcnt vmcnt(1)
	ds_write_b128 v0, v[2:5]
.LBB120_341:
	s_or_b64 exec, exec, s[0:1]
	s_waitcnt lgkmcnt(0)
	; wave barrier
	scratch_load_dwordx4 v[56:59], off, off offset:144
	scratch_load_dwordx4 v[60:63], off, off offset:160
	;; [unrolled: 1-line block ×28, first 2 shown]
	v_mov_b32_e32 v2, 0
	ds_read_b128 v[116:119], v2 offset:1040
	ds_read_b128 v[120:123], v2 offset:1056
	;; [unrolled: 1-line block ×22, first 2 shown]
	s_waitcnt vmcnt(27) lgkmcnt(14)
	v_mul_f64 v[0:1], v[116:117], v[58:59]
	s_waitcnt vmcnt(26)
	v_mul_f64 v[32:33], v[120:121], v[62:63]
	v_fmac_f64_e32 v[0:1], v[118:119], v[56:57]
	s_waitcnt vmcnt(25)
	v_mul_f64 v[34:35], v[124:125], v[66:67]
	v_fmac_f64_e32 v[32:33], v[122:123], v[60:61]
	v_add_f64 v[0:1], v[0:1], 0
	v_fmac_f64_e32 v[34:35], v[126:127], v[64:65]
	v_add_f64 v[0:1], v[0:1], v[32:33]
	v_add_f64 v[0:1], v[0:1], v[34:35]
	scratch_load_dwordx4 v[32:35], off, off offset:592
	s_waitcnt vmcnt(25)
	v_mul_f64 v[36:37], v[128:129], v[70:71]
	s_waitcnt vmcnt(24)
	v_mul_f64 v[38:39], v[132:133], v[74:75]
	v_fmac_f64_e32 v[36:37], v[130:131], v[68:69]
	s_waitcnt vmcnt(23)
	v_mul_f64 v[40:41], v[140:141], v[78:79]
	v_fmac_f64_e32 v[38:39], v[134:135], v[72:73]
	v_add_f64 v[0:1], v[0:1], v[36:37]
	s_waitcnt vmcnt(22)
	v_mul_f64 v[42:43], v[152:153], v[82:83]
	v_fmac_f64_e32 v[40:41], v[142:143], v[76:77]
	v_add_f64 v[0:1], v[0:1], v[38:39]
	s_waitcnt vmcnt(21)
	v_mul_f64 v[44:45], v[164:165], v[86:87]
	v_fmac_f64_e32 v[42:43], v[154:155], v[80:81]
	v_add_f64 v[0:1], v[0:1], v[40:41]
	s_waitcnt vmcnt(20) lgkmcnt(13)
	v_mul_f64 v[46:47], v[176:177], v[94:95]
	v_fmac_f64_e32 v[44:45], v[166:167], v[84:85]
	v_add_f64 v[0:1], v[0:1], v[42:43]
	s_waitcnt vmcnt(19) lgkmcnt(12)
	v_mul_f64 v[48:49], v[188:189], v[98:99]
	v_fmac_f64_e32 v[46:47], v[178:179], v[92:93]
	v_add_f64 v[0:1], v[0:1], v[44:45]
	;; [unrolled: 4-line block ×9, first 2 shown]
	v_add_f64 v[0:1], v[0:1], v[104:105]
	v_fmac_f64_e32 v[106:107], v[222:223], v[168:169]
	s_waitcnt vmcnt(11) lgkmcnt(4)
	v_mul_f64 v[40:41], v[224:225], v[174:175]
	v_add_f64 v[0:1], v[0:1], v[106:107]
	v_fmac_f64_e32 v[40:41], v[226:227], v[172:173]
	scratch_load_dwordx4 v[36:39], off, off offset:608
	v_add_f64 v[0:1], v[0:1], v[40:41]
	s_waitcnt vmcnt(11) lgkmcnt(3)
	v_mul_f64 v[40:41], v[228:229], v[182:183]
	v_fmac_f64_e32 v[40:41], v[230:231], v[180:181]
	s_waitcnt vmcnt(10) lgkmcnt(2)
	v_mul_f64 v[44:45], v[242:243], v[186:187]
	v_add_f64 v[0:1], v[0:1], v[40:41]
	v_fmac_f64_e32 v[44:45], v[244:245], v[184:185]
	scratch_load_dwordx4 v[40:43], off, off offset:624
	ds_read_b128 v[88:91], v2 offset:1376
	v_add_f64 v[0:1], v[0:1], v[44:45]
	s_waitcnt vmcnt(10) lgkmcnt(2)
	v_mul_f64 v[44:45], v[246:247], v[194:195]
	v_fmac_f64_e32 v[44:45], v[248:249], v[192:193]
	v_add_f64 v[0:1], v[0:1], v[44:45]
	scratch_load_dwordx4 v[44:47], off, off offset:640
	ds_read_b128 v[104:107], v2 offset:1392
	s_waitcnt vmcnt(10) lgkmcnt(1)
	v_mul_f64 v[48:49], v[88:89], v[6:7]
	v_accvgpr_write_b32 a119, v7
	v_fmac_f64_e32 v[48:49], v[90:91], v[4:5]
	v_accvgpr_write_b32 a118, v6
	v_accvgpr_write_b32 a117, v5
	;; [unrolled: 1-line block ×3, first 2 shown]
	s_waitcnt vmcnt(9)
	v_mov_b64_e32 v[4:5], v[8:9]
	v_add_f64 v[0:1], v[0:1], v[48:49]
	scratch_load_dwordx4 v[48:51], off, off offset:656
	v_mov_b64_e32 v[6:7], v[10:11]
	s_waitcnt lgkmcnt(0)
	v_mul_f64 v[52:53], v[104:105], v[6:7]
	v_fmac_f64_e32 v[52:53], v[106:107], v[4:5]
	v_add_f64 v[0:1], v[0:1], v[52:53]
	scratch_load_dwordx4 v[52:55], off, off offset:672
	v_mul_f64 v[58:59], v[118:119], v[58:59]
	s_waitcnt vmcnt(10)
	v_mov_b64_e32 v[4:5], v[12:13]
	v_fma_f64 v[240:241], v[116:117], v[56:57], -v[58:59]
	scratch_load_dwordx4 v[56:59], off, off offset:688
	v_mov_b64_e32 v[6:7], v[14:15]
	v_mul_f64 v[112:113], v[108:109], v[6:7]
	v_fmac_f64_e32 v[112:113], v[110:111], v[4:5]
	v_add_f64 v[0:1], v[0:1], v[112:113]
	ds_read_b128 v[112:115], v2 offset:1424
	ds_read_b128 v[116:119], v2 offset:1440
	v_mul_f64 v[62:63], v[122:123], v[62:63]
	v_fma_f64 v[250:251], v[120:121], v[60:61], -v[62:63]
	scratch_load_dwordx4 v[60:63], off, off offset:704
	s_waitcnt vmcnt(11)
	v_mov_b64_e32 v[4:5], v[16:17]
	v_mul_f64 v[66:67], v[126:127], v[66:67]
	v_mov_b64_e32 v[6:7], v[18:19]
	v_fma_f64 v[252:253], v[124:125], v[64:65], -v[66:67]
	scratch_load_dwordx4 v[64:67], off, off offset:720
	s_waitcnt lgkmcnt(1)
	v_mul_f64 v[120:121], v[112:113], v[6:7]
	v_fmac_f64_e32 v[120:121], v[114:115], v[4:5]
	s_waitcnt vmcnt(11)
	v_mov_b64_e32 v[4:5], v[20:21]
	v_mov_b64_e32 v[6:7], v[22:23]
	v_add_f64 v[0:1], v[0:1], v[120:121]
	s_waitcnt lgkmcnt(0)
	v_mul_f64 v[120:121], v[116:117], v[6:7]
	v_fmac_f64_e32 v[120:121], v[118:119], v[4:5]
	v_mul_f64 v[70:71], v[130:131], v[70:71]
	v_add_f64 v[0:1], v[0:1], v[120:121]
	v_fma_f64 v[254:255], v[128:129], v[68:69], -v[70:71]
	scratch_load_dwordx4 v[68:71], off, off offset:736
	ds_read_b128 v[120:123], v2 offset:1456
	ds_read_b128 v[124:127], v2 offset:1472
	v_mul_f64 v[74:75], v[134:135], v[74:75]
	v_accvgpr_write_b32 a123, v11
	v_fma_f64 v[232:233], v[132:133], v[72:73], -v[74:75]
	scratch_load_dwordx4 v[72:75], off, off offset:752
	v_accvgpr_write_b32 a122, v10
	v_accvgpr_write_b32 a121, v9
	;; [unrolled: 1-line block ×3, first 2 shown]
	v_mul_f64 v[78:79], v[142:143], v[78:79]
	s_waitcnt vmcnt(12)
	v_mov_b64_e32 v[8:9], v[24:25]
	v_fma_f64 v[28:29], v[140:141], v[76:77], -v[78:79]
	v_mov_b64_e32 v[10:11], v[26:27]
	scratch_load_dwordx4 v[76:79], off, off offset:768
	s_waitcnt lgkmcnt(1)
	v_mul_f64 v[6:7], v[120:121], v[10:11]
	v_fmac_f64_e32 v[6:7], v[122:123], v[8:9]
	v_accvgpr_write_b32 a139, v27
	v_add_f64 v[0:1], v[0:1], v[6:7]
	v_mul_f64 v[6:7], v[154:155], v[82:83]
	v_accvgpr_write_b32 a138, v26
	v_accvgpr_write_b32 a137, v25
	;; [unrolled: 1-line block ×3, first 2 shown]
	v_fma_f64 v[24:25], v[152:153], v[80:81], -v[6:7]
	s_waitcnt vmcnt(12) lgkmcnt(0)
	v_mul_f64 v[6:7], v[124:125], v[236:237]
	v_fmac_f64_e32 v[6:7], v[126:127], v[234:235]
	scratch_load_dwordx4 v[80:83], off, off offset:784
	v_accvgpr_write_b32 a135, v23
	v_add_f64 v[0:1], v[0:1], v[6:7]
	v_mul_f64 v[6:7], v[166:167], v[86:87]
	v_accvgpr_write_b32 a134, v22
	v_accvgpr_write_b32 a133, v21
	;; [unrolled: 1-line block ×3, first 2 shown]
	v_fma_f64 v[20:21], v[164:165], v[84:85], -v[6:7]
	scratch_load_dwordx4 v[84:87], off, off offset:800
	ds_read_b128 v[132:135], v2 offset:1488
	ds_read_b128 v[128:131], v2 offset:1504
	v_accvgpr_write_b32 a131, v19
	v_mul_f64 v[6:7], v[178:179], v[94:95]
	v_accvgpr_write_b32 a127, v15
	v_accvgpr_write_b32 a130, v18
	;; [unrolled: 1-line block ×4, first 2 shown]
	v_fma_f64 v[16:17], v[176:177], v[92:93], -v[6:7]
	v_mul_f64 v[6:7], v[190:191], v[98:99]
	v_accvgpr_write_b32 a126, v14
	v_accvgpr_write_b32 a125, v13
	;; [unrolled: 1-line block ×3, first 2 shown]
	v_fma_f64 v[14:15], v[188:189], v[96:97], -v[6:7]
	scratch_load_dwordx4 v[96:99], off, off offset:816
	scratch_load_dwordx4 v[92:95], off, off offset:832
	s_waitcnt vmcnt(15) lgkmcnt(1)
	v_mul_f64 v[6:7], v[132:133], v[34:35]
	v_fmac_f64_e32 v[6:7], v[134:135], v[32:33]
	v_add_f64 v[0:1], v[0:1], v[6:7]
	v_mul_f64 v[6:7], v[198:199], v[102:103]
	v_fma_f64 v[12:13], v[196:197], v[100:101], -v[6:7]
	scratch_load_dwordx4 v[100:103], off, off offset:848
	v_mul_f64 v[6:7], v[202:203], v[138:139]
	v_fma_f64 v[18:19], v[200:201], v[136:137], -v[6:7]
	ds_read_b128 v[136:139], v2 offset:1520
	ds_read_b128 v[140:143], v2 offset:1536
	s_waitcnt vmcnt(15) lgkmcnt(2)
	v_mul_f64 v[6:7], v[128:129], v[38:39]
	v_fmac_f64_e32 v[6:7], v[130:131], v[36:37]
	v_add_f64 v[0:1], v[0:1], v[6:7]
	s_waitcnt vmcnt(14) lgkmcnt(1)
	v_mul_f64 v[6:7], v[136:137], v[42:43]
	v_fmac_f64_e32 v[6:7], v[138:139], v[40:41]
	v_add_f64 v[0:1], v[0:1], v[6:7]
	v_mul_f64 v[6:7], v[206:207], v[146:147]
	v_fma_f64 v[10:11], v[204:205], v[144:145], -v[6:7]
	ds_read_b128 v[144:147], v2 offset:1552
	s_waitcnt vmcnt(13) lgkmcnt(1)
	v_mul_f64 v[6:7], v[140:141], v[46:47]
	v_fmac_f64_e32 v[6:7], v[142:143], v[44:45]
	v_add_f64 v[0:1], v[0:1], v[6:7]
	v_mul_f64 v[6:7], v[210:211], v[150:151]
	v_fma_f64 v[22:23], v[208:209], v[148:149], -v[6:7]
	ds_read_b128 v[148:151], v2 offset:1568
	s_waitcnt vmcnt(12) lgkmcnt(1)
	v_mul_f64 v[6:7], v[144:145], v[50:51]
	ds_read_b128 v[152:155], v2 offset:1584
	v_fmac_f64_e32 v[6:7], v[146:147], v[48:49]
	v_add_f64 v[0:1], v[0:1], v[6:7]
	v_mul_f64 v[6:7], v[214:215], v[158:159]
	v_fma_f64 v[8:9], v[212:213], v[156:157], -v[6:7]
	s_waitcnt vmcnt(11) lgkmcnt(1)
	v_mul_f64 v[6:7], v[148:149], v[54:55]
	v_fmac_f64_e32 v[6:7], v[150:151], v[52:53]
	ds_read_b128 v[156:159], v2 offset:1600
	v_add_f64 v[0:1], v[0:1], v[6:7]
	s_waitcnt vmcnt(10) lgkmcnt(1)
	v_mul_f64 v[6:7], v[152:153], v[58:59]
	v_fmac_f64_e32 v[6:7], v[154:155], v[56:57]
	v_add_f64 v[0:1], v[0:1], v[6:7]
	v_mul_f64 v[6:7], v[218:219], v[162:163]
	v_fma_f64 v[26:27], v[216:217], v[160:161], -v[6:7]
	ds_read_b128 v[160:163], v2 offset:1616
	ds_read_b128 v[164:167], v2 offset:1632
	s_waitcnt vmcnt(9) lgkmcnt(2)
	v_mul_f64 v[6:7], v[156:157], v[62:63]
	v_fmac_f64_e32 v[6:7], v[158:159], v[60:61]
	v_add_f64 v[0:1], v[0:1], v[6:7]
	s_waitcnt vmcnt(8) lgkmcnt(1)
	v_mul_f64 v[6:7], v[160:161], v[66:67]
	v_fmac_f64_e32 v[6:7], v[162:163], v[64:65]
	v_add_f64 v[0:1], v[0:1], v[6:7]
	v_mul_f64 v[6:7], v[222:223], v[170:171]
	v_fma_f64 v[4:5], v[220:221], v[168:169], -v[6:7]
	ds_read_b128 v[168:171], v2 offset:1648
	v_mul_f64 v[6:7], v[226:227], v[174:175]
	v_fma_f64 v[6:7], v[224:225], v[172:173], -v[6:7]
	ds_read_b128 v[172:175], v2 offset:1664
	s_waitcnt vmcnt(7) lgkmcnt(2)
	v_mul_f64 v[30:31], v[164:165], v[70:71]
	v_fmac_f64_e32 v[30:31], v[166:167], v[68:69]
	v_add_f64 v[0:1], v[0:1], v[30:31]
	s_waitcnt vmcnt(6) lgkmcnt(1)
	v_mul_f64 v[30:31], v[168:169], v[74:75]
	v_fmac_f64_e32 v[30:31], v[170:171], v[72:73]
	v_add_f64 v[0:1], v[0:1], v[30:31]
	s_waitcnt vmcnt(5) lgkmcnt(0)
	v_mul_f64 v[30:31], v[172:173], v[78:79]
	ds_read_b128 v[176:179], v2 offset:1680
	v_fmac_f64_e32 v[30:31], v[174:175], v[76:77]
	v_add_f64 v[30:31], v[0:1], v[30:31]
	v_mul_f64 v[0:1], v[230:231], v[182:183]
	v_fma_f64 v[0:1], v[228:229], v[180:181], -v[0:1]
	ds_read_b128 v[180:183], v2 offset:1696
	v_mul_f64 v[186:187], v[244:245], v[186:187]
	s_waitcnt vmcnt(4) lgkmcnt(1)
	v_mul_f64 v[188:189], v[176:177], v[82:83]
	v_fma_f64 v[238:239], v[242:243], v[184:185], -v[186:187]
	ds_read_b128 v[184:187], v2 offset:1712
	v_fmac_f64_e32 v[188:189], v[178:179], v[80:81]
	v_add_f64 v[30:31], v[30:31], v[188:189]
	ds_read_b128 v[188:191], v2 offset:1728
	s_waitcnt vmcnt(3) lgkmcnt(2)
	v_mul_f64 v[196:197], v[180:181], v[86:87]
	v_mul_f64 v[194:195], v[248:249], v[194:195]
	v_fmac_f64_e32 v[196:197], v[182:183], v[84:85]
	v_fma_f64 v[242:243], v[246:247], v[192:193], -v[194:195]
	ds_read_b128 v[192:195], v2 offset:1744
	ds_read_b128 v[200:203], v2 offset:1760
	v_add_f64 v[30:31], v[30:31], v[196:197]
	s_waitcnt vmcnt(2) lgkmcnt(3)
	v_mul_f64 v[196:197], v[184:185], v[98:99]
	v_fmac_f64_e32 v[196:197], v[186:187], v[96:97]
	v_add_f64 v[30:31], v[30:31], v[196:197]
	s_waitcnt vmcnt(1) lgkmcnt(2)
	v_mul_f64 v[196:197], v[188:189], v[94:95]
	v_fmac_f64_e32 v[196:197], v[190:191], v[92:93]
	;; [unrolled: 4-line block ×3, first 2 shown]
	v_add_f64 v[30:31], v[30:31], v[196:197]
	scratch_load_dwordx4 v[196:199], off, off offset:864
	ds_read_b128 v[208:211], v2 offset:1776
	ds_read_b128 v[216:219], v2 offset:1792
	;; [unrolled: 1-line block ×3, first 2 shown]
	s_waitcnt vmcnt(0) lgkmcnt(3)
	v_mul_f64 v[204:205], v[200:201], v[198:199]
	v_fmac_f64_e32 v[204:205], v[202:203], v[196:197]
	v_add_f64 v[30:31], v[30:31], v[204:205]
	scratch_load_dwordx4 v[204:207], off, off offset:880
	s_waitcnt vmcnt(0) lgkmcnt(2)
	v_mul_f64 v[212:213], v[208:209], v[206:207]
	v_fmac_f64_e32 v[212:213], v[210:211], v[204:205]
	v_add_f64 v[30:31], v[30:31], v[212:213]
	scratch_load_dwordx4 v[212:215], off, off offset:896
	;; [unrolled: 5-line block ×3, first 2 shown]
	s_waitcnt vmcnt(0) lgkmcnt(0)
	v_mul_f64 v[228:229], v[224:225], v[222:223]
	v_fmac_f64_e32 v[228:229], v[226:227], v[220:221]
	v_add_f64 v[246:247], v[30:31], v[228:229]
	v_add_f64 v[30:31], v[240:241], 0
	;; [unrolled: 1-line block ×3, first 2 shown]
	scratch_load_dwordx4 v[228:231], off, off offset:128
	v_add_f64 v[30:31], v[30:31], v[252:253]
	v_add_f64 v[30:31], v[30:31], v[254:255]
	;; [unrolled: 1-line block ×16, first 2 shown]
	v_accvgpr_read_b32 v6, a116
	v_accvgpr_read_b32 v8, a118
	;; [unrolled: 1-line block ×3, first 2 shown]
	v_add_f64 v[0:1], v[4:5], v[0:1]
	v_accvgpr_read_b32 v7, a117
	v_mul_f64 v[4:5], v[90:91], v[8:9]
	v_add_f64 v[0:1], v[0:1], v[238:239]
	v_fma_f64 v[4:5], v[88:89], v[6:7], -v[4:5]
	v_accvgpr_read_b32 v6, a120
	v_add_f64 v[0:1], v[0:1], v[242:243]
	v_accvgpr_read_b32 v8, a122
	v_accvgpr_read_b32 v9, a123
	v_add_f64 v[0:1], v[0:1], v[4:5]
	v_accvgpr_read_b32 v7, a121
	v_mul_f64 v[4:5], v[106:107], v[8:9]
	v_fma_f64 v[4:5], v[104:105], v[6:7], -v[4:5]
	v_accvgpr_read_b32 v6, a124
	v_accvgpr_read_b32 v8, a126
	v_accvgpr_read_b32 v9, a127
	v_add_f64 v[0:1], v[0:1], v[4:5]
	v_accvgpr_read_b32 v7, a125
	v_mul_f64 v[4:5], v[110:111], v[8:9]
	v_fma_f64 v[4:5], v[108:109], v[6:7], -v[4:5]
	v_accvgpr_read_b32 v6, a128
	;; [unrolled: 7-line block ×4, first 2 shown]
	v_accvgpr_read_b32 v8, a138
	v_accvgpr_read_b32 v9, a139
	v_add_f64 v[0:1], v[0:1], v[4:5]
	v_accvgpr_read_b32 v7, a137
	v_mul_f64 v[4:5], v[122:123], v[8:9]
	v_fma_f64 v[4:5], v[120:121], v[6:7], -v[4:5]
	v_add_f64 v[0:1], v[0:1], v[4:5]
	v_mul_f64 v[4:5], v[126:127], v[236:237]
	v_fma_f64 v[4:5], v[124:125], v[234:235], -v[4:5]
	v_add_f64 v[0:1], v[0:1], v[4:5]
	v_mul_f64 v[4:5], v[134:135], v[34:35]
	v_fma_f64 v[4:5], v[132:133], v[32:33], -v[4:5]
	v_add_f64 v[0:1], v[0:1], v[4:5]
	v_mul_f64 v[4:5], v[130:131], v[38:39]
	v_fma_f64 v[4:5], v[128:129], v[36:37], -v[4:5]
	v_add_f64 v[0:1], v[0:1], v[4:5]
	v_mul_f64 v[4:5], v[138:139], v[42:43]
	v_fma_f64 v[4:5], v[136:137], v[40:41], -v[4:5]
	v_add_f64 v[0:1], v[0:1], v[4:5]
	v_mul_f64 v[4:5], v[142:143], v[46:47]
	v_fma_f64 v[4:5], v[140:141], v[44:45], -v[4:5]
	v_add_f64 v[0:1], v[0:1], v[4:5]
	v_mul_f64 v[4:5], v[146:147], v[50:51]
	v_fma_f64 v[4:5], v[144:145], v[48:49], -v[4:5]
	v_add_f64 v[0:1], v[0:1], v[4:5]
	v_mul_f64 v[4:5], v[150:151], v[54:55]
	v_fma_f64 v[4:5], v[148:149], v[52:53], -v[4:5]
	v_add_f64 v[0:1], v[0:1], v[4:5]
	v_mul_f64 v[4:5], v[154:155], v[58:59]
	v_fma_f64 v[4:5], v[152:153], v[56:57], -v[4:5]
	v_add_f64 v[0:1], v[0:1], v[4:5]
	v_mul_f64 v[4:5], v[158:159], v[62:63]
	v_fma_f64 v[4:5], v[156:157], v[60:61], -v[4:5]
	v_add_f64 v[0:1], v[0:1], v[4:5]
	v_mul_f64 v[4:5], v[162:163], v[66:67]
	v_fma_f64 v[4:5], v[160:161], v[64:65], -v[4:5]
	v_add_f64 v[0:1], v[0:1], v[4:5]
	v_mul_f64 v[4:5], v[166:167], v[70:71]
	v_fma_f64 v[4:5], v[164:165], v[68:69], -v[4:5]
	v_add_f64 v[0:1], v[0:1], v[4:5]
	v_mul_f64 v[4:5], v[170:171], v[74:75]
	v_fma_f64 v[4:5], v[168:169], v[72:73], -v[4:5]
	v_add_f64 v[0:1], v[0:1], v[4:5]
	v_mul_f64 v[4:5], v[174:175], v[78:79]
	v_fma_f64 v[4:5], v[172:173], v[76:77], -v[4:5]
	v_add_f64 v[0:1], v[0:1], v[4:5]
	v_mul_f64 v[4:5], v[178:179], v[82:83]
	v_fma_f64 v[4:5], v[176:177], v[80:81], -v[4:5]
	v_add_f64 v[0:1], v[0:1], v[4:5]
	v_mul_f64 v[4:5], v[182:183], v[86:87]
	v_fma_f64 v[4:5], v[180:181], v[84:85], -v[4:5]
	v_add_f64 v[0:1], v[0:1], v[4:5]
	v_mul_f64 v[4:5], v[186:187], v[98:99]
	v_fma_f64 v[4:5], v[184:185], v[96:97], -v[4:5]
	v_add_f64 v[0:1], v[0:1], v[4:5]
	v_mul_f64 v[4:5], v[190:191], v[94:95]
	v_fma_f64 v[4:5], v[188:189], v[92:93], -v[4:5]
	v_add_f64 v[0:1], v[0:1], v[4:5]
	v_mul_f64 v[4:5], v[194:195], v[102:103]
	v_fma_f64 v[4:5], v[192:193], v[100:101], -v[4:5]
	v_add_f64 v[0:1], v[0:1], v[4:5]
	v_mul_f64 v[4:5], v[202:203], v[198:199]
	v_fma_f64 v[4:5], v[200:201], v[196:197], -v[4:5]
	v_add_f64 v[0:1], v[0:1], v[4:5]
	v_mul_f64 v[4:5], v[210:211], v[206:207]
	v_fma_f64 v[4:5], v[208:209], v[204:205], -v[4:5]
	v_add_f64 v[0:1], v[0:1], v[4:5]
	v_mul_f64 v[4:5], v[218:219], v[214:215]
	v_fma_f64 v[4:5], v[216:217], v[212:213], -v[4:5]
	v_add_f64 v[0:1], v[0:1], v[4:5]
	v_mul_f64 v[4:5], v[226:227], v[222:223]
	v_fma_f64 v[4:5], v[224:225], v[220:221], -v[4:5]
	v_add_f64 v[0:1], v[0:1], v[4:5]
	s_waitcnt vmcnt(0)
	v_add_f64 v[4:5], v[228:229], -v[0:1]
	v_accvgpr_read_b32 v0, a114
	v_add_f64 v[6:7], v[230:231], -v[246:247]
	v_cmp_lt_u32_e32 vcc, 6, v0
	scratch_store_dwordx4 off, v[4:7], off offset:128
	s_and_saveexec_b64 s[0:1], vcc
	s_cbranch_execz .LBB120_343
; %bb.342:
	scratch_load_dwordx4 v[6:9], off, s67
	v_mov_b32_e32 v3, v2
	v_mov_b32_e32 v4, v2
	;; [unrolled: 1-line block ×3, first 2 shown]
	v_accvgpr_read_b32 v0, a115
	scratch_store_dwordx4 off, v[2:5], off offset:112
	s_waitcnt vmcnt(1)
	ds_write_b128 v0, v[6:9]
.LBB120_343:
	s_or_b64 exec, exec, s[0:1]
	s_waitcnt lgkmcnt(0)
	; wave barrier
	scratch_load_dwordx4 v[56:59], off, off offset:128
	scratch_load_dwordx4 v[60:63], off, off offset:144
	;; [unrolled: 1-line block ×18, first 2 shown]
	ds_read_b128 v[116:119], v2 offset:1024
	ds_read_b128 v[220:223], v2 offset:1040
	;; [unrolled: 1-line block ×6, first 2 shown]
	scratch_load_dwordx4 v[180:183], off, off offset:416
	ds_read_b128 v[204:207], v2 offset:1120
	ds_read_b128 v[132:135], v2 offset:1136
	scratch_load_dwordx4 v[184:187], off, off offset:432
	ds_read_b128 v[224:227], v2 offset:1152
	ds_read_b128 v[216:219], v2 offset:1168
	;; [unrolled: 1-line block ×5, first 2 shown]
	scratch_load_dwordx4 v[192:195], off, off offset:448
	ds_read_b128 v[200:203], v2 offset:1232
	ds_read_b128 v[164:167], v2 offset:1248
	scratch_load_dwordx4 v[4:7], off, off offset:464
	ds_read_b128 v[212:215], v2 offset:1264
	ds_read_b128 v[188:191], v2 offset:1280
	;; [unrolled: 1-line block ×3, first 2 shown]
	scratch_load_dwordx4 v[8:11], off, off offset:480
	scratch_load_dwordx4 v[12:15], off, off offset:496
	scratch_load_dwordx4 v[16:19], off, off offset:512
	scratch_load_dwordx4 v[20:23], off, off offset:528
	scratch_load_dwordx4 v[24:27], off, off offset:544
	scratch_load_dwordx4 v[28:31], off, off offset:560
	ds_read_b128 v[228:231], v2 offset:1312
	ds_read_b128 v[232:235], v2 offset:1328
	;; [unrolled: 1-line block ×4, first 2 shown]
	s_waitcnt vmcnt(27) lgkmcnt(14)
	v_mul_f64 v[0:1], v[116:117], v[58:59]
	s_waitcnt vmcnt(26)
	v_mul_f64 v[32:33], v[220:221], v[62:63]
	v_fmac_f64_e32 v[0:1], v[118:119], v[56:57]
	s_waitcnt vmcnt(25)
	v_mul_f64 v[34:35], v[208:209], v[66:67]
	v_fmac_f64_e32 v[32:33], v[222:223], v[60:61]
	v_add_f64 v[0:1], v[0:1], 0
	v_fmac_f64_e32 v[34:35], v[210:211], v[64:65]
	v_add_f64 v[0:1], v[0:1], v[32:33]
	v_add_f64 v[0:1], v[0:1], v[34:35]
	scratch_load_dwordx4 v[32:35], off, off offset:576
	s_waitcnt vmcnt(25)
	v_mul_f64 v[36:37], v[120:121], v[70:71]
	s_waitcnt vmcnt(24)
	v_mul_f64 v[38:39], v[128:129], v[74:75]
	v_fmac_f64_e32 v[36:37], v[122:123], v[68:69]
	s_waitcnt vmcnt(23)
	v_mul_f64 v[40:41], v[124:125], v[78:79]
	v_fmac_f64_e32 v[38:39], v[130:131], v[72:73]
	v_add_f64 v[0:1], v[0:1], v[36:37]
	s_waitcnt vmcnt(22)
	v_mul_f64 v[42:43], v[204:205], v[82:83]
	v_fmac_f64_e32 v[40:41], v[126:127], v[76:77]
	v_add_f64 v[0:1], v[0:1], v[38:39]
	;; [unrolled: 4-line block ×3, first 2 shown]
	s_waitcnt vmcnt(20) lgkmcnt(13)
	v_mul_f64 v[46:47], v[224:225], v[94:95]
	v_fmac_f64_e32 v[44:45], v[134:135], v[84:85]
	v_add_f64 v[0:1], v[0:1], v[42:43]
	s_waitcnt vmcnt(19) lgkmcnt(12)
	v_mul_f64 v[48:49], v[216:217], v[98:99]
	v_fmac_f64_e32 v[46:47], v[226:227], v[92:93]
	v_add_f64 v[0:1], v[0:1], v[44:45]
	;; [unrolled: 4-line block ×9, first 2 shown]
	v_fmac_f64_e32 v[106:107], v[190:191], v[168:169]
	v_add_f64 v[0:1], v[0:1], v[104:105]
	s_waitcnt vmcnt(11) lgkmcnt(4)
	v_mul_f64 v[40:41], v[176:177], v[174:175]
	v_add_f64 v[0:1], v[0:1], v[106:107]
	v_fmac_f64_e32 v[40:41], v[178:179], v[172:173]
	scratch_load_dwordx4 v[36:39], off, off offset:592
	v_add_f64 v[0:1], v[0:1], v[40:41]
	s_waitcnt vmcnt(11) lgkmcnt(3)
	v_mul_f64 v[40:41], v[228:229], v[182:183]
	v_fmac_f64_e32 v[40:41], v[230:231], v[180:181]
	v_add_f64 v[0:1], v[0:1], v[40:41]
	scratch_load_dwordx4 v[40:43], off, off offset:608
	ds_read_b128 v[88:91], v2 offset:1360
	s_waitcnt vmcnt(11) lgkmcnt(3)
	v_mul_f64 v[44:45], v[232:233], v[186:187]
	v_fmac_f64_e32 v[44:45], v[234:235], v[184:185]
	v_add_f64 v[0:1], v[0:1], v[44:45]
	s_waitcnt vmcnt(10) lgkmcnt(2)
	v_mul_f64 v[44:45], v[236:237], v[194:195]
	v_fmac_f64_e32 v[44:45], v[238:239], v[192:193]
	s_waitcnt vmcnt(9) lgkmcnt(0)
	v_mul_f64 v[48:49], v[88:89], v[6:7]
	ds_read_b128 v[104:107], v2 offset:1376
	v_add_f64 v[0:1], v[0:1], v[44:45]
	scratch_load_dwordx4 v[44:47], off, off offset:624
	v_fmac_f64_e32 v[48:49], v[90:91], v[4:5]
	v_accvgpr_write_b32 a119, v7
	v_add_f64 v[0:1], v[0:1], v[48:49]
	scratch_load_dwordx4 v[48:51], off, off offset:640
	v_accvgpr_write_b32 a118, v6
	v_accvgpr_write_b32 a117, v5
	v_accvgpr_write_b32 a116, v4
	s_waitcnt vmcnt(10)
	v_mov_b64_e32 v[4:5], v[8:9]
	v_mov_b64_e32 v[6:7], v[10:11]
	s_waitcnt lgkmcnt(0)
	v_mul_f64 v[52:53], v[104:105], v[6:7]
	v_fmac_f64_e32 v[52:53], v[106:107], v[4:5]
	v_add_f64 v[0:1], v[0:1], v[52:53]
	scratch_load_dwordx4 v[52:55], off, off offset:656
	v_mul_f64 v[58:59], v[118:119], v[58:59]
	v_fma_f64 v[240:241], v[116:117], v[56:57], -v[58:59]
	scratch_load_dwordx4 v[56:59], off, off offset:672
	v_mul_f64 v[62:63], v[222:223], v[62:63]
	v_fma_f64 v[246:247], v[220:221], v[60:61], -v[62:63]
	scratch_load_dwordx4 v[60:63], off, off offset:688
	s_waitcnt vmcnt(12)
	v_mov_b64_e32 v[4:5], v[12:13]
	v_mul_f64 v[66:67], v[210:211], v[66:67]
	v_mov_b64_e32 v[6:7], v[14:15]
	v_fma_f64 v[248:249], v[208:209], v[64:65], -v[66:67]
	scratch_load_dwordx4 v[64:67], off, off offset:704
	v_mul_f64 v[112:113], v[108:109], v[6:7]
	v_fmac_f64_e32 v[112:113], v[110:111], v[4:5]
	v_add_f64 v[0:1], v[0:1], v[112:113]
	ds_read_b128 v[112:115], v2 offset:1408
	ds_read_b128 v[116:119], v2 offset:1424
	s_waitcnt vmcnt(12)
	v_mov_b64_e32 v[4:5], v[16:17]
	v_mul_f64 v[70:71], v[122:123], v[70:71]
	v_mov_b64_e32 v[6:7], v[18:19]
	v_fma_f64 v[250:251], v[120:121], v[68:69], -v[70:71]
	scratch_load_dwordx4 v[68:71], off, off offset:720
	v_mul_f64 v[74:75], v[130:131], v[74:75]
	s_waitcnt lgkmcnt(1)
	v_mul_f64 v[220:221], v[112:113], v[6:7]
	v_fma_f64 v[252:253], v[128:129], v[72:73], -v[74:75]
	scratch_load_dwordx4 v[72:75], off, off offset:736
	v_fmac_f64_e32 v[220:221], v[114:115], v[4:5]
	s_waitcnt vmcnt(13)
	v_mov_b64_e32 v[4:5], v[20:21]
	ds_read_b128 v[120:123], v2 offset:1440
	v_mul_f64 v[78:79], v[126:127], v[78:79]
	v_mov_b64_e32 v[6:7], v[22:23]
	v_fma_f64 v[254:255], v[124:125], v[76:77], -v[78:79]
	scratch_load_dwordx4 v[76:79], off, off offset:752
	s_waitcnt lgkmcnt(1)
	v_mul_f64 v[208:209], v[116:117], v[6:7]
	ds_read_b128 v[124:127], v2 offset:1456
	v_fmac_f64_e32 v[208:209], v[118:119], v[4:5]
	s_waitcnt vmcnt(13)
	v_mov_b64_e32 v[4:5], v[24:25]
	v_mul_f64 v[82:83], v[206:207], v[82:83]
	v_mov_b64_e32 v[6:7], v[26:27]
	v_fma_f64 v[242:243], v[204:205], v[80:81], -v[82:83]
	scratch_load_dwordx4 v[80:83], off, off offset:768
	v_add_f64 v[0:1], v[0:1], v[220:221]
	s_waitcnt lgkmcnt(1)
	v_mul_f64 v[128:129], v[120:121], v[6:7]
	v_add_f64 v[0:1], v[0:1], v[208:209]
	v_fmac_f64_e32 v[128:129], v[122:123], v[4:5]
	v_add_f64 v[0:1], v[0:1], v[128:129]
	s_waitcnt vmcnt(13) lgkmcnt(0)
	v_mul_f64 v[128:129], v[124:125], v[30:31]
	v_accvgpr_write_b32 a139, v27
	v_fmac_f64_e32 v[128:129], v[126:127], v[28:29]
	v_mul_f64 v[86:87], v[134:135], v[86:87]
	v_accvgpr_write_b32 a138, v26
	v_accvgpr_write_b32 a137, v25
	;; [unrolled: 1-line block ×3, first 2 shown]
	v_add_f64 v[0:1], v[0:1], v[128:129]
	v_fma_f64 v[24:25], v[132:133], v[84:85], -v[86:87]
	scratch_load_dwordx4 v[84:87], off, off offset:784
	ds_read_b128 v[132:135], v2 offset:1472
	ds_read_b128 v[128:131], v2 offset:1488
	v_accvgpr_write_b32 a135, v23
	v_mul_f64 v[6:7], v[226:227], v[94:95]
	v_accvgpr_write_b32 a131, v19
	v_accvgpr_write_b32 a134, v22
	;; [unrolled: 1-line block ×4, first 2 shown]
	v_fma_f64 v[20:21], v[224:225], v[92:93], -v[6:7]
	v_mul_f64 v[92:93], v[218:219], v[98:99]
	v_accvgpr_write_b32 a123, v11
	v_accvgpr_write_b32 a130, v18
	;; [unrolled: 1-line block ×4, first 2 shown]
	v_fma_f64 v[16:17], v[216:217], v[96:97], -v[92:93]
	scratch_load_dwordx4 v[96:99], off, off offset:800
	scratch_load_dwordx4 v[92:95], off, off offset:816
	v_accvgpr_write_b32 a122, v10
	v_accvgpr_write_b32 a121, v9
	;; [unrolled: 1-line block ×3, first 2 shown]
	s_waitcnt vmcnt(15) lgkmcnt(1)
	v_mul_f64 v[10:11], v[132:133], v[34:35]
	v_fmac_f64_e32 v[10:11], v[134:135], v[32:33]
	v_accvgpr_write_b32 a127, v15
	v_add_f64 v[0:1], v[0:1], v[10:11]
	v_mul_f64 v[10:11], v[198:199], v[102:103]
	v_accvgpr_write_b32 a126, v14
	v_accvgpr_write_b32 a125, v13
	v_accvgpr_write_b32 a124, v12
	v_fma_f64 v[12:13], v[196:197], v[100:101], -v[10:11]
	scratch_load_dwordx4 v[100:103], off, off offset:832
	v_mul_f64 v[138:139], v[142:143], v[138:139]
	v_fma_f64 v[10:11], v[140:141], v[136:137], -v[138:139]
	ds_read_b128 v[136:139], v2 offset:1504
	ds_read_b128 v[140:143], v2 offset:1520
	s_waitcnt vmcnt(15) lgkmcnt(2)
	v_mul_f64 v[14:15], v[128:129], v[38:39]
	v_fmac_f64_e32 v[14:15], v[130:131], v[36:37]
	v_add_f64 v[0:1], v[0:1], v[14:15]
	s_waitcnt vmcnt(14) lgkmcnt(1)
	v_mul_f64 v[14:15], v[136:137], v[42:43]
	v_fmac_f64_e32 v[14:15], v[138:139], v[40:41]
	v_add_f64 v[0:1], v[0:1], v[14:15]
	v_mul_f64 v[14:15], v[154:155], v[146:147]
	v_fma_f64 v[14:15], v[152:153], v[144:145], -v[14:15]
	ds_read_b128 v[144:147], v2 offset:1536
	s_waitcnt vmcnt(13) lgkmcnt(1)
	v_mul_f64 v[152:153], v[140:141], v[46:47]
	v_mul_f64 v[150:151], v[202:203], v[150:151]
	v_fmac_f64_e32 v[152:153], v[142:143], v[44:45]
	v_fma_f64 v[8:9], v[200:201], v[148:149], -v[150:151]
	ds_read_b128 v[148:151], v2 offset:1552
	s_waitcnt vmcnt(12) lgkmcnt(1)
	v_mul_f64 v[18:19], v[144:145], v[50:51]
	v_add_f64 v[0:1], v[0:1], v[152:153]
	v_fmac_f64_e32 v[18:19], v[146:147], v[48:49]
	v_add_f64 v[0:1], v[0:1], v[18:19]
	ds_read_b128 v[152:155], v2 offset:1568
	v_mul_f64 v[18:19], v[166:167], v[158:159]
	v_fma_f64 v[18:19], v[164:165], v[156:157], -v[18:19]
	ds_read_b128 v[156:159], v2 offset:1584
	v_mul_f64 v[162:163], v[214:215], v[162:163]
	s_waitcnt vmcnt(11) lgkmcnt(2)
	v_mul_f64 v[164:165], v[148:149], v[54:55]
	v_fma_f64 v[6:7], v[212:213], v[160:161], -v[162:163]
	ds_read_b128 v[160:163], v2 offset:1600
	v_fmac_f64_e32 v[164:165], v[150:151], v[52:53]
	v_add_f64 v[0:1], v[0:1], v[164:165]
	s_waitcnt vmcnt(10) lgkmcnt(2)
	v_mul_f64 v[164:165], v[152:153], v[58:59]
	v_fmac_f64_e32 v[164:165], v[154:155], v[56:57]
	s_waitcnt vmcnt(9) lgkmcnt(1)
	v_mul_f64 v[22:23], v[156:157], v[62:63]
	v_add_f64 v[0:1], v[0:1], v[164:165]
	v_fmac_f64_e32 v[22:23], v[158:159], v[60:61]
	v_add_f64 v[0:1], v[0:1], v[22:23]
	ds_read_b128 v[164:167], v2 offset:1616
	s_waitcnt vmcnt(8) lgkmcnt(1)
	v_mul_f64 v[22:23], v[160:161], v[66:67]
	v_fmac_f64_e32 v[22:23], v[162:163], v[64:65]
	v_add_f64 v[0:1], v[0:1], v[22:23]
	v_mul_f64 v[22:23], v[190:191], v[170:171]
	v_fma_f64 v[22:23], v[188:189], v[168:169], -v[22:23]
	ds_read_b128 v[168:171], v2 offset:1632
	v_mul_f64 v[174:175], v[178:179], v[174:175]
	v_fma_f64 v[4:5], v[176:177], v[172:173], -v[174:175]
	ds_read_b128 v[172:175], v2 offset:1648
	s_waitcnt vmcnt(7) lgkmcnt(2)
	v_mul_f64 v[188:189], v[164:165], v[70:71]
	v_fmac_f64_e32 v[188:189], v[166:167], v[68:69]
	s_waitcnt vmcnt(6) lgkmcnt(1)
	v_mul_f64 v[26:27], v[168:169], v[74:75]
	ds_read_b128 v[176:179], v2 offset:1664
	v_add_f64 v[0:1], v[0:1], v[188:189]
	v_fmac_f64_e32 v[26:27], v[170:171], v[72:73]
	v_add_f64 v[0:1], v[0:1], v[26:27]
	s_waitcnt vmcnt(5) lgkmcnt(1)
	v_mul_f64 v[26:27], v[172:173], v[78:79]
	v_fmac_f64_e32 v[26:27], v[174:175], v[76:77]
	v_add_f64 v[0:1], v[0:1], v[26:27]
	v_mul_f64 v[26:27], v[230:231], v[182:183]
	v_fma_f64 v[26:27], v[228:229], v[180:181], -v[26:27]
	ds_read_b128 v[180:183], v2 offset:1680
	s_waitcnt vmcnt(4) lgkmcnt(1)
	v_mul_f64 v[188:189], v[176:177], v[82:83]
	v_fmac_f64_e32 v[188:189], v[178:179], v[80:81]
	v_add_f64 v[196:197], v[0:1], v[188:189]
	v_mul_f64 v[0:1], v[234:235], v[186:187]
	v_fma_f64 v[0:1], v[232:233], v[184:185], -v[0:1]
	ds_read_b128 v[184:187], v2 offset:1696
	ds_read_b128 v[188:191], v2 offset:1712
	s_waitcnt vmcnt(3) lgkmcnt(2)
	v_mul_f64 v[198:199], v[180:181], v[86:87]
	v_mul_f64 v[194:195], v[238:239], v[194:195]
	v_fmac_f64_e32 v[198:199], v[182:183], v[84:85]
	v_fma_f64 v[244:245], v[236:237], v[192:193], -v[194:195]
	ds_read_b128 v[192:195], v2 offset:1728
	ds_read_b128 v[200:203], v2 offset:1744
	v_add_f64 v[196:197], v[196:197], v[198:199]
	s_waitcnt vmcnt(2) lgkmcnt(3)
	v_mul_f64 v[198:199], v[184:185], v[98:99]
	v_fmac_f64_e32 v[198:199], v[186:187], v[96:97]
	v_add_f64 v[196:197], v[196:197], v[198:199]
	s_waitcnt vmcnt(1) lgkmcnt(2)
	v_mul_f64 v[198:199], v[188:189], v[94:95]
	v_fmac_f64_e32 v[198:199], v[190:191], v[92:93]
	v_add_f64 v[196:197], v[196:197], v[198:199]
	scratch_load_dwordx4 v[232:235], off, off offset:912
	s_waitcnt vmcnt(1) lgkmcnt(1)
	v_mul_f64 v[198:199], v[192:193], v[102:103]
	v_fmac_f64_e32 v[198:199], v[194:195], v[100:101]
	v_add_f64 v[204:205], v[196:197], v[198:199]
	scratch_load_dwordx4 v[196:199], off, off offset:848
	ds_read_b128 v[208:211], v2 offset:1760
	ds_read_b128 v[216:219], v2 offset:1776
	;; [unrolled: 1-line block ×3, first 2 shown]
	s_waitcnt vmcnt(0) lgkmcnt(3)
	v_mul_f64 v[206:207], v[200:201], v[198:199]
	v_fmac_f64_e32 v[206:207], v[202:203], v[196:197]
	v_add_f64 v[212:213], v[204:205], v[206:207]
	scratch_load_dwordx4 v[204:207], off, off offset:864
	s_waitcnt vmcnt(0) lgkmcnt(2)
	v_mul_f64 v[214:215], v[208:209], v[206:207]
	v_fmac_f64_e32 v[214:215], v[210:211], v[204:205]
	v_add_f64 v[220:221], v[212:213], v[214:215]
	scratch_load_dwordx4 v[212:215], off, off offset:880
	;; [unrolled: 5-line block ×3, first 2 shown]
	s_waitcnt vmcnt(0) lgkmcnt(0)
	v_mul_f64 v[230:231], v[224:225], v[222:223]
	v_fmac_f64_e32 v[230:231], v[226:227], v[220:221]
	v_add_f64 v[236:237], v[228:229], v[230:231]
	ds_read_b128 v[228:231], v2 offset:1808
	s_waitcnt lgkmcnt(0)
	v_mul_f64 v[2:3], v[228:229], v[234:235]
	v_fmac_f64_e32 v[2:3], v[230:231], v[232:233]
	v_add_f64 v[2:3], v[236:237], v[2:3]
	v_add_f64 v[236:237], v[240:241], 0
	;; [unrolled: 1-line block ×9, first 2 shown]
	scratch_load_dwordx4 v[236:239], off, off offset:112
	v_add_f64 v[20:21], v[24:25], v[20:21]
	v_add_f64 v[16:17], v[20:21], v[16:17]
	;; [unrolled: 1-line block ×10, first 2 shown]
	v_accvgpr_read_b32 v6, a116
	v_accvgpr_read_b32 v8, a118
	;; [unrolled: 1-line block ×3, first 2 shown]
	v_add_f64 v[246:247], v[4:5], v[26:27]
	v_accvgpr_read_b32 v7, a117
	v_mul_f64 v[4:5], v[90:91], v[8:9]
	v_add_f64 v[0:1], v[246:247], v[0:1]
	v_fma_f64 v[4:5], v[88:89], v[6:7], -v[4:5]
	v_accvgpr_read_b32 v6, a120
	v_add_f64 v[0:1], v[0:1], v[244:245]
	v_accvgpr_read_b32 v8, a122
	v_accvgpr_read_b32 v9, a123
	v_add_f64 v[0:1], v[0:1], v[4:5]
	v_accvgpr_read_b32 v7, a121
	v_mul_f64 v[4:5], v[106:107], v[8:9]
	v_fma_f64 v[4:5], v[104:105], v[6:7], -v[4:5]
	v_accvgpr_read_b32 v6, a124
	v_accvgpr_read_b32 v8, a126
	v_accvgpr_read_b32 v9, a127
	v_add_f64 v[0:1], v[0:1], v[4:5]
	v_accvgpr_read_b32 v7, a125
	v_mul_f64 v[4:5], v[110:111], v[8:9]
	v_fma_f64 v[4:5], v[108:109], v[6:7], -v[4:5]
	v_accvgpr_read_b32 v6, a128
	v_accvgpr_read_b32 v8, a130
	v_accvgpr_read_b32 v9, a131
	v_add_f64 v[0:1], v[0:1], v[4:5]
	v_accvgpr_read_b32 v7, a129
	v_mul_f64 v[4:5], v[114:115], v[8:9]
	v_fma_f64 v[4:5], v[112:113], v[6:7], -v[4:5]
	v_accvgpr_read_b32 v6, a132
	v_accvgpr_read_b32 v8, a134
	v_accvgpr_read_b32 v9, a135
	v_add_f64 v[0:1], v[0:1], v[4:5]
	v_accvgpr_read_b32 v7, a133
	v_mul_f64 v[4:5], v[118:119], v[8:9]
	v_fma_f64 v[4:5], v[116:117], v[6:7], -v[4:5]
	v_accvgpr_read_b32 v6, a136
	v_accvgpr_read_b32 v8, a138
	v_accvgpr_read_b32 v9, a139
	v_add_f64 v[0:1], v[0:1], v[4:5]
	v_accvgpr_read_b32 v7, a137
	v_mul_f64 v[4:5], v[122:123], v[8:9]
	v_fma_f64 v[4:5], v[120:121], v[6:7], -v[4:5]
	v_add_f64 v[0:1], v[0:1], v[4:5]
	v_mul_f64 v[4:5], v[126:127], v[30:31]
	v_fma_f64 v[4:5], v[124:125], v[28:29], -v[4:5]
	v_add_f64 v[0:1], v[0:1], v[4:5]
	;; [unrolled: 3-line block ×24, first 2 shown]
	s_waitcnt vmcnt(0)
	v_add_f64 v[4:5], v[236:237], -v[0:1]
	v_accvgpr_read_b32 v0, a114
	v_add_f64 v[6:7], v[238:239], -v[2:3]
	v_cmp_lt_u32_e32 vcc, 5, v0
	scratch_store_dwordx4 off, v[4:7], off offset:112
	s_and_saveexec_b64 s[0:1], vcc
	s_cbranch_execz .LBB120_345
; %bb.344:
	scratch_load_dwordx4 v[2:5], off, s68
	v_mov_b32_e32 v6, 0
	v_mov_b32_e32 v7, v6
	;; [unrolled: 1-line block ×4, first 2 shown]
	v_accvgpr_read_b32 v0, a115
	scratch_store_dwordx4 off, v[6:9], off offset:96
	s_waitcnt vmcnt(1)
	ds_write_b128 v0, v[2:5]
.LBB120_345:
	s_or_b64 exec, exec, s[0:1]
	s_waitcnt lgkmcnt(0)
	; wave barrier
	scratch_load_dwordx4 v[48:51], off, off offset:112
	scratch_load_dwordx4 v[52:55], off, off offset:128
	;; [unrolled: 1-line block ×28, first 2 shown]
	v_mov_b32_e32 v2, 0
	ds_read_b128 v[104:107], v2 offset:1008
	ds_read_b128 v[112:115], v2 offset:1024
	;; [unrolled: 1-line block ×18, first 2 shown]
	scratch_load_dwordx4 a[116:119], off, off offset:560
	scratch_load_dwordx4 a[120:123], off, off offset:576
	ds_read_b128 v[220:223], v2 offset:1296
	ds_read_b128 v[224:227], v2 offset:1312
	;; [unrolled: 1-line block ×4, first 2 shown]
	scratch_load_dwordx4 v[234:237], off, off offset:592
	ds_read_b128 v[246:249], v2 offset:1360
	s_waitcnt vmcnt(30) lgkmcnt(14)
	v_mul_f64 v[0:1], v[104:105], v[50:51]
	s_waitcnt vmcnt(29)
	v_mul_f64 v[24:25], v[112:113], v[54:55]
	v_fmac_f64_e32 v[0:1], v[106:107], v[48:49]
	s_waitcnt vmcnt(28)
	v_mul_f64 v[26:27], v[116:117], v[58:59]
	v_fmac_f64_e32 v[24:25], v[114:115], v[52:53]
	v_add_f64 v[0:1], v[0:1], 0
	s_waitcnt vmcnt(27)
	v_mul_f64 v[28:29], v[120:121], v[62:63]
	v_fmac_f64_e32 v[26:27], v[118:119], v[56:57]
	v_add_f64 v[0:1], v[0:1], v[24:25]
	;; [unrolled: 4-line block ×7, first 2 shown]
	s_waitcnt vmcnt(21) lgkmcnt(13)
	v_mul_f64 v[40:41], v[172:173], v[86:87]
	v_fmac_f64_e32 v[38:39], v[162:163], v[80:81]
	v_add_f64 v[0:1], v[0:1], v[36:37]
	s_waitcnt vmcnt(20) lgkmcnt(12)
	v_mul_f64 v[42:43], v[184:185], v[94:95]
	v_fmac_f64_e32 v[40:41], v[174:175], v[84:85]
	v_add_f64 v[0:1], v[0:1], v[38:39]
	;; [unrolled: 4-line block ×8, first 2 shown]
	v_add_f64 v[0:1], v[0:1], v[96:97]
	v_fmac_f64_e32 v[98:99], v[214:215], v[152:153]
	s_waitcnt vmcnt(13) lgkmcnt(5)
	v_mul_f64 v[32:33], v[216:217], v[158:159]
	v_add_f64 v[0:1], v[0:1], v[98:99]
	v_fmac_f64_e32 v[32:33], v[218:219], v[156:157]
	v_add_f64 v[0:1], v[0:1], v[32:33]
	s_waitcnt vmcnt(12) lgkmcnt(4)
	v_mul_f64 v[32:33], v[220:221], v[166:167]
	v_fmac_f64_e32 v[32:33], v[222:223], v[164:165]
	s_waitcnt vmcnt(11) lgkmcnt(3)
	v_mul_f64 v[36:37], v[224:225], v[170:171]
	v_add_f64 v[0:1], v[0:1], v[32:33]
	v_fmac_f64_e32 v[36:37], v[226:227], v[168:169]
	v_add_f64 v[0:1], v[0:1], v[36:37]
	s_waitcnt vmcnt(10) lgkmcnt(2)
	v_mul_f64 v[36:37], v[228:229], v[178:179]
	v_fmac_f64_e32 v[36:37], v[230:231], v[176:177]
	v_add_f64 v[0:1], v[0:1], v[36:37]
	scratch_load_dwordx4 v[36:39], off, off offset:608
	s_waitcnt vmcnt(10) lgkmcnt(1)
	v_mul_f64 v[40:41], v[242:243], v[182:183]
	v_fmac_f64_e32 v[40:41], v[244:245], v[180:181]
	v_add_f64 v[0:1], v[0:1], v[40:41]
	scratch_load_dwordx4 v[40:43], off, off offset:624
	ds_read_b128 v[88:91], v2 offset:1376
	s_waitcnt vmcnt(10) lgkmcnt(1)
	v_mul_f64 v[44:45], v[246:247], v[190:191]
	v_fmac_f64_e32 v[44:45], v[248:249], v[188:189]
	v_add_f64 v[0:1], v[0:1], v[44:45]
	scratch_load_dwordx4 v[44:47], off, off offset:640
	v_mul_f64 v[50:51], v[106:107], v[50:51]
	v_fma_f64 v[240:241], v[104:105], v[48:49], -v[50:51]
	scratch_load_dwordx4 v[48:51], off, off offset:656
	s_waitcnt vmcnt(11) lgkmcnt(0)
	v_mul_f64 v[96:97], v[88:89], v[6:7]
	v_mul_f64 v[54:55], v[114:115], v[54:55]
	v_fmac_f64_e32 v[96:97], v[90:91], v[4:5]
	v_fma_f64 v[250:251], v[112:113], v[52:53], -v[54:55]
	scratch_load_dwordx4 v[52:55], off, off offset:672
	v_add_f64 v[0:1], v[0:1], v[96:97]
	ds_read_b128 v[96:99], v2 offset:1392
	ds_read_b128 v[104:107], v2 offset:1408
	v_accvgpr_write_b32 a127, v7
	v_accvgpr_write_b32 a126, v6
	;; [unrolled: 1-line block ×4, first 2 shown]
	s_waitcnt vmcnt(11)
	v_mov_b64_e32 v[4:5], v[8:9]
	v_mov_b64_e32 v[6:7], v[10:11]
	v_mul_f64 v[58:59], v[118:119], v[58:59]
	s_waitcnt lgkmcnt(1)
	v_mul_f64 v[112:113], v[96:97], v[6:7]
	v_fma_f64 v[252:253], v[116:117], v[56:57], -v[58:59]
	scratch_load_dwordx4 v[56:59], off, off offset:688
	v_fmac_f64_e32 v[112:113], v[98:99], v[4:5]
	s_waitcnt vmcnt(11)
	v_mov_b64_e32 v[4:5], v[12:13]
	v_mul_f64 v[62:63], v[122:123], v[62:63]
	v_mov_b64_e32 v[6:7], v[14:15]
	v_fma_f64 v[254:255], v[120:121], v[60:61], -v[62:63]
	scratch_load_dwordx4 v[60:63], off, off offset:704
	v_add_f64 v[0:1], v[0:1], v[112:113]
	s_waitcnt lgkmcnt(0)
	v_mul_f64 v[112:113], v[104:105], v[6:7]
	v_fmac_f64_e32 v[112:113], v[106:107], v[4:5]
	v_mul_f64 v[66:67], v[126:127], v[66:67]
	v_add_f64 v[0:1], v[0:1], v[112:113]
	ds_read_b128 v[112:115], v2 offset:1424
	ds_read_b128 v[116:119], v2 offset:1440
	v_fma_f64 v[232:233], v[124:125], v[64:65], -v[66:67]
	scratch_load_dwordx4 v[64:67], off, off offset:720
	v_accvgpr_write_b32 a131, v11
	v_accvgpr_write_b32 a130, v10
	;; [unrolled: 1-line block ×4, first 2 shown]
	s_waitcnt vmcnt(12)
	v_mov_b64_e32 v[8:9], v[16:17]
	v_mov_b64_e32 v[10:11], v[18:19]
	v_mul_f64 v[70:71], v[130:131], v[70:71]
	s_waitcnt lgkmcnt(1)
	v_mul_f64 v[6:7], v[112:113], v[10:11]
	v_fma_f64 v[32:33], v[128:129], v[68:69], -v[70:71]
	scratch_load_dwordx4 v[68:71], off, off offset:736
	v_fmac_f64_e32 v[6:7], v[114:115], v[8:9]
	v_add_f64 v[0:1], v[0:1], v[6:7]
	v_mul_f64 v[6:7], v[134:135], v[74:75]
	v_fma_f64 v[28:29], v[132:133], v[72:73], -v[6:7]
	s_waitcnt vmcnt(12)
	v_mov_b64_e32 v[8:9], v[20:21]
	scratch_load_dwordx4 v[72:75], off, off offset:752
	v_mov_b64_e32 v[10:11], v[22:23]
	s_waitcnt lgkmcnt(0)
	v_mul_f64 v[6:7], v[116:117], v[10:11]
	v_fmac_f64_e32 v[6:7], v[118:119], v[8:9]
	v_add_f64 v[0:1], v[0:1], v[6:7]
	v_mul_f64 v[6:7], v[150:151], v[78:79]
	v_fma_f64 v[24:25], v[148:149], v[76:77], -v[6:7]
	scratch_load_dwordx4 v[76:79], off, off offset:768
	ds_read_b128 v[124:127], v2 offset:1456
	ds_read_b128 v[120:123], v2 offset:1472
	v_accvgpr_write_b32 a143, v23
	v_mul_f64 v[6:7], v[162:163], v[82:83]
	v_accvgpr_write_b32 a139, v19
	v_accvgpr_write_b32 a142, v22
	;; [unrolled: 1-line block ×4, first 2 shown]
	v_fma_f64 v[20:21], v[160:161], v[80:81], -v[6:7]
	v_mul_f64 v[6:7], v[174:175], v[86:87]
	s_waitcnt vmcnt(13)
	v_accvgpr_read_b32 v8, a116
	v_accvgpr_write_b32 a138, v18
	v_accvgpr_write_b32 a137, v17
	;; [unrolled: 1-line block ×3, first 2 shown]
	v_fma_f64 v[16:17], v[172:173], v[84:85], -v[6:7]
	scratch_load_dwordx4 v[84:87], off, off offset:784
	scratch_load_dwordx4 v[80:83], off, off offset:800
	v_accvgpr_read_b32 v10, a118
	v_accvgpr_read_b32 v11, a119
	;; [unrolled: 1-line block ×3, first 2 shown]
	s_waitcnt lgkmcnt(1)
	v_mul_f64 v[6:7], v[124:125], v[10:11]
	v_fmac_f64_e32 v[6:7], v[126:127], v[8:9]
	s_waitcnt vmcnt(14)
	v_accvgpr_read_b32 v8, a120
	v_accvgpr_read_b32 v10, a122
	;; [unrolled: 1-line block ×3, first 2 shown]
	v_add_f64 v[0:1], v[0:1], v[6:7]
	v_accvgpr_read_b32 v9, a121
	s_waitcnt lgkmcnt(0)
	v_mul_f64 v[6:7], v[120:121], v[10:11]
	v_fmac_f64_e32 v[6:7], v[122:123], v[8:9]
	v_accvgpr_write_b32 a135, v15
	v_add_f64 v[0:1], v[0:1], v[6:7]
	v_mul_f64 v[6:7], v[186:187], v[94:95]
	v_accvgpr_write_b32 a134, v14
	v_accvgpr_write_b32 a133, v13
	;; [unrolled: 1-line block ×3, first 2 shown]
	v_fma_f64 v[14:15], v[184:185], v[92:93], -v[6:7]
	scratch_load_dwordx4 v[92:95], off, off offset:816
	v_mul_f64 v[6:7], v[194:195], v[102:103]
	v_fma_f64 v[18:19], v[192:193], v[100:101], -v[6:7]
	scratch_load_dwordx4 v[100:103], off, off offset:832
	v_mul_f64 v[6:7], v[198:199], v[110:111]
	v_fma_f64 v[12:13], v[196:197], v[108:109], -v[6:7]
	scratch_load_dwordx4 v[108:111], off, off offset:848
	ds_read_b128 v[128:131], v2 offset:1488
	ds_read_b128 v[132:135], v2 offset:1504
	;; [unrolled: 1-line block ×5, first 2 shown]
	s_waitcnt vmcnt(16) lgkmcnt(4)
	v_mul_f64 v[6:7], v[128:129], v[236:237]
	v_fmac_f64_e32 v[6:7], v[130:131], v[234:235]
	v_add_f64 v[0:1], v[0:1], v[6:7]
	v_mul_f64 v[6:7], v[202:203], v[138:139]
	v_fma_f64 v[22:23], v[200:201], v[136:137], -v[6:7]
	ds_read_b128 v[136:139], v2 offset:1520
	s_waitcnt vmcnt(15) lgkmcnt(4)
	v_mul_f64 v[6:7], v[132:133], v[38:39]
	v_fmac_f64_e32 v[6:7], v[134:135], v[36:37]
	v_add_f64 v[0:1], v[0:1], v[6:7]
	v_mul_f64 v[6:7], v[206:207], v[142:143]
	v_fma_f64 v[10:11], v[204:205], v[140:141], -v[6:7]
	ds_read_b128 v[140:143], v2 offset:1536
	;; [unrolled: 7-line block ×3, first 2 shown]
	s_waitcnt vmcnt(13) lgkmcnt(1)
	v_mul_f64 v[6:7], v[140:141], v[46:47]
	v_fmac_f64_e32 v[6:7], v[142:143], v[44:45]
	v_add_f64 v[0:1], v[0:1], v[6:7]
	v_mul_f64 v[182:183], v[244:245], v[182:183]
	s_waitcnt vmcnt(12) lgkmcnt(0)
	v_mul_f64 v[6:7], v[144:145], v[50:51]
	v_fmac_f64_e32 v[6:7], v[146:147], v[48:49]
	v_add_f64 v[0:1], v[0:1], v[6:7]
	v_mul_f64 v[6:7], v[214:215], v[154:155]
	v_fma_f64 v[8:9], v[212:213], v[152:153], -v[6:7]
	s_waitcnt vmcnt(11)
	v_mul_f64 v[6:7], v[148:149], v[54:55]
	v_fmac_f64_e32 v[6:7], v[150:151], v[52:53]
	ds_read_b128 v[152:155], v2 offset:1584
	v_add_f64 v[0:1], v[0:1], v[6:7]
	v_mul_f64 v[6:7], v[218:219], v[158:159]
	v_fma_f64 v[30:31], v[216:217], v[156:157], -v[6:7]
	ds_read_b128 v[156:159], v2 offset:1600
	s_waitcnt vmcnt(10) lgkmcnt(1)
	v_mul_f64 v[6:7], v[152:153], v[58:59]
	v_fmac_f64_e32 v[6:7], v[154:155], v[56:57]
	v_add_f64 v[0:1], v[0:1], v[6:7]
	s_waitcnt vmcnt(5)
	v_mul_f64 v[184:185], v[172:173], v[78:79]
	s_waitcnt lgkmcnt(0)
	v_mul_f64 v[6:7], v[156:157], v[62:63]
	v_fmac_f64_e32 v[6:7], v[158:159], v[60:61]
	v_add_f64 v[0:1], v[0:1], v[6:7]
	v_mul_f64 v[6:7], v[222:223], v[166:167]
	v_fma_f64 v[4:5], v[220:221], v[164:165], -v[6:7]
	ds_read_b128 v[164:167], v2 offset:1632
	v_mul_f64 v[6:7], v[160:161], v[66:67]
	v_fmac_f64_e32 v[6:7], v[162:163], v[64:65]
	v_add_f64 v[0:1], v[0:1], v[6:7]
	v_mul_f64 v[6:7], v[226:227], v[170:171]
	v_fma_f64 v[6:7], v[224:225], v[168:169], -v[6:7]
	ds_read_b128 v[168:171], v2 offset:1648
	s_waitcnt lgkmcnt(1)
	v_mul_f64 v[34:35], v[164:165], v[70:71]
	v_fmac_f64_e32 v[34:35], v[166:167], v[68:69]
	v_add_f64 v[0:1], v[0:1], v[34:35]
	v_fmac_f64_e32 v[184:185], v[174:175], v[76:77]
	s_waitcnt lgkmcnt(0)
	v_mul_f64 v[34:35], v[168:169], v[74:75]
	v_fmac_f64_e32 v[34:35], v[170:171], v[72:73]
	v_add_f64 v[34:35], v[0:1], v[34:35]
	v_mul_f64 v[0:1], v[230:231], v[178:179]
	v_fma_f64 v[0:1], v[228:229], v[176:177], -v[0:1]
	ds_read_b128 v[176:179], v2 offset:1680
	v_fma_f64 v[238:239], v[242:243], v[180:181], -v[182:183]
	ds_read_b128 v[180:183], v2 offset:1696
	v_add_f64 v[34:35], v[34:35], v[184:185]
	v_mul_f64 v[190:191], v[248:249], v[190:191]
	s_waitcnt vmcnt(4) lgkmcnt(1)
	v_mul_f64 v[184:185], v[176:177], v[86:87]
	v_fmac_f64_e32 v[184:185], v[178:179], v[84:85]
	v_add_f64 v[34:35], v[34:35], v[184:185]
	ds_read_b128 v[184:187], v2 offset:1712
	v_fma_f64 v[242:243], v[246:247], v[188:189], -v[190:191]
	ds_read_b128 v[188:191], v2 offset:1728
	s_waitcnt vmcnt(3) lgkmcnt(2)
	v_mul_f64 v[192:193], v[180:181], v[82:83]
	v_fmac_f64_e32 v[192:193], v[182:183], v[80:81]
	v_add_f64 v[34:35], v[34:35], v[192:193]
	s_waitcnt vmcnt(2) lgkmcnt(1)
	v_mul_f64 v[192:193], v[184:185], v[94:95]
	v_fmac_f64_e32 v[192:193], v[186:187], v[92:93]
	v_add_f64 v[34:35], v[34:35], v[192:193]
	;; [unrolled: 4-line block ×3, first 2 shown]
	ds_read_b128 v[192:195], v2 offset:1744
	ds_read_b128 v[200:203], v2 offset:1760
	;; [unrolled: 1-line block ×5, first 2 shown]
	s_waitcnt vmcnt(0) lgkmcnt(4)
	v_mul_f64 v[196:197], v[192:193], v[110:111]
	v_fmac_f64_e32 v[196:197], v[194:195], v[108:109]
	v_add_f64 v[34:35], v[34:35], v[196:197]
	scratch_load_dwordx4 v[196:199], off, off offset:864
	s_waitcnt vmcnt(0) lgkmcnt(3)
	v_mul_f64 v[204:205], v[200:201], v[198:199]
	v_fmac_f64_e32 v[204:205], v[202:203], v[196:197]
	v_add_f64 v[34:35], v[34:35], v[204:205]
	scratch_load_dwordx4 v[204:207], off, off offset:880
	;; [unrolled: 5-line block ×4, first 2 shown]
	s_waitcnt vmcnt(0) lgkmcnt(0)
	v_mul_f64 v[228:229], v[224:225], v[222:223]
	v_fmac_f64_e32 v[228:229], v[226:227], v[220:221]
	v_add_f64 v[246:247], v[34:35], v[228:229]
	v_add_f64 v[34:35], v[240:241], 0
	;; [unrolled: 1-line block ×6, first 2 shown]
	scratch_load_dwordx4 v[228:231], off, off offset:96
	v_add_f64 v[32:33], v[34:35], v[32:33]
	v_add_f64 v[28:29], v[32:33], v[28:29]
	;; [unrolled: 1-line block ×15, first 2 shown]
	v_accvgpr_read_b32 v6, a124
	v_accvgpr_read_b32 v8, a126
	v_accvgpr_read_b32 v9, a127
	v_add_f64 v[0:1], v[4:5], v[0:1]
	v_accvgpr_read_b32 v7, a125
	v_mul_f64 v[4:5], v[90:91], v[8:9]
	v_add_f64 v[0:1], v[0:1], v[238:239]
	v_fma_f64 v[4:5], v[88:89], v[6:7], -v[4:5]
	v_accvgpr_read_b32 v6, a128
	v_add_f64 v[0:1], v[0:1], v[242:243]
	v_accvgpr_read_b32 v8, a130
	v_accvgpr_read_b32 v9, a131
	v_add_f64 v[0:1], v[0:1], v[4:5]
	v_accvgpr_read_b32 v7, a129
	v_mul_f64 v[4:5], v[98:99], v[8:9]
	v_fma_f64 v[4:5], v[96:97], v[6:7], -v[4:5]
	v_accvgpr_read_b32 v6, a132
	v_accvgpr_read_b32 v8, a134
	v_accvgpr_read_b32 v9, a135
	v_add_f64 v[0:1], v[0:1], v[4:5]
	v_accvgpr_read_b32 v7, a133
	v_mul_f64 v[4:5], v[106:107], v[8:9]
	v_fma_f64 v[4:5], v[104:105], v[6:7], -v[4:5]
	v_accvgpr_read_b32 v6, a136
	;; [unrolled: 7-line block ×5, first 2 shown]
	v_accvgpr_read_b32 v8, a122
	v_accvgpr_read_b32 v9, a123
	v_add_f64 v[0:1], v[0:1], v[4:5]
	v_accvgpr_read_b32 v7, a121
	v_mul_f64 v[4:5], v[122:123], v[8:9]
	v_fma_f64 v[4:5], v[120:121], v[6:7], -v[4:5]
	v_add_f64 v[0:1], v[0:1], v[4:5]
	v_mul_f64 v[4:5], v[130:131], v[236:237]
	v_fma_f64 v[4:5], v[128:129], v[234:235], -v[4:5]
	v_add_f64 v[0:1], v[0:1], v[4:5]
	;; [unrolled: 3-line block ×22, first 2 shown]
	s_waitcnt vmcnt(0)
	v_add_f64 v[4:5], v[228:229], -v[0:1]
	v_accvgpr_read_b32 v0, a114
	v_add_f64 v[6:7], v[230:231], -v[246:247]
	v_cmp_lt_u32_e32 vcc, 4, v0
	scratch_store_dwordx4 off, v[4:7], off offset:96
	s_and_saveexec_b64 s[0:1], vcc
	s_cbranch_execz .LBB120_347
; %bb.346:
	scratch_load_dwordx4 v[6:9], off, s69
	v_mov_b32_e32 v3, v2
	v_mov_b32_e32 v4, v2
	;; [unrolled: 1-line block ×3, first 2 shown]
	v_accvgpr_read_b32 v0, a115
	scratch_store_dwordx4 off, v[2:5], off offset:80
	s_waitcnt vmcnt(1)
	ds_write_b128 v0, v[6:9]
.LBB120_347:
	s_or_b64 exec, exec, s[0:1]
	s_waitcnt lgkmcnt(0)
	; wave barrier
	scratch_load_dwordx4 v[48:51], off, off offset:96
	scratch_load_dwordx4 v[52:55], off, off offset:112
	;; [unrolled: 1-line block ×18, first 2 shown]
	ds_read_b128 v[104:107], v2 offset:992
	ds_read_b128 v[208:211], v2 offset:1008
	;; [unrolled: 1-line block ×6, first 2 shown]
	scratch_load_dwordx4 v[164:167], off, off offset:384
	ds_read_b128 v[192:195], v2 offset:1088
	ds_read_b128 v[124:127], v2 offset:1104
	scratch_load_dwordx4 v[168:171], off, off offset:400
	ds_read_b128 v[212:215], v2 offset:1120
	ds_read_b128 v[204:207], v2 offset:1136
	;; [unrolled: 1-line block ×5, first 2 shown]
	scratch_load_dwordx4 v[176:179], off, off offset:416
	ds_read_b128 v[200:203], v2 offset:1200
	ds_read_b128 v[172:175], v2 offset:1216
	scratch_load_dwordx4 v[180:183], off, off offset:432
	ds_read_b128 v[216:219], v2 offset:1232
	ds_read_b128 v[184:187], v2 offset:1248
	;; [unrolled: 1-line block ×3, first 2 shown]
	scratch_load_dwordx4 v[188:191], off, off offset:448
	scratch_load_dwordx4 v[4:7], off, off offset:464
	;; [unrolled: 1-line block ×8, first 2 shown]
	ds_read_b128 v[220:223], v2 offset:1280
	ds_read_b128 v[224:227], v2 offset:1296
	;; [unrolled: 1-line block ×5, first 2 shown]
	s_waitcnt vmcnt(29) lgkmcnt(14)
	v_mul_f64 v[0:1], v[104:105], v[50:51]
	s_waitcnt vmcnt(28)
	v_mul_f64 v[24:25], v[208:209], v[54:55]
	v_fmac_f64_e32 v[0:1], v[106:107], v[48:49]
	s_waitcnt vmcnt(27)
	v_mul_f64 v[26:27], v[196:197], v[58:59]
	v_fmac_f64_e32 v[24:25], v[210:211], v[52:53]
	v_add_f64 v[0:1], v[0:1], 0
	s_waitcnt vmcnt(26)
	v_mul_f64 v[28:29], v[112:113], v[62:63]
	v_fmac_f64_e32 v[26:27], v[198:199], v[56:57]
	v_add_f64 v[0:1], v[0:1], v[24:25]
	;; [unrolled: 4-line block ×7, first 2 shown]
	s_waitcnt vmcnt(20) lgkmcnt(13)
	v_mul_f64 v[40:41], v[204:205], v[86:87]
	v_fmac_f64_e32 v[38:39], v[214:215], v[80:81]
	v_add_f64 v[0:1], v[0:1], v[36:37]
	s_waitcnt vmcnt(19) lgkmcnt(12)
	v_mul_f64 v[42:43], v[128:129], v[94:95]
	v_fmac_f64_e32 v[40:41], v[206:207], v[84:85]
	v_add_f64 v[0:1], v[0:1], v[38:39]
	s_waitcnt vmcnt(18) lgkmcnt(11)
	v_mul_f64 v[44:45], v[132:133], v[102:103]
	v_fmac_f64_e32 v[42:43], v[130:131], v[92:93]
	v_add_f64 v[0:1], v[0:1], v[40:41]
	s_waitcnt vmcnt(17) lgkmcnt(10)
	v_mul_f64 v[46:47], v[148:149], v[110:111]
	v_fmac_f64_e32 v[44:45], v[134:135], v[100:101]
	v_add_f64 v[0:1], v[0:1], v[42:43]
	s_waitcnt vmcnt(16) lgkmcnt(9)
	v_mul_f64 v[88:89], v[200:201], v[138:139]
	v_fmac_f64_e32 v[46:47], v[150:151], v[108:109]
	v_add_f64 v[0:1], v[0:1], v[44:45]
	s_waitcnt vmcnt(15) lgkmcnt(8)
	v_mul_f64 v[90:91], v[172:173], v[142:143]
	v_fmac_f64_e32 v[88:89], v[202:203], v[136:137]
	v_add_f64 v[0:1], v[0:1], v[46:47]
	s_waitcnt vmcnt(14) lgkmcnt(7)
	v_mul_f64 v[96:97], v[216:217], v[146:147]
	v_fmac_f64_e32 v[90:91], v[174:175], v[140:141]
	v_add_f64 v[0:1], v[0:1], v[88:89]
	s_waitcnt vmcnt(13) lgkmcnt(6)
	v_mul_f64 v[98:99], v[184:185], v[154:155]
	v_fmac_f64_e32 v[96:97], v[218:219], v[144:145]
	v_add_f64 v[0:1], v[0:1], v[90:91]
	v_fmac_f64_e32 v[98:99], v[186:187], v[152:153]
	v_add_f64 v[0:1], v[0:1], v[96:97]
	s_waitcnt vmcnt(12) lgkmcnt(5)
	v_mul_f64 v[32:33], v[160:161], v[158:159]
	v_add_f64 v[0:1], v[0:1], v[98:99]
	v_fmac_f64_e32 v[32:33], v[162:163], v[156:157]
	v_add_f64 v[0:1], v[0:1], v[32:33]
	s_waitcnt vmcnt(11) lgkmcnt(4)
	v_mul_f64 v[32:33], v[220:221], v[166:167]
	v_fmac_f64_e32 v[32:33], v[222:223], v[164:165]
	v_add_f64 v[0:1], v[0:1], v[32:33]
	scratch_load_dwordx4 v[32:35], off, off offset:576
	s_waitcnt vmcnt(11) lgkmcnt(3)
	v_mul_f64 v[36:37], v[224:225], v[170:171]
	v_fmac_f64_e32 v[36:37], v[226:227], v[168:169]
	v_add_f64 v[0:1], v[0:1], v[36:37]
	s_waitcnt vmcnt(10) lgkmcnt(2)
	v_mul_f64 v[36:37], v[228:229], v[178:179]
	v_fmac_f64_e32 v[36:37], v[230:231], v[176:177]
	v_add_f64 v[0:1], v[0:1], v[36:37]
	scratch_load_dwordx4 v[36:39], off, off offset:592
	s_waitcnt vmcnt(10) lgkmcnt(1)
	v_mul_f64 v[40:41], v[232:233], v[182:183]
	v_fmac_f64_e32 v[40:41], v[234:235], v[180:181]
	ds_read_b128 v[88:91], v2 offset:1360
	s_waitcnt vmcnt(9) lgkmcnt(1)
	v_mul_f64 v[44:45], v[236:237], v[190:191]
	v_add_f64 v[0:1], v[0:1], v[40:41]
	scratch_load_dwordx4 v[40:43], off, off offset:608
	v_fmac_f64_e32 v[44:45], v[238:239], v[188:189]
	v_add_f64 v[0:1], v[0:1], v[44:45]
	scratch_load_dwordx4 v[44:47], off, off offset:624
	v_mul_f64 v[50:51], v[106:107], v[50:51]
	v_fma_f64 v[240:241], v[104:105], v[48:49], -v[50:51]
	scratch_load_dwordx4 v[48:51], off, off offset:640
	s_waitcnt vmcnt(11) lgkmcnt(0)
	v_mul_f64 v[96:97], v[88:89], v[6:7]
	v_mul_f64 v[54:55], v[210:211], v[54:55]
	v_fmac_f64_e32 v[96:97], v[90:91], v[4:5]
	v_fma_f64 v[246:247], v[208:209], v[52:53], -v[54:55]
	scratch_load_dwordx4 v[52:55], off, off offset:656
	v_mul_f64 v[58:59], v[198:199], v[58:59]
	v_add_f64 v[0:1], v[0:1], v[96:97]
	ds_read_b128 v[96:99], v2 offset:1376
	ds_read_b128 v[104:107], v2 offset:1392
	v_fma_f64 v[248:249], v[196:197], v[56:57], -v[58:59]
	scratch_load_dwordx4 v[56:59], off, off offset:672
	v_mul_f64 v[62:63], v[114:115], v[62:63]
	v_accvgpr_write_b32 a127, v7
	v_fma_f64 v[250:251], v[112:113], v[60:61], -v[62:63]
	scratch_load_dwordx4 v[60:63], off, off offset:688
	v_accvgpr_write_b32 a126, v6
	v_accvgpr_write_b32 a125, v5
	;; [unrolled: 1-line block ×3, first 2 shown]
	s_waitcnt vmcnt(13)
	v_mov_b64_e32 v[4:5], v[8:9]
	v_mov_b64_e32 v[6:7], v[10:11]
	s_waitcnt lgkmcnt(1)
	v_mul_f64 v[208:209], v[96:97], v[6:7]
	v_fmac_f64_e32 v[208:209], v[98:99], v[4:5]
	s_waitcnt vmcnt(12)
	v_mov_b64_e32 v[4:5], v[12:13]
	ds_read_b128 v[112:115], v2 offset:1408
	v_mov_b64_e32 v[6:7], v[14:15]
	s_waitcnt lgkmcnt(1)
	v_mul_f64 v[196:197], v[104:105], v[6:7]
	v_mul_f64 v[66:67], v[122:123], v[66:67]
	;; [unrolled: 1-line block ×3, first 2 shown]
	v_fmac_f64_e32 v[196:197], v[106:107], v[4:5]
	v_fma_f64 v[252:253], v[120:121], v[64:65], -v[66:67]
	scratch_load_dwordx4 v[64:67], off, off offset:704
	v_fma_f64 v[254:255], v[116:117], v[68:69], -v[70:71]
	ds_read_b128 v[116:119], v2 offset:1424
	s_waitcnt vmcnt(12)
	v_mov_b64_e32 v[4:5], v[16:17]
	v_mov_b64_e32 v[6:7], v[18:19]
	scratch_load_dwordx4 v[68:71], off, off offset:720
	s_waitcnt lgkmcnt(1)
	v_mul_f64 v[120:121], v[112:113], v[6:7]
	v_mul_f64 v[74:75], v[194:195], v[74:75]
	v_add_f64 v[0:1], v[0:1], v[208:209]
	v_fmac_f64_e32 v[120:121], v[114:115], v[4:5]
	v_fma_f64 v[242:243], v[192:193], v[72:73], -v[74:75]
	s_waitcnt vmcnt(12)
	v_mov_b64_e32 v[4:5], v[20:21]
	scratch_load_dwordx4 v[72:75], off, off offset:736
	v_add_f64 v[0:1], v[0:1], v[196:197]
	v_mov_b64_e32 v[6:7], v[22:23]
	v_add_f64 v[0:1], v[0:1], v[120:121]
	s_waitcnt lgkmcnt(0)
	v_mul_f64 v[120:121], v[116:117], v[6:7]
	v_fmac_f64_e32 v[120:121], v[118:119], v[4:5]
	v_mul_f64 v[78:79], v[126:127], v[78:79]
	v_add_f64 v[0:1], v[0:1], v[120:121]
	v_fma_f64 v[28:29], v[124:125], v[76:77], -v[78:79]
	scratch_load_dwordx4 v[76:79], off, off offset:752
	ds_read_b128 v[124:127], v2 offset:1440
	ds_read_b128 v[120:123], v2 offset:1456
	v_mul_f64 v[6:7], v[214:215], v[82:83]
	v_fma_f64 v[24:25], v[212:213], v[80:81], -v[6:7]
	s_waitcnt vmcnt(13)
	v_accvgpr_read_b32 v4, a116
	v_accvgpr_write_b32 a131, v11
	v_accvgpr_write_b32 a143, v23
	v_mul_f64 v[80:81], v[206:207], v[86:87]
	v_accvgpr_read_b32 v6, a118
	v_accvgpr_read_b32 v7, a119
	v_accvgpr_write_b32 a130, v10
	v_accvgpr_write_b32 a129, v9
	;; [unrolled: 1-line block ×6, first 2 shown]
	v_fma_f64 v[20:21], v[204:205], v[84:85], -v[80:81]
	scratch_load_dwordx4 v[84:87], off, off offset:768
	v_accvgpr_read_b32 v5, a117
	s_waitcnt lgkmcnt(1)
	v_mul_f64 v[10:11], v[124:125], v[6:7]
	v_fmac_f64_e32 v[10:11], v[126:127], v[4:5]
	s_waitcnt vmcnt(13)
	v_accvgpr_read_b32 v4, a120
	v_accvgpr_read_b32 v6, a122
	;; [unrolled: 1-line block ×3, first 2 shown]
	v_add_f64 v[0:1], v[0:1], v[10:11]
	v_accvgpr_read_b32 v5, a121
	s_waitcnt lgkmcnt(0)
	v_mul_f64 v[10:11], v[120:121], v[6:7]
	v_fmac_f64_e32 v[10:11], v[122:123], v[4:5]
	v_accvgpr_write_b32 a139, v19
	scratch_load_dwordx4 v[80:83], off, off offset:784
	v_add_f64 v[0:1], v[0:1], v[10:11]
	v_mul_f64 v[10:11], v[130:131], v[94:95]
	v_accvgpr_write_b32 a135, v15
	v_accvgpr_write_b32 a138, v18
	;; [unrolled: 1-line block ×4, first 2 shown]
	v_fma_f64 v[16:17], v[128:129], v[92:93], -v[10:11]
	v_mul_f64 v[92:93], v[134:135], v[102:103]
	v_accvgpr_write_b32 a134, v14
	v_accvgpr_write_b32 a133, v13
	;; [unrolled: 1-line block ×3, first 2 shown]
	v_fma_f64 v[12:13], v[132:133], v[100:101], -v[92:93]
	scratch_load_dwordx4 v[92:95], off, off offset:800
	ds_read_b128 v[128:131], v2 offset:1472
	ds_read_b128 v[132:135], v2 offset:1488
	scratch_load_dwordx4 v[100:103], off, off offset:816
	v_mul_f64 v[14:15], v[150:151], v[110:111]
	v_fma_f64 v[14:15], v[148:149], v[108:109], -v[14:15]
	s_waitcnt vmcnt(15) lgkmcnt(1)
	v_mul_f64 v[108:109], v[128:129], v[34:35]
	v_fmac_f64_e32 v[108:109], v[130:131], v[32:33]
	v_add_f64 v[0:1], v[0:1], v[108:109]
	v_mul_f64 v[108:109], v[202:203], v[138:139]
	v_fma_f64 v[10:11], v[200:201], v[136:137], -v[108:109]
	scratch_load_dwordx4 v[108:111], off, off offset:832
	s_waitcnt vmcnt(15) lgkmcnt(0)
	v_mul_f64 v[18:19], v[132:133], v[38:39]
	v_fmac_f64_e32 v[18:19], v[134:135], v[36:37]
	ds_read_b128 v[136:139], v2 offset:1504
	v_add_f64 v[0:1], v[0:1], v[18:19]
	v_mul_f64 v[18:19], v[174:175], v[142:143]
	v_fma_f64 v[18:19], v[172:173], v[140:141], -v[18:19]
	ds_read_b128 v[140:143], v2 offset:1520
	v_mul_f64 v[146:147], v[218:219], v[146:147]
	v_fma_f64 v[8:9], v[216:217], v[144:145], -v[146:147]
	ds_read_b128 v[144:147], v2 offset:1536
	s_waitcnt vmcnt(14) lgkmcnt(2)
	v_mul_f64 v[148:149], v[136:137], v[42:43]
	v_fmac_f64_e32 v[148:149], v[138:139], v[40:41]
	s_waitcnt vmcnt(13) lgkmcnt(1)
	v_mul_f64 v[22:23], v[140:141], v[46:47]
	v_add_f64 v[0:1], v[0:1], v[148:149]
	v_fmac_f64_e32 v[22:23], v[142:143], v[44:45]
	ds_read_b128 v[148:151], v2 offset:1552
	v_add_f64 v[0:1], v[0:1], v[22:23]
	s_waitcnt vmcnt(12) lgkmcnt(1)
	v_mul_f64 v[22:23], v[144:145], v[50:51]
	v_fmac_f64_e32 v[22:23], v[146:147], v[48:49]
	v_add_f64 v[0:1], v[0:1], v[22:23]
	v_mul_f64 v[22:23], v[186:187], v[154:155]
	v_fma_f64 v[22:23], v[184:185], v[152:153], -v[22:23]
	ds_read_b128 v[152:155], v2 offset:1568
	v_mul_f64 v[158:159], v[162:163], v[158:159]
	v_fma_f64 v[6:7], v[160:161], v[156:157], -v[158:159]
	ds_read_b128 v[156:159], v2 offset:1584
	s_waitcnt vmcnt(11) lgkmcnt(2)
	v_mul_f64 v[172:173], v[148:149], v[54:55]
	v_fmac_f64_e32 v[172:173], v[150:151], v[52:53]
	s_waitcnt vmcnt(10) lgkmcnt(1)
	v_mul_f64 v[26:27], v[152:153], v[58:59]
	v_add_f64 v[0:1], v[0:1], v[172:173]
	v_fmac_f64_e32 v[26:27], v[154:155], v[56:57]
	v_add_f64 v[0:1], v[0:1], v[26:27]
	s_waitcnt vmcnt(9) lgkmcnt(0)
	v_mul_f64 v[26:27], v[156:157], v[62:63]
	v_fmac_f64_e32 v[26:27], v[158:159], v[60:61]
	ds_read_b128 v[160:163], v2 offset:1600
	v_add_f64 v[0:1], v[0:1], v[26:27]
	v_mul_f64 v[26:27], v[222:223], v[166:167]
	v_fma_f64 v[26:27], v[220:221], v[164:165], -v[26:27]
	ds_read_b128 v[164:167], v2 offset:1616
	v_mul_f64 v[170:171], v[226:227], v[170:171]
	v_fma_f64 v[4:5], v[224:225], v[168:169], -v[170:171]
	ds_read_b128 v[168:171], v2 offset:1632
	s_waitcnt vmcnt(8) lgkmcnt(2)
	v_mul_f64 v[172:173], v[160:161], v[66:67]
	v_fmac_f64_e32 v[172:173], v[162:163], v[64:65]
	s_waitcnt vmcnt(7) lgkmcnt(1)
	v_mul_f64 v[30:31], v[164:165], v[70:71]
	v_add_f64 v[0:1], v[0:1], v[172:173]
	v_fmac_f64_e32 v[30:31], v[166:167], v[68:69]
	v_add_f64 v[0:1], v[0:1], v[30:31]
	ds_read_b128 v[172:175], v2 offset:1648
	s_waitcnt vmcnt(6) lgkmcnt(1)
	v_mul_f64 v[30:31], v[168:169], v[74:75]
	v_fmac_f64_e32 v[30:31], v[170:171], v[72:73]
	v_add_f64 v[30:31], v[0:1], v[30:31]
	v_mul_f64 v[0:1], v[230:231], v[178:179]
	v_fma_f64 v[0:1], v[228:229], v[176:177], -v[0:1]
	ds_read_b128 v[176:179], v2 offset:1664
	v_mul_f64 v[182:183], v[234:235], v[182:183]
	s_waitcnt vmcnt(5) lgkmcnt(1)
	v_mul_f64 v[184:185], v[172:173], v[78:79]
	v_fma_f64 v[180:181], v[232:233], v[180:181], -v[182:183]
	v_fmac_f64_e32 v[184:185], v[174:175], v[76:77]
	v_accvgpr_write_b32 a144, v180
	v_mul_f64 v[190:191], v[238:239], v[190:191]
	v_accvgpr_write_b32 a145, v181
	ds_read_b128 v[180:183], v2 offset:1680
	v_add_f64 v[30:31], v[30:31], v[184:185]
	v_fma_f64 v[244:245], v[236:237], v[188:189], -v[190:191]
	scratch_load_dwordx4 v[236:239], off, off offset:80
	s_waitcnt vmcnt(5) lgkmcnt(1)
	v_mul_f64 v[184:185], v[176:177], v[86:87]
	v_fmac_f64_e32 v[184:185], v[178:179], v[84:85]
	v_add_f64 v[30:31], v[30:31], v[184:185]
	ds_read_b128 v[184:187], v2 offset:1696
	ds_read_b128 v[188:191], v2 offset:1712
	s_waitcnt vmcnt(4) lgkmcnt(2)
	v_mul_f64 v[192:193], v[180:181], v[82:83]
	v_fmac_f64_e32 v[192:193], v[182:183], v[80:81]
	v_add_f64 v[30:31], v[30:31], v[192:193]
	s_waitcnt vmcnt(3) lgkmcnt(1)
	v_mul_f64 v[192:193], v[184:185], v[94:95]
	v_fmac_f64_e32 v[192:193], v[186:187], v[92:93]
	v_add_f64 v[30:31], v[30:31], v[192:193]
	;; [unrolled: 4-line block ×3, first 2 shown]
	ds_read_b128 v[192:195], v2 offset:1728
	ds_read_b128 v[200:203], v2 offset:1744
	scratch_load_dwordx4 v[232:235], off, off offset:912
	ds_read_b128 v[208:211], v2 offset:1760
	ds_read_b128 v[216:219], v2 offset:1776
	s_waitcnt vmcnt(2) lgkmcnt(3)
	v_mul_f64 v[196:197], v[192:193], v[110:111]
	v_fmac_f64_e32 v[196:197], v[194:195], v[108:109]
	v_add_f64 v[30:31], v[30:31], v[196:197]
	scratch_load_dwordx4 v[196:199], off, off offset:848
	ds_read_b128 v[224:227], v2 offset:1792
	s_waitcnt vmcnt(0) lgkmcnt(3)
	v_mul_f64 v[204:205], v[200:201], v[198:199]
	v_fmac_f64_e32 v[204:205], v[202:203], v[196:197]
	v_add_f64 v[30:31], v[30:31], v[204:205]
	scratch_load_dwordx4 v[204:207], off, off offset:864
	s_waitcnt vmcnt(0) lgkmcnt(2)
	v_mul_f64 v[212:213], v[208:209], v[206:207]
	v_fmac_f64_e32 v[212:213], v[210:211], v[204:205]
	v_add_f64 v[30:31], v[30:31], v[212:213]
	scratch_load_dwordx4 v[212:215], off, off offset:880
	;; [unrolled: 5-line block ×3, first 2 shown]
	s_waitcnt vmcnt(0) lgkmcnt(0)
	v_mul_f64 v[228:229], v[224:225], v[222:223]
	v_fmac_f64_e32 v[228:229], v[226:227], v[220:221]
	v_add_f64 v[30:31], v[30:31], v[228:229]
	ds_read_b128 v[228:231], v2 offset:1808
	s_waitcnt lgkmcnt(0)
	v_mul_f64 v[2:3], v[228:229], v[234:235]
	v_fmac_f64_e32 v[2:3], v[230:231], v[232:233]
	v_add_f64 v[2:3], v[30:31], v[2:3]
	v_add_f64 v[30:31], v[240:241], 0
	;; [unrolled: 1-line block ×21, first 2 shown]
	v_accvgpr_read_b32 v6, a124
	v_add_f64 v[246:247], v[4:5], v[0:1]
	v_accvgpr_read_b32 v0, a144
	v_accvgpr_read_b32 v8, a126
	;; [unrolled: 1-line block ×5, first 2 shown]
	v_mul_f64 v[4:5], v[90:91], v[8:9]
	v_add_f64 v[0:1], v[246:247], v[0:1]
	v_fma_f64 v[4:5], v[88:89], v[6:7], -v[4:5]
	v_accvgpr_read_b32 v6, a128
	v_add_f64 v[0:1], v[0:1], v[244:245]
	v_accvgpr_read_b32 v8, a130
	v_accvgpr_read_b32 v9, a131
	v_add_f64 v[0:1], v[0:1], v[4:5]
	v_accvgpr_read_b32 v7, a129
	v_mul_f64 v[4:5], v[98:99], v[8:9]
	v_fma_f64 v[4:5], v[96:97], v[6:7], -v[4:5]
	v_accvgpr_read_b32 v6, a132
	v_accvgpr_read_b32 v8, a134
	v_accvgpr_read_b32 v9, a135
	v_add_f64 v[0:1], v[0:1], v[4:5]
	v_accvgpr_read_b32 v7, a133
	v_mul_f64 v[4:5], v[106:107], v[8:9]
	v_fma_f64 v[4:5], v[104:105], v[6:7], -v[4:5]
	v_accvgpr_read_b32 v6, a136
	v_accvgpr_read_b32 v8, a138
	v_accvgpr_read_b32 v9, a139
	v_add_f64 v[0:1], v[0:1], v[4:5]
	v_accvgpr_read_b32 v7, a137
	v_mul_f64 v[4:5], v[114:115], v[8:9]
	v_fma_f64 v[4:5], v[112:113], v[6:7], -v[4:5]
	v_accvgpr_read_b32 v6, a140
	v_accvgpr_read_b32 v8, a142
	v_accvgpr_read_b32 v9, a143
	v_add_f64 v[0:1], v[0:1], v[4:5]
	v_accvgpr_read_b32 v7, a141
	v_mul_f64 v[4:5], v[118:119], v[8:9]
	v_fma_f64 v[4:5], v[116:117], v[6:7], -v[4:5]
	v_accvgpr_read_b32 v6, a116
	v_accvgpr_read_b32 v8, a118
	v_accvgpr_read_b32 v9, a119
	v_add_f64 v[0:1], v[0:1], v[4:5]
	v_accvgpr_read_b32 v7, a117
	v_mul_f64 v[4:5], v[126:127], v[8:9]
	v_fma_f64 v[4:5], v[124:125], v[6:7], -v[4:5]
	v_accvgpr_read_b32 v6, a120
	v_accvgpr_read_b32 v8, a122
	v_accvgpr_read_b32 v9, a123
	v_add_f64 v[0:1], v[0:1], v[4:5]
	v_accvgpr_read_b32 v7, a121
	v_mul_f64 v[4:5], v[122:123], v[8:9]
	v_fma_f64 v[4:5], v[120:121], v[6:7], -v[4:5]
	v_add_f64 v[0:1], v[0:1], v[4:5]
	v_mul_f64 v[4:5], v[130:131], v[34:35]
	v_fma_f64 v[4:5], v[128:129], v[32:33], -v[4:5]
	v_add_f64 v[0:1], v[0:1], v[4:5]
	;; [unrolled: 3-line block ×23, first 2 shown]
	v_add_f64 v[4:5], v[236:237], -v[0:1]
	v_accvgpr_read_b32 v0, a114
	v_add_f64 v[6:7], v[238:239], -v[2:3]
	v_cmp_lt_u32_e32 vcc, 3, v0
	scratch_store_dwordx4 off, v[4:7], off offset:80
	s_and_saveexec_b64 s[0:1], vcc
	s_cbranch_execz .LBB120_349
; %bb.348:
	scratch_load_dwordx4 v[2:5], off, s70
	v_mov_b32_e32 v6, 0
	v_mov_b32_e32 v7, v6
	;; [unrolled: 1-line block ×4, first 2 shown]
	v_accvgpr_read_b32 v0, a115
	scratch_store_dwordx4 off, v[6:9], off offset:64
	s_waitcnt vmcnt(1)
	ds_write_b128 v0, v[2:5]
.LBB120_349:
	s_or_b64 exec, exec, s[0:1]
	s_waitcnt lgkmcnt(0)
	; wave barrier
	scratch_load_dwordx4 v[40:43], off, off offset:80
	scratch_load_dwordx4 v[44:47], off, off offset:96
	;; [unrolled: 1-line block ×29, first 2 shown]
	v_mov_b32_e32 v2, 0
	ds_read_b128 v[80:83], v2 offset:976
	ds_read_b128 v[100:103], v2 offset:992
	;; [unrolled: 1-line block ×18, first 2 shown]
	scratch_load_dwordx4 a[116:119], off, off offset:544
	scratch_load_dwordx4 a[120:123], off, off offset:560
	ds_read_b128 v[228:231], v2 offset:1328
	ds_read_b128 v[242:245], v2 offset:1344
	scratch_load_dwordx4 a[124:127], off, off offset:576
	scratch_load_dwordx4 v[234:237], off, off offset:592
	ds_read_b128 v[246:249], v2 offset:1360
	scratch_load_dwordx4 a[128:131], off, off offset:608
	ds_read_b128 v[224:227], v2 offset:1312
	s_waitcnt vmcnt(33) lgkmcnt(14)
	v_mul_f64 v[0:1], v[80:81], v[42:43]
	s_waitcnt vmcnt(32)
	v_mul_f64 v[20:21], v[100:101], v[46:47]
	v_fmac_f64_e32 v[0:1], v[82:83], v[40:41]
	s_waitcnt vmcnt(31)
	v_mul_f64 v[22:23], v[104:105], v[50:51]
	v_fmac_f64_e32 v[20:21], v[102:103], v[44:45]
	v_add_f64 v[0:1], v[0:1], 0
	s_waitcnt vmcnt(30)
	v_mul_f64 v[24:25], v[108:109], v[54:55]
	v_fmac_f64_e32 v[22:23], v[106:107], v[48:49]
	v_add_f64 v[0:1], v[0:1], v[20:21]
	;; [unrolled: 4-line block ×6, first 2 shown]
	s_waitcnt vmcnt(25) lgkmcnt(13)
	v_mul_f64 v[34:35], v[144:145], v[74:75]
	v_fmac_f64_e32 v[32:33], v[134:135], v[68:69]
	v_add_f64 v[0:1], v[0:1], v[30:31]
	s_waitcnt vmcnt(24) lgkmcnt(12)
	v_mul_f64 v[36:37], v[156:157], v[78:79]
	v_fmac_f64_e32 v[34:35], v[146:147], v[72:73]
	v_add_f64 v[0:1], v[0:1], v[32:33]
	;; [unrolled: 4-line block ×7, first 2 shown]
	v_fmac_f64_e32 v[218:219], v[198:199], v[124:125]
	v_add_f64 v[0:1], v[0:1], v[216:217]
	ds_read_b128 v[212:215], v2 offset:1264
	s_waitcnt vmcnt(18) lgkmcnt(7)
	v_mul_f64 v[220:221], v[200:201], v[130:131]
	v_add_f64 v[0:1], v[0:1], v[218:219]
	ds_read_b128 v[216:219], v2 offset:1280
	v_fmac_f64_e32 v[220:221], v[202:203], v[128:129]
	s_waitcnt vmcnt(17) lgkmcnt(7)
	v_mul_f64 v[20:21], v[204:205], v[138:139]
	v_add_f64 v[0:1], v[0:1], v[220:221]
	v_fmac_f64_e32 v[20:21], v[206:207], v[136:137]
	s_waitcnt vmcnt(16) lgkmcnt(6)
	v_mul_f64 v[24:25], v[208:209], v[142:143]
	ds_read_b128 v[220:223], v2 offset:1296
	v_add_f64 v[0:1], v[0:1], v[20:21]
	v_fmac_f64_e32 v[24:25], v[210:211], v[140:141]
	v_add_f64 v[0:1], v[0:1], v[24:25]
	s_waitcnt vmcnt(15) lgkmcnt(2)
	v_mul_f64 v[24:25], v[212:213], v[150:151]
	v_fmac_f64_e32 v[24:25], v[214:215], v[148:149]
	s_waitcnt vmcnt(14) lgkmcnt(1)
	v_mul_f64 v[28:29], v[216:217], v[154:155]
	v_add_f64 v[0:1], v[0:1], v[24:25]
	v_fmac_f64_e32 v[28:29], v[218:219], v[152:153]
	v_add_f64 v[0:1], v[0:1], v[28:29]
	s_waitcnt vmcnt(13) lgkmcnt(0)
	v_mul_f64 v[28:29], v[220:221], v[162:163]
	v_fmac_f64_e32 v[28:29], v[222:223], v[160:161]
	s_waitcnt vmcnt(12)
	v_mul_f64 v[32:33], v[224:225], v[166:167]
	v_add_f64 v[0:1], v[0:1], v[28:29]
	v_fmac_f64_e32 v[32:33], v[226:227], v[164:165]
	v_add_f64 v[0:1], v[0:1], v[32:33]
	s_waitcnt vmcnt(11)
	v_mul_f64 v[32:33], v[228:229], v[174:175]
	v_fmac_f64_e32 v[32:33], v[230:231], v[172:173]
	s_waitcnt vmcnt(10)
	v_mul_f64 v[36:37], v[242:243], v[178:179]
	v_mul_f64 v[42:43], v[82:83], v[42:43]
	v_add_f64 v[0:1], v[0:1], v[32:33]
	v_fmac_f64_e32 v[36:37], v[244:245], v[176:177]
	v_fma_f64 v[240:241], v[80:81], v[40:41], -v[42:43]
	ds_read_b128 v[80:83], v2 offset:1376
	s_waitcnt vmcnt(9)
	v_mul_f64 v[40:41], v[246:247], v[186:187]
	v_add_f64 v[0:1], v[0:1], v[36:37]
	v_fmac_f64_e32 v[40:41], v[248:249], v[184:185]
	v_add_f64 v[0:1], v[0:1], v[40:41]
	v_mul_f64 v[40:41], v[102:103], v[46:47]
	v_fma_f64 v[250:251], v[100:101], v[44:45], -v[40:41]
	scratch_load_dwordx4 v[40:43], off, off offset:624
	s_waitcnt vmcnt(9) lgkmcnt(0)
	v_mul_f64 v[44:45], v[80:81], v[6:7]
	v_fmac_f64_e32 v[44:45], v[82:83], v[4:5]
	v_add_f64 v[0:1], v[0:1], v[44:45]
	scratch_load_dwordx4 v[44:47], off, off offset:640
	v_mul_f64 v[50:51], v[106:107], v[50:51]
	v_fma_f64 v[252:253], v[104:105], v[48:49], -v[50:51]
	ds_read_b128 v[100:103], v2 offset:1392
	v_mul_f64 v[48:49], v[110:111], v[54:55]
	v_fma_f64 v[254:255], v[108:109], v[52:53], -v[48:49]
	scratch_load_dwordx4 v[52:55], off, off offset:656
	scratch_load_dwordx4 v[48:51], off, off offset:672
	v_accvgpr_write_b32 a135, v7
	v_accvgpr_write_b32 a134, v6
	v_accvgpr_write_b32 a133, v5
	v_accvgpr_write_b32 a132, v4
	s_waitcnt vmcnt(11)
	v_mov_b64_e32 v[4:5], v[8:9]
	v_mul_f64 v[58:59], v[114:115], v[58:59]
	v_mov_b64_e32 v[6:7], v[10:11]
	v_fma_f64 v[232:233], v[112:113], v[56:57], -v[58:59]
	ds_read_b128 v[104:107], v2 offset:1408
	ds_read_b128 v[108:111], v2 offset:1424
	s_waitcnt lgkmcnt(2)
	v_mul_f64 v[56:57], v[100:101], v[6:7]
	v_fmac_f64_e32 v[56:57], v[102:103], v[4:5]
	v_accvgpr_write_b32 a139, v11
	v_add_f64 v[0:1], v[0:1], v[56:57]
	v_mul_f64 v[56:57], v[118:119], v[62:63]
	v_accvgpr_write_b32 a138, v10
	v_accvgpr_write_b32 a137, v9
	;; [unrolled: 1-line block ×3, first 2 shown]
	v_fma_f64 v[36:37], v[116:117], v[60:61], -v[56:57]
	scratch_load_dwordx4 v[56:59], off, off offset:688
	scratch_load_dwordx4 v[60:63], off, off offset:704
	s_waitcnt vmcnt(12)
	v_mov_b64_e32 v[8:9], v[12:13]
	v_mov_b64_e32 v[10:11], v[14:15]
	s_waitcnt lgkmcnt(1)
	v_mul_f64 v[6:7], v[104:105], v[10:11]
	v_fmac_f64_e32 v[6:7], v[106:107], v[8:9]
	v_add_f64 v[0:1], v[0:1], v[6:7]
	v_mul_f64 v[6:7], v[122:123], v[66:67]
	v_fma_f64 v[32:33], v[120:121], v[64:65], -v[6:7]
	scratch_load_dwordx4 v[64:67], off, off offset:720
	v_mul_f64 v[6:7], v[134:135], v[70:71]
	v_fma_f64 v[28:29], v[132:133], v[68:69], -v[6:7]
	scratch_load_dwordx4 v[68:71], off, off offset:736
	v_mul_f64 v[6:7], v[146:147], v[74:75]
	v_fma_f64 v[24:25], v[144:145], v[72:73], -v[6:7]
	s_waitcnt vmcnt(13)
	v_mov_b64_e32 v[8:9], v[16:17]
	scratch_load_dwordx4 v[72:75], off, off offset:752
	ds_read_b128 v[112:115], v2 offset:1440
	ds_read_b128 v[116:119], v2 offset:1456
	v_mov_b64_e32 v[10:11], v[18:19]
	s_waitcnt lgkmcnt(2)
	v_mul_f64 v[6:7], v[108:109], v[10:11]
	v_fmac_f64_e32 v[6:7], v[110:111], v[8:9]
	v_add_f64 v[0:1], v[0:1], v[6:7]
	v_mul_f64 v[6:7], v[158:159], v[78:79]
	s_waitcnt vmcnt(13)
	v_accvgpr_read_b32 v8, a116
	v_accvgpr_write_b32 a147, v19
	v_fma_f64 v[20:21], v[156:157], v[76:77], -v[6:7]
	v_accvgpr_read_b32 v10, a118
	v_accvgpr_read_b32 v11, a119
	v_mul_f64 v[76:77], v[170:171], v[86:87]
	v_accvgpr_write_b32 a146, v18
	v_accvgpr_write_b32 a145, v17
	;; [unrolled: 1-line block ×3, first 2 shown]
	v_accvgpr_read_b32 v9, a117
	s_waitcnt lgkmcnt(1)
	v_mul_f64 v[6:7], v[112:113], v[10:11]
	v_fma_f64 v[16:17], v[168:169], v[84:85], -v[76:77]
	scratch_load_dwordx4 v[76:79], off, off offset:768
	v_fmac_f64_e32 v[6:7], v[114:115], v[8:9]
	v_accvgpr_write_b32 a143, v15
	v_add_f64 v[0:1], v[0:1], v[6:7]
	v_mul_f64 v[6:7], v[182:183], v[90:91]
	v_mul_f64 v[84:85], v[190:191], v[94:95]
	v_accvgpr_write_b32 a142, v14
	v_accvgpr_write_b32 a141, v13
	;; [unrolled: 1-line block ×3, first 2 shown]
	v_fma_f64 v[18:19], v[180:181], v[88:89], -v[6:7]
	ds_read_b128 v[120:123], v2 offset:1472
	v_fma_f64 v[14:15], v[188:189], v[92:93], -v[84:85]
	scratch_load_dwordx4 v[88:91], off, off offset:784
	scratch_load_dwordx4 v[84:87], off, off offset:800
	v_mul_f64 v[22:23], v[194:195], v[98:99]
	scratch_load_dwordx4 v[92:95], off, off offset:816
	v_fma_f64 v[22:23], v[192:193], v[96:97], -v[22:23]
	v_mul_f64 v[96:97], v[198:199], v[126:127]
	v_fma_f64 v[12:13], v[196:197], v[124:125], -v[96:97]
	scratch_load_dwordx4 v[96:99], off, off offset:832
	s_waitcnt vmcnt(17)
	v_accvgpr_read_b32 v8, a120
	v_accvgpr_read_b32 v10, a122
	;; [unrolled: 1-line block ×4, first 2 shown]
	s_waitcnt lgkmcnt(1)
	v_mul_f64 v[6:7], v[116:117], v[10:11]
	ds_read_b128 v[124:127], v2 offset:1488
	v_fmac_f64_e32 v[6:7], v[118:119], v[8:9]
	s_waitcnt vmcnt(16)
	v_accvgpr_read_b32 v8, a124
	v_mul_f64 v[26:27], v[202:203], v[130:131]
	v_accvgpr_read_b32 v10, a126
	v_accvgpr_read_b32 v11, a127
	v_fma_f64 v[26:27], v[200:201], v[128:129], -v[26:27]
	ds_read_b128 v[128:131], v2 offset:1504
	v_add_f64 v[0:1], v[0:1], v[6:7]
	v_accvgpr_read_b32 v9, a125
	s_waitcnt lgkmcnt(2)
	v_mul_f64 v[6:7], v[120:121], v[10:11]
	v_fmac_f64_e32 v[6:7], v[122:123], v[8:9]
	v_add_f64 v[0:1], v[0:1], v[6:7]
	s_waitcnt vmcnt(15) lgkmcnt(1)
	v_mul_f64 v[6:7], v[124:125], v[236:237]
	s_waitcnt vmcnt(14)
	v_accvgpr_read_b32 v8, a128
	ds_read_b128 v[132:135], v2 offset:1520
	v_fmac_f64_e32 v[6:7], v[126:127], v[234:235]
	v_accvgpr_read_b32 v10, a130
	v_accvgpr_read_b32 v11, a131
	v_add_f64 v[0:1], v[0:1], v[6:7]
	v_accvgpr_read_b32 v9, a129
	s_waitcnt lgkmcnt(1)
	v_mul_f64 v[6:7], v[128:129], v[10:11]
	v_fmac_f64_e32 v[6:7], v[130:131], v[8:9]
	v_add_f64 v[0:1], v[0:1], v[6:7]
	v_mul_f64 v[6:7], v[206:207], v[138:139]
	v_fma_f64 v[10:11], v[204:205], v[136:137], -v[6:7]
	ds_read_b128 v[136:139], v2 offset:1536
	s_waitcnt vmcnt(13) lgkmcnt(1)
	v_mul_f64 v[6:7], v[132:133], v[42:43]
	v_fmac_f64_e32 v[6:7], v[134:135], v[40:41]
	v_add_f64 v[0:1], v[0:1], v[6:7]
	v_mul_f64 v[6:7], v[210:211], v[142:143]
	v_fma_f64 v[30:31], v[208:209], v[140:141], -v[6:7]
	ds_read_b128 v[140:143], v2 offset:1552
	ds_read_b128 v[144:147], v2 offset:1568
	s_waitcnt vmcnt(12) lgkmcnt(2)
	v_mul_f64 v[6:7], v[136:137], v[46:47]
	v_fmac_f64_e32 v[6:7], v[138:139], v[44:45]
	v_add_f64 v[0:1], v[0:1], v[6:7]
	s_waitcnt vmcnt(11) lgkmcnt(1)
	v_mul_f64 v[6:7], v[140:141], v[54:55]
	v_fmac_f64_e32 v[6:7], v[142:143], v[52:53]
	v_add_f64 v[0:1], v[0:1], v[6:7]
	v_mul_f64 v[6:7], v[214:215], v[150:151]
	v_fma_f64 v[8:9], v[212:213], v[148:149], -v[6:7]
	ds_read_b128 v[148:151], v2 offset:1584
	v_mul_f64 v[34:35], v[218:219], v[154:155]
	v_fma_f64 v[34:35], v[216:217], v[152:153], -v[34:35]
	ds_read_b128 v[152:155], v2 offset:1600
	s_waitcnt vmcnt(10) lgkmcnt(2)
	v_mul_f64 v[6:7], v[144:145], v[50:51]
	v_fmac_f64_e32 v[6:7], v[146:147], v[48:49]
	v_add_f64 v[0:1], v[0:1], v[6:7]
	s_waitcnt vmcnt(9) lgkmcnt(1)
	v_mul_f64 v[6:7], v[148:149], v[58:59]
	ds_read_b128 v[156:159], v2 offset:1616
	v_fmac_f64_e32 v[6:7], v[150:151], v[56:57]
	v_add_f64 v[0:1], v[0:1], v[6:7]
	s_waitcnt vmcnt(8) lgkmcnt(1)
	v_mul_f64 v[6:7], v[152:153], v[62:63]
	v_fmac_f64_e32 v[6:7], v[154:155], v[60:61]
	v_add_f64 v[0:1], v[0:1], v[6:7]
	v_mul_f64 v[6:7], v[222:223], v[162:163]
	v_fma_f64 v[4:5], v[220:221], v[160:161], -v[6:7]
	ds_read_b128 v[160:163], v2 offset:1632
	s_waitcnt vmcnt(7) lgkmcnt(1)
	v_mul_f64 v[6:7], v[156:157], v[66:67]
	v_fmac_f64_e32 v[6:7], v[158:159], v[64:65]
	v_add_f64 v[0:1], v[0:1], v[6:7]
	v_mul_f64 v[6:7], v[226:227], v[166:167]
	v_fma_f64 v[6:7], v[224:225], v[164:165], -v[6:7]
	ds_read_b128 v[164:167], v2 offset:1648
	ds_read_b128 v[168:171], v2 offset:1664
	s_waitcnt vmcnt(6) lgkmcnt(2)
	v_mul_f64 v[38:39], v[160:161], v[70:71]
	v_fmac_f64_e32 v[38:39], v[162:163], v[68:69]
	v_add_f64 v[0:1], v[0:1], v[38:39]
	s_waitcnt vmcnt(5) lgkmcnt(1)
	v_mul_f64 v[38:39], v[164:165], v[74:75]
	v_fmac_f64_e32 v[38:39], v[166:167], v[72:73]
	v_add_f64 v[38:39], v[0:1], v[38:39]
	v_mul_f64 v[0:1], v[230:231], v[174:175]
	v_fma_f64 v[0:1], v[228:229], v[172:173], -v[0:1]
	ds_read_b128 v[172:175], v2 offset:1680
	s_waitcnt vmcnt(4) lgkmcnt(1)
	v_mul_f64 v[180:181], v[168:169], v[78:79]
	v_fmac_f64_e32 v[180:181], v[170:171], v[76:77]
	v_mul_f64 v[178:179], v[244:245], v[178:179]
	v_fma_f64 v[238:239], v[242:243], v[176:177], -v[178:179]
	ds_read_b128 v[176:179], v2 offset:1696
	v_add_f64 v[38:39], v[38:39], v[180:181]
	s_waitcnt vmcnt(3) lgkmcnt(1)
	v_mul_f64 v[180:181], v[172:173], v[90:91]
	v_fmac_f64_e32 v[180:181], v[174:175], v[88:89]
	v_add_f64 v[38:39], v[38:39], v[180:181]
	ds_read_b128 v[180:183], v2 offset:1712
	v_mul_f64 v[186:187], v[248:249], v[186:187]
	v_fma_f64 v[242:243], v[246:247], v[184:185], -v[186:187]
	ds_read_b128 v[184:187], v2 offset:1728
	s_waitcnt vmcnt(2) lgkmcnt(2)
	v_mul_f64 v[188:189], v[176:177], v[86:87]
	v_fmac_f64_e32 v[188:189], v[178:179], v[84:85]
	v_add_f64 v[38:39], v[38:39], v[188:189]
	s_waitcnt vmcnt(1) lgkmcnt(1)
	v_mul_f64 v[188:189], v[180:181], v[94:95]
	v_fmac_f64_e32 v[188:189], v[182:183], v[92:93]
	v_add_f64 v[38:39], v[38:39], v[188:189]
	;; [unrolled: 4-line block ×3, first 2 shown]
	scratch_load_dwordx4 v[188:191], off, off offset:848
	ds_read_b128 v[192:195], v2 offset:1744
	ds_read_b128 v[200:203], v2 offset:1760
	;; [unrolled: 1-line block ×5, first 2 shown]
	s_waitcnt vmcnt(0) lgkmcnt(4)
	v_mul_f64 v[196:197], v[192:193], v[190:191]
	v_fmac_f64_e32 v[196:197], v[194:195], v[188:189]
	v_add_f64 v[38:39], v[38:39], v[196:197]
	scratch_load_dwordx4 v[196:199], off, off offset:864
	s_waitcnt vmcnt(0) lgkmcnt(3)
	v_mul_f64 v[204:205], v[200:201], v[198:199]
	v_fmac_f64_e32 v[204:205], v[202:203], v[196:197]
	v_add_f64 v[38:39], v[38:39], v[204:205]
	scratch_load_dwordx4 v[204:207], off, off offset:880
	;; [unrolled: 5-line block ×4, first 2 shown]
	s_waitcnt vmcnt(0) lgkmcnt(0)
	v_mul_f64 v[228:229], v[224:225], v[222:223]
	v_fmac_f64_e32 v[228:229], v[226:227], v[220:221]
	v_add_f64 v[246:247], v[38:39], v[228:229]
	v_add_f64 v[38:39], v[240:241], 0
	;; [unrolled: 1-line block ×8, first 2 shown]
	scratch_load_dwordx4 v[228:231], off, off offset:64
	v_add_f64 v[28:29], v[32:33], v[28:29]
	v_add_f64 v[24:25], v[28:29], v[24:25]
	;; [unrolled: 1-line block ×15, first 2 shown]
	v_accvgpr_read_b32 v6, a132
	v_accvgpr_read_b32 v8, a134
	;; [unrolled: 1-line block ×3, first 2 shown]
	v_add_f64 v[0:1], v[4:5], v[0:1]
	v_accvgpr_read_b32 v7, a133
	v_mul_f64 v[4:5], v[82:83], v[8:9]
	v_add_f64 v[0:1], v[0:1], v[238:239]
	v_fma_f64 v[4:5], v[80:81], v[6:7], -v[4:5]
	v_accvgpr_read_b32 v6, a136
	v_add_f64 v[0:1], v[0:1], v[242:243]
	v_accvgpr_read_b32 v8, a138
	v_accvgpr_read_b32 v9, a139
	v_add_f64 v[0:1], v[0:1], v[4:5]
	v_accvgpr_read_b32 v7, a137
	v_mul_f64 v[4:5], v[102:103], v[8:9]
	v_fma_f64 v[4:5], v[100:101], v[6:7], -v[4:5]
	v_accvgpr_read_b32 v6, a140
	v_accvgpr_read_b32 v8, a142
	v_accvgpr_read_b32 v9, a143
	v_add_f64 v[0:1], v[0:1], v[4:5]
	v_accvgpr_read_b32 v7, a141
	v_mul_f64 v[4:5], v[106:107], v[8:9]
	v_fma_f64 v[4:5], v[104:105], v[6:7], -v[4:5]
	v_accvgpr_read_b32 v6, a144
	;; [unrolled: 7-line block ×5, first 2 shown]
	v_accvgpr_read_b32 v8, a126
	v_accvgpr_read_b32 v9, a127
	v_add_f64 v[0:1], v[0:1], v[4:5]
	v_accvgpr_read_b32 v7, a125
	v_mul_f64 v[4:5], v[122:123], v[8:9]
	v_fma_f64 v[4:5], v[120:121], v[6:7], -v[4:5]
	v_add_f64 v[0:1], v[0:1], v[4:5]
	v_mul_f64 v[4:5], v[126:127], v[236:237]
	v_accvgpr_read_b32 v6, a128
	v_fma_f64 v[4:5], v[124:125], v[234:235], -v[4:5]
	v_accvgpr_read_b32 v8, a130
	v_accvgpr_read_b32 v9, a131
	v_add_f64 v[0:1], v[0:1], v[4:5]
	v_accvgpr_read_b32 v7, a129
	v_mul_f64 v[4:5], v[130:131], v[8:9]
	v_fma_f64 v[4:5], v[128:129], v[6:7], -v[4:5]
	v_add_f64 v[0:1], v[0:1], v[4:5]
	v_mul_f64 v[4:5], v[134:135], v[42:43]
	v_fma_f64 v[4:5], v[132:133], v[40:41], -v[4:5]
	v_add_f64 v[0:1], v[0:1], v[4:5]
	;; [unrolled: 3-line block ×20, first 2 shown]
	s_waitcnt vmcnt(0)
	v_add_f64 v[4:5], v[228:229], -v[0:1]
	v_accvgpr_read_b32 v0, a114
	v_add_f64 v[6:7], v[230:231], -v[246:247]
	v_cmp_lt_u32_e32 vcc, 2, v0
	scratch_store_dwordx4 off, v[4:7], off offset:64
	s_and_saveexec_b64 s[0:1], vcc
	s_cbranch_execz .LBB120_351
; %bb.350:
	scratch_load_dwordx4 v[6:9], off, s71
	v_mov_b32_e32 v3, v2
	v_mov_b32_e32 v4, v2
	;; [unrolled: 1-line block ×3, first 2 shown]
	v_accvgpr_read_b32 v0, a115
	scratch_store_dwordx4 off, v[2:5], off offset:48
	s_waitcnt vmcnt(1)
	ds_write_b128 v0, v[6:9]
.LBB120_351:
	s_or_b64 exec, exec, s[0:1]
	s_waitcnt lgkmcnt(0)
	; wave barrier
	scratch_load_dwordx4 v[40:43], off, off offset:64
	scratch_load_dwordx4 v[44:47], off, off offset:80
	;; [unrolled: 1-line block ×18, first 2 shown]
	ds_read_b128 v[80:83], v2 offset:960
	ds_read_b128 v[204:207], v2 offset:976
	;; [unrolled: 1-line block ×6, first 2 shown]
	scratch_load_dwordx4 v[148:151], off, off offset:352
	ds_read_b128 v[180:183], v2 offset:1056
	ds_read_b128 v[112:115], v2 offset:1072
	scratch_load_dwordx4 v[152:155], off, off offset:368
	ds_read_b128 v[208:211], v2 offset:1088
	ds_read_b128 v[200:203], v2 offset:1104
	;; [unrolled: 1-line block ×5, first 2 shown]
	scratch_load_dwordx4 v[160:163], off, off offset:384
	ds_read_b128 v[196:199], v2 offset:1168
	ds_read_b128 v[192:195], v2 offset:1184
	;; [unrolled: 1-line block ×4, first 2 shown]
	scratch_load_dwordx4 v[164:167], off, off offset:400
	ds_read_b128 v[168:171], v2 offset:1232
	scratch_load_dwordx4 v[172:175], off, off offset:416
	scratch_load_dwordx4 v[176:179], off, off offset:432
	;; [unrolled: 1-line block ×7, first 2 shown]
	ds_read_b128 v[228:231], v2 offset:1312
	ds_read_b128 v[232:235], v2 offset:1328
	scratch_load_dwordx4 a[120:123], off, off offset:560
	scratch_load_dwordx4 a[124:127], off, off offset:576
	ds_read_b128 v[236:239], v2 offset:1344
	scratch_load_dwordx4 a[116:119], off, off offset:544
	ds_read_b128 v[224:227], v2 offset:1296
	s_waitcnt vmcnt(31) lgkmcnt(14)
	v_mul_f64 v[0:1], v[80:81], v[42:43]
	s_waitcnt vmcnt(30)
	v_mul_f64 v[20:21], v[204:205], v[46:47]
	v_fmac_f64_e32 v[0:1], v[82:83], v[40:41]
	s_waitcnt vmcnt(29)
	v_mul_f64 v[22:23], v[100:101], v[50:51]
	v_fmac_f64_e32 v[20:21], v[206:207], v[44:45]
	v_add_f64 v[0:1], v[0:1], 0
	v_fmac_f64_e32 v[22:23], v[102:103], v[48:49]
	v_add_f64 v[0:1], v[0:1], v[20:21]
	v_add_f64 v[0:1], v[0:1], v[22:23]
	scratch_load_dwordx4 v[20:23], off, off offset:528
	s_waitcnt vmcnt(29)
	v_mul_f64 v[24:25], v[116:117], v[54:55]
	s_waitcnt vmcnt(28)
	v_mul_f64 v[26:27], v[104:105], v[58:59]
	v_fmac_f64_e32 v[24:25], v[118:119], v[52:53]
	s_waitcnt vmcnt(27)
	v_mul_f64 v[28:29], v[108:109], v[62:63]
	v_fmac_f64_e32 v[26:27], v[106:107], v[56:57]
	v_add_f64 v[0:1], v[0:1], v[24:25]
	s_waitcnt vmcnt(26)
	v_mul_f64 v[30:31], v[180:181], v[66:67]
	v_fmac_f64_e32 v[28:29], v[110:111], v[60:61]
	v_add_f64 v[0:1], v[0:1], v[26:27]
	;; [unrolled: 4-line block ×3, first 2 shown]
	s_waitcnt vmcnt(24) lgkmcnt(13)
	v_mul_f64 v[34:35], v[208:209], v[74:75]
	v_fmac_f64_e32 v[32:33], v[114:115], v[68:69]
	v_add_f64 v[0:1], v[0:1], v[30:31]
	s_waitcnt vmcnt(23) lgkmcnt(12)
	v_mul_f64 v[36:37], v[200:201], v[78:79]
	v_fmac_f64_e32 v[34:35], v[210:211], v[72:73]
	v_add_f64 v[0:1], v[0:1], v[32:33]
	;; [unrolled: 4-line block ×8, first 2 shown]
	ds_read_b128 v[212:215], v2 offset:1248
	s_waitcnt vmcnt(16) lgkmcnt(6)
	v_mul_f64 v[222:223], v[144:145], v[138:139]
	v_fmac_f64_e32 v[220:221], v[158:159], v[128:129]
	v_add_f64 v[0:1], v[0:1], v[218:219]
	ds_read_b128 v[216:219], v2 offset:1264
	v_add_f64 v[0:1], v[0:1], v[220:221]
	v_fmac_f64_e32 v[222:223], v[146:147], v[136:137]
	v_add_f64 v[0:1], v[0:1], v[222:223]
	s_waitcnt vmcnt(15) lgkmcnt(6)
	v_mul_f64 v[24:25], v[168:169], v[142:143]
	ds_read_b128 v[220:223], v2 offset:1280
	v_fmac_f64_e32 v[24:25], v[170:171], v[140:141]
	v_add_f64 v[0:1], v[0:1], v[24:25]
	s_waitcnt vmcnt(14) lgkmcnt(2)
	v_mul_f64 v[24:25], v[212:213], v[150:151]
	v_fmac_f64_e32 v[24:25], v[214:215], v[148:149]
	s_waitcnt vmcnt(13) lgkmcnt(1)
	v_mul_f64 v[28:29], v[216:217], v[154:155]
	v_add_f64 v[0:1], v[0:1], v[24:25]
	v_fmac_f64_e32 v[28:29], v[218:219], v[152:153]
	v_add_f64 v[0:1], v[0:1], v[28:29]
	s_waitcnt vmcnt(12) lgkmcnt(0)
	v_mul_f64 v[28:29], v[220:221], v[162:163]
	v_fmac_f64_e32 v[28:29], v[222:223], v[160:161]
	s_waitcnt vmcnt(11)
	v_mul_f64 v[32:33], v[224:225], v[166:167]
	v_add_f64 v[0:1], v[0:1], v[28:29]
	v_fmac_f64_e32 v[32:33], v[226:227], v[164:165]
	v_add_f64 v[0:1], v[0:1], v[32:33]
	s_waitcnt vmcnt(10)
	v_mul_f64 v[32:33], v[228:229], v[174:175]
	v_fmac_f64_e32 v[32:33], v[230:231], v[172:173]
	s_waitcnt vmcnt(9)
	v_mul_f64 v[36:37], v[232:233], v[178:179]
	v_add_f64 v[0:1], v[0:1], v[32:33]
	v_fmac_f64_e32 v[36:37], v[234:235], v[176:177]
	v_mul_f64 v[42:43], v[82:83], v[42:43]
	v_add_f64 v[0:1], v[0:1], v[36:37]
	scratch_load_dwordx4 v[36:39], off, off offset:592
	v_fma_f64 v[240:241], v[80:81], v[40:41], -v[42:43]
	ds_read_b128 v[80:83], v2 offset:1360
	s_waitcnt vmcnt(9)
	v_mul_f64 v[40:41], v[236:237], v[186:187]
	v_fmac_f64_e32 v[40:41], v[238:239], v[184:185]
	v_add_f64 v[0:1], v[0:1], v[40:41]
	v_mul_f64 v[40:41], v[206:207], v[46:47]
	v_fma_f64 v[246:247], v[204:205], v[44:45], -v[40:41]
	scratch_load_dwordx4 v[40:43], off, off offset:608
	s_waitcnt vmcnt(9) lgkmcnt(0)
	v_mul_f64 v[44:45], v[80:81], v[6:7]
	v_fmac_f64_e32 v[44:45], v[82:83], v[4:5]
	v_add_f64 v[0:1], v[0:1], v[44:45]
	scratch_load_dwordx4 v[44:47], off, off offset:624
	v_mul_f64 v[50:51], v[102:103], v[50:51]
	v_fma_f64 v[248:249], v[100:101], v[48:49], -v[50:51]
	ds_read_b128 v[100:103], v2 offset:1376
	v_mul_f64 v[48:49], v[118:119], v[54:55]
	v_fma_f64 v[250:251], v[116:117], v[52:53], -v[48:49]
	scratch_load_dwordx4 v[52:55], off, off offset:640
	scratch_load_dwordx4 v[48:51], off, off offset:656
	v_accvgpr_write_b32 a131, v7
	v_accvgpr_write_b32 a130, v6
	;; [unrolled: 1-line block ×4, first 2 shown]
	s_waitcnt vmcnt(11)
	v_mov_b64_e32 v[4:5], v[8:9]
	v_mul_f64 v[58:59], v[106:107], v[58:59]
	v_mov_b64_e32 v[6:7], v[10:11]
	v_fma_f64 v[252:253], v[104:105], v[56:57], -v[58:59]
	s_waitcnt lgkmcnt(0)
	v_mul_f64 v[56:57], v[100:101], v[6:7]
	ds_read_b128 v[104:107], v2 offset:1392
	v_fmac_f64_e32 v[56:57], v[102:103], v[4:5]
	v_add_f64 v[0:1], v[0:1], v[56:57]
	v_mul_f64 v[56:57], v[110:111], v[62:63]
	v_fma_f64 v[254:255], v[108:109], v[60:61], -v[56:57]
	scratch_load_dwordx4 v[56:59], off, off offset:672
	scratch_load_dwordx4 v[60:63], off, off offset:688
	s_waitcnt vmcnt(12)
	v_mov_b64_e32 v[4:5], v[12:13]
	v_mul_f64 v[66:67], v[182:183], v[66:67]
	v_mov_b64_e32 v[6:7], v[14:15]
	v_fma_f64 v[242:243], v[180:181], v[64:65], -v[66:67]
	v_mul_f64 v[64:65], v[114:115], v[70:71]
	v_fma_f64 v[32:33], v[112:113], v[68:69], -v[64:65]
	ds_read_b128 v[112:115], v2 offset:1424
	s_waitcnt lgkmcnt(1)
	v_mul_f64 v[108:109], v[104:105], v[6:7]
	v_fmac_f64_e32 v[108:109], v[106:107], v[4:5]
	v_add_f64 v[0:1], v[0:1], v[108:109]
	ds_read_b128 v[108:111], v2 offset:1408
	ds_read_b128 v[116:119], v2 offset:1440
	scratch_load_dwordx4 v[64:67], off, off offset:704
	scratch_load_dwordx4 v[68:71], off, off offset:720
	v_mul_f64 v[6:7], v[210:211], v[74:75]
	v_fma_f64 v[28:29], v[208:209], v[72:73], -v[6:7]
	s_waitcnt vmcnt(13)
	v_mov_b64_e32 v[4:5], v[16:17]
	v_mov_b64_e32 v[6:7], v[18:19]
	s_waitcnt lgkmcnt(1)
	v_mul_f64 v[72:73], v[108:109], v[6:7]
	v_fmac_f64_e32 v[72:73], v[110:111], v[4:5]
	v_add_f64 v[0:1], v[0:1], v[72:73]
	v_mul_f64 v[72:73], v[202:203], v[78:79]
	v_fma_f64 v[24:25], v[200:201], v[76:77], -v[72:73]
	scratch_load_dwordx4 v[72:75], off, off offset:736
	s_waitcnt vmcnt(10)
	v_mov_b64_e32 v[4:5], v[20:21]
	v_accvgpr_write_b32 a135, v11
	v_mov_b64_e32 v[6:7], v[22:23]
	v_mul_f64 v[76:77], v[190:191], v[86:87]
	v_accvgpr_write_b32 a134, v10
	v_accvgpr_write_b32 a133, v9
	v_accvgpr_write_b32 a132, v8
	v_mul_f64 v[10:11], v[112:113], v[6:7]
	v_fma_f64 v[244:245], v[188:189], v[84:85], -v[76:77]
	scratch_load_dwordx4 v[76:79], off, off offset:752
	v_fmac_f64_e32 v[10:11], v[114:115], v[4:5]
	v_accvgpr_write_b32 a147, v23
	v_add_f64 v[0:1], v[0:1], v[10:11]
	v_mul_f64 v[10:11], v[122:123], v[90:91]
	v_accvgpr_write_b32 a146, v22
	v_accvgpr_write_b32 a145, v21
	;; [unrolled: 1-line block ×3, first 2 shown]
	v_fma_f64 v[20:21], v[120:121], v[88:89], -v[10:11]
	ds_read_b128 v[120:123], v2 offset:1456
	scratch_load_dwordx4 v[88:91], off, off offset:768
	scratch_load_dwordx4 v[84:87], off, off offset:784
	v_accvgpr_write_b32 a139, v15
	v_accvgpr_write_b32 a138, v14
	;; [unrolled: 1-line block ×5, first 2 shown]
	v_mul_f64 v[14:15], v[134:135], v[94:95]
	v_accvgpr_write_b32 a142, v18
	v_accvgpr_write_b32 a141, v17
	v_accvgpr_write_b32 a140, v16
	v_fma_f64 v[16:17], v[132:133], v[92:93], -v[14:15]
	v_mul_f64 v[92:93], v[198:199], v[98:99]
	v_fma_f64 v[14:15], v[196:197], v[96:97], -v[92:93]
	scratch_load_dwordx4 v[92:95], off, off offset:800
	v_mul_f64 v[96:97], v[158:159], v[130:131]
	v_fma_f64 v[12:13], v[156:157], v[128:129], -v[96:97]
	scratch_load_dwordx4 v[96:99], off, off offset:816
	v_accvgpr_read_b32 v4, a116
	v_accvgpr_read_b32 v6, a118
	;; [unrolled: 1-line block ×4, first 2 shown]
	s_waitcnt lgkmcnt(1)
	v_mul_f64 v[10:11], v[116:117], v[6:7]
	v_mul_f64 v[18:19], v[194:195], v[126:127]
	v_fmac_f64_e32 v[10:11], v[118:119], v[4:5]
	v_accvgpr_read_b32 v4, a120
	v_fma_f64 v[18:19], v[192:193], v[124:125], -v[18:19]
	ds_read_b128 v[124:127], v2 offset:1472
	ds_read_b128 v[128:131], v2 offset:1488
	v_accvgpr_read_b32 v6, a122
	v_accvgpr_read_b32 v7, a123
	v_add_f64 v[0:1], v[0:1], v[10:11]
	v_accvgpr_read_b32 v5, a121
	s_waitcnt lgkmcnt(2)
	v_mul_f64 v[10:11], v[120:121], v[6:7]
	v_fmac_f64_e32 v[10:11], v[122:123], v[4:5]
	v_accvgpr_read_b32 v4, a124
	v_accvgpr_read_b32 v6, a126
	v_accvgpr_read_b32 v7, a127
	v_add_f64 v[0:1], v[0:1], v[10:11]
	v_accvgpr_read_b32 v5, a125
	s_waitcnt lgkmcnt(1)
	v_mul_f64 v[10:11], v[124:125], v[6:7]
	ds_read_b128 v[132:135], v2 offset:1504
	v_fmac_f64_e32 v[10:11], v[126:127], v[4:5]
	v_add_f64 v[0:1], v[0:1], v[10:11]
	s_waitcnt vmcnt(14) lgkmcnt(1)
	v_mul_f64 v[10:11], v[128:129], v[38:39]
	v_fmac_f64_e32 v[10:11], v[130:131], v[36:37]
	v_add_f64 v[0:1], v[0:1], v[10:11]
	v_mul_f64 v[10:11], v[146:147], v[138:139]
	v_fma_f64 v[22:23], v[144:145], v[136:137], -v[10:11]
	ds_read_b128 v[136:139], v2 offset:1520
	s_waitcnt vmcnt(13) lgkmcnt(1)
	v_mul_f64 v[10:11], v[132:133], v[42:43]
	v_fmac_f64_e32 v[10:11], v[134:135], v[40:41]
	v_add_f64 v[0:1], v[0:1], v[10:11]
	v_mul_f64 v[10:11], v[170:171], v[142:143]
	v_fma_f64 v[8:9], v[168:169], v[140:141], -v[10:11]
	ds_read_b128 v[140:143], v2 offset:1536
	ds_read_b128 v[144:147], v2 offset:1552
	s_waitcnt vmcnt(12) lgkmcnt(2)
	v_mul_f64 v[10:11], v[136:137], v[46:47]
	v_fmac_f64_e32 v[10:11], v[138:139], v[44:45]
	v_add_f64 v[0:1], v[0:1], v[10:11]
	s_waitcnt vmcnt(11) lgkmcnt(1)
	v_mul_f64 v[10:11], v[140:141], v[54:55]
	v_fmac_f64_e32 v[10:11], v[142:143], v[52:53]
	v_add_f64 v[0:1], v[0:1], v[10:11]
	v_mul_f64 v[10:11], v[214:215], v[150:151]
	v_fma_f64 v[26:27], v[212:213], v[148:149], -v[10:11]
	ds_read_b128 v[148:151], v2 offset:1568
	v_mul_f64 v[154:155], v[218:219], v[154:155]
	v_fma_f64 v[6:7], v[216:217], v[152:153], -v[154:155]
	ds_read_b128 v[152:155], v2 offset:1584
	s_waitcnt vmcnt(10) lgkmcnt(2)
	v_mul_f64 v[10:11], v[144:145], v[50:51]
	v_fmac_f64_e32 v[10:11], v[146:147], v[48:49]
	v_add_f64 v[0:1], v[0:1], v[10:11]
	s_waitcnt vmcnt(9) lgkmcnt(1)
	v_mul_f64 v[10:11], v[148:149], v[58:59]
	ds_read_b128 v[156:159], v2 offset:1600
	v_fmac_f64_e32 v[10:11], v[150:151], v[56:57]
	v_add_f64 v[0:1], v[0:1], v[10:11]
	s_waitcnt vmcnt(8) lgkmcnt(1)
	v_mul_f64 v[10:11], v[152:153], v[62:63]
	v_fmac_f64_e32 v[10:11], v[154:155], v[60:61]
	v_add_f64 v[0:1], v[0:1], v[10:11]
	v_mul_f64 v[10:11], v[222:223], v[162:163]
	v_fma_f64 v[30:31], v[220:221], v[160:161], -v[10:11]
	ds_read_b128 v[160:163], v2 offset:1616
	s_waitcnt vmcnt(7) lgkmcnt(1)
	v_mul_f64 v[10:11], v[156:157], v[66:67]
	v_fmac_f64_e32 v[10:11], v[158:159], v[64:65]
	v_add_f64 v[0:1], v[0:1], v[10:11]
	v_mul_f64 v[10:11], v[226:227], v[166:167]
	v_fma_f64 v[4:5], v[224:225], v[164:165], -v[10:11]
	ds_read_b128 v[164:167], v2 offset:1632
	ds_read_b128 v[168:171], v2 offset:1648
	s_waitcnt vmcnt(6) lgkmcnt(2)
	v_mul_f64 v[10:11], v[160:161], v[70:71]
	v_fmac_f64_e32 v[10:11], v[162:163], v[68:69]
	v_add_f64 v[0:1], v[0:1], v[10:11]
	s_waitcnt vmcnt(5) lgkmcnt(1)
	v_mul_f64 v[10:11], v[164:165], v[74:75]
	v_fmac_f64_e32 v[10:11], v[166:167], v[72:73]
	v_add_f64 v[10:11], v[0:1], v[10:11]
	v_mul_f64 v[0:1], v[230:231], v[174:175]
	v_fma_f64 v[34:35], v[228:229], v[172:173], -v[0:1]
	ds_read_b128 v[172:175], v2 offset:1664
	s_waitcnt vmcnt(4) lgkmcnt(1)
	v_mul_f64 v[180:181], v[168:169], v[78:79]
	v_fmac_f64_e32 v[180:181], v[170:171], v[76:77]
	v_mul_f64 v[0:1], v[234:235], v[178:179]
	v_fma_f64 v[0:1], v[232:233], v[176:177], -v[0:1]
	ds_read_b128 v[176:179], v2 offset:1680
	v_add_f64 v[10:11], v[10:11], v[180:181]
	s_waitcnt vmcnt(3) lgkmcnt(1)
	v_mul_f64 v[180:181], v[172:173], v[90:91]
	v_fmac_f64_e32 v[180:181], v[174:175], v[88:89]
	v_add_f64 v[188:189], v[10:11], v[180:181]
	ds_read_b128 v[180:183], v2 offset:1696
	v_mul_f64 v[10:11], v[238:239], v[186:187]
	v_fma_f64 v[10:11], v[236:237], v[184:185], -v[10:11]
	ds_read_b128 v[184:187], v2 offset:1712
	s_waitcnt vmcnt(2) lgkmcnt(2)
	v_mul_f64 v[190:191], v[176:177], v[86:87]
	v_fmac_f64_e32 v[190:191], v[178:179], v[84:85]
	v_add_f64 v[188:189], v[188:189], v[190:191]
	s_waitcnt vmcnt(1) lgkmcnt(1)
	v_mul_f64 v[190:191], v[180:181], v[94:95]
	v_fmac_f64_e32 v[190:191], v[182:183], v[92:93]
	v_add_f64 v[188:189], v[188:189], v[190:191]
	;; [unrolled: 4-line block ×3, first 2 shown]
	scratch_load_dwordx4 v[188:191], off, off offset:832
	scratch_load_dwordx4 v[232:235], off, off offset:912
	ds_read_b128 v[192:195], v2 offset:1728
	ds_read_b128 v[200:203], v2 offset:1744
	;; [unrolled: 1-line block ×5, first 2 shown]
	s_waitcnt vmcnt(1) lgkmcnt(4)
	v_mul_f64 v[198:199], v[192:193], v[190:191]
	v_fmac_f64_e32 v[198:199], v[194:195], v[188:189]
	v_add_f64 v[204:205], v[196:197], v[198:199]
	scratch_load_dwordx4 v[196:199], off, off offset:848
	s_waitcnt vmcnt(0) lgkmcnt(3)
	v_mul_f64 v[206:207], v[200:201], v[198:199]
	v_fmac_f64_e32 v[206:207], v[202:203], v[196:197]
	v_add_f64 v[212:213], v[204:205], v[206:207]
	scratch_load_dwordx4 v[204:207], off, off offset:864
	;; [unrolled: 5-line block ×4, first 2 shown]
	s_waitcnt vmcnt(0) lgkmcnt(0)
	v_mul_f64 v[230:231], v[224:225], v[222:223]
	v_fmac_f64_e32 v[230:231], v[226:227], v[220:221]
	v_add_f64 v[236:237], v[228:229], v[230:231]
	ds_read_b128 v[228:231], v2 offset:1808
	s_waitcnt lgkmcnt(0)
	v_mul_f64 v[2:3], v[228:229], v[234:235]
	v_fmac_f64_e32 v[2:3], v[230:231], v[232:233]
	v_add_f64 v[2:3], v[236:237], v[2:3]
	v_add_f64 v[236:237], v[240:241], 0
	;; [unrolled: 1-line block ×11, first 2 shown]
	scratch_load_dwordx4 v[236:239], off, off offset:48
	v_add_f64 v[24:25], v[24:25], v[244:245]
	v_add_f64 v[20:21], v[24:25], v[20:21]
	;; [unrolled: 1-line block ×12, first 2 shown]
	v_accvgpr_read_b32 v6, a128
	v_accvgpr_read_b32 v8, a130
	v_accvgpr_read_b32 v9, a131
	v_add_f64 v[246:247], v[4:5], v[34:35]
	v_accvgpr_read_b32 v7, a129
	v_mul_f64 v[4:5], v[82:83], v[8:9]
	v_add_f64 v[0:1], v[246:247], v[0:1]
	v_fma_f64 v[4:5], v[80:81], v[6:7], -v[4:5]
	v_accvgpr_read_b32 v6, a132
	v_add_f64 v[0:1], v[0:1], v[10:11]
	v_accvgpr_read_b32 v8, a134
	v_accvgpr_read_b32 v9, a135
	v_add_f64 v[0:1], v[0:1], v[4:5]
	v_accvgpr_read_b32 v7, a133
	v_mul_f64 v[4:5], v[102:103], v[8:9]
	v_fma_f64 v[4:5], v[100:101], v[6:7], -v[4:5]
	v_accvgpr_read_b32 v6, a136
	v_accvgpr_read_b32 v8, a138
	v_accvgpr_read_b32 v9, a139
	v_add_f64 v[0:1], v[0:1], v[4:5]
	v_accvgpr_read_b32 v7, a137
	v_mul_f64 v[4:5], v[106:107], v[8:9]
	v_fma_f64 v[4:5], v[104:105], v[6:7], -v[4:5]
	v_accvgpr_read_b32 v6, a140
	;; [unrolled: 7-line block ×6, first 2 shown]
	v_accvgpr_read_b32 v8, a126
	v_accvgpr_read_b32 v9, a127
	v_add_f64 v[0:1], v[0:1], v[4:5]
	v_accvgpr_read_b32 v7, a125
	v_mul_f64 v[4:5], v[126:127], v[8:9]
	v_fma_f64 v[4:5], v[124:125], v[6:7], -v[4:5]
	v_add_f64 v[0:1], v[0:1], v[4:5]
	v_mul_f64 v[4:5], v[130:131], v[38:39]
	v_fma_f64 v[4:5], v[128:129], v[36:37], -v[4:5]
	v_add_f64 v[0:1], v[0:1], v[4:5]
	;; [unrolled: 3-line block ×22, first 2 shown]
	s_waitcnt vmcnt(0)
	v_add_f64 v[4:5], v[236:237], -v[0:1]
	v_accvgpr_read_b32 v0, a114
	v_add_f64 v[6:7], v[238:239], -v[2:3]
	v_cmp_lt_u32_e32 vcc, 1, v0
	scratch_store_dwordx4 off, v[4:7], off offset:48
	s_and_saveexec_b64 s[0:1], vcc
	s_cbranch_execz .LBB120_353
; %bb.352:
	scratch_load_dwordx4 v[2:5], off, s72
	v_mov_b32_e32 v6, 0
	v_mov_b32_e32 v7, v6
	;; [unrolled: 1-line block ×4, first 2 shown]
	v_accvgpr_read_b32 v0, a115
	scratch_store_dwordx4 off, v[6:9], off offset:32
	s_waitcnt vmcnt(1)
	ds_write_b128 v0, v[2:5]
.LBB120_353:
	s_or_b64 exec, exec, s[0:1]
	s_waitcnt lgkmcnt(0)
	; wave barrier
	scratch_load_dwordx4 v[16:19], off, off offset:48
	scratch_load_dwordx4 v[20:23], off, off offset:64
	;; [unrolled: 1-line block ×30, first 2 shown]
	v_mov_b32_e32 v2, 0
	ds_read_b128 v[84:87], v2 offset:944
	ds_read_b128 v[96:99], v2 offset:960
	;; [unrolled: 1-line block ×17, first 2 shown]
	scratch_load_dwordx4 a[116:119], off, off offset:528
	scratch_load_dwordx4 a[120:123], off, off offset:544
	;; [unrolled: 1-line block ×4, first 2 shown]
	ds_read_b128 v[228:231], v2 offset:1312
	ds_read_b128 v[236:239], v2 offset:1328
	scratch_load_dwordx4 a[132:135], off, off offset:592
	ds_read_b128 v[242:245], v2 offset:1344
	ds_read_b128 v[246:249], v2 offset:1360
	;; [unrolled: 1-line block ×3, first 2 shown]
	s_waitcnt vmcnt(34) lgkmcnt(14)
	v_mul_f64 v[0:1], v[84:85], v[18:19]
	s_waitcnt vmcnt(33)
	v_mul_f64 v[40:41], v[96:97], v[22:23]
	v_fmac_f64_e32 v[0:1], v[86:87], v[16:17]
	s_waitcnt vmcnt(32)
	v_mul_f64 v[42:43], v[104:105], v[26:27]
	v_fmac_f64_e32 v[40:41], v[98:99], v[20:21]
	v_add_f64 v[0:1], v[0:1], 0
	s_waitcnt vmcnt(31)
	v_mul_f64 v[48:49], v[108:109], v[30:31]
	v_fmac_f64_e32 v[42:43], v[106:107], v[24:25]
	v_add_f64 v[0:1], v[0:1], v[40:41]
	;; [unrolled: 4-line block ×6, first 2 shown]
	s_waitcnt vmcnt(26) lgkmcnt(13)
	v_mul_f64 v[206:207], v[140:141], v[62:63]
	v_fmac_f64_e32 v[204:205], v[126:127], v[52:53]
	v_add_f64 v[0:1], v[0:1], v[58:59]
	s_waitcnt vmcnt(25) lgkmcnt(12)
	v_mul_f64 v[208:209], v[152:153], v[66:67]
	v_fmac_f64_e32 v[206:207], v[142:143], v[60:61]
	v_add_f64 v[0:1], v[0:1], v[204:205]
	;; [unrolled: 4-line block ×6, first 2 shown]
	ds_read_b128 v[204:207], v2 offset:1216
	ds_read_b128 v[208:211], v2 offset:1232
	s_waitcnt vmcnt(20) lgkmcnt(9)
	v_mul_f64 v[218:219], v[192:193], v[90:91]
	v_fmac_f64_e32 v[216:217], v[190:191], v[80:81]
	v_add_f64 v[0:1], v[0:1], v[214:215]
	s_waitcnt vmcnt(19) lgkmcnt(8)
	v_mul_f64 v[220:221], v[196:197], v[94:95]
	v_fmac_f64_e32 v[218:219], v[194:195], v[88:89]
	v_add_f64 v[0:1], v[0:1], v[216:217]
	v_fmac_f64_e32 v[220:221], v[198:199], v[92:93]
	v_add_f64 v[0:1], v[0:1], v[218:219]
	s_waitcnt vmcnt(18) lgkmcnt(7)
	v_mul_f64 v[40:41], v[200:201], v[102:103]
	ds_read_b128 v[212:215], v2 offset:1248
	ds_read_b128 v[216:219], v2 offset:1264
	v_add_f64 v[0:1], v[0:1], v[220:221]
	v_fmac_f64_e32 v[40:41], v[202:203], v[100:101]
	v_add_f64 v[0:1], v[0:1], v[40:41]
	s_waitcnt vmcnt(17) lgkmcnt(3)
	v_mul_f64 v[40:41], v[204:205], v[130:131]
	v_fmac_f64_e32 v[40:41], v[206:207], v[128:129]
	ds_read_b128 v[220:223], v2 offset:1280
	v_add_f64 v[0:1], v[0:1], v[40:41]
	s_waitcnt vmcnt(16) lgkmcnt(3)
	v_mul_f64 v[40:41], v[208:209], v[134:135]
	v_fmac_f64_e32 v[40:41], v[210:211], v[132:133]
	s_waitcnt vmcnt(15) lgkmcnt(2)
	v_mul_f64 v[48:49], v[212:213], v[138:139]
	v_add_f64 v[0:1], v[0:1], v[40:41]
	v_fmac_f64_e32 v[48:49], v[214:215], v[136:137]
	s_waitcnt vmcnt(14) lgkmcnt(1)
	v_mul_f64 v[56:57], v[216:217], v[146:147]
	v_add_f64 v[0:1], v[0:1], v[48:49]
	v_fmac_f64_e32 v[56:57], v[218:219], v[144:145]
	v_add_f64 v[0:1], v[0:1], v[56:57]
	s_waitcnt vmcnt(13) lgkmcnt(0)
	v_mul_f64 v[56:57], v[220:221], v[150:151]
	v_fmac_f64_e32 v[56:57], v[222:223], v[148:149]
	v_add_f64 v[0:1], v[0:1], v[56:57]
	s_waitcnt vmcnt(12)
	v_mul_f64 v[56:57], v[224:225], v[158:159]
	v_fmac_f64_e32 v[56:57], v[226:227], v[156:157]
	s_waitcnt vmcnt(11)
	v_mul_f64 v[232:233], v[228:229], v[162:163]
	v_add_f64 v[0:1], v[0:1], v[56:57]
	v_fmac_f64_e32 v[232:233], v[230:231], v[160:161]
	v_add_f64 v[0:1], v[0:1], v[232:233]
	s_waitcnt vmcnt(10)
	v_mul_f64 v[232:233], v[236:237], v[170:171]
	v_mul_f64 v[18:19], v[86:87], v[18:19]
	v_fmac_f64_e32 v[232:233], v[238:239], v[168:169]
	v_fma_f64 v[240:241], v[84:85], v[16:17], -v[18:19]
	s_waitcnt vmcnt(9)
	v_mul_f64 v[84:85], v[242:243], v[174:175]
	v_add_f64 v[0:1], v[0:1], v[232:233]
	v_fmac_f64_e32 v[84:85], v[244:245], v[172:173]
	v_add_f64 v[0:1], v[0:1], v[84:85]
	ds_read_b128 v[84:87], v2 offset:1376
	scratch_load_dwordx4 v[56:59], off, off offset:608
	scratch_load_dwordx4 v[40:43], off, off offset:624
	;; [unrolled: 1-line block ×3, first 2 shown]
	v_mul_f64 v[30:31], v[110:111], v[30:31]
	v_mul_f64 v[22:23], v[98:99], v[22:23]
	;; [unrolled: 1-line block ×3, first 2 shown]
	v_fma_f64 v[254:255], v[108:109], v[28:29], -v[30:31]
	s_waitcnt vmcnt(11)
	v_mul_f64 v[28:29], v[246:247], v[182:183]
	v_fma_f64 v[250:251], v[96:97], v[20:21], -v[22:23]
	v_fma_f64 v[252:253], v[104:105], v[24:25], -v[26:27]
	v_fmac_f64_e32 v[28:29], v[248:249], v[180:181]
	ds_read_b128 v[104:107], v2 offset:1408
	s_waitcnt vmcnt(10) lgkmcnt(1)
	v_mul_f64 v[96:97], v[84:85], v[6:7]
	v_add_f64 v[0:1], v[0:1], v[28:29]
	v_fmac_f64_e32 v[96:97], v[86:87], v[4:5]
	v_add_f64 v[0:1], v[0:1], v[96:97]
	ds_read_b128 v[96:99], v2 offset:1392
	v_mul_f64 v[34:35], v[114:115], v[34:35]
	v_accvgpr_write_b32 a139, v7
	v_mul_f64 v[38:39], v[118:119], v[38:39]
	v_fma_f64 v[232:233], v[112:113], v[32:33], -v[34:35]
	v_accvgpr_write_b32 a138, v6
	v_accvgpr_write_b32 a137, v5
	;; [unrolled: 1-line block ×3, first 2 shown]
	v_fma_f64 v[32:33], v[116:117], v[36:37], -v[38:39]
	scratch_load_dwordx4 v[36:39], off, off offset:656
	v_mul_f64 v[6:7], v[122:123], v[46:47]
	v_mul_f64 v[46:47], v[126:127], v[54:55]
	v_fma_f64 v[28:29], v[120:121], v[44:45], -v[6:7]
	v_fma_f64 v[24:25], v[124:125], v[52:53], -v[46:47]
	scratch_load_dwordx4 v[52:55], off, off offset:672
	ds_read_b128 v[112:115], v2 offset:1440
	s_waitcnt vmcnt(11) lgkmcnt(1)
	v_mul_f64 v[44:45], v[96:97], v[10:11]
	v_fmac_f64_e32 v[44:45], v[98:99], v[8:9]
	v_add_f64 v[0:1], v[0:1], v[44:45]
	scratch_load_dwordx4 v[44:47], off, off offset:688
	s_waitcnt vmcnt(11)
	v_mov_b64_e32 v[4:5], v[12:13]
	v_mov_b64_e32 v[6:7], v[14:15]
	v_accvgpr_write_b32 a143, v11
	v_mul_f64 v[108:109], v[104:105], v[6:7]
	v_accvgpr_write_b32 a142, v10
	v_accvgpr_write_b32 a141, v9
	v_accvgpr_write_b32 a140, v8
	v_mul_f64 v[10:11], v[142:143], v[62:63]
	v_fmac_f64_e32 v[108:109], v[106:107], v[4:5]
	v_fma_f64 v[20:21], v[140:141], v[60:61], -v[10:11]
	scratch_load_dwordx4 v[60:63], off, off offset:704
	v_add_f64 v[0:1], v[0:1], v[108:109]
	ds_read_b128 v[108:111], v2 offset:1424
	v_mul_f64 v[66:67], v[154:155], v[66:67]
	v_fma_f64 v[16:17], v[152:153], v[64:65], -v[66:67]
	scratch_load_dwordx4 v[64:67], off, off offset:720
	s_waitcnt vmcnt(12)
	v_accvgpr_read_b32 v4, a116
	v_accvgpr_write_b32 a147, v15
	v_accvgpr_read_b32 v6, a118
	v_accvgpr_read_b32 v7, a119
	v_accvgpr_write_b32 a146, v14
	v_accvgpr_write_b32 a145, v13
	;; [unrolled: 1-line block ×3, first 2 shown]
	v_mul_f64 v[14:15], v[166:167], v[70:71]
	v_accvgpr_read_b32 v5, a117
	s_waitcnt lgkmcnt(0)
	v_mul_f64 v[116:117], v[108:109], v[6:7]
	v_fma_f64 v[14:15], v[164:165], v[68:69], -v[14:15]
	v_mul_f64 v[68:69], v[178:179], v[74:75]
	v_fmac_f64_e32 v[116:117], v[110:111], v[4:5]
	s_waitcnt vmcnt(11)
	v_accvgpr_read_b32 v4, a120
	v_fma_f64 v[12:13], v[176:177], v[72:73], -v[68:69]
	scratch_load_dwordx4 v[68:71], off, off offset:736
	v_accvgpr_read_b32 v6, a122
	v_accvgpr_read_b32 v7, a123
	;; [unrolled: 1-line block ×3, first 2 shown]
	v_mul_f64 v[18:19], v[112:113], v[6:7]
	v_add_f64 v[0:1], v[0:1], v[116:117]
	v_fmac_f64_e32 v[18:19], v[114:115], v[4:5]
	scratch_load_dwordx4 v[72:75], off, off offset:752
	v_add_f64 v[0:1], v[0:1], v[18:19]
	v_mul_f64 v[18:19], v[186:187], v[78:79]
	v_fma_f64 v[18:19], v[184:185], v[76:77], -v[18:19]
	ds_read_b128 v[116:119], v2 offset:1456
	v_mul_f64 v[76:77], v[190:191], v[82:83]
	v_fma_f64 v[184:185], v[188:189], v[80:81], -v[76:77]
	scratch_load_dwordx4 v[80:83], off, off offset:768
	scratch_load_dwordx4 v[76:79], off, off offset:784
	ds_read_b128 v[120:123], v2 offset:1472
	s_waitcnt vmcnt(14)
	v_accvgpr_read_b32 v4, a124
	v_mul_f64 v[90:91], v[194:195], v[90:91]
	v_accvgpr_read_b32 v6, a126
	v_accvgpr_read_b32 v7, a127
	v_fma_f64 v[186:187], v[192:193], v[88:89], -v[90:91]
	v_accvgpr_read_b32 v5, a125
	s_waitcnt lgkmcnt(1)
	v_mul_f64 v[88:89], v[116:117], v[6:7]
	v_fmac_f64_e32 v[88:89], v[118:119], v[4:5]
	s_waitcnt vmcnt(13)
	v_accvgpr_read_b32 v4, a128
	v_add_f64 v[0:1], v[0:1], v[88:89]
	v_mul_f64 v[88:89], v[198:199], v[94:95]
	v_mul_f64 v[22:23], v[202:203], v[102:103]
	v_accvgpr_read_b32 v6, a130
	v_accvgpr_read_b32 v7, a131
	v_fma_f64 v[10:11], v[196:197], v[92:93], -v[88:89]
	scratch_load_dwordx4 v[92:95], off, off offset:800
	scratch_load_dwordx4 v[88:91], off, off offset:816
	v_fma_f64 v[22:23], v[200:201], v[100:101], -v[22:23]
	v_accvgpr_read_b32 v5, a129
	s_waitcnt lgkmcnt(0)
	v_mul_f64 v[100:101], v[120:121], v[6:7]
	v_fmac_f64_e32 v[100:101], v[122:123], v[4:5]
	v_add_f64 v[0:1], v[0:1], v[100:101]
	v_mul_f64 v[100:101], v[206:207], v[130:131]
	v_fma_f64 v[8:9], v[204:205], v[128:129], -v[100:101]
	scratch_load_dwordx4 v[100:103], off, off offset:832
	ds_read_b128 v[124:127], v2 offset:1488
	ds_read_b128 v[128:131], v2 offset:1504
	s_waitcnt vmcnt(15)
	v_accvgpr_read_b32 v4, a132
	v_accvgpr_read_b32 v6, a134
	;; [unrolled: 1-line block ×4, first 2 shown]
	s_waitcnt lgkmcnt(1)
	v_mul_f64 v[26:27], v[124:125], v[6:7]
	v_fmac_f64_e32 v[26:27], v[126:127], v[4:5]
	v_add_f64 v[0:1], v[0:1], v[26:27]
	v_mul_f64 v[26:27], v[210:211], v[134:135]
	v_fma_f64 v[26:27], v[208:209], v[132:133], -v[26:27]
	ds_read_b128 v[132:135], v2 offset:1520
	v_mul_f64 v[138:139], v[214:215], v[138:139]
	v_fma_f64 v[6:7], v[212:213], v[136:137], -v[138:139]
	ds_read_b128 v[136:139], v2 offset:1536
	s_waitcnt vmcnt(14) lgkmcnt(2)
	v_mul_f64 v[140:141], v[128:129], v[58:59]
	v_fmac_f64_e32 v[140:141], v[130:131], v[56:57]
	s_waitcnt vmcnt(13) lgkmcnt(1)
	v_mul_f64 v[30:31], v[132:133], v[42:43]
	v_add_f64 v[0:1], v[0:1], v[140:141]
	v_fmac_f64_e32 v[30:31], v[134:135], v[40:41]
	v_add_f64 v[0:1], v[0:1], v[30:31]
	s_waitcnt vmcnt(12) lgkmcnt(0)
	v_mul_f64 v[30:31], v[136:137], v[50:51]
	v_fmac_f64_e32 v[30:31], v[138:139], v[48:49]
	ds_read_b128 v[140:143], v2 offset:1552
	v_add_f64 v[0:1], v[0:1], v[30:31]
	v_mul_f64 v[30:31], v[218:219], v[146:147]
	v_fma_f64 v[30:31], v[216:217], v[144:145], -v[30:31]
	ds_read_b128 v[144:147], v2 offset:1568
	v_mul_f64 v[150:151], v[222:223], v[150:151]
	v_fma_f64 v[4:5], v[220:221], v[148:149], -v[150:151]
	ds_read_b128 v[148:151], v2 offset:1584
	s_waitcnt vmcnt(11) lgkmcnt(2)
	v_mul_f64 v[152:153], v[140:141], v[38:39]
	v_fmac_f64_e32 v[152:153], v[142:143], v[36:37]
	s_waitcnt vmcnt(10) lgkmcnt(1)
	v_mul_f64 v[34:35], v[144:145], v[54:55]
	v_add_f64 v[0:1], v[0:1], v[152:153]
	v_fmac_f64_e32 v[34:35], v[146:147], v[52:53]
	v_add_f64 v[0:1], v[0:1], v[34:35]
	ds_read_b128 v[152:155], v2 offset:1600
	s_waitcnt vmcnt(9) lgkmcnt(1)
	v_mul_f64 v[34:35], v[148:149], v[46:47]
	v_fmac_f64_e32 v[34:35], v[150:151], v[44:45]
	v_add_f64 v[0:1], v[0:1], v[34:35]
	v_mul_f64 v[34:35], v[226:227], v[158:159]
	v_fma_f64 v[34:35], v[224:225], v[156:157], -v[34:35]
	ds_read_b128 v[156:159], v2 offset:1616
	s_waitcnt vmcnt(8) lgkmcnt(1)
	v_mul_f64 v[164:165], v[152:153], v[62:63]
	v_fmac_f64_e32 v[164:165], v[154:155], v[60:61]
	v_mul_f64 v[162:163], v[230:231], v[162:163]
	v_fma_f64 v[234:235], v[228:229], v[160:161], -v[162:163]
	ds_read_b128 v[160:163], v2 offset:1632
	v_add_f64 v[0:1], v[0:1], v[164:165]
	s_waitcnt vmcnt(7) lgkmcnt(1)
	v_mul_f64 v[164:165], v[156:157], v[66:67]
	v_fmac_f64_e32 v[164:165], v[158:159], v[64:65]
	v_add_f64 v[0:1], v[0:1], v[164:165]
	ds_read_b128 v[164:167], v2 offset:1648
	v_mul_f64 v[170:171], v[238:239], v[170:171]
	v_fma_f64 v[236:237], v[236:237], v[168:169], -v[170:171]
	ds_read_b128 v[168:171], v2 offset:1664
	s_waitcnt vmcnt(6) lgkmcnt(2)
	v_mul_f64 v[176:177], v[160:161], v[70:71]
	v_fmac_f64_e32 v[176:177], v[162:163], v[68:69]
	v_add_f64 v[0:1], v[0:1], v[176:177]
	s_waitcnt vmcnt(5) lgkmcnt(1)
	v_mul_f64 v[176:177], v[164:165], v[74:75]
	v_fmac_f64_e32 v[176:177], v[166:167], v[72:73]
	v_mul_f64 v[174:175], v[244:245], v[174:175]
	v_add_f64 v[0:1], v[0:1], v[176:177]
	v_fma_f64 v[238:239], v[242:243], v[172:173], -v[174:175]
	ds_read_b128 v[172:175], v2 offset:1680
	s_waitcnt vmcnt(4) lgkmcnt(1)
	v_mul_f64 v[176:177], v[168:169], v[82:83]
	v_fmac_f64_e32 v[176:177], v[170:171], v[80:81]
	v_add_f64 v[0:1], v[0:1], v[176:177]
	ds_read_b128 v[176:179], v2 offset:1696
	v_mul_f64 v[182:183], v[248:249], v[182:183]
	v_fma_f64 v[242:243], v[246:247], v[180:181], -v[182:183]
	ds_read_b128 v[180:183], v2 offset:1712
	ds_read_b128 v[246:249], v2 offset:1728
	s_waitcnt vmcnt(3) lgkmcnt(3)
	v_mul_f64 v[188:189], v[172:173], v[78:79]
	v_fmac_f64_e32 v[188:189], v[174:175], v[76:77]
	v_add_f64 v[0:1], v[0:1], v[188:189]
	s_waitcnt vmcnt(2) lgkmcnt(2)
	v_mul_f64 v[188:189], v[176:177], v[94:95]
	v_fmac_f64_e32 v[188:189], v[178:179], v[92:93]
	v_add_f64 v[0:1], v[0:1], v[188:189]
	;; [unrolled: 4-line block ×4, first 2 shown]
	scratch_load_dwordx4 v[188:191], off, off offset:848
	ds_read_b128 v[192:195], v2 offset:1744
	ds_read_b128 v[200:203], v2 offset:1760
	ds_read_b128 v[208:211], v2 offset:1776
	ds_read_b128 v[216:219], v2 offset:1792
	ds_read_b128 v[224:227], v2 offset:1808
	s_waitcnt vmcnt(0) lgkmcnt(4)
	v_mul_f64 v[196:197], v[192:193], v[190:191]
	v_fmac_f64_e32 v[196:197], v[194:195], v[188:189]
	v_add_f64 v[0:1], v[0:1], v[196:197]
	scratch_load_dwordx4 v[196:199], off, off offset:864
	s_waitcnt vmcnt(0) lgkmcnt(3)
	v_mul_f64 v[204:205], v[200:201], v[198:199]
	v_fmac_f64_e32 v[204:205], v[202:203], v[196:197]
	v_add_f64 v[0:1], v[0:1], v[204:205]
	scratch_load_dwordx4 v[204:207], off, off offset:880
	;; [unrolled: 5-line block ×4, first 2 shown]
	s_waitcnt vmcnt(0) lgkmcnt(0)
	v_mul_f64 v[228:229], v[224:225], v[222:223]
	v_fmac_f64_e32 v[228:229], v[226:227], v[220:221]
	v_add_f64 v[0:1], v[0:1], v[228:229]
	v_add_f64 v[228:229], v[240:241], 0
	;; [unrolled: 1-line block ×9, first 2 shown]
	scratch_load_dwordx4 v[228:231], off, off offset:32
	v_add_f64 v[20:21], v[24:25], v[20:21]
	v_add_f64 v[16:17], v[20:21], v[16:17]
	;; [unrolled: 1-line block ×15, first 2 shown]
	v_accvgpr_read_b32 v8, a136
	v_add_f64 v[4:5], v[244:245], v[234:235]
	v_accvgpr_read_b32 v10, a138
	v_accvgpr_read_b32 v11, a139
	v_add_f64 v[4:5], v[4:5], v[236:237]
	v_accvgpr_read_b32 v9, a137
	v_mul_f64 v[6:7], v[86:87], v[10:11]
	v_add_f64 v[4:5], v[4:5], v[238:239]
	v_fma_f64 v[6:7], v[84:85], v[8:9], -v[6:7]
	v_accvgpr_read_b32 v8, a140
	v_add_f64 v[4:5], v[4:5], v[242:243]
	v_accvgpr_read_b32 v10, a142
	v_accvgpr_read_b32 v11, a143
	v_add_f64 v[4:5], v[4:5], v[6:7]
	v_accvgpr_read_b32 v9, a141
	v_mul_f64 v[6:7], v[98:99], v[10:11]
	v_fma_f64 v[6:7], v[96:97], v[8:9], -v[6:7]
	v_accvgpr_read_b32 v8, a144
	v_accvgpr_read_b32 v10, a146
	v_accvgpr_read_b32 v11, a147
	v_add_f64 v[4:5], v[4:5], v[6:7]
	v_accvgpr_read_b32 v9, a145
	v_mul_f64 v[6:7], v[106:107], v[10:11]
	v_fma_f64 v[6:7], v[104:105], v[8:9], -v[6:7]
	v_accvgpr_read_b32 v8, a116
	;; [unrolled: 7-line block ×6, first 2 shown]
	v_accvgpr_read_b32 v10, a134
	v_accvgpr_read_b32 v11, a135
	v_add_f64 v[4:5], v[4:5], v[6:7]
	v_accvgpr_read_b32 v9, a133
	v_mul_f64 v[6:7], v[126:127], v[10:11]
	v_fma_f64 v[6:7], v[124:125], v[8:9], -v[6:7]
	v_add_f64 v[4:5], v[4:5], v[6:7]
	v_mul_f64 v[6:7], v[130:131], v[58:59]
	v_fma_f64 v[6:7], v[128:129], v[56:57], -v[6:7]
	v_add_f64 v[4:5], v[4:5], v[6:7]
	v_mul_f64 v[6:7], v[134:135], v[42:43]
	v_fma_f64 v[6:7], v[132:133], v[40:41], -v[6:7]
	v_add_f64 v[4:5], v[4:5], v[6:7]
	v_mul_f64 v[6:7], v[138:139], v[50:51]
	v_fma_f64 v[6:7], v[136:137], v[48:49], -v[6:7]
	v_add_f64 v[4:5], v[4:5], v[6:7]
	v_mul_f64 v[6:7], v[142:143], v[38:39]
	v_fma_f64 v[6:7], v[140:141], v[36:37], -v[6:7]
	v_add_f64 v[4:5], v[4:5], v[6:7]
	v_mul_f64 v[6:7], v[146:147], v[54:55]
	v_fma_f64 v[6:7], v[144:145], v[52:53], -v[6:7]
	v_add_f64 v[4:5], v[4:5], v[6:7]
	v_mul_f64 v[6:7], v[150:151], v[46:47]
	v_fma_f64 v[6:7], v[148:149], v[44:45], -v[6:7]
	v_add_f64 v[4:5], v[4:5], v[6:7]
	v_mul_f64 v[6:7], v[154:155], v[62:63]
	v_fma_f64 v[6:7], v[152:153], v[60:61], -v[6:7]
	v_add_f64 v[4:5], v[4:5], v[6:7]
	v_mul_f64 v[6:7], v[158:159], v[66:67]
	v_fma_f64 v[6:7], v[156:157], v[64:65], -v[6:7]
	v_add_f64 v[4:5], v[4:5], v[6:7]
	v_mul_f64 v[6:7], v[162:163], v[70:71]
	v_fma_f64 v[6:7], v[160:161], v[68:69], -v[6:7]
	v_add_f64 v[4:5], v[4:5], v[6:7]
	v_mul_f64 v[6:7], v[166:167], v[74:75]
	v_fma_f64 v[6:7], v[164:165], v[72:73], -v[6:7]
	v_add_f64 v[4:5], v[4:5], v[6:7]
	v_mul_f64 v[6:7], v[170:171], v[82:83]
	v_fma_f64 v[6:7], v[168:169], v[80:81], -v[6:7]
	v_add_f64 v[4:5], v[4:5], v[6:7]
	v_mul_f64 v[6:7], v[174:175], v[78:79]
	v_fma_f64 v[6:7], v[172:173], v[76:77], -v[6:7]
	v_add_f64 v[4:5], v[4:5], v[6:7]
	v_mul_f64 v[6:7], v[178:179], v[94:95]
	v_fma_f64 v[6:7], v[176:177], v[92:93], -v[6:7]
	v_add_f64 v[4:5], v[4:5], v[6:7]
	v_mul_f64 v[6:7], v[182:183], v[90:91]
	v_fma_f64 v[6:7], v[180:181], v[88:89], -v[6:7]
	v_add_f64 v[4:5], v[4:5], v[6:7]
	v_mul_f64 v[6:7], v[248:249], v[102:103]
	v_fma_f64 v[6:7], v[246:247], v[100:101], -v[6:7]
	v_add_f64 v[4:5], v[4:5], v[6:7]
	v_mul_f64 v[6:7], v[194:195], v[190:191]
	v_fma_f64 v[6:7], v[192:193], v[188:189], -v[6:7]
	v_add_f64 v[4:5], v[4:5], v[6:7]
	v_mul_f64 v[6:7], v[202:203], v[198:199]
	v_fma_f64 v[6:7], v[200:201], v[196:197], -v[6:7]
	v_add_f64 v[4:5], v[4:5], v[6:7]
	v_mul_f64 v[6:7], v[210:211], v[206:207]
	v_fma_f64 v[6:7], v[208:209], v[204:205], -v[6:7]
	v_add_f64 v[4:5], v[4:5], v[6:7]
	v_mul_f64 v[6:7], v[218:219], v[214:215]
	v_fma_f64 v[6:7], v[216:217], v[212:213], -v[6:7]
	v_add_f64 v[4:5], v[4:5], v[6:7]
	v_mul_f64 v[6:7], v[226:227], v[222:223]
	v_fma_f64 v[6:7], v[224:225], v[220:221], -v[6:7]
	v_add_f64 v[4:5], v[4:5], v[6:7]
	s_waitcnt vmcnt(0)
	v_add_f64 v[6:7], v[230:231], -v[0:1]
	v_accvgpr_read_b32 v0, a114
	v_add_f64 v[4:5], v[228:229], -v[4:5]
	v_cmp_ne_u32_e32 vcc, 0, v0
	scratch_store_dwordx4 off, v[4:7], off offset:32
	s_and_saveexec_b64 s[0:1], vcc
	s_cbranch_execz .LBB120_355
; %bb.354:
	scratch_load_dwordx4 v[6:9], off, off offset:16
	v_mov_b32_e32 v3, v2
	v_mov_b32_e32 v4, v2
	;; [unrolled: 1-line block ×3, first 2 shown]
	v_accvgpr_read_b32 v0, a115
	scratch_store_dwordx4 off, v[2:5], off offset:16
	s_waitcnt vmcnt(1)
	ds_write_b128 v0, v[6:9]
.LBB120_355:
	s_or_b64 exec, exec, s[0:1]
	s_waitcnt lgkmcnt(0)
	; wave barrier
	scratch_load_dwordx4 v[16:19], off, off offset:32
	scratch_load_dwordx4 v[20:23], off, off offset:48
	;; [unrolled: 1-line block ×17, first 2 shown]
	ds_read_b128 v[176:179], v2 offset:928
	ds_read_b128 v[96:99], v2 offset:944
	ds_read_b128 v[76:79], v2 offset:960
	scratch_load_dwordx4 v[128:131], off, off offset:304
	ds_read_b128 v[184:187], v2 offset:976
	ds_read_b128 v[112:115], v2 offset:992
	ds_read_b128 v[104:107], v2 offset:1008
	scratch_load_dwordx4 v[132:135], off, off offset:320
	;; [unrolled: 4-line block ×3, first 2 shown]
	ds_read_b128 v[200:203], v2 offset:1072
	ds_read_b128 v[192:195], v2 offset:1088
	;; [unrolled: 1-line block ×5, first 2 shown]
	scratch_load_dwordx4 v[144:147], off, off offset:352
	ds_read_b128 v[180:183], v2 offset:1152
	ds_read_b128 v[140:143], v2 offset:1168
	;; [unrolled: 1-line block ×3, first 2 shown]
	scratch_load_dwordx4 v[148:151], off, off offset:368
	scratch_load_dwordx4 v[156:159], off, off offset:384
	;; [unrolled: 1-line block ×9, first 2 shown]
	ds_read_b128 v[204:207], v2 offset:1200
	scratch_load_dwordx4 a[118:121], off, off offset:544
	scratch_load_dwordx4 a[122:125], off, off offset:560
	;; [unrolled: 1-line block ×3, first 2 shown]
	ds_read_b128 v[228:231], v2 offset:1296
	s_and_b64 vcc, exec, s[10:11]
	ds_read_b128 v[242:245], v2 offset:1344
	scratch_load_dwordx4 a[114:117], off, off offset:528
	s_waitcnt vmcnt(33) lgkmcnt(14)
	v_mul_f64 v[0:1], v[176:177], v[18:19]
	s_waitcnt vmcnt(32)
	v_mul_f64 v[36:37], v[96:97], v[22:23]
	v_fmac_f64_e32 v[0:1], v[178:179], v[16:17]
	s_waitcnt vmcnt(31)
	v_mul_f64 v[38:39], v[76:77], v[26:27]
	v_fmac_f64_e32 v[36:37], v[98:99], v[20:21]
	v_add_f64 v[0:1], v[0:1], 0
	s_waitcnt vmcnt(30)
	v_mul_f64 v[44:45], v[184:185], v[30:31]
	v_fmac_f64_e32 v[38:39], v[78:79], v[24:25]
	v_add_f64 v[0:1], v[0:1], v[36:37]
	;; [unrolled: 4-line block ×4, first 2 shown]
	s_waitcnt vmcnt(27) lgkmcnt(13)
	v_mul_f64 v[54:55], v[188:189], v[50:51]
	v_fmac_f64_e32 v[52:53], v[106:107], v[40:41]
	v_add_f64 v[0:1], v[0:1], v[46:47]
	s_waitcnt vmcnt(26) lgkmcnt(12)
	v_mul_f64 v[208:209], v[152:153], v[58:59]
	v_fmac_f64_e32 v[54:55], v[190:191], v[48:49]
	v_add_f64 v[0:1], v[0:1], v[52:53]
	;; [unrolled: 4-line block ×10, first 2 shown]
	ds_read_b128 v[208:211], v2 offset:1216
	v_fmac_f64_e32 v[224:225], v[142:143], v[92:93]
	v_add_f64 v[0:1], v[0:1], v[222:223]
	s_waitcnt vmcnt(17) lgkmcnt(4)
	v_mul_f64 v[36:37], v[124:125], v[102:103]
	v_add_f64 v[0:1], v[0:1], v[224:225]
	v_fmac_f64_e32 v[36:37], v[126:127], v[100:101]
	v_add_f64 v[0:1], v[0:1], v[36:37]
	s_waitcnt vmcnt(16) lgkmcnt(3)
	v_mul_f64 v[36:37], v[204:205], v[130:131]
	v_fmac_f64_e32 v[36:37], v[206:207], v[128:129]
	v_add_f64 v[0:1], v[0:1], v[36:37]
	s_waitcnt vmcnt(15) lgkmcnt(0)
	v_mul_f64 v[36:37], v[208:209], v[134:135]
	v_fmac_f64_e32 v[36:37], v[210:211], v[132:133]
	v_add_f64 v[0:1], v[0:1], v[36:37]
	scratch_load_dwordx4 v[36:39], off, off offset:512
	ds_read_b128 v[212:215], v2 offset:1232
	ds_read_b128 v[216:219], v2 offset:1248
	;; [unrolled: 1-line block ×4, first 2 shown]
	v_mul_f64 v[18:19], v[178:179], v[18:19]
	s_waitcnt vmcnt(15) lgkmcnt(3)
	v_mul_f64 v[52:53], v[212:213], v[138:139]
	v_fmac_f64_e32 v[52:53], v[214:215], v[136:137]
	v_add_f64 v[0:1], v[0:1], v[52:53]
	s_waitcnt vmcnt(14) lgkmcnt(2)
	v_mul_f64 v[52:53], v[216:217], v[146:147]
	v_fmac_f64_e32 v[52:53], v[218:219], v[144:145]
	v_add_f64 v[0:1], v[0:1], v[52:53]
	s_waitcnt vmcnt(13) lgkmcnt(1)
	v_mul_f64 v[52:53], v[220:221], v[150:151]
	v_fmac_f64_e32 v[52:53], v[222:223], v[148:149]
	s_waitcnt vmcnt(12) lgkmcnt(0)
	v_mul_f64 v[232:233], v[224:225], v[158:159]
	v_add_f64 v[0:1], v[0:1], v[52:53]
	v_fmac_f64_e32 v[232:233], v[226:227], v[156:157]
	v_add_f64 v[0:1], v[0:1], v[232:233]
	ds_read_b128 v[232:235], v2 offset:1312
	scratch_load_dwordx4 v[52:55], off, off offset:592
	v_fma_f64 v[240:241], v[176:177], v[16:17], -v[18:19]
	ds_read_b128 v[176:179], v2 offset:1328
	v_mul_f64 v[26:27], v[78:79], v[26:27]
	s_waitcnt vmcnt(12)
	v_mul_f64 v[236:237], v[228:229], v[162:163]
	v_fma_f64 v[248:249], v[76:77], v[24:25], -v[26:27]
	v_mul_f64 v[24:25], v[186:187], v[30:31]
	v_fmac_f64_e32 v[236:237], v[230:231], v[160:161]
	v_fma_f64 v[250:251], v[184:185], v[28:29], -v[24:25]
	scratch_load_dwordx4 v[184:187], off, off offset:608
	scratch_load_dwordx4 v[44:47], off, off offset:624
	v_add_f64 v[0:1], v[0:1], v[236:237]
	s_waitcnt vmcnt(13) lgkmcnt(1)
	v_mul_f64 v[236:237], v[232:233], v[170:171]
	ds_read_b128 v[76:79], v2 offset:1360
	v_fmac_f64_e32 v[236:237], v[234:235], v[168:169]
	v_add_f64 v[0:1], v[0:1], v[236:237]
	s_waitcnt vmcnt(12) lgkmcnt(1)
	v_mul_f64 v[236:237], v[176:177], v[174:175]
	v_mul_f64 v[22:23], v[98:99], v[22:23]
	v_fmac_f64_e32 v[236:237], v[178:179], v[172:173]
	v_fma_f64 v[246:247], v[96:97], v[20:21], -v[22:23]
	s_waitcnt vmcnt(11)
	v_mul_f64 v[96:97], v[242:243], v[198:199]
	v_add_f64 v[0:1], v[0:1], v[236:237]
	v_fmac_f64_e32 v[96:97], v[244:245], v[196:197]
	v_mul_f64 v[42:43], v[106:107], v[42:43]
	v_add_f64 v[0:1], v[0:1], v[96:97]
	v_fma_f64 v[254:255], v[104:105], v[40:41], -v[42:43]
	ds_read_b128 v[104:107], v2 offset:1392
	s_waitcnt vmcnt(10) lgkmcnt(1)
	v_mul_f64 v[96:97], v[76:77], v[6:7]
	v_fmac_f64_e32 v[96:97], v[78:79], v[4:5]
	scratch_load_dwordx4 v[40:43], off, off offset:640
	v_add_f64 v[0:1], v[0:1], v[96:97]
	ds_read_b128 v[96:99], v2 offset:1376
	v_accvgpr_write_b32 a133, v7
	v_mul_f64 v[34:35], v[114:115], v[34:35]
	v_accvgpr_write_b32 a132, v6
	v_accvgpr_write_b32 a131, v5
	;; [unrolled: 1-line block ×3, first 2 shown]
	v_mul_f64 v[50:51], v[190:191], v[50:51]
	v_mul_f64 v[6:7], v[154:155], v[58:59]
	;; [unrolled: 1-line block ×3, first 2 shown]
	v_fma_f64 v[252:253], v[112:113], v[32:33], -v[34:35]
	v_fma_f64 v[34:35], v[188:189], v[48:49], -v[50:51]
	scratch_load_dwordx4 v[48:51], off, off offset:656
	v_fma_f64 v[32:33], v[152:153], v[56:57], -v[6:7]
	v_fma_f64 v[28:29], v[108:109], v[60:61], -v[62:63]
	ds_read_b128 v[108:111], v2 offset:1408
	s_waitcnt vmcnt(11) lgkmcnt(1)
	v_mul_f64 v[56:57], v[96:97], v[10:11]
	v_fmac_f64_e32 v[56:57], v[98:99], v[8:9]
	v_add_f64 v[0:1], v[0:1], v[56:57]
	scratch_load_dwordx4 v[56:59], off, off offset:672
	scratch_load_dwordx4 v[60:63], off, off offset:688
	v_accvgpr_write_b32 a137, v11
	v_accvgpr_write_b32 a136, v10
	;; [unrolled: 1-line block ×4, first 2 shown]
	v_mul_f64 v[10:11], v[202:203], v[66:67]
	v_fma_f64 v[24:25], v[200:201], v[64:65], -v[10:11]
	scratch_load_dwordx4 v[64:67], off, off offset:704
	v_mul_f64 v[70:71], v[194:195], v[70:71]
	v_fma_f64 v[20:21], v[192:193], v[68:69], -v[70:71]
	v_mul_f64 v[68:69], v[166:167], v[74:75]
	v_fma_f64 v[236:237], v[164:165], v[72:73], -v[68:69]
	scratch_load_dwordx4 v[68:71], off, off offset:720
	s_waitcnt vmcnt(14)
	v_mul_f64 v[112:113], v[104:105], v[14:15]
	v_fmac_f64_e32 v[112:113], v[106:107], v[12:13]
	v_mul_f64 v[72:73], v[122:123], v[82:83]
	v_add_f64 v[0:1], v[0:1], v[112:113]
	ds_read_b128 v[112:115], v2 offset:1424
	v_fma_f64 v[16:17], v[120:121], v[80:81], -v[72:73]
	scratch_load_dwordx4 v[80:83], off, off offset:736
	scratch_load_dwordx4 v[72:75], off, off offset:752
	s_waitcnt vmcnt(11)
	v_mov_b64_e32 v[4:5], v[36:37]
	v_accvgpr_write_b32 a141, v15
	v_mov_b64_e32 v[6:7], v[38:39]
	v_accvgpr_write_b32 a140, v14
	v_accvgpr_write_b32 a139, v13
	v_accvgpr_write_b32 a138, v12
	s_waitcnt lgkmcnt(1)
	v_mul_f64 v[14:15], v[108:109], v[6:7]
	v_fmac_f64_e32 v[14:15], v[110:111], v[4:5]
	v_accvgpr_read_b32 v4, a114
	ds_read_b128 v[120:123], v2 offset:1440
	v_accvgpr_read_b32 v6, a116
	v_accvgpr_read_b32 v7, a117
	v_add_f64 v[0:1], v[0:1], v[14:15]
	v_accvgpr_read_b32 v5, a115
	s_waitcnt lgkmcnt(1)
	v_mul_f64 v[14:15], v[112:113], v[6:7]
	v_mul_f64 v[18:19], v[118:119], v[86:87]
	v_fmac_f64_e32 v[14:15], v[114:115], v[4:5]
	v_fma_f64 v[18:19], v[116:117], v[84:85], -v[18:19]
	ds_read_b128 v[116:119], v2 offset:1456
	v_accvgpr_read_b32 v4, a118
	v_add_f64 v[0:1], v[0:1], v[14:15]
	v_mul_f64 v[14:15], v[182:183], v[90:91]
	v_accvgpr_read_b32 v6, a120
	v_accvgpr_read_b32 v7, a121
	v_fma_f64 v[12:13], v[180:181], v[88:89], -v[14:15]
	v_accvgpr_read_b32 v5, a119
	s_waitcnt lgkmcnt(1)
	v_mul_f64 v[14:15], v[120:121], v[6:7]
	v_fmac_f64_e32 v[14:15], v[122:123], v[4:5]
	v_accvgpr_read_b32 v4, a122
	v_mul_f64 v[22:23], v[142:143], v[94:95]
	v_accvgpr_read_b32 v6, a124
	v_accvgpr_read_b32 v7, a125
	v_fma_f64 v[22:23], v[140:141], v[92:93], -v[22:23]
	v_mul_f64 v[92:93], v[126:127], v[102:103]
	v_add_f64 v[0:1], v[0:1], v[14:15]
	v_accvgpr_read_b32 v5, a123
	s_waitcnt lgkmcnt(0)
	v_mul_f64 v[14:15], v[116:117], v[6:7]
	v_fma_f64 v[10:11], v[124:125], v[100:101], -v[92:93]
	ds_read_b128 v[124:127], v2 offset:1472
	v_fmac_f64_e32 v[14:15], v[118:119], v[4:5]
	v_add_f64 v[0:1], v[0:1], v[14:15]
	v_mul_f64 v[14:15], v[206:207], v[130:131]
	v_fma_f64 v[26:27], v[204:205], v[128:129], -v[14:15]
	ds_read_b128 v[128:131], v2 offset:1488
	v_accvgpr_read_b32 v4, a126
	v_accvgpr_read_b32 v6, a128
	;; [unrolled: 1-line block ×4, first 2 shown]
	s_waitcnt lgkmcnt(1)
	v_mul_f64 v[14:15], v[124:125], v[6:7]
	v_fmac_f64_e32 v[14:15], v[126:127], v[4:5]
	v_add_f64 v[0:1], v[0:1], v[14:15]
	v_mul_f64 v[14:15], v[210:211], v[134:135]
	v_fma_f64 v[8:9], v[208:209], v[132:133], -v[14:15]
	ds_read_b128 v[132:135], v2 offset:1504
	s_waitcnt vmcnt(10) lgkmcnt(1)
	v_mul_f64 v[14:15], v[128:129], v[54:55]
	v_fmac_f64_e32 v[14:15], v[130:131], v[52:53]
	v_add_f64 v[0:1], v[0:1], v[14:15]
	v_mul_f64 v[14:15], v[214:215], v[138:139]
	v_fma_f64 v[30:31], v[212:213], v[136:137], -v[14:15]
	ds_read_b128 v[136:139], v2 offset:1520
	s_waitcnt vmcnt(9)
	v_mov_b64_e32 v[4:5], v[184:185]
	v_mov_b64_e32 v[6:7], v[186:187]
	s_waitcnt lgkmcnt(1)
	v_mul_f64 v[14:15], v[132:133], v[6:7]
	ds_read_b128 v[140:143], v2 offset:1536
	v_fmac_f64_e32 v[14:15], v[134:135], v[4:5]
	v_add_f64 v[0:1], v[0:1], v[14:15]
	v_mul_f64 v[14:15], v[218:219], v[146:147]
	v_fma_f64 v[6:7], v[216:217], v[144:145], -v[14:15]
	s_waitcnt vmcnt(8) lgkmcnt(1)
	v_mul_f64 v[14:15], v[136:137], v[46:47]
	v_fmac_f64_e32 v[14:15], v[138:139], v[44:45]
	ds_read_b128 v[144:147], v2 offset:1552
	v_add_f64 v[0:1], v[0:1], v[14:15]
	s_waitcnt vmcnt(7) lgkmcnt(1)
	v_mul_f64 v[14:15], v[140:141], v[42:43]
	v_fmac_f64_e32 v[14:15], v[142:143], v[40:41]
	v_accvgpr_write_b32 a145, v39
	v_add_f64 v[0:1], v[0:1], v[14:15]
	v_mul_f64 v[14:15], v[222:223], v[150:151]
	v_accvgpr_write_b32 a144, v38
	v_accvgpr_write_b32 a143, v37
	;; [unrolled: 1-line block ×3, first 2 shown]
	v_fma_f64 v[38:39], v[220:221], v[148:149], -v[14:15]
	ds_read_b128 v[148:151], v2 offset:1568
	ds_read_b128 v[152:155], v2 offset:1584
	s_waitcnt vmcnt(6) lgkmcnt(2)
	v_mul_f64 v[14:15], v[144:145], v[50:51]
	v_fmac_f64_e32 v[14:15], v[146:147], v[48:49]
	v_add_f64 v[0:1], v[0:1], v[14:15]
	s_waitcnt vmcnt(5) lgkmcnt(1)
	v_mul_f64 v[14:15], v[148:149], v[58:59]
	v_fmac_f64_e32 v[14:15], v[150:151], v[56:57]
	v_add_f64 v[0:1], v[0:1], v[14:15]
	v_mul_f64 v[14:15], v[226:227], v[158:159]
	v_fma_f64 v[4:5], v[224:225], v[156:157], -v[14:15]
	ds_read_b128 v[156:159], v2 offset:1600
	s_waitcnt vmcnt(4) lgkmcnt(1)
	v_mul_f64 v[14:15], v[152:153], v[62:63]
	v_fmac_f64_e32 v[14:15], v[154:155], v[60:61]
	v_add_f64 v[0:1], v[0:1], v[14:15]
	v_mul_f64 v[14:15], v[230:231], v[162:163]
	v_fma_f64 v[36:37], v[228:229], v[160:161], -v[14:15]
	ds_read_b128 v[160:163], v2 offset:1616
	s_waitcnt vmcnt(3) lgkmcnt(1)
	v_mul_f64 v[14:15], v[156:157], v[66:67]
	scratch_load_dwordx4 v[84:87], off, off offset:768
	scratch_load_dwordx4 v[88:91], off, off offset:784
	v_fmac_f64_e32 v[14:15], v[158:159], v[64:65]
	ds_read_b128 v[164:167], v2 offset:1632
	v_add_f64 v[0:1], v[0:1], v[14:15]
	v_mul_f64 v[14:15], v[234:235], v[170:171]
	v_fma_f64 v[232:233], v[232:233], v[168:169], -v[14:15]
	ds_read_b128 v[168:171], v2 offset:1648
	s_waitcnt vmcnt(4) lgkmcnt(2)
	v_mul_f64 v[14:15], v[160:161], v[70:71]
	scratch_load_dwordx4 v[92:95], off, off offset:800
	scratch_load_dwordx4 v[100:103], off, off offset:816
	v_fmac_f64_e32 v[14:15], v[162:163], v[68:69]
	v_add_f64 v[0:1], v[0:1], v[14:15]
	s_waitcnt vmcnt(5) lgkmcnt(1)
	v_mul_f64 v[14:15], v[164:165], v[82:83]
	v_fmac_f64_e32 v[14:15], v[166:167], v[80:81]
	v_add_f64 v[0:1], v[0:1], v[14:15]
	s_waitcnt vmcnt(4) lgkmcnt(0)
	v_mul_f64 v[14:15], v[168:169], v[74:75]
	v_fmac_f64_e32 v[14:15], v[170:171], v[72:73]
	scratch_load_dwordx4 v[188:191], off, off offset:832
	v_add_f64 v[0:1], v[0:1], v[14:15]
	v_mul_f64 v[14:15], v[244:245], v[198:199]
	v_fma_f64 v[242:243], v[242:243], v[196:197], -v[14:15]
	scratch_load_dwordx4 v[196:199], off, off offset:848
	scratch_load_dwordx4 v[204:207], off, off offset:864
	;; [unrolled: 1-line block ×5, first 2 shown]
	v_mul_f64 v[174:175], v[178:179], v[174:175]
	v_fma_f64 v[238:239], v[176:177], v[172:173], -v[174:175]
	ds_read_b128 v[176:179], v2 offset:1664
	ds_read_b128 v[172:175], v2 offset:1680
	;; [unrolled: 1-line block ×3, first 2 shown]
	v_accvgpr_write_b32 a146, v184
	v_accvgpr_write_b32 a147, v185
	;; [unrolled: 1-line block ×4, first 2 shown]
	ds_read_b128 v[184:187], v2 offset:1712
	ds_read_b128 v[192:195], v2 offset:1728
	;; [unrolled: 1-line block ×6, first 2 shown]
	s_waitcnt vmcnt(9) lgkmcnt(8)
	v_mul_f64 v[14:15], v[176:177], v[86:87]
	v_fmac_f64_e32 v[14:15], v[178:179], v[84:85]
	v_add_f64 v[0:1], v[0:1], v[14:15]
	s_waitcnt vmcnt(8) lgkmcnt(7)
	v_mul_f64 v[14:15], v[172:173], v[90:91]
	v_fmac_f64_e32 v[14:15], v[174:175], v[88:89]
	v_add_f64 v[0:1], v[0:1], v[14:15]
	;; [unrolled: 4-line block ×9, first 2 shown]
	ds_read_b128 v[0:3], v2 offset:1808
	s_waitcnt vmcnt(0) lgkmcnt(0)
	v_mul_f64 v[234:235], v[0:1], v[230:231]
	v_fmac_f64_e32 v[234:235], v[2:3], v[228:229]
	v_add_f64 v[14:15], v[14:15], v[234:235]
	v_add_f64 v[234:235], v[240:241], 0
	;; [unrolled: 1-line block ×26, first 2 shown]
	scratch_load_dwordx4 v[232:235], off, off offset:16
	v_accvgpr_read_b32 v8, a130
	v_accvgpr_read_b32 v10, a132
	;; [unrolled: 1-line block ×4, first 2 shown]
	v_mul_f64 v[6:7], v[78:79], v[10:11]
	v_add_f64 v[4:5], v[244:245], v[238:239]
	v_fma_f64 v[6:7], v[76:77], v[8:9], -v[6:7]
	v_accvgpr_read_b32 v8, a134
	v_add_f64 v[4:5], v[4:5], v[242:243]
	v_accvgpr_read_b32 v10, a136
	v_accvgpr_read_b32 v11, a137
	v_add_f64 v[4:5], v[4:5], v[6:7]
	v_accvgpr_read_b32 v9, a135
	v_mul_f64 v[6:7], v[98:99], v[10:11]
	v_fma_f64 v[6:7], v[96:97], v[8:9], -v[6:7]
	v_accvgpr_read_b32 v8, a138
	v_accvgpr_read_b32 v10, a140
	v_accvgpr_read_b32 v11, a141
	v_add_f64 v[4:5], v[4:5], v[6:7]
	v_accvgpr_read_b32 v9, a139
	v_mul_f64 v[6:7], v[106:107], v[10:11]
	v_fma_f64 v[6:7], v[104:105], v[8:9], -v[6:7]
	v_accvgpr_read_b32 v8, a142
	v_accvgpr_read_b32 v10, a144
	v_accvgpr_read_b32 v11, a145
	v_add_f64 v[4:5], v[4:5], v[6:7]
	v_accvgpr_read_b32 v9, a143
	v_mul_f64 v[6:7], v[110:111], v[10:11]
	v_fma_f64 v[6:7], v[108:109], v[8:9], -v[6:7]
	v_accvgpr_read_b32 v8, a114
	v_accvgpr_read_b32 v10, a116
	v_accvgpr_read_b32 v11, a117
	v_add_f64 v[4:5], v[4:5], v[6:7]
	v_accvgpr_read_b32 v9, a115
	v_mul_f64 v[6:7], v[114:115], v[10:11]
	v_fma_f64 v[6:7], v[112:113], v[8:9], -v[6:7]
	v_accvgpr_read_b32 v8, a118
	v_accvgpr_read_b32 v10, a120
	v_accvgpr_read_b32 v11, a121
	v_add_f64 v[4:5], v[4:5], v[6:7]
	v_accvgpr_read_b32 v9, a119
	v_mul_f64 v[6:7], v[122:123], v[10:11]
	v_fma_f64 v[6:7], v[120:121], v[8:9], -v[6:7]
	v_accvgpr_read_b32 v8, a122
	v_accvgpr_read_b32 v10, a124
	v_accvgpr_read_b32 v11, a125
	v_add_f64 v[4:5], v[4:5], v[6:7]
	v_accvgpr_read_b32 v9, a123
	v_mul_f64 v[6:7], v[118:119], v[10:11]
	v_fma_f64 v[6:7], v[116:117], v[8:9], -v[6:7]
	v_accvgpr_read_b32 v8, a126
	v_accvgpr_read_b32 v10, a128
	v_accvgpr_read_b32 v11, a129
	v_add_f64 v[4:5], v[4:5], v[6:7]
	v_accvgpr_read_b32 v9, a127
	v_mul_f64 v[6:7], v[126:127], v[10:11]
	v_fma_f64 v[6:7], v[124:125], v[8:9], -v[6:7]
	v_add_f64 v[4:5], v[4:5], v[6:7]
	v_mul_f64 v[6:7], v[130:131], v[54:55]
	v_accvgpr_read_b32 v8, a146
	v_fma_f64 v[6:7], v[128:129], v[52:53], -v[6:7]
	v_accvgpr_read_b32 v10, a148
	v_accvgpr_read_b32 v11, a149
	v_add_f64 v[4:5], v[4:5], v[6:7]
	v_accvgpr_read_b32 v9, a147
	v_mul_f64 v[6:7], v[134:135], v[10:11]
	v_fma_f64 v[6:7], v[132:133], v[8:9], -v[6:7]
	v_add_f64 v[4:5], v[4:5], v[6:7]
	v_mul_f64 v[6:7], v[138:139], v[46:47]
	v_fma_f64 v[6:7], v[136:137], v[44:45], -v[6:7]
	v_add_f64 v[4:5], v[4:5], v[6:7]
	v_mul_f64 v[6:7], v[142:143], v[42:43]
	v_fma_f64 v[6:7], v[140:141], v[40:41], -v[6:7]
	v_add_f64 v[4:5], v[4:5], v[6:7]
	v_mul_f64 v[6:7], v[146:147], v[50:51]
	v_fma_f64 v[6:7], v[144:145], v[48:49], -v[6:7]
	v_add_f64 v[4:5], v[4:5], v[6:7]
	v_mul_f64 v[6:7], v[150:151], v[58:59]
	v_fma_f64 v[6:7], v[148:149], v[56:57], -v[6:7]
	v_add_f64 v[4:5], v[4:5], v[6:7]
	v_mul_f64 v[6:7], v[154:155], v[62:63]
	v_fma_f64 v[6:7], v[152:153], v[60:61], -v[6:7]
	v_add_f64 v[4:5], v[4:5], v[6:7]
	v_mul_f64 v[6:7], v[158:159], v[66:67]
	v_fma_f64 v[6:7], v[156:157], v[64:65], -v[6:7]
	v_add_f64 v[4:5], v[4:5], v[6:7]
	v_mul_f64 v[6:7], v[162:163], v[70:71]
	v_fma_f64 v[6:7], v[160:161], v[68:69], -v[6:7]
	v_add_f64 v[4:5], v[4:5], v[6:7]
	v_mul_f64 v[6:7], v[166:167], v[82:83]
	v_fma_f64 v[6:7], v[164:165], v[80:81], -v[6:7]
	v_add_f64 v[4:5], v[4:5], v[6:7]
	v_mul_f64 v[6:7], v[170:171], v[74:75]
	v_fma_f64 v[6:7], v[168:169], v[72:73], -v[6:7]
	v_add_f64 v[4:5], v[4:5], v[6:7]
	v_mul_f64 v[6:7], v[178:179], v[86:87]
	v_fma_f64 v[6:7], v[176:177], v[84:85], -v[6:7]
	v_add_f64 v[4:5], v[4:5], v[6:7]
	v_mul_f64 v[6:7], v[174:175], v[90:91]
	v_fma_f64 v[6:7], v[172:173], v[88:89], -v[6:7]
	v_add_f64 v[4:5], v[4:5], v[6:7]
	v_mul_f64 v[6:7], v[182:183], v[94:95]
	v_fma_f64 v[6:7], v[180:181], v[92:93], -v[6:7]
	v_add_f64 v[4:5], v[4:5], v[6:7]
	v_mul_f64 v[6:7], v[186:187], v[102:103]
	v_fma_f64 v[6:7], v[184:185], v[100:101], -v[6:7]
	v_add_f64 v[4:5], v[4:5], v[6:7]
	v_mul_f64 v[6:7], v[194:195], v[190:191]
	v_fma_f64 v[6:7], v[192:193], v[188:189], -v[6:7]
	v_add_f64 v[4:5], v[4:5], v[6:7]
	v_mul_f64 v[6:7], v[202:203], v[198:199]
	v_fma_f64 v[6:7], v[200:201], v[196:197], -v[6:7]
	v_add_f64 v[4:5], v[4:5], v[6:7]
	v_mul_f64 v[6:7], v[210:211], v[206:207]
	v_fma_f64 v[6:7], v[208:209], v[204:205], -v[6:7]
	v_add_f64 v[4:5], v[4:5], v[6:7]
	v_mul_f64 v[6:7], v[218:219], v[214:215]
	v_fma_f64 v[6:7], v[216:217], v[212:213], -v[6:7]
	v_add_f64 v[4:5], v[4:5], v[6:7]
	v_mul_f64 v[6:7], v[226:227], v[222:223]
	v_fma_f64 v[6:7], v[224:225], v[220:221], -v[6:7]
	v_mul_f64 v[2:3], v[2:3], v[230:231]
	v_add_f64 v[4:5], v[4:5], v[6:7]
	v_fma_f64 v[0:1], v[0:1], v[228:229], -v[2:3]
	v_add_f64 v[0:1], v[4:5], v[0:1]
	s_waitcnt vmcnt(0)
	v_add_f64 v[0:1], v[232:233], -v[0:1]
	v_add_f64 v[2:3], v[234:235], -v[14:15]
	scratch_store_dwordx4 off, v[0:3], off offset:16
	s_cbranch_vccz .LBB120_468
; %bb.356:
	s_nop 0
	v_mov_b32_e32 v0, 0
	global_load_dword v1, v0, s[8:9] offset:220
	s_waitcnt vmcnt(0)
	v_readfirstlane_b32 s0, v1
	s_add_i32 s0, s0, -1
	s_cmp_lg_u32 s0, 55
	s_cbranch_scc0 .LBB120_358
; %bb.357:
	s_lshl_b32 s0, s0, 4
	s_add_i32 s0, s0, 16
	scratch_load_dwordx4 v[2:5], off, s0
	scratch_load_dwordx4 v[6:9], off, s17
	s_waitcnt vmcnt(1)
	scratch_store_dwordx4 off, v[2:5], s17
	s_waitcnt vmcnt(1)
	scratch_store_dwordx4 off, v[6:9], s0
.LBB120_358:
	global_load_dword v0, v0, s[8:9] offset:216
	s_waitcnt vmcnt(0)
	v_readfirstlane_b32 s0, v0
	s_add_i32 s0, s0, -1
	s_cmp_eq_u32 s0, 54
	s_cbranch_scc1 .LBB120_360
; %bb.359:
	s_lshl_b32 s0, s0, 4
	s_add_i32 s0, s0, 16
	scratch_load_dwordx4 v[0:3], off, s0
	scratch_load_dwordx4 v[4:7], off, s18
	s_waitcnt vmcnt(1)
	scratch_store_dwordx4 off, v[0:3], s18
	s_waitcnt vmcnt(1)
	scratch_store_dwordx4 off, v[4:7], s0
.LBB120_360:
	v_mov_b32_e32 v0, 0
	global_load_dword v1, v0, s[8:9] offset:212
	s_waitcnt vmcnt(0)
	v_readfirstlane_b32 s0, v1
	s_add_i32 s0, s0, -1
	s_cmp_eq_u32 s0, 53
	s_cbranch_scc1 .LBB120_362
; %bb.361:
	s_lshl_b32 s0, s0, 4
	s_add_i32 s0, s0, 16
	scratch_load_dwordx4 v[2:5], off, s0
	scratch_load_dwordx4 v[6:9], off, s19
	s_waitcnt vmcnt(1)
	scratch_store_dwordx4 off, v[2:5], s19
	s_waitcnt vmcnt(1)
	scratch_store_dwordx4 off, v[6:9], s0
.LBB120_362:
	global_load_dword v0, v0, s[8:9] offset:208
	s_waitcnt vmcnt(0)
	v_readfirstlane_b32 s0, v0
	s_add_i32 s0, s0, -1
	s_cmp_eq_u32 s0, 52
	s_cbranch_scc1 .LBB120_364
; %bb.363:
	s_lshl_b32 s0, s0, 4
	s_add_i32 s0, s0, 16
	scratch_load_dwordx4 v[0:3], off, s0
	scratch_load_dwordx4 v[4:7], off, s20
	s_waitcnt vmcnt(1)
	scratch_store_dwordx4 off, v[0:3], s20
	s_waitcnt vmcnt(1)
	scratch_store_dwordx4 off, v[4:7], s0
.LBB120_364:
	v_mov_b32_e32 v0, 0
	global_load_dword v1, v0, s[8:9] offset:204
	s_waitcnt vmcnt(0)
	v_readfirstlane_b32 s0, v1
	s_add_i32 s0, s0, -1
	s_cmp_eq_u32 s0, 51
	s_cbranch_scc1 .LBB120_366
; %bb.365:
	s_lshl_b32 s0, s0, 4
	s_add_i32 s0, s0, 16
	scratch_load_dwordx4 v[2:5], off, s0
	scratch_load_dwordx4 v[6:9], off, s21
	s_waitcnt vmcnt(1)
	scratch_store_dwordx4 off, v[2:5], s21
	s_waitcnt vmcnt(1)
	scratch_store_dwordx4 off, v[6:9], s0
.LBB120_366:
	;; [unrolled: 33-line block ×27, first 2 shown]
	global_load_dword v0, v0, s[8:9]
	s_waitcnt vmcnt(0)
	v_readfirstlane_b32 s0, v0
	s_add_i32 s0, s0, -1
	s_cmp_eq_u32 s0, 0
	s_cbranch_scc1 .LBB120_468
; %bb.467:
	s_lshl_b32 s0, s0, 4
	s_add_i32 s0, s0, 16
	scratch_load_dwordx4 v[0:3], off, s0
	scratch_load_dwordx4 v[4:7], off, off offset:16
	s_waitcnt vmcnt(1)
	scratch_store_dwordx4 off, v[0:3], off offset:16
	s_waitcnt vmcnt(1)
	scratch_store_dwordx4 off, v[4:7], s0
.LBB120_468:
	scratch_load_dwordx4 v[0:3], off, off offset:16
	s_nop 0
	v_accvgpr_read_b32 v5, a1
	v_accvgpr_read_b32 v4, a0
	s_waitcnt vmcnt(0)
	flat_store_dwordx4 v[4:5], v[0:3]
	scratch_load_dwordx4 v[0:3], off, s72
	v_accvgpr_read_b32 v5, a3
	v_accvgpr_read_b32 v4, a2
	s_waitcnt vmcnt(0)
	flat_store_dwordx4 v[4:5], v[0:3]
	scratch_load_dwordx4 v[0:3], off, s71
	;; [unrolled: 5-line block ×56, first 2 shown]
	v_accvgpr_read_b32 v4, a112
	v_accvgpr_read_b32 v5, a113
	s_waitcnt vmcnt(0)
	flat_store_dwordx4 v[4:5], v[0:3]
	s_endpgm
	.section	.rodata,"a",@progbits
	.p2align	6, 0x0
	.amdhsa_kernel _ZN9rocsolver6v33100L18getri_kernel_smallILi57E19rocblas_complex_numIdEPKPS3_EEvT1_iilPiilS8_bb
		.amdhsa_group_segment_fixed_size 1832
		.amdhsa_private_segment_fixed_size 944
		.amdhsa_kernarg_size 60
		.amdhsa_user_sgpr_count 2
		.amdhsa_user_sgpr_dispatch_ptr 0
		.amdhsa_user_sgpr_queue_ptr 0
		.amdhsa_user_sgpr_kernarg_segment_ptr 1
		.amdhsa_user_sgpr_dispatch_id 0
		.amdhsa_user_sgpr_kernarg_preload_length 0
		.amdhsa_user_sgpr_kernarg_preload_offset 0
		.amdhsa_user_sgpr_private_segment_size 0
		.amdhsa_uses_dynamic_stack 0
		.amdhsa_enable_private_segment 1
		.amdhsa_system_sgpr_workgroup_id_x 1
		.amdhsa_system_sgpr_workgroup_id_y 0
		.amdhsa_system_sgpr_workgroup_id_z 0
		.amdhsa_system_sgpr_workgroup_info 0
		.amdhsa_system_vgpr_workitem_id 0
		.amdhsa_next_free_vgpr 406
		.amdhsa_next_free_sgpr 94
		.amdhsa_accum_offset 256
		.amdhsa_reserve_vcc 1
		.amdhsa_float_round_mode_32 0
		.amdhsa_float_round_mode_16_64 0
		.amdhsa_float_denorm_mode_32 3
		.amdhsa_float_denorm_mode_16_64 3
		.amdhsa_dx10_clamp 1
		.amdhsa_ieee_mode 1
		.amdhsa_fp16_overflow 0
		.amdhsa_tg_split 0
		.amdhsa_exception_fp_ieee_invalid_op 0
		.amdhsa_exception_fp_denorm_src 0
		.amdhsa_exception_fp_ieee_div_zero 0
		.amdhsa_exception_fp_ieee_overflow 0
		.amdhsa_exception_fp_ieee_underflow 0
		.amdhsa_exception_fp_ieee_inexact 0
		.amdhsa_exception_int_div_zero 0
	.end_amdhsa_kernel
	.section	.text._ZN9rocsolver6v33100L18getri_kernel_smallILi57E19rocblas_complex_numIdEPKPS3_EEvT1_iilPiilS8_bb,"axG",@progbits,_ZN9rocsolver6v33100L18getri_kernel_smallILi57E19rocblas_complex_numIdEPKPS3_EEvT1_iilPiilS8_bb,comdat
.Lfunc_end120:
	.size	_ZN9rocsolver6v33100L18getri_kernel_smallILi57E19rocblas_complex_numIdEPKPS3_EEvT1_iilPiilS8_bb, .Lfunc_end120-_ZN9rocsolver6v33100L18getri_kernel_smallILi57E19rocblas_complex_numIdEPKPS3_EEvT1_iilPiilS8_bb
                                        ; -- End function
	.set _ZN9rocsolver6v33100L18getri_kernel_smallILi57E19rocblas_complex_numIdEPKPS3_EEvT1_iilPiilS8_bb.num_vgpr, 256
	.set _ZN9rocsolver6v33100L18getri_kernel_smallILi57E19rocblas_complex_numIdEPKPS3_EEvT1_iilPiilS8_bb.num_agpr, 150
	.set _ZN9rocsolver6v33100L18getri_kernel_smallILi57E19rocblas_complex_numIdEPKPS3_EEvT1_iilPiilS8_bb.numbered_sgpr, 94
	.set _ZN9rocsolver6v33100L18getri_kernel_smallILi57E19rocblas_complex_numIdEPKPS3_EEvT1_iilPiilS8_bb.num_named_barrier, 0
	.set _ZN9rocsolver6v33100L18getri_kernel_smallILi57E19rocblas_complex_numIdEPKPS3_EEvT1_iilPiilS8_bb.private_seg_size, 944
	.set _ZN9rocsolver6v33100L18getri_kernel_smallILi57E19rocblas_complex_numIdEPKPS3_EEvT1_iilPiilS8_bb.uses_vcc, 1
	.set _ZN9rocsolver6v33100L18getri_kernel_smallILi57E19rocblas_complex_numIdEPKPS3_EEvT1_iilPiilS8_bb.uses_flat_scratch, 0
	.set _ZN9rocsolver6v33100L18getri_kernel_smallILi57E19rocblas_complex_numIdEPKPS3_EEvT1_iilPiilS8_bb.has_dyn_sized_stack, 0
	.set _ZN9rocsolver6v33100L18getri_kernel_smallILi57E19rocblas_complex_numIdEPKPS3_EEvT1_iilPiilS8_bb.has_recursion, 0
	.set _ZN9rocsolver6v33100L18getri_kernel_smallILi57E19rocblas_complex_numIdEPKPS3_EEvT1_iilPiilS8_bb.has_indirect_call, 0
	.section	.AMDGPU.csdata,"",@progbits
; Kernel info:
; codeLenInByte = 137264
; TotalNumSgprs: 100
; NumVgprs: 256
; NumAgprs: 150
; TotalNumVgprs: 406
; ScratchSize: 944
; MemoryBound: 0
; FloatMode: 240
; IeeeMode: 1
; LDSByteSize: 1832 bytes/workgroup (compile time only)
; SGPRBlocks: 12
; VGPRBlocks: 50
; NumSGPRsForWavesPerEU: 100
; NumVGPRsForWavesPerEU: 406
; AccumOffset: 256
; Occupancy: 1
; WaveLimiterHint : 1
; COMPUTE_PGM_RSRC2:SCRATCH_EN: 1
; COMPUTE_PGM_RSRC2:USER_SGPR: 2
; COMPUTE_PGM_RSRC2:TRAP_HANDLER: 0
; COMPUTE_PGM_RSRC2:TGID_X_EN: 1
; COMPUTE_PGM_RSRC2:TGID_Y_EN: 0
; COMPUTE_PGM_RSRC2:TGID_Z_EN: 0
; COMPUTE_PGM_RSRC2:TIDIG_COMP_CNT: 0
; COMPUTE_PGM_RSRC3_GFX90A:ACCUM_OFFSET: 63
; COMPUTE_PGM_RSRC3_GFX90A:TG_SPLIT: 0
	.section	.text._ZN9rocsolver6v33100L18getri_kernel_smallILi58E19rocblas_complex_numIdEPKPS3_EEvT1_iilPiilS8_bb,"axG",@progbits,_ZN9rocsolver6v33100L18getri_kernel_smallILi58E19rocblas_complex_numIdEPKPS3_EEvT1_iilPiilS8_bb,comdat
	.globl	_ZN9rocsolver6v33100L18getri_kernel_smallILi58E19rocblas_complex_numIdEPKPS3_EEvT1_iilPiilS8_bb ; -- Begin function _ZN9rocsolver6v33100L18getri_kernel_smallILi58E19rocblas_complex_numIdEPKPS3_EEvT1_iilPiilS8_bb
	.p2align	8
	.type	_ZN9rocsolver6v33100L18getri_kernel_smallILi58E19rocblas_complex_numIdEPKPS3_EEvT1_iilPiilS8_bb,@function
_ZN9rocsolver6v33100L18getri_kernel_smallILi58E19rocblas_complex_numIdEPKPS3_EEvT1_iilPiilS8_bb: ; @_ZN9rocsolver6v33100L18getri_kernel_smallILi58E19rocblas_complex_numIdEPKPS3_EEvT1_iilPiilS8_bb
; %bb.0:
	v_mov_b32_e32 v240, v0
	v_cmp_gt_u32_e32 vcc, 58, v240
	s_and_saveexec_b64 s[4:5], vcc
	s_cbranch_execz .LBB121_246
; %bb.1:
	s_load_dword s14, s[0:1], 0x38
	s_load_dwordx2 s[8:9], s[0:1], 0x0
	s_load_dwordx4 s[4:7], s[0:1], 0x28
	s_waitcnt lgkmcnt(0)
	s_bitcmp1_b32 s14, 8
	s_cselect_b64 s[10:11], -1, 0
	s_ashr_i32 s3, s2, 31
	s_lshl_b64 s[12:13], s[2:3], 3
	s_add_u32 s8, s8, s12
	s_addc_u32 s9, s9, s13
	s_load_dwordx2 s[12:13], s[8:9], 0x0
	s_bfe_u32 s8, s14, 0x10008
	s_cmp_eq_u32 s8, 0
                                        ; implicit-def: $sgpr8_sgpr9
	s_cbranch_scc1 .LBB121_3
; %bb.2:
	s_load_dword s8, s[0:1], 0x20
	s_load_dwordx2 s[14:15], s[0:1], 0x18
	s_mul_i32 s9, s4, s3
	s_mul_hi_u32 s16, s4, s2
	s_add_i32 s16, s16, s9
	s_mul_i32 s5, s5, s2
	s_add_i32 s5, s16, s5
	s_mul_i32 s4, s4, s2
	s_waitcnt lgkmcnt(0)
	s_ashr_i32 s9, s8, 31
	s_lshl_b64 s[4:5], s[4:5], 2
	s_add_u32 s14, s14, s4
	s_addc_u32 s15, s15, s5
	s_lshl_b64 s[4:5], s[8:9], 2
	s_add_u32 s8, s14, s4
	s_addc_u32 s9, s15, s5
.LBB121_3:
	s_load_dwordx2 s[4:5], s[0:1], 0x8
	s_load_dword s14, s[0:1], 0x38
	v_lshlrev_b32_e32 v14, 4, v240
	v_mov_b32_e32 v15, 0
	s_movk_i32 s15, 0x80
	s_waitcnt lgkmcnt(0)
	s_ashr_i32 s1, s4, 31
	s_mov_b32 s0, s4
	s_lshl_b64 s[0:1], s[0:1], 4
	s_add_u32 s0, s12, s0
	s_addc_u32 s1, s13, s1
	v_lshl_add_u64 v[0:1], s[0:1], 0, v[14:15]
	flat_load_dwordx4 v[2:5], v[0:1]
	s_mov_b32 s12, s5
	s_ashr_i32 s13, s5, 31
	v_accvgpr_write_b32 a0, v0
	v_accvgpr_write_b32 a1, v1
	v_lshl_add_u64 v[0:1], s[12:13], 4, v[0:1]
	s_add_i32 s4, s5, s5
	v_add_u32_e32 v6, s4, v240
	v_accvgpr_write_b32 a3, v1
	v_ashrrev_i32_e32 v7, 31, v6
	v_accvgpr_write_b32 a2, v0
	s_movk_i32 s4, 0x50
	s_movk_i32 s12, 0x60
	;; [unrolled: 1-line block ×49, first 2 shown]
	s_add_i32 s69, s4, 16
	s_add_i32 s68, s12, 16
	;; [unrolled: 1-line block ×20, first 2 shown]
	s_waitcnt vmcnt(0) lgkmcnt(0)
	scratch_store_dwordx4 off, v[2:5], off offset:16
	flat_load_dwordx4 v[2:5], v[0:1]
	v_lshl_add_u64 v[0:1], v[6:7], 4, s[0:1]
	v_add_u32_e32 v6, s5, v6
	v_accvgpr_write_b32 a5, v1
	v_ashrrev_i32_e32 v7, 31, v6
	v_accvgpr_write_b32 a4, v0
	s_add_i32 s49, s33, 16
	s_add_i32 s48, s34, 16
	;; [unrolled: 1-line block ×30, first 2 shown]
	s_mov_b32 s73, 32
	s_mov_b32 s72, 48
	;; [unrolled: 1-line block ×3, first 2 shown]
	s_movk_i32 s70, 0x50
	s_waitcnt vmcnt(0) lgkmcnt(0)
	scratch_store_dwordx4 off, v[2:5], off offset:32
	flat_load_dwordx4 v[2:5], v[0:1]
	v_lshl_add_u64 v[0:1], v[6:7], 4, s[0:1]
	v_add_u32_e32 v6, s5, v6
	v_accvgpr_write_b32 a7, v1
	v_ashrrev_i32_e32 v7, 31, v6
	v_accvgpr_write_b32 a6, v0
	s_waitcnt vmcnt(0) lgkmcnt(0)
	scratch_store_dwordx4 off, v[2:5], off offset:48
	flat_load_dwordx4 v[2:5], v[0:1]
	v_lshl_add_u64 v[0:1], v[6:7], 4, s[0:1]
	v_add_u32_e32 v6, s5, v6
	v_accvgpr_write_b32 a9, v1
	v_ashrrev_i32_e32 v7, 31, v6
	v_accvgpr_write_b32 a8, v0
	;; [unrolled: 8-line block ×54, first 2 shown]
	s_movk_i32 s5, 0x270
	s_add_i32 s35, s5, 16
	s_mov_b64 s[4:5], -1
	s_waitcnt vmcnt(0) lgkmcnt(0)
	scratch_store_dwordx4 off, v[2:5], off offset:896
	flat_load_dwordx4 v[2:5], v[0:1]
	v_lshl_add_u64 v[0:1], v[6:7], 4, s[0:1]
	s_movk_i32 s0, 0x250
	s_movk_i32 s1, 0x260
	v_accvgpr_write_b32 a115, v1
	s_add_i32 s37, s0, 16
	s_add_i32 s36, s1, 16
	v_accvgpr_write_b32 a114, v0
	s_bitcmp0_b32 s14, 0
	s_waitcnt vmcnt(0) lgkmcnt(0)
	scratch_store_dwordx4 off, v[2:5], off offset:912
	flat_load_dwordx4 v[2:5], v[0:1]
	s_waitcnt vmcnt(0) lgkmcnt(0)
	scratch_store_dwordx4 off, v[2:5], off offset:928
	s_cbranch_scc1 .LBB121_244
; %bb.4:
	v_cmp_eq_u32_e64 s[0:1], 0, v240
	s_and_saveexec_b64 s[4:5], s[0:1]
; %bb.5:
	v_mov_b32_e32 v0, 0
	ds_write_b32 v0, v0 offset:1856
; %bb.6:
	s_or_b64 exec, exec, s[4:5]
	s_waitcnt lgkmcnt(0)
	; wave barrier
	scratch_load_dwordx4 v[2:5], v14, off offset:16
	s_waitcnt vmcnt(0)
	v_cmp_eq_f64_e32 vcc, 0, v[2:3]
	v_cmp_eq_f64_e64 s[4:5], 0, v[4:5]
	s_and_b64 s[4:5], vcc, s[4:5]
	s_and_saveexec_b64 s[12:13], s[4:5]
	s_cbranch_execz .LBB121_10
; %bb.7:
	v_mov_b32_e32 v1, 0
	ds_read_b32 v0, v1 offset:1856
	v_add_u32_e32 v2, 1, v240
	s_waitcnt lgkmcnt(0)
	v_readfirstlane_b32 s4, v0
	s_cmp_eq_u32 s4, 0
	s_cselect_b64 s[14:15], -1, 0
	v_cmp_gt_i32_e32 vcc, s4, v2
	s_or_b64 s[14:15], s[14:15], vcc
	s_and_b64 exec, exec, s[14:15]
	s_cbranch_execz .LBB121_10
; %bb.8:
	s_mov_b64 s[14:15], 0
	v_mov_b32_e32 v3, s4
.LBB121_9:                              ; =>This Inner Loop Header: Depth=1
	ds_cmpst_rtn_b32 v3, v1, v3, v2 offset:1856
	s_waitcnt lgkmcnt(0)
	v_cmp_ne_u32_e32 vcc, 0, v3
	v_cmp_le_i32_e64 s[4:5], v3, v2
	s_and_b64 s[4:5], vcc, s[4:5]
	s_and_b64 s[4:5], exec, s[4:5]
	s_or_b64 s[14:15], s[4:5], s[14:15]
	s_andn2_b64 exec, exec, s[14:15]
	s_cbranch_execnz .LBB121_9
.LBB121_10:
	s_or_b64 exec, exec, s[12:13]
	v_mov_b32_e32 v2, 0
	; wave barrier
	ds_read_b32 v1, v2 offset:1856
	s_and_saveexec_b64 s[4:5], s[0:1]
	s_cbranch_execz .LBB121_12
; %bb.11:
	s_lshl_b64 s[12:13], s[2:3], 2
	s_add_u32 s12, s6, s12
	s_addc_u32 s13, s7, s13
	s_waitcnt lgkmcnt(0)
	global_store_dword v2, v1, s[12:13]
.LBB121_12:
	s_or_b64 exec, exec, s[4:5]
	s_waitcnt lgkmcnt(0)
	v_cmp_ne_u32_e32 vcc, 0, v1
	s_mov_b64 s[4:5], 0
	s_cbranch_vccnz .LBB121_244
; %bb.13:
	v_add_u32_e32 v15, 16, v14
	scratch_load_dwordx4 v[2:5], v15, off
                                        ; implicit-def: $vgpr6_vgpr7
                                        ; implicit-def: $vgpr10_vgpr11
	s_waitcnt vmcnt(0)
	v_cmp_ngt_f64_e64 s[4:5], |v[2:3]|, |v[4:5]|
	s_and_saveexec_b64 s[12:13], s[4:5]
	s_xor_b64 s[4:5], exec, s[12:13]
	s_cbranch_execz .LBB121_15
; %bb.14:
	v_div_scale_f64 v[6:7], s[12:13], v[4:5], v[4:5], v[2:3]
	v_rcp_f64_e32 v[8:9], v[6:7]
	v_div_scale_f64 v[10:11], vcc, v[2:3], v[4:5], v[2:3]
	v_fma_f64 v[12:13], -v[6:7], v[8:9], 1.0
	v_fmac_f64_e32 v[8:9], v[8:9], v[12:13]
	v_fma_f64 v[12:13], -v[6:7], v[8:9], 1.0
	v_fmac_f64_e32 v[8:9], v[8:9], v[12:13]
	v_mul_f64 v[12:13], v[10:11], v[8:9]
	v_fma_f64 v[6:7], -v[6:7], v[12:13], v[10:11]
	v_div_fmas_f64 v[6:7], v[6:7], v[8:9], v[12:13]
	v_div_fixup_f64 v[6:7], v[6:7], v[4:5], v[2:3]
	v_fmac_f64_e32 v[4:5], v[2:3], v[6:7]
	v_div_scale_f64 v[2:3], s[12:13], v[4:5], v[4:5], 1.0
	v_rcp_f64_e32 v[8:9], v[2:3]
	s_nop 0
	v_fma_f64 v[10:11], -v[2:3], v[8:9], 1.0
	v_fmac_f64_e32 v[8:9], v[8:9], v[10:11]
	v_fma_f64 v[10:11], -v[2:3], v[8:9], 1.0
	v_fmac_f64_e32 v[8:9], v[8:9], v[10:11]
	v_div_scale_f64 v[10:11], vcc, 1.0, v[4:5], 1.0
	v_mul_f64 v[12:13], v[10:11], v[8:9]
	v_fma_f64 v[2:3], -v[2:3], v[12:13], v[10:11]
	s_nop 1
	v_div_fmas_f64 v[2:3], v[2:3], v[8:9], v[12:13]
	v_div_fixup_f64 v[8:9], v[2:3], v[4:5], 1.0
	v_mul_f64 v[6:7], v[6:7], v[8:9]
	v_xor_b32_e32 v9, 0x80000000, v9
	v_xor_b32_e32 v11, 0x80000000, v7
	v_mov_b32_e32 v10, v6
                                        ; implicit-def: $vgpr2_vgpr3
.LBB121_15:
	s_andn2_saveexec_b64 s[4:5], s[4:5]
	s_cbranch_execz .LBB121_17
; %bb.16:
	v_div_scale_f64 v[6:7], s[12:13], v[2:3], v[2:3], v[4:5]
	v_rcp_f64_e32 v[8:9], v[6:7]
	v_div_scale_f64 v[10:11], vcc, v[4:5], v[2:3], v[4:5]
	v_fma_f64 v[12:13], -v[6:7], v[8:9], 1.0
	v_fmac_f64_e32 v[8:9], v[8:9], v[12:13]
	v_fma_f64 v[12:13], -v[6:7], v[8:9], 1.0
	v_fmac_f64_e32 v[8:9], v[8:9], v[12:13]
	v_mul_f64 v[12:13], v[10:11], v[8:9]
	v_fma_f64 v[6:7], -v[6:7], v[12:13], v[10:11]
	v_div_fmas_f64 v[6:7], v[6:7], v[8:9], v[12:13]
	v_div_fixup_f64 v[8:9], v[6:7], v[2:3], v[4:5]
	v_fmac_f64_e32 v[2:3], v[4:5], v[8:9]
	v_div_scale_f64 v[4:5], s[12:13], v[2:3], v[2:3], 1.0
	v_rcp_f64_e32 v[6:7], v[4:5]
	s_nop 0
	v_fma_f64 v[10:11], -v[4:5], v[6:7], 1.0
	v_fmac_f64_e32 v[6:7], v[6:7], v[10:11]
	v_fma_f64 v[10:11], -v[4:5], v[6:7], 1.0
	v_fmac_f64_e32 v[6:7], v[6:7], v[10:11]
	v_div_scale_f64 v[10:11], vcc, 1.0, v[2:3], 1.0
	v_mul_f64 v[12:13], v[10:11], v[6:7]
	v_fma_f64 v[4:5], -v[4:5], v[12:13], v[10:11]
	s_nop 1
	v_div_fmas_f64 v[4:5], v[4:5], v[6:7], v[12:13]
	v_div_fixup_f64 v[6:7], v[4:5], v[2:3], 1.0
	v_xor_b32_e32 v11, 0x80000000, v7
	v_mov_b32_e32 v10, v6
	v_mul_f64 v[8:9], v[8:9], -v[6:7]
.LBB121_17:
	s_or_b64 exec, exec, s[4:5]
	scratch_store_dwordx4 v15, v[6:9], off
	scratch_load_dwordx4 v[2:5], off, s73
	v_xor_b32_e32 v13, 0x80000000, v9
	v_mov_b32_e32 v12, v8
	v_add_u32_e32 v1, 0x3a0, v14
	ds_write_b128 v14, v[10:13]
	s_waitcnt vmcnt(0)
	ds_write_b128 v14, v[2:5] offset:928
	s_waitcnt lgkmcnt(0)
	; wave barrier
	s_and_saveexec_b64 s[4:5], s[0:1]
	s_cbranch_execz .LBB121_19
; %bb.18:
	scratch_load_dwordx4 v[2:5], v15, off
	ds_read_b128 v[6:9], v1
	v_mov_b32_e32 v0, 0
	ds_read_b128 v[10:13], v0 offset:16
	s_waitcnt vmcnt(0) lgkmcnt(1)
	v_mul_f64 v[16:17], v[8:9], v[4:5]
	v_mul_f64 v[4:5], v[6:7], v[4:5]
	v_fma_f64 v[6:7], v[6:7], v[2:3], -v[16:17]
	v_fmac_f64_e32 v[4:5], v[8:9], v[2:3]
	v_add_f64 v[2:3], v[6:7], 0
	v_add_f64 v[6:7], v[4:5], 0
	s_waitcnt lgkmcnt(0)
	v_mul_f64 v[8:9], v[6:7], v[12:13]
	v_mul_f64 v[4:5], v[2:3], v[12:13]
	v_fma_f64 v[2:3], v[2:3], v[10:11], -v[8:9]
	v_fmac_f64_e32 v[4:5], v[6:7], v[10:11]
	scratch_store_dwordx4 off, v[2:5], off offset:32
.LBB121_19:
	s_or_b64 exec, exec, s[4:5]
	; wave barrier
	scratch_load_dwordx4 v[2:5], off, s72
	v_cmp_gt_u32_e32 vcc, 2, v240
	s_waitcnt vmcnt(0)
	ds_write_b128 v1, v[2:5]
	s_waitcnt lgkmcnt(0)
	; wave barrier
	s_and_saveexec_b64 s[4:5], vcc
	s_cbranch_execz .LBB121_23
; %bb.20:
	scratch_load_dwordx4 v[2:5], v15, off
	ds_read_b128 v[6:9], v1
	s_waitcnt vmcnt(0) lgkmcnt(0)
	v_mul_f64 v[10:11], v[8:9], v[4:5]
	v_mul_f64 v[12:13], v[6:7], v[4:5]
	v_fma_f64 v[4:5], v[6:7], v[2:3], -v[10:11]
	v_fmac_f64_e32 v[12:13], v[8:9], v[2:3]
	v_add_f64 v[4:5], v[4:5], 0
	v_add_f64 v[2:3], v[12:13], 0
	s_and_saveexec_b64 s[12:13], s[0:1]
	s_cbranch_execz .LBB121_22
; %bb.21:
	scratch_load_dwordx4 v[6:9], off, off offset:32
	v_mov_b32_e32 v0, 0
	ds_read_b128 v[10:13], v0 offset:944
	s_waitcnt vmcnt(0) lgkmcnt(0)
	v_mul_f64 v[16:17], v[10:11], v[8:9]
	v_mul_f64 v[8:9], v[12:13], v[8:9]
	v_fmac_f64_e32 v[16:17], v[12:13], v[6:7]
	v_fma_f64 v[6:7], v[10:11], v[6:7], -v[8:9]
	v_add_f64 v[2:3], v[2:3], v[16:17]
	v_add_f64 v[4:5], v[4:5], v[6:7]
.LBB121_22:
	s_or_b64 exec, exec, s[12:13]
	v_mov_b32_e32 v0, 0
	ds_read_b128 v[6:9], v0 offset:32
	s_waitcnt lgkmcnt(0)
	v_mul_f64 v[12:13], v[2:3], v[8:9]
	v_mul_f64 v[10:11], v[4:5], v[8:9]
	v_fma_f64 v[8:9], v[4:5], v[6:7], -v[12:13]
	v_fmac_f64_e32 v[10:11], v[2:3], v[6:7]
	scratch_store_dwordx4 off, v[8:11], off offset:48
.LBB121_23:
	s_or_b64 exec, exec, s[4:5]
	; wave barrier
	scratch_load_dwordx4 v[2:5], off, s71
	v_cmp_gt_u32_e32 vcc, 3, v240
	v_add_u32_e32 v6, -1, v240
	s_waitcnt vmcnt(0)
	ds_write_b128 v1, v[2:5]
	s_waitcnt lgkmcnt(0)
	; wave barrier
	s_and_saveexec_b64 s[0:1], vcc
	s_cbranch_execz .LBB121_27
; %bb.24:
	v_add_u32_e32 v7, -1, v240
	v_add_u32_e32 v8, 0x3a0, v14
	v_add_u32_e32 v9, 16, v14
	v_mov_b64_e32 v[2:3], 0
	s_mov_b64 s[4:5], 0
	v_mov_b64_e32 v[4:5], 0
.LBB121_25:                             ; =>This Inner Loop Header: Depth=1
	scratch_load_dwordx4 v[10:13], v9, off
	ds_read_b128 v[16:19], v8
	v_add_u32_e32 v7, 1, v7
	v_cmp_lt_u32_e32 vcc, 1, v7
	v_add_u32_e32 v8, 16, v8
	v_add_u32_e32 v9, 16, v9
	s_or_b64 s[4:5], vcc, s[4:5]
	s_waitcnt vmcnt(0) lgkmcnt(0)
	v_mul_f64 v[20:21], v[18:19], v[12:13]
	v_mul_f64 v[12:13], v[16:17], v[12:13]
	v_fma_f64 v[16:17], v[16:17], v[10:11], -v[20:21]
	v_fmac_f64_e32 v[12:13], v[18:19], v[10:11]
	v_add_f64 v[4:5], v[4:5], v[16:17]
	v_add_f64 v[2:3], v[2:3], v[12:13]
	s_andn2_b64 exec, exec, s[4:5]
	s_cbranch_execnz .LBB121_25
; %bb.26:
	s_or_b64 exec, exec, s[4:5]
	v_mov_b32_e32 v0, 0
	ds_read_b128 v[8:11], v0 offset:48
	s_waitcnt lgkmcnt(0)
	v_mul_f64 v[16:17], v[2:3], v[10:11]
	v_mul_f64 v[12:13], v[4:5], v[10:11]
	v_fma_f64 v[10:11], v[4:5], v[8:9], -v[16:17]
	v_fmac_f64_e32 v[12:13], v[2:3], v[8:9]
	scratch_store_dwordx4 off, v[10:13], off offset:64
.LBB121_27:
	s_or_b64 exec, exec, s[0:1]
	; wave barrier
	scratch_load_dwordx4 v[2:5], off, s70
	v_cmp_gt_u32_e32 vcc, 4, v240
	s_waitcnt vmcnt(0)
	ds_write_b128 v1, v[2:5]
	s_waitcnt lgkmcnt(0)
	; wave barrier
	s_and_saveexec_b64 s[0:1], vcc
	s_cbranch_execz .LBB121_31
; %bb.28:
	v_add_u32_e32 v7, -1, v240
	v_add_u32_e32 v8, 0x3a0, v14
	v_add_u32_e32 v9, 16, v14
	v_mov_b64_e32 v[2:3], 0
	s_mov_b64 s[4:5], 0
	v_mov_b64_e32 v[4:5], 0
.LBB121_29:                             ; =>This Inner Loop Header: Depth=1
	scratch_load_dwordx4 v[10:13], v9, off
	ds_read_b128 v[16:19], v8
	v_add_u32_e32 v7, 1, v7
	v_cmp_lt_u32_e32 vcc, 2, v7
	v_add_u32_e32 v8, 16, v8
	v_add_u32_e32 v9, 16, v9
	s_or_b64 s[4:5], vcc, s[4:5]
	s_waitcnt vmcnt(0) lgkmcnt(0)
	v_mul_f64 v[20:21], v[18:19], v[12:13]
	v_mul_f64 v[12:13], v[16:17], v[12:13]
	v_fma_f64 v[16:17], v[16:17], v[10:11], -v[20:21]
	v_fmac_f64_e32 v[12:13], v[18:19], v[10:11]
	v_add_f64 v[4:5], v[4:5], v[16:17]
	v_add_f64 v[2:3], v[2:3], v[12:13]
	s_andn2_b64 exec, exec, s[4:5]
	s_cbranch_execnz .LBB121_29
; %bb.30:
	s_or_b64 exec, exec, s[4:5]
	v_mov_b32_e32 v0, 0
	ds_read_b128 v[8:11], v0 offset:64
	s_waitcnt lgkmcnt(0)
	v_mul_f64 v[16:17], v[2:3], v[10:11]
	v_mul_f64 v[12:13], v[4:5], v[10:11]
	v_fma_f64 v[10:11], v[4:5], v[8:9], -v[16:17]
	v_fmac_f64_e32 v[12:13], v[2:3], v[8:9]
	scratch_store_dwordx4 off, v[10:13], off offset:80
.LBB121_31:
	s_or_b64 exec, exec, s[0:1]
	; wave barrier
	scratch_load_dwordx4 v[2:5], off, s69
	v_cmp_gt_u32_e32 vcc, 5, v240
	;; [unrolled: 45-line block ×19, first 2 shown]
	s_waitcnt vmcnt(0)
	ds_write_b128 v1, v[2:5]
	s_waitcnt lgkmcnt(0)
	; wave barrier
	s_and_saveexec_b64 s[0:1], vcc
	s_cbranch_execz .LBB121_103
; %bb.100:
	v_add_u32_e32 v7, -1, v240
	v_add_u32_e32 v8, 0x3a0, v14
	v_add_u32_e32 v9, 16, v14
	v_mov_b64_e32 v[2:3], 0
	s_mov_b64 s[4:5], 0
	v_mov_b64_e32 v[4:5], 0
.LBB121_101:                            ; =>This Inner Loop Header: Depth=1
	scratch_load_dwordx4 v[10:13], v9, off
	ds_read_b128 v[16:19], v8
	v_add_u32_e32 v7, 1, v7
	v_cmp_lt_u32_e32 vcc, 20, v7
	v_add_u32_e32 v8, 16, v8
	v_add_u32_e32 v9, 16, v9
	s_or_b64 s[4:5], vcc, s[4:5]
	s_waitcnt vmcnt(0) lgkmcnt(0)
	v_mul_f64 v[20:21], v[18:19], v[12:13]
	v_mul_f64 v[12:13], v[16:17], v[12:13]
	v_fma_f64 v[16:17], v[16:17], v[10:11], -v[20:21]
	v_fmac_f64_e32 v[12:13], v[18:19], v[10:11]
	v_add_f64 v[4:5], v[4:5], v[16:17]
	v_add_f64 v[2:3], v[2:3], v[12:13]
	s_andn2_b64 exec, exec, s[4:5]
	s_cbranch_execnz .LBB121_101
; %bb.102:
	s_or_b64 exec, exec, s[4:5]
	v_mov_b32_e32 v0, 0
	ds_read_b128 v[8:11], v0 offset:352
	s_waitcnt lgkmcnt(0)
	v_mul_f64 v[16:17], v[2:3], v[10:11]
	v_mul_f64 v[12:13], v[4:5], v[10:11]
	v_fma_f64 v[10:11], v[4:5], v[8:9], -v[16:17]
	v_fmac_f64_e32 v[12:13], v[2:3], v[8:9]
	scratch_store_dwordx4 off, v[10:13], off offset:368
.LBB121_103:
	s_or_b64 exec, exec, s[0:1]
	; wave barrier
	scratch_load_dwordx4 v[2:5], off, s51
	v_cmp_gt_u32_e32 vcc, 23, v240
	s_waitcnt vmcnt(0)
	ds_write_b128 v1, v[2:5]
	s_waitcnt lgkmcnt(0)
	; wave barrier
	s_and_saveexec_b64 s[0:1], vcc
	s_cbranch_execz .LBB121_107
; %bb.104:
	v_add_u32_e32 v7, -1, v240
	v_add_u32_e32 v8, 0x3a0, v14
	v_add_u32_e32 v9, 16, v14
	v_mov_b64_e32 v[2:3], 0
	s_mov_b64 s[4:5], 0
	v_mov_b64_e32 v[4:5], 0
.LBB121_105:                            ; =>This Inner Loop Header: Depth=1
	scratch_load_dwordx4 v[10:13], v9, off
	ds_read_b128 v[16:19], v8
	v_add_u32_e32 v7, 1, v7
	v_cmp_lt_u32_e32 vcc, 21, v7
	v_add_u32_e32 v8, 16, v8
	v_add_u32_e32 v9, 16, v9
	s_or_b64 s[4:5], vcc, s[4:5]
	s_waitcnt vmcnt(0) lgkmcnt(0)
	v_mul_f64 v[20:21], v[18:19], v[12:13]
	v_mul_f64 v[12:13], v[16:17], v[12:13]
	v_fma_f64 v[16:17], v[16:17], v[10:11], -v[20:21]
	v_fmac_f64_e32 v[12:13], v[18:19], v[10:11]
	v_add_f64 v[4:5], v[4:5], v[16:17]
	v_add_f64 v[2:3], v[2:3], v[12:13]
	s_andn2_b64 exec, exec, s[4:5]
	s_cbranch_execnz .LBB121_105
; %bb.106:
	s_or_b64 exec, exec, s[4:5]
	v_mov_b32_e32 v0, 0
	ds_read_b128 v[8:11], v0 offset:368
	s_waitcnt lgkmcnt(0)
	v_mul_f64 v[16:17], v[2:3], v[10:11]
	v_mul_f64 v[12:13], v[4:5], v[10:11]
	v_fma_f64 v[10:11], v[4:5], v[8:9], -v[16:17]
	v_fmac_f64_e32 v[12:13], v[2:3], v[8:9]
	scratch_store_dwordx4 off, v[10:13], off offset:384
.LBB121_107:
	s_or_b64 exec, exec, s[0:1]
	; wave barrier
	scratch_load_dwordx4 v[2:5], off, s50
	v_cmp_gt_u32_e32 vcc, 24, v240
	;; [unrolled: 45-line block ×34, first 2 shown]
	s_waitcnt vmcnt(0)
	ds_write_b128 v1, v[2:5]
	s_waitcnt lgkmcnt(0)
	; wave barrier
	s_and_saveexec_b64 s[0:1], vcc
	s_cbranch_execz .LBB121_239
; %bb.236:
	v_add_u32_e32 v7, -1, v240
	v_add_u32_e32 v8, 0x3a0, v14
	v_add_u32_e32 v9, 16, v14
	v_mov_b64_e32 v[2:3], 0
	s_mov_b64 s[4:5], 0
	v_mov_b64_e32 v[4:5], 0
.LBB121_237:                            ; =>This Inner Loop Header: Depth=1
	scratch_load_dwordx4 v[10:13], v9, off
	ds_read_b128 v[16:19], v8
	v_add_u32_e32 v7, 1, v7
	v_cmp_lt_u32_e32 vcc, 54, v7
	v_add_u32_e32 v8, 16, v8
	v_add_u32_e32 v9, 16, v9
	s_or_b64 s[4:5], vcc, s[4:5]
	s_waitcnt vmcnt(0) lgkmcnt(0)
	v_mul_f64 v[20:21], v[18:19], v[12:13]
	v_mul_f64 v[12:13], v[16:17], v[12:13]
	v_fma_f64 v[16:17], v[16:17], v[10:11], -v[20:21]
	v_fmac_f64_e32 v[12:13], v[18:19], v[10:11]
	v_add_f64 v[4:5], v[4:5], v[16:17]
	v_add_f64 v[2:3], v[2:3], v[12:13]
	s_andn2_b64 exec, exec, s[4:5]
	s_cbranch_execnz .LBB121_237
; %bb.238:
	s_or_b64 exec, exec, s[4:5]
	v_mov_b32_e32 v0, 0
	ds_read_b128 v[8:11], v0 offset:896
	s_waitcnt lgkmcnt(0)
	v_mul_f64 v[16:17], v[2:3], v[10:11]
	v_mul_f64 v[12:13], v[4:5], v[10:11]
	v_fma_f64 v[10:11], v[4:5], v[8:9], -v[16:17]
	v_fmac_f64_e32 v[12:13], v[2:3], v[8:9]
	scratch_store_dwordx4 off, v[10:13], off offset:912
.LBB121_239:
	s_or_b64 exec, exec, s[0:1]
	; wave barrier
	scratch_load_dwordx4 v[2:5], off, s16
	v_cmp_ne_u32_e32 vcc, 57, v240
	s_waitcnt vmcnt(0)
	ds_write_b128 v1, v[2:5]
	s_waitcnt lgkmcnt(0)
	; wave barrier
	s_and_saveexec_b64 s[0:1], vcc
	s_cbranch_execz .LBB121_243
; %bb.240:
	v_add_u32_e32 v1, 0x3a0, v14
	v_add_u32_e32 v7, 16, v14
	v_mov_b64_e32 v[2:3], 0
	s_mov_b64 s[4:5], 0
	v_mov_b64_e32 v[4:5], 0
.LBB121_241:                            ; =>This Inner Loop Header: Depth=1
	scratch_load_dwordx4 v[8:11], v7, off
	ds_read_b128 v[12:15], v1
	v_add_u32_e32 v6, 1, v6
	v_cmp_lt_u32_e32 vcc, 55, v6
	v_add_u32_e32 v1, 16, v1
	v_add_u32_e32 v7, 16, v7
	s_or_b64 s[4:5], vcc, s[4:5]
	s_waitcnt vmcnt(0) lgkmcnt(0)
	v_mul_f64 v[16:17], v[14:15], v[10:11]
	v_mul_f64 v[10:11], v[12:13], v[10:11]
	v_fma_f64 v[12:13], v[12:13], v[8:9], -v[16:17]
	v_fmac_f64_e32 v[10:11], v[14:15], v[8:9]
	v_add_f64 v[4:5], v[4:5], v[12:13]
	v_add_f64 v[2:3], v[2:3], v[10:11]
	s_andn2_b64 exec, exec, s[4:5]
	s_cbranch_execnz .LBB121_241
; %bb.242:
	s_or_b64 exec, exec, s[4:5]
	v_mov_b32_e32 v0, 0
	ds_read_b128 v[6:9], v0 offset:912
	s_waitcnt lgkmcnt(0)
	v_mul_f64 v[12:13], v[2:3], v[8:9]
	v_mul_f64 v[10:11], v[4:5], v[8:9]
	v_fma_f64 v[8:9], v[4:5], v[6:7], -v[12:13]
	v_fmac_f64_e32 v[10:11], v[2:3], v[6:7]
	scratch_store_dwordx4 off, v[8:11], off offset:928
.LBB121_243:
	s_or_b64 exec, exec, s[0:1]
	s_mov_b64 s[4:5], -1
	; wave barrier
.LBB121_244:
	s_and_b64 vcc, exec, s[4:5]
	s_cbranch_vccz .LBB121_246
; %bb.245:
	s_lshl_b64 s[0:1], s[2:3], 2
	s_add_u32 s0, s6, s0
	s_addc_u32 s1, s7, s1
	v_mov_b32_e32 v0, 0
	global_load_dword v0, v0, s[0:1]
	s_waitcnt vmcnt(0)
	v_cmp_ne_u32_e32 vcc, 0, v0
	s_cbranch_vccz .LBB121_247
.LBB121_246:
	s_endpgm
.LBB121_247:
	v_mov_b32_e32 v0, 0x3a0
	v_lshl_add_u32 v0, v240, 4, v0
	v_accvgpr_write_b32 a117, v0
	v_cmp_eq_u32_e32 vcc, 57, v240
	s_and_saveexec_b64 s[0:1], vcc
	s_cbranch_execz .LBB121_249
; %bb.248:
	scratch_load_dwordx4 v[2:5], off, s17
	v_mov_b32_e32 v6, 0
	v_mov_b32_e32 v7, v6
	;; [unrolled: 1-line block ×4, first 2 shown]
	v_accvgpr_read_b32 v0, a117
	scratch_store_dwordx4 off, v[6:9], off offset:912
	s_waitcnt vmcnt(1)
	ds_write_b128 v0, v[2:5]
.LBB121_249:
	s_or_b64 exec, exec, s[0:1]
	s_waitcnt lgkmcnt(0)
	; wave barrier
	scratch_load_dwordx4 v[4:7], off, off offset:928
	scratch_load_dwordx4 v[8:11], off, off offset:912
	v_mov_b32_e32 v2, 0
	ds_read_b128 v[12:15], v2 offset:1840
	v_cmp_lt_u32_e32 vcc, 55, v240
	s_waitcnt vmcnt(1) lgkmcnt(0)
	v_mul_f64 v[16:17], v[12:13], v[6:7]
	v_mul_f64 v[6:7], v[14:15], v[6:7]
	v_fmac_f64_e32 v[16:17], v[14:15], v[4:5]
	v_fma_f64 v[4:5], v[12:13], v[4:5], -v[6:7]
	v_add_f64 v[6:7], v[16:17], 0
	v_add_f64 v[4:5], v[4:5], 0
	s_waitcnt vmcnt(0)
	v_add_f64 v[4:5], v[8:9], -v[4:5]
	v_add_f64 v[6:7], v[10:11], -v[6:7]
	scratch_store_dwordx4 off, v[4:7], off offset:912
	s_and_saveexec_b64 s[0:1], vcc
	s_cbranch_execz .LBB121_251
; %bb.250:
	scratch_load_dwordx4 v[6:9], off, s18
	v_mov_b32_e32 v3, v2
	v_mov_b32_e32 v4, v2
	;; [unrolled: 1-line block ×3, first 2 shown]
	v_accvgpr_read_b32 v0, a117
	scratch_store_dwordx4 off, v[2:5], off offset:896
	s_waitcnt vmcnt(1)
	ds_write_b128 v0, v[6:9]
.LBB121_251:
	s_or_b64 exec, exec, s[0:1]
	s_waitcnt lgkmcnt(0)
	; wave barrier
	scratch_load_dwordx4 v[4:7], off, off offset:912
	scratch_load_dwordx4 v[8:11], off, off offset:928
	;; [unrolled: 1-line block ×3, first 2 shown]
	ds_read_b128 v[16:19], v2 offset:1824
	ds_read_b128 v[20:23], v2 offset:1840
	v_cmp_lt_u32_e32 vcc, 54, v240
	s_waitcnt vmcnt(2) lgkmcnt(1)
	v_mul_f64 v[2:3], v[16:17], v[6:7]
	v_mul_f64 v[6:7], v[18:19], v[6:7]
	s_waitcnt vmcnt(1) lgkmcnt(0)
	v_mul_f64 v[24:25], v[20:21], v[10:11]
	v_mul_f64 v[10:11], v[22:23], v[10:11]
	v_fmac_f64_e32 v[2:3], v[18:19], v[4:5]
	v_fma_f64 v[4:5], v[16:17], v[4:5], -v[6:7]
	v_fmac_f64_e32 v[24:25], v[22:23], v[8:9]
	v_fma_f64 v[6:7], v[20:21], v[8:9], -v[10:11]
	v_add_f64 v[2:3], v[2:3], 0
	v_add_f64 v[4:5], v[4:5], 0
	;; [unrolled: 1-line block ×4, first 2 shown]
	s_waitcnt vmcnt(0)
	v_add_f64 v[2:3], v[12:13], -v[2:3]
	v_add_f64 v[4:5], v[14:15], -v[8:9]
	scratch_store_dwordx4 off, v[2:5], off offset:896
	s_and_saveexec_b64 s[0:1], vcc
	s_cbranch_execz .LBB121_253
; %bb.252:
	scratch_load_dwordx4 v[2:5], off, s19
	v_mov_b32_e32 v6, 0
	v_mov_b32_e32 v7, v6
	;; [unrolled: 1-line block ×4, first 2 shown]
	v_accvgpr_read_b32 v0, a117
	scratch_store_dwordx4 off, v[6:9], off offset:880
	s_waitcnt vmcnt(1)
	ds_write_b128 v0, v[2:5]
.LBB121_253:
	s_or_b64 exec, exec, s[0:1]
	s_waitcnt lgkmcnt(0)
	; wave barrier
	scratch_load_dwordx4 v[4:7], off, off offset:896
	scratch_load_dwordx4 v[8:11], off, off offset:912
	;; [unrolled: 1-line block ×4, first 2 shown]
	v_mov_b32_e32 v2, 0
	ds_read_b128 v[20:23], v2 offset:1808
	ds_read_b128 v[24:27], v2 offset:1824
	;; [unrolled: 1-line block ×3, first 2 shown]
	v_cmp_lt_u32_e32 vcc, 53, v240
	s_waitcnt vmcnt(3) lgkmcnt(2)
	v_mul_f64 v[32:33], v[20:21], v[6:7]
	v_mul_f64 v[6:7], v[22:23], v[6:7]
	s_waitcnt vmcnt(2) lgkmcnt(1)
	v_mul_f64 v[34:35], v[24:25], v[10:11]
	v_mul_f64 v[10:11], v[26:27], v[10:11]
	v_fmac_f64_e32 v[32:33], v[22:23], v[4:5]
	v_fma_f64 v[4:5], v[20:21], v[4:5], -v[6:7]
	s_waitcnt vmcnt(1) lgkmcnt(0)
	v_mul_f64 v[36:37], v[28:29], v[14:15]
	v_mul_f64 v[14:15], v[30:31], v[14:15]
	v_fmac_f64_e32 v[34:35], v[26:27], v[8:9]
	v_fma_f64 v[6:7], v[24:25], v[8:9], -v[10:11]
	v_add_f64 v[10:11], v[32:33], 0
	v_add_f64 v[4:5], v[4:5], 0
	v_fmac_f64_e32 v[36:37], v[30:31], v[12:13]
	v_fma_f64 v[8:9], v[28:29], v[12:13], -v[14:15]
	v_add_f64 v[10:11], v[10:11], v[34:35]
	v_add_f64 v[4:5], v[4:5], v[6:7]
	v_add_f64 v[6:7], v[10:11], v[36:37]
	v_add_f64 v[4:5], v[4:5], v[8:9]
	s_waitcnt vmcnt(0)
	v_add_f64 v[4:5], v[16:17], -v[4:5]
	v_add_f64 v[6:7], v[18:19], -v[6:7]
	scratch_store_dwordx4 off, v[4:7], off offset:880
	s_and_saveexec_b64 s[0:1], vcc
	s_cbranch_execz .LBB121_255
; %bb.254:
	scratch_load_dwordx4 v[6:9], off, s20
	v_mov_b32_e32 v3, v2
	v_mov_b32_e32 v4, v2
	;; [unrolled: 1-line block ×3, first 2 shown]
	v_accvgpr_read_b32 v0, a117
	scratch_store_dwordx4 off, v[2:5], off offset:864
	s_waitcnt vmcnt(1)
	ds_write_b128 v0, v[6:9]
.LBB121_255:
	s_or_b64 exec, exec, s[0:1]
	s_waitcnt lgkmcnt(0)
	; wave barrier
	scratch_load_dwordx4 v[4:7], off, off offset:880
	scratch_load_dwordx4 v[8:11], off, off offset:896
	;; [unrolled: 1-line block ×5, first 2 shown]
	ds_read_b128 v[24:27], v2 offset:1792
	ds_read_b128 v[28:31], v2 offset:1808
	;; [unrolled: 1-line block ×4, first 2 shown]
	v_cmp_lt_u32_e32 vcc, 52, v240
	s_waitcnt vmcnt(4) lgkmcnt(3)
	v_mul_f64 v[2:3], v[24:25], v[6:7]
	v_mul_f64 v[6:7], v[26:27], v[6:7]
	s_waitcnt vmcnt(3) lgkmcnt(2)
	v_mul_f64 v[40:41], v[28:29], v[10:11]
	v_mul_f64 v[10:11], v[30:31], v[10:11]
	v_fmac_f64_e32 v[2:3], v[26:27], v[4:5]
	v_fma_f64 v[4:5], v[24:25], v[4:5], -v[6:7]
	s_waitcnt vmcnt(2) lgkmcnt(1)
	v_mul_f64 v[42:43], v[32:33], v[14:15]
	v_mul_f64 v[14:15], v[34:35], v[14:15]
	v_fmac_f64_e32 v[40:41], v[30:31], v[8:9]
	v_fma_f64 v[6:7], v[28:29], v[8:9], -v[10:11]
	v_add_f64 v[2:3], v[2:3], 0
	v_add_f64 v[4:5], v[4:5], 0
	s_waitcnt vmcnt(1) lgkmcnt(0)
	v_mul_f64 v[44:45], v[36:37], v[18:19]
	v_mul_f64 v[18:19], v[38:39], v[18:19]
	v_fmac_f64_e32 v[42:43], v[34:35], v[12:13]
	v_fma_f64 v[8:9], v[32:33], v[12:13], -v[14:15]
	v_add_f64 v[2:3], v[2:3], v[40:41]
	v_add_f64 v[4:5], v[4:5], v[6:7]
	v_fmac_f64_e32 v[44:45], v[38:39], v[16:17]
	v_fma_f64 v[10:11], v[36:37], v[16:17], -v[18:19]
	v_add_f64 v[2:3], v[2:3], v[42:43]
	v_add_f64 v[4:5], v[4:5], v[8:9]
	v_add_f64 v[6:7], v[2:3], v[44:45]
	v_add_f64 v[2:3], v[4:5], v[10:11]
	s_waitcnt vmcnt(0)
	v_add_f64 v[2:3], v[20:21], -v[2:3]
	v_add_f64 v[4:5], v[22:23], -v[6:7]
	scratch_store_dwordx4 off, v[2:5], off offset:864
	s_and_saveexec_b64 s[0:1], vcc
	s_cbranch_execz .LBB121_257
; %bb.256:
	scratch_load_dwordx4 v[2:5], off, s21
	v_mov_b32_e32 v6, 0
	v_mov_b32_e32 v7, v6
	;; [unrolled: 1-line block ×4, first 2 shown]
	v_accvgpr_read_b32 v0, a117
	scratch_store_dwordx4 off, v[6:9], off offset:848
	s_waitcnt vmcnt(1)
	ds_write_b128 v0, v[2:5]
.LBB121_257:
	s_or_b64 exec, exec, s[0:1]
	v_mov_b32_e32 v2, 0
	s_waitcnt lgkmcnt(0)
	; wave barrier
	ds_read_b128 v[4:7], v2 offset:1776
	ds_read_b128 v[8:11], v2 offset:1792
	;; [unrolled: 1-line block ×4, first 2 shown]
	scratch_load_dwordx4 v[20:23], off, off offset:864
	scratch_load_dwordx4 v[40:43], off, off offset:928
	v_cmp_lt_u32_e32 vcc, 51, v240
	s_waitcnt vmcnt(1) lgkmcnt(3)
	v_mul_f64 v[24:25], v[4:5], v[22:23]
	v_fmac_f64_e32 v[24:25], v[6:7], v[20:21]
	v_add_f64 v[28:29], v[24:25], 0
	scratch_load_dwordx4 v[24:27], off, off offset:880
	v_mul_f64 v[6:7], v[6:7], v[22:23]
	v_fma_f64 v[4:5], v[4:5], v[20:21], -v[6:7]
	v_add_f64 v[4:5], v[4:5], 0
	s_waitcnt vmcnt(0) lgkmcnt(2)
	v_mul_f64 v[30:31], v[8:9], v[26:27]
	v_fmac_f64_e32 v[30:31], v[10:11], v[24:25]
	v_add_f64 v[32:33], v[28:29], v[30:31]
	scratch_load_dwordx4 v[28:31], off, off offset:896
	v_mul_f64 v[6:7], v[10:11], v[26:27]
	v_fma_f64 v[6:7], v[8:9], v[24:25], -v[6:7]
	v_add_f64 v[4:5], v[4:5], v[6:7]
	;; [unrolled: 8-line block ×3, first 2 shown]
	s_waitcnt vmcnt(0) lgkmcnt(0)
	v_mul_f64 v[38:39], v[16:17], v[34:35]
	v_fmac_f64_e32 v[38:39], v[18:19], v[32:33]
	v_add_f64 v[44:45], v[36:37], v[38:39]
	ds_read_b128 v[36:39], v2 offset:1840
	v_mul_f64 v[6:7], v[18:19], v[34:35]
	v_fma_f64 v[6:7], v[16:17], v[32:33], -v[6:7]
	v_add_f64 v[4:5], v[4:5], v[6:7]
	s_waitcnt lgkmcnt(0)
	v_mul_f64 v[6:7], v[38:39], v[42:43]
	v_fma_f64 v[6:7], v[36:37], v[40:41], -v[6:7]
	v_add_f64 v[8:9], v[4:5], v[6:7]
	scratch_load_dwordx4 v[4:7], off, off offset:848
	v_mul_f64 v[46:47], v[36:37], v[42:43]
	v_fmac_f64_e32 v[46:47], v[38:39], v[40:41]
	v_add_f64 v[44:45], v[44:45], v[46:47]
	s_waitcnt vmcnt(0)
	v_add_f64 v[4:5], v[4:5], -v[8:9]
	v_add_f64 v[6:7], v[6:7], -v[44:45]
	scratch_store_dwordx4 off, v[4:7], off offset:848
	s_and_saveexec_b64 s[0:1], vcc
	s_cbranch_execz .LBB121_259
; %bb.258:
	scratch_load_dwordx4 v[6:9], off, s22
	v_mov_b32_e32 v3, v2
	v_mov_b32_e32 v4, v2
	;; [unrolled: 1-line block ×3, first 2 shown]
	v_accvgpr_read_b32 v0, a117
	scratch_store_dwordx4 off, v[2:5], off offset:832
	s_waitcnt vmcnt(1)
	ds_write_b128 v0, v[6:9]
.LBB121_259:
	s_or_b64 exec, exec, s[0:1]
	s_waitcnt lgkmcnt(0)
	; wave barrier
	scratch_load_dwordx4 v[4:7], off, off offset:848
	scratch_load_dwordx4 v[8:11], off, off offset:864
	;; [unrolled: 1-line block ×7, first 2 shown]
	ds_read_b128 v[32:35], v2 offset:1760
	ds_read_b128 v[36:39], v2 offset:1776
	;; [unrolled: 1-line block ×6, first 2 shown]
	v_cmp_lt_u32_e32 vcc, 50, v240
	s_waitcnt vmcnt(6) lgkmcnt(5)
	v_mul_f64 v[2:3], v[32:33], v[6:7]
	v_mul_f64 v[6:7], v[34:35], v[6:7]
	s_waitcnt vmcnt(5) lgkmcnt(4)
	v_mul_f64 v[56:57], v[36:37], v[10:11]
	v_mul_f64 v[10:11], v[38:39], v[10:11]
	v_fmac_f64_e32 v[2:3], v[34:35], v[4:5]
	v_fma_f64 v[4:5], v[32:33], v[4:5], -v[6:7]
	s_waitcnt vmcnt(4) lgkmcnt(3)
	v_mul_f64 v[58:59], v[40:41], v[14:15]
	v_mul_f64 v[14:15], v[42:43], v[14:15]
	v_fmac_f64_e32 v[56:57], v[38:39], v[8:9]
	v_fma_f64 v[6:7], v[36:37], v[8:9], -v[10:11]
	v_add_f64 v[2:3], v[2:3], 0
	v_add_f64 v[4:5], v[4:5], 0
	s_waitcnt vmcnt(3) lgkmcnt(2)
	v_mul_f64 v[60:61], v[44:45], v[18:19]
	v_mul_f64 v[18:19], v[46:47], v[18:19]
	v_fmac_f64_e32 v[58:59], v[42:43], v[12:13]
	v_fma_f64 v[8:9], v[40:41], v[12:13], -v[14:15]
	v_add_f64 v[2:3], v[2:3], v[56:57]
	v_add_f64 v[4:5], v[4:5], v[6:7]
	;; [unrolled: 7-line block ×4, first 2 shown]
	v_fmac_f64_e32 v[64:65], v[54:55], v[24:25]
	v_fma_f64 v[14:15], v[52:53], v[24:25], -v[26:27]
	v_add_f64 v[2:3], v[2:3], v[62:63]
	v_add_f64 v[4:5], v[4:5], v[12:13]
	;; [unrolled: 1-line block ×4, first 2 shown]
	s_waitcnt vmcnt(0)
	v_add_f64 v[2:3], v[28:29], -v[2:3]
	v_add_f64 v[4:5], v[30:31], -v[6:7]
	scratch_store_dwordx4 off, v[2:5], off offset:832
	s_and_saveexec_b64 s[0:1], vcc
	s_cbranch_execz .LBB121_261
; %bb.260:
	scratch_load_dwordx4 v[2:5], off, s23
	v_mov_b32_e32 v6, 0
	v_mov_b32_e32 v7, v6
	;; [unrolled: 1-line block ×4, first 2 shown]
	v_accvgpr_read_b32 v0, a117
	scratch_store_dwordx4 off, v[6:9], off offset:816
	s_waitcnt vmcnt(1)
	ds_write_b128 v0, v[2:5]
.LBB121_261:
	s_or_b64 exec, exec, s[0:1]
	s_waitcnt lgkmcnt(0)
	; wave barrier
	scratch_load_dwordx4 v[4:7], off, off offset:832
	scratch_load_dwordx4 v[8:11], off, off offset:848
	;; [unrolled: 1-line block ×8, first 2 shown]
	v_mov_b32_e32 v2, 0
	ds_read_b128 v[36:39], v2 offset:1744
	ds_read_b128 v[40:43], v2 offset:1760
	;; [unrolled: 1-line block ×7, first 2 shown]
	v_cmp_lt_u32_e32 vcc, 49, v240
	s_waitcnt vmcnt(7) lgkmcnt(6)
	v_mul_f64 v[64:65], v[36:37], v[6:7]
	v_mul_f64 v[6:7], v[38:39], v[6:7]
	s_waitcnt vmcnt(6) lgkmcnt(5)
	v_mul_f64 v[66:67], v[40:41], v[10:11]
	s_waitcnt vmcnt(4) lgkmcnt(3)
	v_mul_f64 v[70:71], v[48:49], v[18:19]
	v_mul_f64 v[10:11], v[42:43], v[10:11]
	;; [unrolled: 1-line block ×3, first 2 shown]
	v_fmac_f64_e32 v[64:65], v[38:39], v[4:5]
	v_fma_f64 v[4:5], v[36:37], v[4:5], -v[6:7]
	v_mul_f64 v[68:69], v[44:45], v[14:15]
	v_mul_f64 v[14:15], v[46:47], v[14:15]
	v_fmac_f64_e32 v[66:67], v[42:43], v[8:9]
	v_fma_f64 v[6:7], v[40:41], v[8:9], -v[10:11]
	v_fma_f64 v[10:11], v[48:49], v[16:17], -v[18:19]
	v_add_f64 v[18:19], v[64:65], 0
	v_add_f64 v[4:5], v[4:5], 0
	v_fmac_f64_e32 v[68:69], v[46:47], v[12:13]
	v_fma_f64 v[8:9], v[44:45], v[12:13], -v[14:15]
	v_add_f64 v[18:19], v[18:19], v[66:67]
	v_add_f64 v[4:5], v[4:5], v[6:7]
	s_waitcnt vmcnt(3) lgkmcnt(2)
	v_mul_f64 v[72:73], v[52:53], v[22:23]
	v_mul_f64 v[22:23], v[54:55], v[22:23]
	v_fmac_f64_e32 v[70:71], v[50:51], v[16:17]
	v_add_f64 v[6:7], v[18:19], v[68:69]
	v_add_f64 v[4:5], v[4:5], v[8:9]
	s_waitcnt vmcnt(2) lgkmcnt(1)
	v_mul_f64 v[74:75], v[56:57], v[26:27]
	v_mul_f64 v[26:27], v[58:59], v[26:27]
	v_fmac_f64_e32 v[72:73], v[54:55], v[20:21]
	v_fma_f64 v[12:13], v[52:53], v[20:21], -v[22:23]
	v_add_f64 v[6:7], v[6:7], v[70:71]
	v_add_f64 v[4:5], v[4:5], v[10:11]
	s_waitcnt vmcnt(1) lgkmcnt(0)
	v_mul_f64 v[76:77], v[60:61], v[30:31]
	v_mul_f64 v[30:31], v[62:63], v[30:31]
	v_fmac_f64_e32 v[74:75], v[58:59], v[24:25]
	v_fma_f64 v[14:15], v[56:57], v[24:25], -v[26:27]
	v_add_f64 v[6:7], v[6:7], v[72:73]
	v_add_f64 v[4:5], v[4:5], v[12:13]
	v_fmac_f64_e32 v[76:77], v[62:63], v[28:29]
	v_fma_f64 v[16:17], v[60:61], v[28:29], -v[30:31]
	v_add_f64 v[6:7], v[6:7], v[74:75]
	v_add_f64 v[4:5], v[4:5], v[14:15]
	;; [unrolled: 1-line block ×4, first 2 shown]
	s_waitcnt vmcnt(0)
	v_add_f64 v[4:5], v[32:33], -v[4:5]
	v_add_f64 v[6:7], v[34:35], -v[6:7]
	scratch_store_dwordx4 off, v[4:7], off offset:816
	s_and_saveexec_b64 s[0:1], vcc
	s_cbranch_execz .LBB121_263
; %bb.262:
	scratch_load_dwordx4 v[6:9], off, s24
	v_mov_b32_e32 v3, v2
	v_mov_b32_e32 v4, v2
	;; [unrolled: 1-line block ×3, first 2 shown]
	v_accvgpr_read_b32 v0, a117
	scratch_store_dwordx4 off, v[2:5], off offset:800
	s_waitcnt vmcnt(1)
	ds_write_b128 v0, v[6:9]
.LBB121_263:
	s_or_b64 exec, exec, s[0:1]
	s_waitcnt lgkmcnt(0)
	; wave barrier
	scratch_load_dwordx4 v[4:7], off, off offset:816
	scratch_load_dwordx4 v[8:11], off, off offset:832
	;; [unrolled: 1-line block ×9, first 2 shown]
	ds_read_b128 v[40:43], v2 offset:1728
	ds_read_b128 v[44:47], v2 offset:1744
	;; [unrolled: 1-line block ×8, first 2 shown]
	v_cmp_lt_u32_e32 vcc, 48, v240
	s_waitcnt vmcnt(8) lgkmcnt(7)
	v_mul_f64 v[2:3], v[40:41], v[6:7]
	v_mul_f64 v[6:7], v[42:43], v[6:7]
	s_waitcnt vmcnt(7) lgkmcnt(6)
	v_mul_f64 v[72:73], v[44:45], v[10:11]
	v_mul_f64 v[10:11], v[46:47], v[10:11]
	v_fmac_f64_e32 v[2:3], v[42:43], v[4:5]
	v_fma_f64 v[4:5], v[40:41], v[4:5], -v[6:7]
	s_waitcnt vmcnt(6) lgkmcnt(5)
	v_mul_f64 v[74:75], v[48:49], v[14:15]
	v_mul_f64 v[14:15], v[50:51], v[14:15]
	v_fmac_f64_e32 v[72:73], v[46:47], v[8:9]
	v_fma_f64 v[6:7], v[44:45], v[8:9], -v[10:11]
	v_add_f64 v[2:3], v[2:3], 0
	v_add_f64 v[4:5], v[4:5], 0
	s_waitcnt vmcnt(5) lgkmcnt(4)
	v_mul_f64 v[76:77], v[52:53], v[18:19]
	v_mul_f64 v[18:19], v[54:55], v[18:19]
	v_fmac_f64_e32 v[74:75], v[50:51], v[12:13]
	v_fma_f64 v[8:9], v[48:49], v[12:13], -v[14:15]
	v_add_f64 v[2:3], v[2:3], v[72:73]
	v_add_f64 v[4:5], v[4:5], v[6:7]
	;; [unrolled: 7-line block ×6, first 2 shown]
	v_fmac_f64_e32 v[84:85], v[70:71], v[32:33]
	v_fma_f64 v[18:19], v[68:69], v[32:33], -v[34:35]
	v_add_f64 v[2:3], v[2:3], v[82:83]
	v_add_f64 v[4:5], v[4:5], v[16:17]
	;; [unrolled: 1-line block ×4, first 2 shown]
	s_waitcnt vmcnt(0)
	v_add_f64 v[2:3], v[36:37], -v[2:3]
	v_add_f64 v[4:5], v[38:39], -v[6:7]
	scratch_store_dwordx4 off, v[2:5], off offset:800
	s_and_saveexec_b64 s[0:1], vcc
	s_cbranch_execz .LBB121_265
; %bb.264:
	scratch_load_dwordx4 v[2:5], off, s25
	v_mov_b32_e32 v6, 0
	v_mov_b32_e32 v7, v6
	;; [unrolled: 1-line block ×4, first 2 shown]
	v_accvgpr_read_b32 v0, a117
	scratch_store_dwordx4 off, v[6:9], off offset:784
	s_waitcnt vmcnt(1)
	ds_write_b128 v0, v[2:5]
.LBB121_265:
	s_or_b64 exec, exec, s[0:1]
	s_waitcnt lgkmcnt(0)
	; wave barrier
	scratch_load_dwordx4 v[4:7], off, off offset:800
	scratch_load_dwordx4 v[8:11], off, off offset:816
	;; [unrolled: 1-line block ×10, first 2 shown]
	v_mov_b32_e32 v2, 0
	ds_read_b128 v[44:47], v2 offset:1712
	ds_read_b128 v[48:51], v2 offset:1728
	ds_read_b128 v[52:55], v2 offset:1744
	ds_read_b128 v[56:59], v2 offset:1760
	ds_read_b128 v[60:63], v2 offset:1776
	ds_read_b128 v[64:67], v2 offset:1792
	ds_read_b128 v[68:71], v2 offset:1808
	ds_read_b128 v[72:75], v2 offset:1824
	ds_read_b128 v[76:79], v2 offset:1840
	v_cmp_lt_u32_e32 vcc, 47, v240
	s_waitcnt vmcnt(9) lgkmcnt(8)
	v_mul_f64 v[80:81], v[44:45], v[6:7]
	v_mul_f64 v[6:7], v[46:47], v[6:7]
	s_waitcnt vmcnt(8) lgkmcnt(7)
	v_mul_f64 v[82:83], v[48:49], v[10:11]
	s_waitcnt vmcnt(7) lgkmcnt(6)
	;; [unrolled: 2-line block ×3, first 2 shown]
	v_mul_f64 v[88:89], v[60:61], v[22:23]
	v_mul_f64 v[10:11], v[50:51], v[10:11]
	;; [unrolled: 1-line block ×4, first 2 shown]
	v_fmac_f64_e32 v[80:81], v[46:47], v[4:5]
	v_fma_f64 v[4:5], v[44:45], v[4:5], -v[6:7]
	v_fmac_f64_e32 v[82:83], v[50:51], v[8:9]
	v_fmac_f64_e32 v[84:85], v[54:55], v[12:13]
	v_fma_f64 v[6:7], v[48:49], v[8:9], -v[10:11]
	v_fma_f64 v[8:9], v[52:53], v[12:13], -v[14:15]
	;; [unrolled: 1-line block ×3, first 2 shown]
	v_add_f64 v[22:23], v[80:81], 0
	v_add_f64 v[4:5], v[4:5], 0
	v_mul_f64 v[86:87], v[56:57], v[18:19]
	v_mul_f64 v[18:19], v[58:59], v[18:19]
	v_add_f64 v[22:23], v[22:23], v[82:83]
	v_add_f64 v[4:5], v[4:5], v[6:7]
	v_fmac_f64_e32 v[86:87], v[58:59], v[16:17]
	v_fma_f64 v[10:11], v[56:57], v[16:17], -v[18:19]
	v_add_f64 v[6:7], v[22:23], v[84:85]
	v_add_f64 v[4:5], v[4:5], v[8:9]
	s_waitcnt vmcnt(4) lgkmcnt(3)
	v_mul_f64 v[90:91], v[64:65], v[26:27]
	v_mul_f64 v[26:27], v[66:67], v[26:27]
	v_fmac_f64_e32 v[88:89], v[62:63], v[20:21]
	v_add_f64 v[6:7], v[6:7], v[86:87]
	v_add_f64 v[4:5], v[4:5], v[10:11]
	s_waitcnt vmcnt(3) lgkmcnt(2)
	v_mul_f64 v[92:93], v[68:69], v[30:31]
	v_mul_f64 v[30:31], v[70:71], v[30:31]
	v_fmac_f64_e32 v[90:91], v[66:67], v[24:25]
	v_fma_f64 v[14:15], v[64:65], v[24:25], -v[26:27]
	v_add_f64 v[6:7], v[6:7], v[88:89]
	v_add_f64 v[4:5], v[4:5], v[12:13]
	s_waitcnt vmcnt(2) lgkmcnt(1)
	v_mul_f64 v[94:95], v[72:73], v[34:35]
	v_mul_f64 v[34:35], v[74:75], v[34:35]
	v_fmac_f64_e32 v[92:93], v[70:71], v[28:29]
	v_fma_f64 v[16:17], v[68:69], v[28:29], -v[30:31]
	;; [unrolled: 7-line block ×3, first 2 shown]
	v_add_f64 v[6:7], v[6:7], v[92:93]
	v_add_f64 v[4:5], v[4:5], v[16:17]
	v_fmac_f64_e32 v[96:97], v[78:79], v[36:37]
	v_fma_f64 v[20:21], v[76:77], v[36:37], -v[38:39]
	v_add_f64 v[6:7], v[6:7], v[94:95]
	v_add_f64 v[4:5], v[4:5], v[18:19]
	;; [unrolled: 1-line block ×4, first 2 shown]
	s_waitcnt vmcnt(0)
	v_add_f64 v[4:5], v[40:41], -v[4:5]
	v_add_f64 v[6:7], v[42:43], -v[6:7]
	scratch_store_dwordx4 off, v[4:7], off offset:784
	s_and_saveexec_b64 s[0:1], vcc
	s_cbranch_execz .LBB121_267
; %bb.266:
	scratch_load_dwordx4 v[6:9], off, s26
	v_mov_b32_e32 v3, v2
	v_mov_b32_e32 v4, v2
	;; [unrolled: 1-line block ×3, first 2 shown]
	v_accvgpr_read_b32 v0, a117
	scratch_store_dwordx4 off, v[2:5], off offset:768
	s_waitcnt vmcnt(1)
	ds_write_b128 v0, v[6:9]
.LBB121_267:
	s_or_b64 exec, exec, s[0:1]
	s_waitcnt lgkmcnt(0)
	; wave barrier
	scratch_load_dwordx4 v[4:7], off, off offset:784
	scratch_load_dwordx4 v[8:11], off, off offset:800
	;; [unrolled: 1-line block ×11, first 2 shown]
	ds_read_b128 v[48:51], v2 offset:1696
	ds_read_b128 v[52:55], v2 offset:1712
	;; [unrolled: 1-line block ×10, first 2 shown]
	v_cmp_lt_u32_e32 vcc, 46, v240
	s_waitcnt vmcnt(10) lgkmcnt(9)
	v_mul_f64 v[2:3], v[48:49], v[6:7]
	v_mul_f64 v[6:7], v[50:51], v[6:7]
	s_waitcnt vmcnt(9) lgkmcnt(8)
	v_mul_f64 v[88:89], v[52:53], v[10:11]
	v_mul_f64 v[10:11], v[54:55], v[10:11]
	v_fmac_f64_e32 v[2:3], v[50:51], v[4:5]
	v_fma_f64 v[4:5], v[48:49], v[4:5], -v[6:7]
	s_waitcnt vmcnt(8) lgkmcnt(7)
	v_mul_f64 v[90:91], v[56:57], v[14:15]
	v_mul_f64 v[14:15], v[58:59], v[14:15]
	v_fmac_f64_e32 v[88:89], v[54:55], v[8:9]
	v_fma_f64 v[6:7], v[52:53], v[8:9], -v[10:11]
	v_add_f64 v[2:3], v[2:3], 0
	v_add_f64 v[4:5], v[4:5], 0
	s_waitcnt vmcnt(7) lgkmcnt(6)
	v_mul_f64 v[92:93], v[60:61], v[18:19]
	v_mul_f64 v[18:19], v[62:63], v[18:19]
	v_fmac_f64_e32 v[90:91], v[58:59], v[12:13]
	v_fma_f64 v[8:9], v[56:57], v[12:13], -v[14:15]
	v_add_f64 v[2:3], v[2:3], v[88:89]
	v_add_f64 v[4:5], v[4:5], v[6:7]
	;; [unrolled: 7-line block ×8, first 2 shown]
	v_fmac_f64_e32 v[104:105], v[86:87], v[40:41]
	v_fma_f64 v[22:23], v[84:85], v[40:41], -v[42:43]
	v_add_f64 v[2:3], v[2:3], v[102:103]
	v_add_f64 v[4:5], v[4:5], v[20:21]
	;; [unrolled: 1-line block ×4, first 2 shown]
	s_waitcnt vmcnt(0)
	v_add_f64 v[2:3], v[44:45], -v[2:3]
	v_add_f64 v[4:5], v[46:47], -v[6:7]
	scratch_store_dwordx4 off, v[2:5], off offset:768
	s_and_saveexec_b64 s[0:1], vcc
	s_cbranch_execz .LBB121_269
; %bb.268:
	scratch_load_dwordx4 v[2:5], off, s27
	v_mov_b32_e32 v6, 0
	v_mov_b32_e32 v7, v6
	;; [unrolled: 1-line block ×4, first 2 shown]
	v_accvgpr_read_b32 v0, a117
	scratch_store_dwordx4 off, v[6:9], off offset:752
	s_waitcnt vmcnt(1)
	ds_write_b128 v0, v[2:5]
.LBB121_269:
	s_or_b64 exec, exec, s[0:1]
	s_waitcnt lgkmcnt(0)
	; wave barrier
	scratch_load_dwordx4 v[4:7], off, off offset:768
	scratch_load_dwordx4 v[8:11], off, off offset:784
	;; [unrolled: 1-line block ×12, first 2 shown]
	v_mov_b32_e32 v2, 0
	ds_read_b128 v[52:55], v2 offset:1680
	ds_read_b128 v[56:59], v2 offset:1696
	;; [unrolled: 1-line block ×11, first 2 shown]
	v_cmp_lt_u32_e32 vcc, 45, v240
	s_waitcnt vmcnt(11) lgkmcnt(10)
	v_mul_f64 v[96:97], v[52:53], v[6:7]
	v_mul_f64 v[6:7], v[54:55], v[6:7]
	s_waitcnt vmcnt(10) lgkmcnt(9)
	v_mul_f64 v[98:99], v[56:57], v[10:11]
	s_waitcnt vmcnt(9) lgkmcnt(8)
	v_mul_f64 v[100:101], v[60:61], v[14:15]
	v_mul_f64 v[10:11], v[58:59], v[10:11]
	s_waitcnt vmcnt(6) lgkmcnt(5)
	v_mul_f64 v[106:107], v[72:73], v[26:27]
	v_mul_f64 v[14:15], v[62:63], v[14:15]
	;; [unrolled: 1-line block ×3, first 2 shown]
	v_fmac_f64_e32 v[96:97], v[54:55], v[4:5]
	v_fma_f64 v[4:5], v[52:53], v[4:5], -v[6:7]
	v_fmac_f64_e32 v[98:99], v[58:59], v[8:9]
	v_fma_f64 v[6:7], v[56:57], v[8:9], -v[10:11]
	v_fma_f64 v[8:9], v[60:61], v[12:13], -v[14:15]
	v_fma_f64 v[14:15], v[72:73], v[24:25], -v[26:27]
	v_add_f64 v[26:27], v[96:97], 0
	v_add_f64 v[4:5], v[4:5], 0
	v_mul_f64 v[102:103], v[64:65], v[18:19]
	v_mul_f64 v[18:19], v[66:67], v[18:19]
	v_fmac_f64_e32 v[100:101], v[62:63], v[12:13]
	v_add_f64 v[26:27], v[26:27], v[98:99]
	v_add_f64 v[4:5], v[4:5], v[6:7]
	v_mul_f64 v[104:105], v[68:69], v[22:23]
	v_mul_f64 v[22:23], v[70:71], v[22:23]
	v_fmac_f64_e32 v[102:103], v[66:67], v[16:17]
	v_fma_f64 v[10:11], v[64:65], v[16:17], -v[18:19]
	v_add_f64 v[6:7], v[26:27], v[100:101]
	v_add_f64 v[4:5], v[4:5], v[8:9]
	v_fmac_f64_e32 v[104:105], v[70:71], v[20:21]
	v_fma_f64 v[12:13], v[68:69], v[20:21], -v[22:23]
	v_add_f64 v[6:7], v[6:7], v[102:103]
	v_add_f64 v[4:5], v[4:5], v[10:11]
	s_waitcnt vmcnt(5) lgkmcnt(4)
	v_mul_f64 v[108:109], v[76:77], v[30:31]
	v_mul_f64 v[30:31], v[78:79], v[30:31]
	v_fmac_f64_e32 v[106:107], v[74:75], v[24:25]
	v_add_f64 v[6:7], v[6:7], v[104:105]
	v_add_f64 v[4:5], v[4:5], v[12:13]
	s_waitcnt vmcnt(4) lgkmcnt(3)
	v_mul_f64 v[110:111], v[80:81], v[34:35]
	v_mul_f64 v[34:35], v[82:83], v[34:35]
	v_fmac_f64_e32 v[108:109], v[78:79], v[28:29]
	v_fma_f64 v[16:17], v[76:77], v[28:29], -v[30:31]
	v_add_f64 v[6:7], v[6:7], v[106:107]
	v_add_f64 v[4:5], v[4:5], v[14:15]
	s_waitcnt vmcnt(3) lgkmcnt(2)
	v_mul_f64 v[112:113], v[84:85], v[38:39]
	v_mul_f64 v[38:39], v[86:87], v[38:39]
	v_fmac_f64_e32 v[110:111], v[82:83], v[32:33]
	v_fma_f64 v[18:19], v[80:81], v[32:33], -v[34:35]
	;; [unrolled: 7-line block ×4, first 2 shown]
	v_add_f64 v[6:7], v[6:7], v[112:113]
	v_add_f64 v[4:5], v[4:5], v[20:21]
	v_fmac_f64_e32 v[116:117], v[94:95], v[44:45]
	v_fma_f64 v[24:25], v[92:93], v[44:45], -v[46:47]
	v_add_f64 v[6:7], v[6:7], v[114:115]
	v_add_f64 v[4:5], v[4:5], v[22:23]
	;; [unrolled: 1-line block ×4, first 2 shown]
	s_waitcnt vmcnt(0)
	v_add_f64 v[4:5], v[48:49], -v[4:5]
	v_add_f64 v[6:7], v[50:51], -v[6:7]
	scratch_store_dwordx4 off, v[4:7], off offset:752
	s_and_saveexec_b64 s[0:1], vcc
	s_cbranch_execz .LBB121_271
; %bb.270:
	scratch_load_dwordx4 v[6:9], off, s28
	v_mov_b32_e32 v3, v2
	v_mov_b32_e32 v4, v2
	;; [unrolled: 1-line block ×3, first 2 shown]
	v_accvgpr_read_b32 v0, a117
	scratch_store_dwordx4 off, v[2:5], off offset:736
	s_waitcnt vmcnt(1)
	ds_write_b128 v0, v[6:9]
.LBB121_271:
	s_or_b64 exec, exec, s[0:1]
	s_waitcnt lgkmcnt(0)
	; wave barrier
	scratch_load_dwordx4 v[4:7], off, off offset:752
	scratch_load_dwordx4 v[8:11], off, off offset:768
	;; [unrolled: 1-line block ×12, first 2 shown]
	ds_read_b128 v[52:55], v2 offset:1664
	ds_read_b128 v[56:59], v2 offset:1680
	;; [unrolled: 1-line block ×4, first 2 shown]
	scratch_load_dwordx4 v[68:71], off, off offset:736
	ds_read_b128 v[72:75], v2 offset:1728
	ds_read_b128 v[76:79], v2 offset:1744
	;; [unrolled: 1-line block ×8, first 2 shown]
	v_cmp_lt_u32_e32 vcc, 44, v240
	s_waitcnt vmcnt(12) lgkmcnt(11)
	v_mul_f64 v[2:3], v[52:53], v[6:7]
	s_waitcnt vmcnt(11) lgkmcnt(10)
	v_mul_f64 v[104:105], v[56:57], v[10:11]
	v_fmac_f64_e32 v[2:3], v[54:55], v[4:5]
	s_waitcnt vmcnt(10) lgkmcnt(9)
	v_mul_f64 v[106:107], v[60:61], v[14:15]
	v_mul_f64 v[6:7], v[54:55], v[6:7]
	v_fmac_f64_e32 v[104:105], v[58:59], v[8:9]
	v_add_f64 v[2:3], v[2:3], 0
	s_waitcnt vmcnt(9) lgkmcnt(8)
	v_mul_f64 v[108:109], v[64:65], v[18:19]
	v_mul_f64 v[10:11], v[58:59], v[10:11]
	v_fmac_f64_e32 v[106:107], v[62:63], v[12:13]
	v_fma_f64 v[4:5], v[52:53], v[4:5], -v[6:7]
	v_add_f64 v[2:3], v[2:3], v[104:105]
	s_waitcnt vmcnt(8) lgkmcnt(7)
	v_mul_f64 v[110:111], v[72:73], v[22:23]
	v_mul_f64 v[14:15], v[62:63], v[14:15]
	v_fmac_f64_e32 v[108:109], v[66:67], v[16:17]
	v_fma_f64 v[6:7], v[56:57], v[8:9], -v[10:11]
	v_add_f64 v[4:5], v[4:5], 0
	v_add_f64 v[2:3], v[2:3], v[106:107]
	s_waitcnt vmcnt(7) lgkmcnt(6)
	v_mul_f64 v[112:113], v[76:77], v[26:27]
	v_mul_f64 v[18:19], v[66:67], v[18:19]
	v_fmac_f64_e32 v[110:111], v[74:75], v[20:21]
	v_fma_f64 v[8:9], v[60:61], v[12:13], -v[14:15]
	v_add_f64 v[4:5], v[4:5], v[6:7]
	;; [unrolled: 7-line block ×8, first 2 shown]
	v_add_f64 v[2:3], v[2:3], v[120:121]
	v_mul_f64 v[46:47], v[98:99], v[46:47]
	v_fmac_f64_e32 v[124:125], v[102:103], v[48:49]
	v_fma_f64 v[22:23], v[92:93], v[40:41], -v[42:43]
	v_add_f64 v[4:5], v[4:5], v[20:21]
	v_add_f64 v[2:3], v[2:3], v[122:123]
	v_add_f64 v[4:5], v[4:5], v[22:23]
	v_add_f64 v[6:7], v[2:3], v[124:125]
	v_fma_f64 v[2:3], v[96:97], v[44:45], -v[46:47]
	v_add_f64 v[2:3], v[4:5], v[2:3]
	v_mul_f64 v[4:5], v[102:103], v[50:51]
	v_fma_f64 v[4:5], v[100:101], v[48:49], -v[4:5]
	v_add_f64 v[2:3], v[2:3], v[4:5]
	s_waitcnt vmcnt(0)
	v_add_f64 v[2:3], v[68:69], -v[2:3]
	v_add_f64 v[4:5], v[70:71], -v[6:7]
	scratch_store_dwordx4 off, v[2:5], off offset:736
	s_and_saveexec_b64 s[0:1], vcc
	s_cbranch_execz .LBB121_273
; %bb.272:
	scratch_load_dwordx4 v[2:5], off, s29
	v_mov_b32_e32 v6, 0
	v_mov_b32_e32 v7, v6
	;; [unrolled: 1-line block ×4, first 2 shown]
	v_accvgpr_read_b32 v0, a117
	scratch_store_dwordx4 off, v[6:9], off offset:720
	s_waitcnt vmcnt(1)
	ds_write_b128 v0, v[2:5]
.LBB121_273:
	s_or_b64 exec, exec, s[0:1]
	s_waitcnt lgkmcnt(0)
	; wave barrier
	scratch_load_dwordx4 v[4:7], off, off offset:736
	scratch_load_dwordx4 v[8:11], off, off offset:752
	;; [unrolled: 1-line block ×14, first 2 shown]
	v_mov_b32_e32 v2, 0
	ds_read_b128 v[60:63], v2 offset:1648
	ds_read_b128 v[64:67], v2 offset:1664
	;; [unrolled: 1-line block ×13, first 2 shown]
	v_cmp_lt_u32_e32 vcc, 43, v240
	s_waitcnt vmcnt(13) lgkmcnt(12)
	v_mul_f64 v[112:113], v[60:61], v[6:7]
	v_mul_f64 v[6:7], v[62:63], v[6:7]
	s_waitcnt vmcnt(12) lgkmcnt(11)
	v_mul_f64 v[114:115], v[64:65], v[10:11]
	v_mul_f64 v[10:11], v[66:67], v[10:11]
	v_fmac_f64_e32 v[112:113], v[62:63], v[4:5]
	v_fma_f64 v[4:5], v[60:61], v[4:5], -v[6:7]
	s_waitcnt vmcnt(11) lgkmcnt(10)
	v_mul_f64 v[116:117], v[68:69], v[14:15]
	v_mul_f64 v[14:15], v[70:71], v[14:15]
	v_fma_f64 v[6:7], v[64:65], v[8:9], -v[10:11]
	v_add_f64 v[4:5], v[4:5], 0
	s_waitcnt vmcnt(10) lgkmcnt(9)
	v_mul_f64 v[118:119], v[72:73], v[18:19]
	v_mul_f64 v[18:19], v[74:75], v[18:19]
	v_fmac_f64_e32 v[114:115], v[66:67], v[8:9]
	v_fma_f64 v[8:9], v[68:69], v[12:13], -v[14:15]
	v_add_f64 v[4:5], v[4:5], v[6:7]
	s_waitcnt vmcnt(9) lgkmcnt(8)
	v_mul_f64 v[120:121], v[76:77], v[22:23]
	v_mul_f64 v[22:23], v[78:79], v[22:23]
	v_fma_f64 v[10:11], v[72:73], v[16:17], -v[18:19]
	v_add_f64 v[4:5], v[4:5], v[8:9]
	s_waitcnt vmcnt(8) lgkmcnt(7)
	v_mul_f64 v[122:123], v[80:81], v[26:27]
	v_mul_f64 v[26:27], v[82:83], v[26:27]
	v_fmac_f64_e32 v[116:117], v[70:71], v[12:13]
	v_fma_f64 v[12:13], v[76:77], v[20:21], -v[22:23]
	v_add_f64 v[22:23], v[112:113], 0
	v_add_f64 v[4:5], v[4:5], v[10:11]
	s_waitcnt vmcnt(7) lgkmcnt(6)
	v_mul_f64 v[124:125], v[84:85], v[30:31]
	v_mul_f64 v[30:31], v[86:87], v[30:31]
	v_fma_f64 v[14:15], v[80:81], v[24:25], -v[26:27]
	v_add_f64 v[22:23], v[22:23], v[114:115]
	v_add_f64 v[4:5], v[4:5], v[12:13]
	s_waitcnt vmcnt(6) lgkmcnt(5)
	v_mul_f64 v[126:127], v[88:89], v[34:35]
	v_mul_f64 v[34:35], v[90:91], v[34:35]
	v_fmac_f64_e32 v[118:119], v[74:75], v[16:17]
	v_fma_f64 v[16:17], v[84:85], v[28:29], -v[30:31]
	v_add_f64 v[6:7], v[22:23], v[116:117]
	v_add_f64 v[4:5], v[4:5], v[14:15]
	s_waitcnt vmcnt(5) lgkmcnt(4)
	v_mul_f64 v[128:129], v[92:93], v[38:39]
	v_mul_f64 v[38:39], v[94:95], v[38:39]
	v_fmac_f64_e32 v[120:121], v[78:79], v[20:21]
	v_fma_f64 v[18:19], v[88:89], v[32:33], -v[34:35]
	v_add_f64 v[6:7], v[6:7], v[118:119]
	v_add_f64 v[4:5], v[4:5], v[16:17]
	v_fmac_f64_e32 v[122:123], v[82:83], v[24:25]
	v_fma_f64 v[20:21], v[92:93], v[36:37], -v[38:39]
	v_add_f64 v[6:7], v[6:7], v[120:121]
	v_add_f64 v[4:5], v[4:5], v[18:19]
	s_waitcnt vmcnt(4) lgkmcnt(3)
	v_mul_f64 v[8:9], v[98:99], v[42:43]
	v_fmac_f64_e32 v[124:125], v[86:87], v[28:29]
	v_add_f64 v[6:7], v[6:7], v[122:123]
	v_add_f64 v[4:5], v[4:5], v[20:21]
	v_fma_f64 v[8:9], v[96:97], v[40:41], -v[8:9]
	v_fmac_f64_e32 v[126:127], v[90:91], v[32:33]
	v_add_f64 v[6:7], v[6:7], v[124:125]
	v_add_f64 v[4:5], v[4:5], v[8:9]
	s_waitcnt vmcnt(3) lgkmcnt(2)
	v_mul_f64 v[8:9], v[102:103], v[46:47]
	v_mul_f64 v[130:131], v[96:97], v[42:43]
	v_fmac_f64_e32 v[128:129], v[94:95], v[36:37]
	v_add_f64 v[6:7], v[6:7], v[126:127]
	v_fma_f64 v[8:9], v[100:101], v[44:45], -v[8:9]
	v_mul_f64 v[132:133], v[100:101], v[46:47]
	v_fmac_f64_e32 v[130:131], v[98:99], v[40:41]
	v_add_f64 v[6:7], v[6:7], v[128:129]
	v_add_f64 v[4:5], v[4:5], v[8:9]
	s_waitcnt vmcnt(2) lgkmcnt(1)
	v_mul_f64 v[8:9], v[106:107], v[50:51]
	v_mul_f64 v[134:135], v[104:105], v[50:51]
	v_fmac_f64_e32 v[132:133], v[102:103], v[44:45]
	v_add_f64 v[6:7], v[6:7], v[130:131]
	v_fma_f64 v[8:9], v[104:105], v[48:49], -v[8:9]
	s_waitcnt vmcnt(1) lgkmcnt(0)
	v_mul_f64 v[136:137], v[108:109], v[54:55]
	v_fmac_f64_e32 v[134:135], v[106:107], v[48:49]
	v_add_f64 v[6:7], v[6:7], v[132:133]
	v_add_f64 v[4:5], v[4:5], v[8:9]
	v_mul_f64 v[8:9], v[110:111], v[54:55]
	v_fmac_f64_e32 v[136:137], v[110:111], v[52:53]
	v_add_f64 v[6:7], v[6:7], v[134:135]
	v_fma_f64 v[8:9], v[108:109], v[52:53], -v[8:9]
	v_add_f64 v[6:7], v[6:7], v[136:137]
	v_add_f64 v[4:5], v[4:5], v[8:9]
	s_waitcnt vmcnt(0)
	v_add_f64 v[4:5], v[56:57], -v[4:5]
	v_add_f64 v[6:7], v[58:59], -v[6:7]
	scratch_store_dwordx4 off, v[4:7], off offset:720
	s_and_saveexec_b64 s[0:1], vcc
	s_cbranch_execz .LBB121_275
; %bb.274:
	scratch_load_dwordx4 v[6:9], off, s30
	v_mov_b32_e32 v3, v2
	v_mov_b32_e32 v4, v2
	v_mov_b32_e32 v5, v2
	v_accvgpr_read_b32 v0, a117
	scratch_store_dwordx4 off, v[2:5], off offset:704
	s_waitcnt vmcnt(1)
	ds_write_b128 v0, v[6:9]
.LBB121_275:
	s_or_b64 exec, exec, s[0:1]
	s_waitcnt lgkmcnt(0)
	; wave barrier
	ds_read_b128 v[16:19], v2 offset:1632
	ds_read_b128 v[12:15], v2 offset:1648
	;; [unrolled: 1-line block ×4, first 2 shown]
	scratch_load_dwordx4 v[20:23], off, off offset:720
	scratch_load_dwordx4 v[42:45], off, off offset:784
	;; [unrolled: 1-line block ×8, first 2 shown]
	v_cmp_lt_u32_e32 vcc, 42, v240
	scratch_load_dwordx4 v[50:53], off, off offset:800
	scratch_load_dwordx4 v[58:61], off, off offset:816
	scratch_load_dwordx4 v[66:69], off, off offset:832
	s_waitcnt vmcnt(10) lgkmcnt(3)
	v_mul_f64 v[24:25], v[16:17], v[22:23]
	v_fmac_f64_e32 v[24:25], v[18:19], v[20:21]
	v_add_f64 v[28:29], v[24:25], 0
	scratch_load_dwordx4 v[24:27], off, off offset:736
	s_waitcnt vmcnt(0) lgkmcnt(2)
	v_mul_f64 v[30:31], v[12:13], v[26:27]
	v_fmac_f64_e32 v[30:31], v[14:15], v[24:25]
	v_add_f64 v[32:33], v[28:29], v[30:31]
	scratch_load_dwordx4 v[28:31], off, off offset:752
	v_mul_f64 v[14:15], v[14:15], v[26:27]
	v_fma_f64 v[12:13], v[12:13], v[24:25], -v[14:15]
	s_waitcnt vmcnt(0) lgkmcnt(1)
	v_mul_f64 v[34:35], v[8:9], v[30:31]
	v_fmac_f64_e32 v[34:35], v[10:11], v[28:29]
	v_add_f64 v[36:37], v[32:33], v[34:35]
	scratch_load_dwordx4 v[32:35], off, off offset:768
	v_mul_f64 v[10:11], v[10:11], v[30:31]
	v_fma_f64 v[8:9], v[8:9], v[28:29], -v[10:11]
	s_waitcnt vmcnt(0) lgkmcnt(0)
	v_mul_f64 v[38:39], v[4:5], v[34:35]
	v_fmac_f64_e32 v[38:39], v[6:7], v[32:33]
	v_add_f64 v[40:41], v[36:37], v[38:39]
	ds_read_b128 v[36:39], v2 offset:1696
	v_mul_f64 v[6:7], v[6:7], v[34:35]
	v_fma_f64 v[4:5], v[4:5], v[32:33], -v[6:7]
	s_waitcnt lgkmcnt(0)
	v_mul_f64 v[46:47], v[36:37], v[44:45]
	v_fmac_f64_e32 v[46:47], v[38:39], v[42:43]
	v_add_f64 v[40:41], v[40:41], v[46:47]
	ds_read_b128 v[46:49], v2 offset:1712
	s_waitcnt lgkmcnt(0)
	v_mul_f64 v[54:55], v[46:47], v[52:53]
	v_fmac_f64_e32 v[54:55], v[48:49], v[50:51]
	v_add_f64 v[40:41], v[40:41], v[54:55]
	ds_read_b128 v[54:57], v2 offset:1728
	;; [unrolled: 5-line block ×9, first 2 shown]
	s_waitcnt lgkmcnt(0)
	v_mul_f64 v[2:3], v[110:111], v[116:117]
	v_fmac_f64_e32 v[2:3], v[112:113], v[114:115]
	v_add_f64 v[40:41], v[40:41], v[2:3]
	v_mul_f64 v[2:3], v[18:19], v[22:23]
	v_fma_f64 v[2:3], v[16:17], v[20:21], -v[2:3]
	v_add_f64 v[2:3], v[2:3], 0
	v_add_f64 v[2:3], v[2:3], v[12:13]
	;; [unrolled: 1-line block ×4, first 2 shown]
	v_mul_f64 v[4:5], v[38:39], v[44:45]
	v_fma_f64 v[4:5], v[36:37], v[42:43], -v[4:5]
	v_add_f64 v[2:3], v[2:3], v[4:5]
	v_mul_f64 v[4:5], v[48:49], v[52:53]
	v_fma_f64 v[4:5], v[46:47], v[50:51], -v[4:5]
	v_add_f64 v[2:3], v[2:3], v[4:5]
	;; [unrolled: 3-line block ×10, first 2 shown]
	scratch_load_dwordx4 v[2:5], off, off offset:704
	s_waitcnt vmcnt(0)
	v_add_f64 v[2:3], v[2:3], -v[6:7]
	v_add_f64 v[4:5], v[4:5], -v[40:41]
	scratch_store_dwordx4 off, v[2:5], off offset:704
	s_and_saveexec_b64 s[0:1], vcc
	s_cbranch_execz .LBB121_277
; %bb.276:
	scratch_load_dwordx4 v[2:5], off, s31
	v_mov_b32_e32 v6, 0
	v_mov_b32_e32 v7, v6
	;; [unrolled: 1-line block ×4, first 2 shown]
	v_accvgpr_read_b32 v0, a117
	scratch_store_dwordx4 off, v[6:9], off offset:688
	s_waitcnt vmcnt(1)
	ds_write_b128 v0, v[2:5]
.LBB121_277:
	s_or_b64 exec, exec, s[0:1]
	v_mov_b32_e32 v2, 0
	s_waitcnt lgkmcnt(0)
	; wave barrier
	ds_read_b128 v[16:19], v2 offset:1616
	ds_read_b128 v[12:15], v2 offset:1632
	;; [unrolled: 1-line block ×4, first 2 shown]
	scratch_load_dwordx4 v[20:23], off, off offset:704
	scratch_load_dwordx4 v[40:43], off, off offset:768
	;; [unrolled: 1-line block ×9, first 2 shown]
	v_cmp_lt_u32_e32 vcc, 41, v240
	scratch_load_dwordx4 v[50:53], off, off offset:784
	scratch_load_dwordx4 v[58:61], off, off offset:800
	;; [unrolled: 1-line block ×3, first 2 shown]
	s_waitcnt vmcnt(11) lgkmcnt(3)
	v_mul_f64 v[24:25], v[16:17], v[22:23]
	v_fmac_f64_e32 v[24:25], v[18:19], v[20:21]
	v_add_f64 v[28:29], v[24:25], 0
	scratch_load_dwordx4 v[24:27], off, off offset:720
	v_mul_f64 v[18:19], v[18:19], v[22:23]
	v_fma_f64 v[16:17], v[16:17], v[20:21], -v[18:19]
	v_add_f64 v[16:17], v[16:17], 0
	s_waitcnt vmcnt(0) lgkmcnt(2)
	v_mul_f64 v[30:31], v[12:13], v[26:27]
	v_fmac_f64_e32 v[30:31], v[14:15], v[24:25]
	v_add_f64 v[32:33], v[28:29], v[30:31]
	scratch_load_dwordx4 v[28:31], off, off offset:736
	v_mul_f64 v[14:15], v[14:15], v[26:27]
	v_fma_f64 v[12:13], v[12:13], v[24:25], -v[14:15]
	v_add_f64 v[12:13], v[16:17], v[12:13]
	;; [unrolled: 8-line block ×3, first 2 shown]
	s_waitcnt vmcnt(0) lgkmcnt(0)
	v_mul_f64 v[38:39], v[4:5], v[34:35]
	v_fmac_f64_e32 v[38:39], v[6:7], v[32:33]
	v_add_f64 v[44:45], v[36:37], v[38:39]
	ds_read_b128 v[36:39], v2 offset:1680
	v_mul_f64 v[6:7], v[6:7], v[34:35]
	v_fma_f64 v[4:5], v[4:5], v[32:33], -v[6:7]
	v_add_f64 v[4:5], v[8:9], v[4:5]
	s_waitcnt lgkmcnt(0)
	v_mul_f64 v[46:47], v[36:37], v[42:43]
	v_fmac_f64_e32 v[46:47], v[38:39], v[40:41]
	v_add_f64 v[48:49], v[44:45], v[46:47]
	ds_read_b128 v[44:47], v2 offset:1696
	v_mul_f64 v[6:7], v[38:39], v[42:43]
	v_fma_f64 v[6:7], v[36:37], v[40:41], -v[6:7]
	v_add_f64 v[4:5], v[4:5], v[6:7]
	s_waitcnt lgkmcnt(0)
	;; [unrolled: 8-line block ×11, first 2 shown]
	v_mul_f64 v[6:7], v[120:121], v[124:125]
	v_fma_f64 v[6:7], v[118:119], v[122:123], -v[6:7]
	v_add_f64 v[8:9], v[4:5], v[6:7]
	scratch_load_dwordx4 v[4:7], off, off offset:688
	v_mul_f64 v[126:127], v[118:119], v[124:125]
	v_fmac_f64_e32 v[126:127], v[120:121], v[122:123]
	v_add_f64 v[48:49], v[48:49], v[126:127]
	s_waitcnt vmcnt(0)
	v_add_f64 v[4:5], v[4:5], -v[8:9]
	v_add_f64 v[6:7], v[6:7], -v[48:49]
	scratch_store_dwordx4 off, v[4:7], off offset:688
	s_and_saveexec_b64 s[0:1], vcc
	s_cbranch_execz .LBB121_279
; %bb.278:
	scratch_load_dwordx4 v[6:9], off, s33
	v_mov_b32_e32 v3, v2
	v_mov_b32_e32 v4, v2
	;; [unrolled: 1-line block ×3, first 2 shown]
	v_accvgpr_read_b32 v0, a117
	scratch_store_dwordx4 off, v[2:5], off offset:672
	s_waitcnt vmcnt(1)
	ds_write_b128 v0, v[6:9]
.LBB121_279:
	s_or_b64 exec, exec, s[0:1]
	s_waitcnt lgkmcnt(0)
	; wave barrier
	ds_read_b128 v[16:19], v2 offset:1600
	ds_read_b128 v[12:15], v2 offset:1616
	ds_read_b128 v[8:11], v2 offset:1632
	ds_read_b128 v[4:7], v2 offset:1648
	scratch_load_dwordx4 v[20:23], off, off offset:688
	scratch_load_dwordx4 v[40:43], off, off offset:752
	;; [unrolled: 1-line block ×10, first 2 shown]
	v_cmp_lt_u32_e32 vcc, 40, v240
	scratch_load_dwordx4 v[48:51], off, off offset:768
	scratch_load_dwordx4 v[56:59], off, off offset:784
	;; [unrolled: 1-line block ×3, first 2 shown]
	s_waitcnt vmcnt(12) lgkmcnt(3)
	v_mul_f64 v[24:25], v[16:17], v[22:23]
	v_fmac_f64_e32 v[24:25], v[18:19], v[20:21]
	v_add_f64 v[28:29], v[24:25], 0
	scratch_load_dwordx4 v[24:27], off, off offset:704
	s_waitcnt vmcnt(0) lgkmcnt(2)
	v_mul_f64 v[30:31], v[12:13], v[26:27]
	v_fmac_f64_e32 v[30:31], v[14:15], v[24:25]
	v_add_f64 v[32:33], v[28:29], v[30:31]
	scratch_load_dwordx4 v[28:31], off, off offset:720
	v_mul_f64 v[14:15], v[14:15], v[26:27]
	v_fma_f64 v[12:13], v[12:13], v[24:25], -v[14:15]
	s_waitcnt vmcnt(0) lgkmcnt(1)
	v_mul_f64 v[34:35], v[8:9], v[30:31]
	v_fmac_f64_e32 v[34:35], v[10:11], v[28:29]
	v_add_f64 v[36:37], v[32:33], v[34:35]
	scratch_load_dwordx4 v[32:35], off, off offset:736
	v_mul_f64 v[10:11], v[10:11], v[30:31]
	v_fma_f64 v[8:9], v[8:9], v[28:29], -v[10:11]
	s_waitcnt vmcnt(0) lgkmcnt(0)
	v_mul_f64 v[38:39], v[4:5], v[34:35]
	v_fmac_f64_e32 v[38:39], v[6:7], v[32:33]
	v_add_f64 v[44:45], v[36:37], v[38:39]
	ds_read_b128 v[36:39], v2 offset:1664
	v_mul_f64 v[6:7], v[6:7], v[34:35]
	v_fma_f64 v[4:5], v[4:5], v[32:33], -v[6:7]
	s_waitcnt lgkmcnt(0)
	v_mul_f64 v[46:47], v[36:37], v[42:43]
	v_fmac_f64_e32 v[46:47], v[38:39], v[40:41]
	v_add_f64 v[52:53], v[44:45], v[46:47]
	ds_read_b128 v[44:47], v2 offset:1680
	s_waitcnt lgkmcnt(0)
	v_mul_f64 v[54:55], v[44:45], v[50:51]
	v_fmac_f64_e32 v[54:55], v[46:47], v[48:49]
	v_add_f64 v[60:61], v[52:53], v[54:55]
	ds_read_b128 v[52:55], v2 offset:1696
	;; [unrolled: 5-line block ×11, first 2 shown]
	s_waitcnt lgkmcnt(0)
	v_mul_f64 v[2:3], v[126:127], v[132:133]
	v_fmac_f64_e32 v[2:3], v[128:129], v[130:131]
	v_add_f64 v[64:65], v[64:65], v[2:3]
	v_mul_f64 v[2:3], v[18:19], v[22:23]
	v_fma_f64 v[2:3], v[16:17], v[20:21], -v[2:3]
	v_add_f64 v[2:3], v[2:3], 0
	v_add_f64 v[2:3], v[2:3], v[12:13]
	;; [unrolled: 1-line block ×4, first 2 shown]
	v_mul_f64 v[4:5], v[38:39], v[42:43]
	v_fma_f64 v[4:5], v[36:37], v[40:41], -v[4:5]
	v_add_f64 v[2:3], v[2:3], v[4:5]
	v_mul_f64 v[4:5], v[46:47], v[50:51]
	v_fma_f64 v[4:5], v[44:45], v[48:49], -v[4:5]
	v_add_f64 v[2:3], v[2:3], v[4:5]
	v_mul_f64 v[4:5], v[54:55], v[58:59]
	v_fma_f64 v[4:5], v[52:53], v[56:57], -v[4:5]
	v_add_f64 v[2:3], v[2:3], v[4:5]
	v_mul_f64 v[4:5], v[62:63], v[68:69]
	v_fma_f64 v[4:5], v[60:61], v[66:67], -v[4:5]
	v_add_f64 v[2:3], v[2:3], v[4:5]
	v_mul_f64 v[4:5], v[72:73], v[76:77]
	v_fma_f64 v[4:5], v[70:71], v[74:75], -v[4:5]
	v_add_f64 v[2:3], v[2:3], v[4:5]
	v_mul_f64 v[4:5], v[80:81], v[84:85]
	v_fma_f64 v[4:5], v[78:79], v[82:83], -v[4:5]
	v_add_f64 v[2:3], v[2:3], v[4:5]
	v_mul_f64 v[4:5], v[88:89], v[92:93]
	v_fma_f64 v[4:5], v[86:87], v[90:91], -v[4:5]
	v_add_f64 v[2:3], v[2:3], v[4:5]
	v_mul_f64 v[4:5], v[96:97], v[100:101]
	v_fma_f64 v[4:5], v[94:95], v[98:99], -v[4:5]
	v_add_f64 v[2:3], v[2:3], v[4:5]
	v_mul_f64 v[4:5], v[104:105], v[108:109]
	v_fma_f64 v[4:5], v[102:103], v[106:107], -v[4:5]
	v_add_f64 v[2:3], v[2:3], v[4:5]
	v_mul_f64 v[4:5], v[112:113], v[116:117]
	v_fma_f64 v[4:5], v[110:111], v[114:115], -v[4:5]
	v_add_f64 v[2:3], v[2:3], v[4:5]
	v_mul_f64 v[4:5], v[120:121], v[124:125]
	v_fma_f64 v[4:5], v[118:119], v[122:123], -v[4:5]
	v_add_f64 v[2:3], v[2:3], v[4:5]
	v_mul_f64 v[4:5], v[128:129], v[132:133]
	v_fma_f64 v[4:5], v[126:127], v[130:131], -v[4:5]
	v_add_f64 v[6:7], v[2:3], v[4:5]
	scratch_load_dwordx4 v[2:5], off, off offset:672
	s_waitcnt vmcnt(0)
	v_add_f64 v[2:3], v[2:3], -v[6:7]
	v_add_f64 v[4:5], v[4:5], -v[64:65]
	scratch_store_dwordx4 off, v[2:5], off offset:672
	s_and_saveexec_b64 s[0:1], vcc
	s_cbranch_execz .LBB121_281
; %bb.280:
	scratch_load_dwordx4 v[2:5], off, s34
	v_mov_b32_e32 v6, 0
	v_mov_b32_e32 v7, v6
	;; [unrolled: 1-line block ×4, first 2 shown]
	v_accvgpr_read_b32 v0, a117
	scratch_store_dwordx4 off, v[6:9], off offset:656
	s_waitcnt vmcnt(1)
	ds_write_b128 v0, v[2:5]
.LBB121_281:
	s_or_b64 exec, exec, s[0:1]
	v_mov_b32_e32 v2, 0
	s_waitcnt lgkmcnt(0)
	; wave barrier
	ds_read_b128 v[16:19], v2 offset:1584
	ds_read_b128 v[12:15], v2 offset:1600
	;; [unrolled: 1-line block ×4, first 2 shown]
	scratch_load_dwordx4 v[20:23], off, off offset:672
	scratch_load_dwordx4 v[40:43], off, off offset:736
	;; [unrolled: 1-line block ×11, first 2 shown]
	v_cmp_lt_u32_e32 vcc, 39, v240
	scratch_load_dwordx4 v[48:51], off, off offset:752
	scratch_load_dwordx4 v[56:59], off, off offset:768
	;; [unrolled: 1-line block ×3, first 2 shown]
	s_waitcnt vmcnt(13) lgkmcnt(3)
	v_mul_f64 v[24:25], v[16:17], v[22:23]
	v_fmac_f64_e32 v[24:25], v[18:19], v[20:21]
	v_add_f64 v[28:29], v[24:25], 0
	scratch_load_dwordx4 v[24:27], off, off offset:688
	v_mul_f64 v[18:19], v[18:19], v[22:23]
	v_fma_f64 v[16:17], v[16:17], v[20:21], -v[18:19]
	v_add_f64 v[16:17], v[16:17], 0
	s_waitcnt vmcnt(0) lgkmcnt(2)
	v_mul_f64 v[30:31], v[12:13], v[26:27]
	v_fmac_f64_e32 v[30:31], v[14:15], v[24:25]
	v_add_f64 v[32:33], v[28:29], v[30:31]
	scratch_load_dwordx4 v[28:31], off, off offset:704
	v_mul_f64 v[14:15], v[14:15], v[26:27]
	v_fma_f64 v[12:13], v[12:13], v[24:25], -v[14:15]
	v_add_f64 v[12:13], v[16:17], v[12:13]
	;; [unrolled: 8-line block ×3, first 2 shown]
	s_waitcnt vmcnt(0) lgkmcnt(0)
	v_mul_f64 v[38:39], v[4:5], v[34:35]
	v_fmac_f64_e32 v[38:39], v[6:7], v[32:33]
	v_add_f64 v[44:45], v[36:37], v[38:39]
	ds_read_b128 v[36:39], v2 offset:1648
	v_mul_f64 v[6:7], v[6:7], v[34:35]
	v_fma_f64 v[4:5], v[4:5], v[32:33], -v[6:7]
	v_add_f64 v[4:5], v[8:9], v[4:5]
	s_waitcnt lgkmcnt(0)
	v_mul_f64 v[46:47], v[36:37], v[42:43]
	v_fmac_f64_e32 v[46:47], v[38:39], v[40:41]
	v_add_f64 v[52:53], v[44:45], v[46:47]
	ds_read_b128 v[44:47], v2 offset:1664
	v_mul_f64 v[6:7], v[38:39], v[42:43]
	v_fma_f64 v[6:7], v[36:37], v[40:41], -v[6:7]
	v_add_f64 v[4:5], v[4:5], v[6:7]
	s_waitcnt lgkmcnt(0)
	;; [unrolled: 8-line block ×13, first 2 shown]
	v_mul_f64 v[6:7], v[136:137], v[140:141]
	v_fma_f64 v[6:7], v[134:135], v[138:139], -v[6:7]
	v_add_f64 v[8:9], v[4:5], v[6:7]
	scratch_load_dwordx4 v[4:7], off, off offset:656
	v_mul_f64 v[142:143], v[134:135], v[140:141]
	v_fmac_f64_e32 v[142:143], v[136:137], v[138:139]
	v_add_f64 v[72:73], v[72:73], v[142:143]
	s_waitcnt vmcnt(0)
	v_add_f64 v[4:5], v[4:5], -v[8:9]
	v_add_f64 v[6:7], v[6:7], -v[72:73]
	scratch_store_dwordx4 off, v[4:7], off offset:656
	s_and_saveexec_b64 s[0:1], vcc
	s_cbranch_execz .LBB121_283
; %bb.282:
	scratch_load_dwordx4 v[6:9], off, s35
	v_mov_b32_e32 v3, v2
	v_mov_b32_e32 v4, v2
	;; [unrolled: 1-line block ×3, first 2 shown]
	v_accvgpr_read_b32 v0, a117
	scratch_store_dwordx4 off, v[2:5], off offset:640
	s_waitcnt vmcnt(1)
	ds_write_b128 v0, v[6:9]
.LBB121_283:
	s_or_b64 exec, exec, s[0:1]
	s_waitcnt lgkmcnt(0)
	; wave barrier
	ds_read_b128 v[16:19], v2 offset:1568
	ds_read_b128 v[12:15], v2 offset:1584
	;; [unrolled: 1-line block ×4, first 2 shown]
	scratch_load_dwordx4 v[20:23], off, off offset:656
	scratch_load_dwordx4 v[40:43], off, off offset:720
	;; [unrolled: 1-line block ×12, first 2 shown]
	v_cmp_lt_u32_e32 vcc, 38, v240
	scratch_load_dwordx4 v[48:51], off, off offset:736
	scratch_load_dwordx4 v[56:59], off, off offset:752
	;; [unrolled: 1-line block ×3, first 2 shown]
	s_waitcnt vmcnt(14) lgkmcnt(3)
	v_mul_f64 v[24:25], v[16:17], v[22:23]
	v_fmac_f64_e32 v[24:25], v[18:19], v[20:21]
	v_add_f64 v[28:29], v[24:25], 0
	scratch_load_dwordx4 v[24:27], off, off offset:672
	s_waitcnt vmcnt(0) lgkmcnt(2)
	v_mul_f64 v[30:31], v[12:13], v[26:27]
	v_fmac_f64_e32 v[30:31], v[14:15], v[24:25]
	v_add_f64 v[32:33], v[28:29], v[30:31]
	scratch_load_dwordx4 v[28:31], off, off offset:688
	v_mul_f64 v[14:15], v[14:15], v[26:27]
	v_fma_f64 v[12:13], v[12:13], v[24:25], -v[14:15]
	s_waitcnt vmcnt(0) lgkmcnt(1)
	v_mul_f64 v[34:35], v[8:9], v[30:31]
	v_fmac_f64_e32 v[34:35], v[10:11], v[28:29]
	v_add_f64 v[36:37], v[32:33], v[34:35]
	scratch_load_dwordx4 v[32:35], off, off offset:704
	v_mul_f64 v[10:11], v[10:11], v[30:31]
	v_fma_f64 v[8:9], v[8:9], v[28:29], -v[10:11]
	s_waitcnt vmcnt(0) lgkmcnt(0)
	v_mul_f64 v[38:39], v[4:5], v[34:35]
	v_fmac_f64_e32 v[38:39], v[6:7], v[32:33]
	v_add_f64 v[44:45], v[36:37], v[38:39]
	ds_read_b128 v[36:39], v2 offset:1632
	v_mul_f64 v[6:7], v[6:7], v[34:35]
	v_fma_f64 v[4:5], v[4:5], v[32:33], -v[6:7]
	s_waitcnt lgkmcnt(0)
	v_mul_f64 v[46:47], v[36:37], v[42:43]
	v_fmac_f64_e32 v[46:47], v[38:39], v[40:41]
	v_add_f64 v[52:53], v[44:45], v[46:47]
	ds_read_b128 v[44:47], v2 offset:1648
	s_waitcnt lgkmcnt(0)
	v_mul_f64 v[54:55], v[44:45], v[50:51]
	v_fmac_f64_e32 v[54:55], v[46:47], v[48:49]
	v_add_f64 v[60:61], v[52:53], v[54:55]
	ds_read_b128 v[52:55], v2 offset:1664
	s_waitcnt lgkmcnt(0)
	v_mul_f64 v[62:63], v[52:53], v[58:59]
	v_fmac_f64_e32 v[62:63], v[54:55], v[56:57]
	v_add_f64 v[68:69], v[60:61], v[62:63]
	ds_read_b128 v[60:63], v2 offset:1680
	s_waitcnt lgkmcnt(0)
	v_mul_f64 v[70:71], v[60:61], v[66:67]
	v_fmac_f64_e32 v[70:71], v[62:63], v[64:65]
	v_add_f64 v[76:77], v[68:69], v[70:71]
	ds_read_b128 v[68:71], v2 offset:1696
	s_waitcnt lgkmcnt(0)
	v_mul_f64 v[78:79], v[68:69], v[74:75]
	v_fmac_f64_e32 v[78:79], v[70:71], v[72:73]
	v_add_f64 v[80:81], v[76:77], v[78:79]
	ds_read_b128 v[76:79], v2 offset:1712
	s_waitcnt lgkmcnt(0)
	v_mul_f64 v[86:87], v[76:77], v[84:85]
	v_fmac_f64_e32 v[86:87], v[78:79], v[82:83]
	v_add_f64 v[80:81], v[80:81], v[86:87]
	ds_read_b128 v[86:89], v2 offset:1728
	s_waitcnt lgkmcnt(0)
	v_mul_f64 v[94:95], v[86:87], v[92:93]
	v_fmac_f64_e32 v[94:95], v[88:89], v[90:91]
	v_add_f64 v[80:81], v[80:81], v[94:95]
	ds_read_b128 v[94:97], v2 offset:1744
	s_waitcnt lgkmcnt(0)
	v_mul_f64 v[102:103], v[94:95], v[100:101]
	v_fmac_f64_e32 v[102:103], v[96:97], v[98:99]
	v_add_f64 v[80:81], v[80:81], v[102:103]
	ds_read_b128 v[102:105], v2 offset:1760
	s_waitcnt lgkmcnt(0)
	v_mul_f64 v[110:111], v[102:103], v[108:109]
	v_fmac_f64_e32 v[110:111], v[104:105], v[106:107]
	v_add_f64 v[80:81], v[80:81], v[110:111]
	ds_read_b128 v[110:113], v2 offset:1776
	s_waitcnt lgkmcnt(0)
	v_mul_f64 v[118:119], v[110:111], v[116:117]
	v_fmac_f64_e32 v[118:119], v[112:113], v[114:115]
	v_add_f64 v[80:81], v[80:81], v[118:119]
	ds_read_b128 v[118:121], v2 offset:1792
	s_waitcnt lgkmcnt(0)
	v_mul_f64 v[126:127], v[118:119], v[124:125]
	v_fmac_f64_e32 v[126:127], v[120:121], v[122:123]
	v_add_f64 v[80:81], v[80:81], v[126:127]
	ds_read_b128 v[126:129], v2 offset:1808
	s_waitcnt lgkmcnt(0)
	v_mul_f64 v[134:135], v[126:127], v[132:133]
	v_fmac_f64_e32 v[134:135], v[128:129], v[130:131]
	v_add_f64 v[80:81], v[80:81], v[134:135]
	ds_read_b128 v[134:137], v2 offset:1824
	s_waitcnt lgkmcnt(0)
	v_mul_f64 v[142:143], v[134:135], v[140:141]
	v_fmac_f64_e32 v[142:143], v[136:137], v[138:139]
	v_add_f64 v[80:81], v[80:81], v[142:143]
	ds_read_b128 v[142:145], v2 offset:1840
	s_waitcnt lgkmcnt(0)
	v_mul_f64 v[2:3], v[142:143], v[148:149]
	v_fmac_f64_e32 v[2:3], v[144:145], v[146:147]
	v_add_f64 v[80:81], v[80:81], v[2:3]
	v_mul_f64 v[2:3], v[18:19], v[22:23]
	v_fma_f64 v[2:3], v[16:17], v[20:21], -v[2:3]
	v_add_f64 v[2:3], v[2:3], 0
	v_add_f64 v[2:3], v[2:3], v[12:13]
	;; [unrolled: 1-line block ×4, first 2 shown]
	v_mul_f64 v[4:5], v[38:39], v[42:43]
	v_fma_f64 v[4:5], v[36:37], v[40:41], -v[4:5]
	v_add_f64 v[2:3], v[2:3], v[4:5]
	v_mul_f64 v[4:5], v[46:47], v[50:51]
	v_fma_f64 v[4:5], v[44:45], v[48:49], -v[4:5]
	v_add_f64 v[2:3], v[2:3], v[4:5]
	;; [unrolled: 3-line block ×14, first 2 shown]
	scratch_load_dwordx4 v[2:5], off, off offset:640
	s_waitcnt vmcnt(0)
	v_add_f64 v[2:3], v[2:3], -v[6:7]
	v_add_f64 v[4:5], v[4:5], -v[80:81]
	scratch_store_dwordx4 off, v[2:5], off offset:640
	s_and_saveexec_b64 s[0:1], vcc
	s_cbranch_execz .LBB121_285
; %bb.284:
	scratch_load_dwordx4 v[2:5], off, s36
	v_mov_b32_e32 v6, 0
	v_mov_b32_e32 v7, v6
	;; [unrolled: 1-line block ×4, first 2 shown]
	v_accvgpr_read_b32 v0, a117
	scratch_store_dwordx4 off, v[6:9], off offset:624
	s_waitcnt vmcnt(1)
	ds_write_b128 v0, v[2:5]
.LBB121_285:
	s_or_b64 exec, exec, s[0:1]
	v_mov_b32_e32 v2, 0
	s_waitcnt lgkmcnt(0)
	; wave barrier
	ds_read_b128 v[16:19], v2 offset:1552
	ds_read_b128 v[12:15], v2 offset:1568
	;; [unrolled: 1-line block ×4, first 2 shown]
	scratch_load_dwordx4 v[20:23], off, off offset:640
	scratch_load_dwordx4 v[40:43], off, off offset:704
	;; [unrolled: 1-line block ×13, first 2 shown]
	v_cmp_lt_u32_e32 vcc, 37, v240
	scratch_load_dwordx4 v[48:51], off, off offset:720
	scratch_load_dwordx4 v[56:59], off, off offset:736
	scratch_load_dwordx4 v[64:67], off, off offset:752
	s_waitcnt vmcnt(15) lgkmcnt(3)
	v_mul_f64 v[24:25], v[16:17], v[22:23]
	v_fmac_f64_e32 v[24:25], v[18:19], v[20:21]
	v_add_f64 v[28:29], v[24:25], 0
	scratch_load_dwordx4 v[24:27], off, off offset:656
	v_mul_f64 v[18:19], v[18:19], v[22:23]
	v_fma_f64 v[16:17], v[16:17], v[20:21], -v[18:19]
	v_add_f64 v[16:17], v[16:17], 0
	s_waitcnt vmcnt(0) lgkmcnt(2)
	v_mul_f64 v[30:31], v[12:13], v[26:27]
	v_fmac_f64_e32 v[30:31], v[14:15], v[24:25]
	v_add_f64 v[32:33], v[28:29], v[30:31]
	scratch_load_dwordx4 v[28:31], off, off offset:672
	v_mul_f64 v[14:15], v[14:15], v[26:27]
	v_fma_f64 v[12:13], v[12:13], v[24:25], -v[14:15]
	v_add_f64 v[12:13], v[16:17], v[12:13]
	;; [unrolled: 8-line block ×3, first 2 shown]
	s_waitcnt vmcnt(0) lgkmcnt(0)
	v_mul_f64 v[38:39], v[4:5], v[34:35]
	v_fmac_f64_e32 v[38:39], v[6:7], v[32:33]
	v_add_f64 v[44:45], v[36:37], v[38:39]
	ds_read_b128 v[36:39], v2 offset:1616
	v_mul_f64 v[6:7], v[6:7], v[34:35]
	v_fma_f64 v[4:5], v[4:5], v[32:33], -v[6:7]
	v_add_f64 v[4:5], v[8:9], v[4:5]
	s_waitcnt lgkmcnt(0)
	v_mul_f64 v[46:47], v[36:37], v[42:43]
	v_fmac_f64_e32 v[46:47], v[38:39], v[40:41]
	v_add_f64 v[52:53], v[44:45], v[46:47]
	ds_read_b128 v[44:47], v2 offset:1632
	v_mul_f64 v[6:7], v[38:39], v[42:43]
	v_fma_f64 v[6:7], v[36:37], v[40:41], -v[6:7]
	v_add_f64 v[4:5], v[4:5], v[6:7]
	s_waitcnt lgkmcnt(0)
	v_mul_f64 v[54:55], v[44:45], v[50:51]
	v_fmac_f64_e32 v[54:55], v[46:47], v[48:49]
	v_add_f64 v[60:61], v[52:53], v[54:55]
	ds_read_b128 v[52:55], v2 offset:1648
	v_mul_f64 v[6:7], v[46:47], v[50:51]
	v_fma_f64 v[6:7], v[44:45], v[48:49], -v[6:7]
	v_add_f64 v[4:5], v[4:5], v[6:7]
	s_waitcnt lgkmcnt(0)
	v_mul_f64 v[62:63], v[52:53], v[58:59]
	v_fmac_f64_e32 v[62:63], v[54:55], v[56:57]
	v_add_f64 v[68:69], v[60:61], v[62:63]
	ds_read_b128 v[60:63], v2 offset:1664
	v_mul_f64 v[6:7], v[54:55], v[58:59]
	v_fma_f64 v[6:7], v[52:53], v[56:57], -v[6:7]
	v_add_f64 v[4:5], v[4:5], v[6:7]
	s_waitcnt lgkmcnt(0)
	v_mul_f64 v[70:71], v[60:61], v[66:67]
	v_fmac_f64_e32 v[70:71], v[62:63], v[64:65]
	v_add_f64 v[76:77], v[68:69], v[70:71]
	ds_read_b128 v[68:71], v2 offset:1680
	v_mul_f64 v[6:7], v[62:63], v[66:67]
	v_fma_f64 v[6:7], v[60:61], v[64:65], -v[6:7]
	v_add_f64 v[4:5], v[4:5], v[6:7]
	s_waitcnt lgkmcnt(0)
	v_mul_f64 v[78:79], v[68:69], v[74:75]
	v_fmac_f64_e32 v[78:79], v[70:71], v[72:73]
	v_add_f64 v[84:85], v[76:77], v[78:79]
	ds_read_b128 v[76:79], v2 offset:1696
	v_mul_f64 v[6:7], v[70:71], v[74:75]
	v_fma_f64 v[6:7], v[68:69], v[72:73], -v[6:7]
	v_add_f64 v[4:5], v[4:5], v[6:7]
	s_waitcnt lgkmcnt(0)
	v_mul_f64 v[86:87], v[76:77], v[82:83]
	v_fmac_f64_e32 v[86:87], v[78:79], v[80:81]
	v_add_f64 v[88:89], v[84:85], v[86:87]
	ds_read_b128 v[84:87], v2 offset:1712
	v_mul_f64 v[6:7], v[78:79], v[82:83]
	v_fma_f64 v[6:7], v[76:77], v[80:81], -v[6:7]
	v_add_f64 v[4:5], v[4:5], v[6:7]
	s_waitcnt lgkmcnt(0)
	v_mul_f64 v[94:95], v[84:85], v[92:93]
	v_fmac_f64_e32 v[94:95], v[86:87], v[90:91]
	v_add_f64 v[88:89], v[88:89], v[94:95]
	ds_read_b128 v[94:97], v2 offset:1728
	v_mul_f64 v[6:7], v[86:87], v[92:93]
	v_fma_f64 v[6:7], v[84:85], v[90:91], -v[6:7]
	v_add_f64 v[4:5], v[4:5], v[6:7]
	s_waitcnt lgkmcnt(0)
	v_mul_f64 v[102:103], v[94:95], v[100:101]
	v_fmac_f64_e32 v[102:103], v[96:97], v[98:99]
	v_add_f64 v[88:89], v[88:89], v[102:103]
	ds_read_b128 v[102:105], v2 offset:1744
	v_mul_f64 v[6:7], v[96:97], v[100:101]
	v_fma_f64 v[6:7], v[94:95], v[98:99], -v[6:7]
	v_add_f64 v[4:5], v[4:5], v[6:7]
	s_waitcnt lgkmcnt(0)
	v_mul_f64 v[110:111], v[102:103], v[108:109]
	v_fmac_f64_e32 v[110:111], v[104:105], v[106:107]
	v_add_f64 v[88:89], v[88:89], v[110:111]
	ds_read_b128 v[110:113], v2 offset:1760
	v_mul_f64 v[6:7], v[104:105], v[108:109]
	v_fma_f64 v[6:7], v[102:103], v[106:107], -v[6:7]
	v_add_f64 v[4:5], v[4:5], v[6:7]
	s_waitcnt lgkmcnt(0)
	v_mul_f64 v[118:119], v[110:111], v[116:117]
	v_fmac_f64_e32 v[118:119], v[112:113], v[114:115]
	v_add_f64 v[88:89], v[88:89], v[118:119]
	ds_read_b128 v[118:121], v2 offset:1776
	v_mul_f64 v[6:7], v[112:113], v[116:117]
	v_fma_f64 v[6:7], v[110:111], v[114:115], -v[6:7]
	v_add_f64 v[4:5], v[4:5], v[6:7]
	s_waitcnt lgkmcnt(0)
	v_mul_f64 v[126:127], v[118:119], v[124:125]
	v_fmac_f64_e32 v[126:127], v[120:121], v[122:123]
	v_add_f64 v[88:89], v[88:89], v[126:127]
	ds_read_b128 v[126:129], v2 offset:1792
	v_mul_f64 v[6:7], v[120:121], v[124:125]
	v_fma_f64 v[6:7], v[118:119], v[122:123], -v[6:7]
	v_add_f64 v[4:5], v[4:5], v[6:7]
	s_waitcnt lgkmcnt(0)
	v_mul_f64 v[134:135], v[126:127], v[132:133]
	v_fmac_f64_e32 v[134:135], v[128:129], v[130:131]
	v_add_f64 v[88:89], v[88:89], v[134:135]
	ds_read_b128 v[134:137], v2 offset:1808
	v_mul_f64 v[6:7], v[128:129], v[132:133]
	v_fma_f64 v[6:7], v[126:127], v[130:131], -v[6:7]
	v_add_f64 v[4:5], v[4:5], v[6:7]
	s_waitcnt lgkmcnt(0)
	v_mul_f64 v[142:143], v[134:135], v[140:141]
	v_fmac_f64_e32 v[142:143], v[136:137], v[138:139]
	v_add_f64 v[88:89], v[88:89], v[142:143]
	ds_read_b128 v[142:145], v2 offset:1824
	v_mul_f64 v[6:7], v[136:137], v[140:141]
	v_fma_f64 v[6:7], v[134:135], v[138:139], -v[6:7]
	v_add_f64 v[4:5], v[4:5], v[6:7]
	s_waitcnt lgkmcnt(0)
	v_mul_f64 v[150:151], v[142:143], v[148:149]
	v_fmac_f64_e32 v[150:151], v[144:145], v[146:147]
	v_add_f64 v[88:89], v[88:89], v[150:151]
	ds_read_b128 v[150:153], v2 offset:1840
	v_mul_f64 v[6:7], v[144:145], v[148:149]
	v_fma_f64 v[6:7], v[142:143], v[146:147], -v[6:7]
	v_add_f64 v[4:5], v[4:5], v[6:7]
	s_waitcnt lgkmcnt(0)
	v_mul_f64 v[6:7], v[152:153], v[156:157]
	v_fma_f64 v[6:7], v[150:151], v[154:155], -v[6:7]
	v_add_f64 v[8:9], v[4:5], v[6:7]
	scratch_load_dwordx4 v[4:7], off, off offset:624
	v_mul_f64 v[158:159], v[150:151], v[156:157]
	v_fmac_f64_e32 v[158:159], v[152:153], v[154:155]
	v_add_f64 v[88:89], v[88:89], v[158:159]
	s_waitcnt vmcnt(0)
	v_add_f64 v[4:5], v[4:5], -v[8:9]
	v_add_f64 v[6:7], v[6:7], -v[88:89]
	scratch_store_dwordx4 off, v[4:7], off offset:624
	s_and_saveexec_b64 s[0:1], vcc
	s_cbranch_execz .LBB121_287
; %bb.286:
	scratch_load_dwordx4 v[6:9], off, s37
	v_mov_b32_e32 v3, v2
	v_mov_b32_e32 v4, v2
	;; [unrolled: 1-line block ×3, first 2 shown]
	v_accvgpr_read_b32 v0, a117
	scratch_store_dwordx4 off, v[2:5], off offset:608
	s_waitcnt vmcnt(1)
	ds_write_b128 v0, v[6:9]
.LBB121_287:
	s_or_b64 exec, exec, s[0:1]
	s_waitcnt lgkmcnt(0)
	; wave barrier
	ds_read_b128 v[16:19], v2 offset:1536
	ds_read_b128 v[12:15], v2 offset:1552
	;; [unrolled: 1-line block ×4, first 2 shown]
	scratch_load_dwordx4 v[20:23], off, off offset:624
	scratch_load_dwordx4 v[40:43], off, off offset:688
	;; [unrolled: 1-line block ×14, first 2 shown]
	v_cmp_lt_u32_e32 vcc, 36, v240
	scratch_load_dwordx4 v[48:51], off, off offset:704
	scratch_load_dwordx4 v[56:59], off, off offset:720
	;; [unrolled: 1-line block ×3, first 2 shown]
	s_waitcnt vmcnt(16) lgkmcnt(3)
	v_mul_f64 v[24:25], v[16:17], v[22:23]
	v_fmac_f64_e32 v[24:25], v[18:19], v[20:21]
	v_add_f64 v[28:29], v[24:25], 0
	scratch_load_dwordx4 v[24:27], off, off offset:640
	s_waitcnt vmcnt(0) lgkmcnt(2)
	v_mul_f64 v[30:31], v[12:13], v[26:27]
	v_fmac_f64_e32 v[30:31], v[14:15], v[24:25]
	v_add_f64 v[32:33], v[28:29], v[30:31]
	scratch_load_dwordx4 v[28:31], off, off offset:656
	v_mul_f64 v[14:15], v[14:15], v[26:27]
	v_fma_f64 v[12:13], v[12:13], v[24:25], -v[14:15]
	s_waitcnt vmcnt(0) lgkmcnt(1)
	v_mul_f64 v[34:35], v[8:9], v[30:31]
	v_fmac_f64_e32 v[34:35], v[10:11], v[28:29]
	v_add_f64 v[36:37], v[32:33], v[34:35]
	scratch_load_dwordx4 v[32:35], off, off offset:672
	v_mul_f64 v[10:11], v[10:11], v[30:31]
	v_fma_f64 v[8:9], v[8:9], v[28:29], -v[10:11]
	s_waitcnt vmcnt(0) lgkmcnt(0)
	v_mul_f64 v[38:39], v[4:5], v[34:35]
	v_fmac_f64_e32 v[38:39], v[6:7], v[32:33]
	v_add_f64 v[44:45], v[36:37], v[38:39]
	ds_read_b128 v[36:39], v2 offset:1600
	v_mul_f64 v[6:7], v[6:7], v[34:35]
	v_fma_f64 v[4:5], v[4:5], v[32:33], -v[6:7]
	s_waitcnt lgkmcnt(0)
	v_mul_f64 v[46:47], v[36:37], v[42:43]
	v_fmac_f64_e32 v[46:47], v[38:39], v[40:41]
	v_add_f64 v[52:53], v[44:45], v[46:47]
	ds_read_b128 v[44:47], v2 offset:1616
	s_waitcnt lgkmcnt(0)
	v_mul_f64 v[54:55], v[44:45], v[50:51]
	v_fmac_f64_e32 v[54:55], v[46:47], v[48:49]
	v_add_f64 v[60:61], v[52:53], v[54:55]
	ds_read_b128 v[52:55], v2 offset:1632
	;; [unrolled: 5-line block ×15, first 2 shown]
	s_waitcnt lgkmcnt(0)
	v_mul_f64 v[2:3], v[158:159], v[164:165]
	v_fmac_f64_e32 v[2:3], v[160:161], v[162:163]
	v_add_f64 v[96:97], v[96:97], v[2:3]
	v_mul_f64 v[2:3], v[18:19], v[22:23]
	v_fma_f64 v[2:3], v[16:17], v[20:21], -v[2:3]
	v_add_f64 v[2:3], v[2:3], 0
	v_add_f64 v[2:3], v[2:3], v[12:13]
	;; [unrolled: 1-line block ×4, first 2 shown]
	v_mul_f64 v[4:5], v[38:39], v[42:43]
	v_fma_f64 v[4:5], v[36:37], v[40:41], -v[4:5]
	v_add_f64 v[2:3], v[2:3], v[4:5]
	v_mul_f64 v[4:5], v[46:47], v[50:51]
	v_fma_f64 v[4:5], v[44:45], v[48:49], -v[4:5]
	v_add_f64 v[2:3], v[2:3], v[4:5]
	;; [unrolled: 3-line block ×16, first 2 shown]
	scratch_load_dwordx4 v[2:5], off, off offset:608
	s_waitcnt vmcnt(0)
	v_add_f64 v[2:3], v[2:3], -v[6:7]
	v_add_f64 v[4:5], v[4:5], -v[96:97]
	scratch_store_dwordx4 off, v[2:5], off offset:608
	s_and_saveexec_b64 s[0:1], vcc
	s_cbranch_execz .LBB121_289
; %bb.288:
	scratch_load_dwordx4 v[2:5], off, s38
	v_mov_b32_e32 v6, 0
	v_mov_b32_e32 v7, v6
	;; [unrolled: 1-line block ×4, first 2 shown]
	v_accvgpr_read_b32 v0, a117
	scratch_store_dwordx4 off, v[6:9], off offset:592
	s_waitcnt vmcnt(1)
	ds_write_b128 v0, v[2:5]
.LBB121_289:
	s_or_b64 exec, exec, s[0:1]
	v_mov_b32_e32 v2, 0
	s_waitcnt lgkmcnt(0)
	; wave barrier
	ds_read_b128 v[16:19], v2 offset:1520
	ds_read_b128 v[12:15], v2 offset:1536
	;; [unrolled: 1-line block ×4, first 2 shown]
	scratch_load_dwordx4 v[20:23], off, off offset:608
	scratch_load_dwordx4 v[40:43], off, off offset:672
	;; [unrolled: 1-line block ×15, first 2 shown]
	v_cmp_lt_u32_e32 vcc, 35, v240
	scratch_load_dwordx4 v[48:51], off, off offset:688
	scratch_load_dwordx4 v[56:59], off, off offset:704
	;; [unrolled: 1-line block ×3, first 2 shown]
	s_waitcnt vmcnt(17) lgkmcnt(3)
	v_mul_f64 v[24:25], v[16:17], v[22:23]
	v_fmac_f64_e32 v[24:25], v[18:19], v[20:21]
	v_add_f64 v[28:29], v[24:25], 0
	scratch_load_dwordx4 v[24:27], off, off offset:624
	v_mul_f64 v[18:19], v[18:19], v[22:23]
	v_fma_f64 v[16:17], v[16:17], v[20:21], -v[18:19]
	v_add_f64 v[16:17], v[16:17], 0
	s_waitcnt vmcnt(0) lgkmcnt(2)
	v_mul_f64 v[30:31], v[12:13], v[26:27]
	v_fmac_f64_e32 v[30:31], v[14:15], v[24:25]
	v_add_f64 v[32:33], v[28:29], v[30:31]
	scratch_load_dwordx4 v[28:31], off, off offset:640
	v_mul_f64 v[14:15], v[14:15], v[26:27]
	v_fma_f64 v[12:13], v[12:13], v[24:25], -v[14:15]
	v_add_f64 v[12:13], v[16:17], v[12:13]
	;; [unrolled: 8-line block ×3, first 2 shown]
	s_waitcnt vmcnt(0) lgkmcnt(0)
	v_mul_f64 v[38:39], v[4:5], v[34:35]
	v_fmac_f64_e32 v[38:39], v[6:7], v[32:33]
	v_add_f64 v[44:45], v[36:37], v[38:39]
	ds_read_b128 v[36:39], v2 offset:1584
	v_mul_f64 v[6:7], v[6:7], v[34:35]
	v_fma_f64 v[4:5], v[4:5], v[32:33], -v[6:7]
	v_add_f64 v[4:5], v[8:9], v[4:5]
	s_waitcnt lgkmcnt(0)
	v_mul_f64 v[46:47], v[36:37], v[42:43]
	v_fmac_f64_e32 v[46:47], v[38:39], v[40:41]
	v_add_f64 v[52:53], v[44:45], v[46:47]
	ds_read_b128 v[44:47], v2 offset:1600
	v_mul_f64 v[6:7], v[38:39], v[42:43]
	v_fma_f64 v[6:7], v[36:37], v[40:41], -v[6:7]
	v_add_f64 v[4:5], v[4:5], v[6:7]
	s_waitcnt lgkmcnt(0)
	;; [unrolled: 8-line block ×17, first 2 shown]
	v_mul_f64 v[6:7], v[168:169], v[172:173]
	v_fma_f64 v[6:7], v[166:167], v[170:171], -v[6:7]
	v_add_f64 v[8:9], v[4:5], v[6:7]
	scratch_load_dwordx4 v[4:7], off, off offset:592
	v_mul_f64 v[174:175], v[166:167], v[172:173]
	v_fmac_f64_e32 v[174:175], v[168:169], v[170:171]
	v_add_f64 v[104:105], v[104:105], v[174:175]
	s_waitcnt vmcnt(0)
	v_add_f64 v[4:5], v[4:5], -v[8:9]
	v_add_f64 v[6:7], v[6:7], -v[104:105]
	scratch_store_dwordx4 off, v[4:7], off offset:592
	s_and_saveexec_b64 s[0:1], vcc
	s_cbranch_execz .LBB121_291
; %bb.290:
	scratch_load_dwordx4 v[6:9], off, s39
	v_mov_b32_e32 v3, v2
	v_mov_b32_e32 v4, v2
	;; [unrolled: 1-line block ×3, first 2 shown]
	v_accvgpr_read_b32 v0, a117
	scratch_store_dwordx4 off, v[2:5], off offset:576
	s_waitcnt vmcnt(1)
	ds_write_b128 v0, v[6:9]
.LBB121_291:
	s_or_b64 exec, exec, s[0:1]
	s_waitcnt lgkmcnt(0)
	; wave barrier
	ds_read_b128 v[16:19], v2 offset:1504
	ds_read_b128 v[12:15], v2 offset:1520
	;; [unrolled: 1-line block ×4, first 2 shown]
	scratch_load_dwordx4 v[20:23], off, off offset:592
	scratch_load_dwordx4 v[40:43], off, off offset:656
	;; [unrolled: 1-line block ×16, first 2 shown]
	v_cmp_lt_u32_e32 vcc, 34, v240
	scratch_load_dwordx4 v[48:51], off, off offset:672
	scratch_load_dwordx4 v[56:59], off, off offset:688
	;; [unrolled: 1-line block ×3, first 2 shown]
	s_waitcnt vmcnt(18) lgkmcnt(3)
	v_mul_f64 v[24:25], v[16:17], v[22:23]
	v_fmac_f64_e32 v[24:25], v[18:19], v[20:21]
	v_add_f64 v[28:29], v[24:25], 0
	scratch_load_dwordx4 v[24:27], off, off offset:608
	s_waitcnt vmcnt(0) lgkmcnt(2)
	v_mul_f64 v[30:31], v[12:13], v[26:27]
	v_fmac_f64_e32 v[30:31], v[14:15], v[24:25]
	v_add_f64 v[32:33], v[28:29], v[30:31]
	scratch_load_dwordx4 v[28:31], off, off offset:624
	v_mul_f64 v[14:15], v[14:15], v[26:27]
	v_fma_f64 v[12:13], v[12:13], v[24:25], -v[14:15]
	s_waitcnt vmcnt(0) lgkmcnt(1)
	v_mul_f64 v[34:35], v[8:9], v[30:31]
	v_fmac_f64_e32 v[34:35], v[10:11], v[28:29]
	v_add_f64 v[36:37], v[32:33], v[34:35]
	scratch_load_dwordx4 v[32:35], off, off offset:640
	v_mul_f64 v[10:11], v[10:11], v[30:31]
	v_fma_f64 v[8:9], v[8:9], v[28:29], -v[10:11]
	s_waitcnt vmcnt(0) lgkmcnt(0)
	v_mul_f64 v[38:39], v[4:5], v[34:35]
	v_fmac_f64_e32 v[38:39], v[6:7], v[32:33]
	v_add_f64 v[44:45], v[36:37], v[38:39]
	ds_read_b128 v[36:39], v2 offset:1568
	v_mul_f64 v[6:7], v[6:7], v[34:35]
	v_fma_f64 v[4:5], v[4:5], v[32:33], -v[6:7]
	s_waitcnt lgkmcnt(0)
	v_mul_f64 v[46:47], v[36:37], v[42:43]
	v_fmac_f64_e32 v[46:47], v[38:39], v[40:41]
	v_add_f64 v[52:53], v[44:45], v[46:47]
	ds_read_b128 v[44:47], v2 offset:1584
	s_waitcnt lgkmcnt(0)
	v_mul_f64 v[54:55], v[44:45], v[50:51]
	v_fmac_f64_e32 v[54:55], v[46:47], v[48:49]
	v_add_f64 v[60:61], v[52:53], v[54:55]
	ds_read_b128 v[52:55], v2 offset:1600
	;; [unrolled: 5-line block ×17, first 2 shown]
	s_waitcnt lgkmcnt(0)
	v_mul_f64 v[2:3], v[174:175], v[180:181]
	v_fmac_f64_e32 v[2:3], v[176:177], v[178:179]
	v_add_f64 v[120:121], v[120:121], v[2:3]
	v_mul_f64 v[2:3], v[18:19], v[22:23]
	v_fma_f64 v[2:3], v[16:17], v[20:21], -v[2:3]
	v_add_f64 v[2:3], v[2:3], 0
	v_add_f64 v[2:3], v[2:3], v[12:13]
	;; [unrolled: 1-line block ×4, first 2 shown]
	v_mul_f64 v[4:5], v[38:39], v[42:43]
	v_fma_f64 v[4:5], v[36:37], v[40:41], -v[4:5]
	v_add_f64 v[2:3], v[2:3], v[4:5]
	v_mul_f64 v[4:5], v[46:47], v[50:51]
	v_fma_f64 v[4:5], v[44:45], v[48:49], -v[4:5]
	v_add_f64 v[2:3], v[2:3], v[4:5]
	v_mul_f64 v[4:5], v[54:55], v[58:59]
	v_fma_f64 v[4:5], v[52:53], v[56:57], -v[4:5]
	v_add_f64 v[2:3], v[2:3], v[4:5]
	v_mul_f64 v[4:5], v[62:63], v[66:67]
	v_fma_f64 v[4:5], v[60:61], v[64:65], -v[4:5]
	v_add_f64 v[2:3], v[2:3], v[4:5]
	v_mul_f64 v[4:5], v[70:71], v[74:75]
	v_fma_f64 v[4:5], v[68:69], v[72:73], -v[4:5]
	v_add_f64 v[2:3], v[2:3], v[4:5]
	v_mul_f64 v[4:5], v[78:79], v[82:83]
	v_fma_f64 v[4:5], v[76:77], v[80:81], -v[4:5]
	v_add_f64 v[2:3], v[2:3], v[4:5]
	v_mul_f64 v[4:5], v[86:87], v[90:91]
	v_fma_f64 v[4:5], v[84:85], v[88:89], -v[4:5]
	v_add_f64 v[2:3], v[2:3], v[4:5]
	v_mul_f64 v[4:5], v[94:95], v[98:99]
	v_fma_f64 v[4:5], v[92:93], v[96:97], -v[4:5]
	v_add_f64 v[2:3], v[2:3], v[4:5]
	v_mul_f64 v[4:5], v[102:103], v[106:107]
	v_fma_f64 v[4:5], v[100:101], v[104:105], -v[4:5]
	v_add_f64 v[2:3], v[2:3], v[4:5]
	v_mul_f64 v[4:5], v[110:111], v[114:115]
	v_fma_f64 v[4:5], v[108:109], v[112:113], -v[4:5]
	v_add_f64 v[2:3], v[2:3], v[4:5]
	v_mul_f64 v[4:5], v[118:119], v[124:125]
	v_fma_f64 v[4:5], v[116:117], v[122:123], -v[4:5]
	v_add_f64 v[2:3], v[2:3], v[4:5]
	v_mul_f64 v[4:5], v[128:129], v[132:133]
	v_fma_f64 v[4:5], v[126:127], v[130:131], -v[4:5]
	v_add_f64 v[2:3], v[2:3], v[4:5]
	v_mul_f64 v[4:5], v[136:137], v[140:141]
	v_fma_f64 v[4:5], v[134:135], v[138:139], -v[4:5]
	v_add_f64 v[2:3], v[2:3], v[4:5]
	v_mul_f64 v[4:5], v[144:145], v[148:149]
	v_fma_f64 v[4:5], v[142:143], v[146:147], -v[4:5]
	v_add_f64 v[2:3], v[2:3], v[4:5]
	v_mul_f64 v[4:5], v[152:153], v[156:157]
	v_fma_f64 v[4:5], v[150:151], v[154:155], -v[4:5]
	v_add_f64 v[2:3], v[2:3], v[4:5]
	v_mul_f64 v[4:5], v[160:161], v[164:165]
	v_fma_f64 v[4:5], v[158:159], v[162:163], -v[4:5]
	v_add_f64 v[2:3], v[2:3], v[4:5]
	v_mul_f64 v[4:5], v[168:169], v[172:173]
	v_fma_f64 v[4:5], v[166:167], v[170:171], -v[4:5]
	v_add_f64 v[2:3], v[2:3], v[4:5]
	v_mul_f64 v[4:5], v[176:177], v[180:181]
	v_fma_f64 v[4:5], v[174:175], v[178:179], -v[4:5]
	v_add_f64 v[6:7], v[2:3], v[4:5]
	scratch_load_dwordx4 v[2:5], off, off offset:576
	s_waitcnt vmcnt(0)
	v_add_f64 v[2:3], v[2:3], -v[6:7]
	v_add_f64 v[4:5], v[4:5], -v[120:121]
	scratch_store_dwordx4 off, v[2:5], off offset:576
	s_and_saveexec_b64 s[0:1], vcc
	s_cbranch_execz .LBB121_293
; %bb.292:
	scratch_load_dwordx4 v[2:5], off, s40
	v_mov_b32_e32 v6, 0
	v_mov_b32_e32 v7, v6
	;; [unrolled: 1-line block ×4, first 2 shown]
	v_accvgpr_read_b32 v0, a117
	scratch_store_dwordx4 off, v[6:9], off offset:560
	s_waitcnt vmcnt(1)
	ds_write_b128 v0, v[2:5]
.LBB121_293:
	s_or_b64 exec, exec, s[0:1]
	v_mov_b32_e32 v2, 0
	s_waitcnt lgkmcnt(0)
	; wave barrier
	ds_read_b128 v[16:19], v2 offset:1488
	ds_read_b128 v[12:15], v2 offset:1504
	;; [unrolled: 1-line block ×4, first 2 shown]
	scratch_load_dwordx4 v[20:23], off, off offset:576
	scratch_load_dwordx4 v[40:43], off, off offset:640
	;; [unrolled: 1-line block ×17, first 2 shown]
	v_cmp_lt_u32_e32 vcc, 33, v240
	scratch_load_dwordx4 v[48:51], off, off offset:656
	scratch_load_dwordx4 v[56:59], off, off offset:672
	;; [unrolled: 1-line block ×3, first 2 shown]
	s_waitcnt vmcnt(19) lgkmcnt(3)
	v_mul_f64 v[24:25], v[16:17], v[22:23]
	v_fmac_f64_e32 v[24:25], v[18:19], v[20:21]
	v_add_f64 v[28:29], v[24:25], 0
	scratch_load_dwordx4 v[24:27], off, off offset:592
	v_mul_f64 v[18:19], v[18:19], v[22:23]
	v_fma_f64 v[16:17], v[16:17], v[20:21], -v[18:19]
	v_add_f64 v[16:17], v[16:17], 0
	s_waitcnt vmcnt(0) lgkmcnt(2)
	v_mul_f64 v[30:31], v[12:13], v[26:27]
	v_fmac_f64_e32 v[30:31], v[14:15], v[24:25]
	v_add_f64 v[32:33], v[28:29], v[30:31]
	scratch_load_dwordx4 v[28:31], off, off offset:608
	v_mul_f64 v[14:15], v[14:15], v[26:27]
	v_fma_f64 v[12:13], v[12:13], v[24:25], -v[14:15]
	v_add_f64 v[12:13], v[16:17], v[12:13]
	;; [unrolled: 8-line block ×3, first 2 shown]
	s_waitcnt vmcnt(0) lgkmcnt(0)
	v_mul_f64 v[38:39], v[4:5], v[34:35]
	v_fmac_f64_e32 v[38:39], v[6:7], v[32:33]
	v_add_f64 v[44:45], v[36:37], v[38:39]
	ds_read_b128 v[36:39], v2 offset:1552
	v_mul_f64 v[6:7], v[6:7], v[34:35]
	v_fma_f64 v[4:5], v[4:5], v[32:33], -v[6:7]
	v_add_f64 v[4:5], v[8:9], v[4:5]
	s_waitcnt lgkmcnt(0)
	v_mul_f64 v[46:47], v[36:37], v[42:43]
	v_fmac_f64_e32 v[46:47], v[38:39], v[40:41]
	v_add_f64 v[52:53], v[44:45], v[46:47]
	ds_read_b128 v[44:47], v2 offset:1568
	v_mul_f64 v[6:7], v[38:39], v[42:43]
	v_fma_f64 v[6:7], v[36:37], v[40:41], -v[6:7]
	v_add_f64 v[4:5], v[4:5], v[6:7]
	s_waitcnt lgkmcnt(0)
	;; [unrolled: 8-line block ×19, first 2 shown]
	v_mul_f64 v[6:7], v[184:185], v[188:189]
	v_fma_f64 v[6:7], v[182:183], v[186:187], -v[6:7]
	v_add_f64 v[8:9], v[4:5], v[6:7]
	scratch_load_dwordx4 v[4:7], off, off offset:560
	v_mul_f64 v[190:191], v[182:183], v[188:189]
	v_fmac_f64_e32 v[190:191], v[184:185], v[186:187]
	v_add_f64 v[128:129], v[128:129], v[190:191]
	s_waitcnt vmcnt(0)
	v_add_f64 v[4:5], v[4:5], -v[8:9]
	v_add_f64 v[6:7], v[6:7], -v[128:129]
	scratch_store_dwordx4 off, v[4:7], off offset:560
	s_and_saveexec_b64 s[0:1], vcc
	s_cbranch_execz .LBB121_295
; %bb.294:
	scratch_load_dwordx4 v[6:9], off, s41
	v_mov_b32_e32 v3, v2
	v_mov_b32_e32 v4, v2
	;; [unrolled: 1-line block ×3, first 2 shown]
	v_accvgpr_read_b32 v0, a117
	scratch_store_dwordx4 off, v[2:5], off offset:544
	s_waitcnt vmcnt(1)
	ds_write_b128 v0, v[6:9]
.LBB121_295:
	s_or_b64 exec, exec, s[0:1]
	s_waitcnt lgkmcnt(0)
	; wave barrier
	ds_read_b128 v[16:19], v2 offset:1472
	ds_read_b128 v[12:15], v2 offset:1488
	;; [unrolled: 1-line block ×4, first 2 shown]
	scratch_load_dwordx4 v[20:23], off, off offset:560
	scratch_load_dwordx4 v[40:43], off, off offset:624
	;; [unrolled: 1-line block ×18, first 2 shown]
	v_cmp_lt_u32_e32 vcc, 32, v240
	scratch_load_dwordx4 v[48:51], off, off offset:640
	scratch_load_dwordx4 v[56:59], off, off offset:656
	;; [unrolled: 1-line block ×3, first 2 shown]
	s_waitcnt vmcnt(20) lgkmcnt(3)
	v_mul_f64 v[24:25], v[16:17], v[22:23]
	v_fmac_f64_e32 v[24:25], v[18:19], v[20:21]
	v_add_f64 v[28:29], v[24:25], 0
	scratch_load_dwordx4 v[24:27], off, off offset:576
	s_waitcnt vmcnt(0) lgkmcnt(2)
	v_mul_f64 v[30:31], v[12:13], v[26:27]
	v_fmac_f64_e32 v[30:31], v[14:15], v[24:25]
	v_add_f64 v[32:33], v[28:29], v[30:31]
	scratch_load_dwordx4 v[28:31], off, off offset:592
	v_mul_f64 v[14:15], v[14:15], v[26:27]
	v_fma_f64 v[12:13], v[12:13], v[24:25], -v[14:15]
	s_waitcnt vmcnt(0) lgkmcnt(1)
	v_mul_f64 v[34:35], v[8:9], v[30:31]
	v_fmac_f64_e32 v[34:35], v[10:11], v[28:29]
	v_add_f64 v[36:37], v[32:33], v[34:35]
	scratch_load_dwordx4 v[32:35], off, off offset:608
	v_mul_f64 v[10:11], v[10:11], v[30:31]
	v_fma_f64 v[8:9], v[8:9], v[28:29], -v[10:11]
	s_waitcnt vmcnt(0) lgkmcnt(0)
	v_mul_f64 v[38:39], v[4:5], v[34:35]
	v_fmac_f64_e32 v[38:39], v[6:7], v[32:33]
	v_add_f64 v[44:45], v[36:37], v[38:39]
	ds_read_b128 v[36:39], v2 offset:1536
	v_mul_f64 v[6:7], v[6:7], v[34:35]
	v_fma_f64 v[4:5], v[4:5], v[32:33], -v[6:7]
	s_waitcnt lgkmcnt(0)
	v_mul_f64 v[46:47], v[36:37], v[42:43]
	v_fmac_f64_e32 v[46:47], v[38:39], v[40:41]
	v_add_f64 v[52:53], v[44:45], v[46:47]
	ds_read_b128 v[44:47], v2 offset:1552
	s_waitcnt lgkmcnt(0)
	v_mul_f64 v[54:55], v[44:45], v[50:51]
	v_fmac_f64_e32 v[54:55], v[46:47], v[48:49]
	v_add_f64 v[60:61], v[52:53], v[54:55]
	ds_read_b128 v[52:55], v2 offset:1568
	;; [unrolled: 5-line block ×19, first 2 shown]
	s_waitcnt lgkmcnt(0)
	v_mul_f64 v[2:3], v[190:191], v[196:197]
	v_fmac_f64_e32 v[2:3], v[192:193], v[194:195]
	v_add_f64 v[148:149], v[148:149], v[2:3]
	v_mul_f64 v[2:3], v[18:19], v[22:23]
	v_fma_f64 v[2:3], v[16:17], v[20:21], -v[2:3]
	v_add_f64 v[2:3], v[2:3], 0
	v_add_f64 v[2:3], v[2:3], v[12:13]
	;; [unrolled: 1-line block ×4, first 2 shown]
	v_mul_f64 v[4:5], v[38:39], v[42:43]
	v_fma_f64 v[4:5], v[36:37], v[40:41], -v[4:5]
	v_add_f64 v[2:3], v[2:3], v[4:5]
	v_mul_f64 v[4:5], v[46:47], v[50:51]
	v_fma_f64 v[4:5], v[44:45], v[48:49], -v[4:5]
	v_add_f64 v[2:3], v[2:3], v[4:5]
	;; [unrolled: 3-line block ×20, first 2 shown]
	scratch_load_dwordx4 v[2:5], off, off offset:544
	s_waitcnt vmcnt(0)
	v_add_f64 v[2:3], v[2:3], -v[6:7]
	v_add_f64 v[4:5], v[4:5], -v[148:149]
	scratch_store_dwordx4 off, v[2:5], off offset:544
	s_and_saveexec_b64 s[0:1], vcc
	s_cbranch_execz .LBB121_297
; %bb.296:
	scratch_load_dwordx4 v[2:5], off, s42
	v_mov_b32_e32 v6, 0
	v_mov_b32_e32 v7, v6
	;; [unrolled: 1-line block ×4, first 2 shown]
	v_accvgpr_read_b32 v0, a117
	scratch_store_dwordx4 off, v[6:9], off offset:528
	s_waitcnt vmcnt(1)
	ds_write_b128 v0, v[2:5]
.LBB121_297:
	s_or_b64 exec, exec, s[0:1]
	v_mov_b32_e32 v2, 0
	s_waitcnt lgkmcnt(0)
	; wave barrier
	ds_read_b128 v[16:19], v2 offset:1456
	ds_read_b128 v[12:15], v2 offset:1472
	;; [unrolled: 1-line block ×4, first 2 shown]
	scratch_load_dwordx4 v[20:23], off, off offset:544
	scratch_load_dwordx4 v[40:43], off, off offset:608
	;; [unrolled: 1-line block ×19, first 2 shown]
	v_cmp_lt_u32_e32 vcc, 31, v240
	scratch_load_dwordx4 v[48:51], off, off offset:624
	scratch_load_dwordx4 v[56:59], off, off offset:640
	;; [unrolled: 1-line block ×3, first 2 shown]
	s_waitcnt vmcnt(21) lgkmcnt(3)
	v_mul_f64 v[24:25], v[16:17], v[22:23]
	v_fmac_f64_e32 v[24:25], v[18:19], v[20:21]
	v_add_f64 v[28:29], v[24:25], 0
	scratch_load_dwordx4 v[24:27], off, off offset:560
	v_mul_f64 v[18:19], v[18:19], v[22:23]
	v_fma_f64 v[16:17], v[16:17], v[20:21], -v[18:19]
	v_add_f64 v[16:17], v[16:17], 0
	s_waitcnt vmcnt(0) lgkmcnt(2)
	v_mul_f64 v[30:31], v[12:13], v[26:27]
	v_fmac_f64_e32 v[30:31], v[14:15], v[24:25]
	v_add_f64 v[32:33], v[28:29], v[30:31]
	scratch_load_dwordx4 v[28:31], off, off offset:576
	v_mul_f64 v[14:15], v[14:15], v[26:27]
	v_fma_f64 v[12:13], v[12:13], v[24:25], -v[14:15]
	v_add_f64 v[12:13], v[16:17], v[12:13]
	;; [unrolled: 8-line block ×3, first 2 shown]
	s_waitcnt vmcnt(0) lgkmcnt(0)
	v_mul_f64 v[38:39], v[4:5], v[34:35]
	v_fmac_f64_e32 v[38:39], v[6:7], v[32:33]
	v_add_f64 v[44:45], v[36:37], v[38:39]
	ds_read_b128 v[36:39], v2 offset:1520
	v_mul_f64 v[6:7], v[6:7], v[34:35]
	v_fma_f64 v[4:5], v[4:5], v[32:33], -v[6:7]
	v_add_f64 v[4:5], v[8:9], v[4:5]
	s_waitcnt lgkmcnt(0)
	v_mul_f64 v[46:47], v[36:37], v[42:43]
	v_fmac_f64_e32 v[46:47], v[38:39], v[40:41]
	v_add_f64 v[52:53], v[44:45], v[46:47]
	ds_read_b128 v[44:47], v2 offset:1536
	v_mul_f64 v[6:7], v[38:39], v[42:43]
	v_fma_f64 v[6:7], v[36:37], v[40:41], -v[6:7]
	v_add_f64 v[4:5], v[4:5], v[6:7]
	s_waitcnt lgkmcnt(0)
	v_mul_f64 v[54:55], v[44:45], v[50:51]
	v_fmac_f64_e32 v[54:55], v[46:47], v[48:49]
	v_add_f64 v[60:61], v[52:53], v[54:55]
	ds_read_b128 v[52:55], v2 offset:1552
	v_mul_f64 v[6:7], v[46:47], v[50:51]
	v_fma_f64 v[6:7], v[44:45], v[48:49], -v[6:7]
	v_add_f64 v[4:5], v[4:5], v[6:7]
	s_waitcnt lgkmcnt(0)
	v_mul_f64 v[62:63], v[52:53], v[58:59]
	v_fmac_f64_e32 v[62:63], v[54:55], v[56:57]
	v_add_f64 v[68:69], v[60:61], v[62:63]
	ds_read_b128 v[60:63], v2 offset:1568
	v_mul_f64 v[6:7], v[54:55], v[58:59]
	v_fma_f64 v[6:7], v[52:53], v[56:57], -v[6:7]
	v_add_f64 v[4:5], v[4:5], v[6:7]
	s_waitcnt lgkmcnt(0)
	v_mul_f64 v[70:71], v[60:61], v[66:67]
	v_fmac_f64_e32 v[70:71], v[62:63], v[64:65]
	v_add_f64 v[76:77], v[68:69], v[70:71]
	ds_read_b128 v[68:71], v2 offset:1584
	v_mul_f64 v[6:7], v[62:63], v[66:67]
	v_fma_f64 v[6:7], v[60:61], v[64:65], -v[6:7]
	v_add_f64 v[4:5], v[4:5], v[6:7]
	s_waitcnt lgkmcnt(0)
	v_mul_f64 v[78:79], v[68:69], v[74:75]
	v_fmac_f64_e32 v[78:79], v[70:71], v[72:73]
	v_add_f64 v[84:85], v[76:77], v[78:79]
	ds_read_b128 v[76:79], v2 offset:1600
	v_mul_f64 v[6:7], v[70:71], v[74:75]
	v_fma_f64 v[6:7], v[68:69], v[72:73], -v[6:7]
	v_add_f64 v[4:5], v[4:5], v[6:7]
	s_waitcnt lgkmcnt(0)
	v_mul_f64 v[86:87], v[76:77], v[82:83]
	v_fmac_f64_e32 v[86:87], v[78:79], v[80:81]
	v_add_f64 v[92:93], v[84:85], v[86:87]
	ds_read_b128 v[84:87], v2 offset:1616
	v_mul_f64 v[6:7], v[78:79], v[82:83]
	v_fma_f64 v[6:7], v[76:77], v[80:81], -v[6:7]
	v_add_f64 v[4:5], v[4:5], v[6:7]
	s_waitcnt lgkmcnt(0)
	v_mul_f64 v[94:95], v[84:85], v[90:91]
	v_fmac_f64_e32 v[94:95], v[86:87], v[88:89]
	v_add_f64 v[100:101], v[92:93], v[94:95]
	ds_read_b128 v[92:95], v2 offset:1632
	v_mul_f64 v[6:7], v[86:87], v[90:91]
	v_fma_f64 v[6:7], v[84:85], v[88:89], -v[6:7]
	v_add_f64 v[4:5], v[4:5], v[6:7]
	s_waitcnt lgkmcnt(0)
	v_mul_f64 v[102:103], v[92:93], v[98:99]
	v_fmac_f64_e32 v[102:103], v[94:95], v[96:97]
	v_add_f64 v[108:109], v[100:101], v[102:103]
	ds_read_b128 v[100:103], v2 offset:1648
	v_mul_f64 v[6:7], v[94:95], v[98:99]
	v_fma_f64 v[6:7], v[92:93], v[96:97], -v[6:7]
	v_add_f64 v[4:5], v[4:5], v[6:7]
	s_waitcnt lgkmcnt(0)
	v_mul_f64 v[110:111], v[100:101], v[106:107]
	v_fmac_f64_e32 v[110:111], v[102:103], v[104:105]
	v_add_f64 v[116:117], v[108:109], v[110:111]
	ds_read_b128 v[108:111], v2 offset:1664
	v_mul_f64 v[6:7], v[102:103], v[106:107]
	v_fma_f64 v[6:7], v[100:101], v[104:105], -v[6:7]
	v_add_f64 v[4:5], v[4:5], v[6:7]
	s_waitcnt lgkmcnt(0)
	v_mul_f64 v[118:119], v[108:109], v[114:115]
	v_fmac_f64_e32 v[118:119], v[110:111], v[112:113]
	v_add_f64 v[124:125], v[116:117], v[118:119]
	ds_read_b128 v[116:119], v2 offset:1680
	v_mul_f64 v[6:7], v[110:111], v[114:115]
	v_fma_f64 v[6:7], v[108:109], v[112:113], -v[6:7]
	v_add_f64 v[4:5], v[4:5], v[6:7]
	s_waitcnt lgkmcnt(0)
	v_mul_f64 v[126:127], v[116:117], v[122:123]
	v_fmac_f64_e32 v[126:127], v[118:119], v[120:121]
	v_add_f64 v[132:133], v[124:125], v[126:127]
	ds_read_b128 v[124:127], v2 offset:1696
	v_mul_f64 v[6:7], v[118:119], v[122:123]
	v_fma_f64 v[6:7], v[116:117], v[120:121], -v[6:7]
	v_add_f64 v[4:5], v[4:5], v[6:7]
	s_waitcnt lgkmcnt(0)
	v_mul_f64 v[134:135], v[124:125], v[130:131]
	v_fmac_f64_e32 v[134:135], v[126:127], v[128:129]
	v_add_f64 v[140:141], v[132:133], v[134:135]
	ds_read_b128 v[132:135], v2 offset:1712
	v_mul_f64 v[6:7], v[126:127], v[130:131]
	v_fma_f64 v[6:7], v[124:125], v[128:129], -v[6:7]
	v_add_f64 v[4:5], v[4:5], v[6:7]
	s_waitcnt lgkmcnt(0)
	v_mul_f64 v[142:143], v[132:133], v[138:139]
	v_fmac_f64_e32 v[142:143], v[134:135], v[136:137]
	v_add_f64 v[144:145], v[140:141], v[142:143]
	ds_read_b128 v[140:143], v2 offset:1728
	v_mul_f64 v[6:7], v[134:135], v[138:139]
	v_fma_f64 v[6:7], v[132:133], v[136:137], -v[6:7]
	v_add_f64 v[4:5], v[4:5], v[6:7]
	s_waitcnt lgkmcnt(0)
	v_mul_f64 v[150:151], v[140:141], v[148:149]
	v_fmac_f64_e32 v[150:151], v[142:143], v[146:147]
	v_add_f64 v[144:145], v[144:145], v[150:151]
	ds_read_b128 v[150:153], v2 offset:1744
	v_mul_f64 v[6:7], v[142:143], v[148:149]
	v_fma_f64 v[6:7], v[140:141], v[146:147], -v[6:7]
	v_add_f64 v[4:5], v[4:5], v[6:7]
	s_waitcnt lgkmcnt(0)
	v_mul_f64 v[158:159], v[150:151], v[156:157]
	v_fmac_f64_e32 v[158:159], v[152:153], v[154:155]
	v_add_f64 v[144:145], v[144:145], v[158:159]
	ds_read_b128 v[158:161], v2 offset:1760
	v_mul_f64 v[6:7], v[152:153], v[156:157]
	v_fma_f64 v[6:7], v[150:151], v[154:155], -v[6:7]
	v_add_f64 v[4:5], v[4:5], v[6:7]
	s_waitcnt lgkmcnt(0)
	v_mul_f64 v[166:167], v[158:159], v[164:165]
	v_fmac_f64_e32 v[166:167], v[160:161], v[162:163]
	v_add_f64 v[144:145], v[144:145], v[166:167]
	ds_read_b128 v[166:169], v2 offset:1776
	v_mul_f64 v[6:7], v[160:161], v[164:165]
	v_fma_f64 v[6:7], v[158:159], v[162:163], -v[6:7]
	v_add_f64 v[4:5], v[4:5], v[6:7]
	s_waitcnt lgkmcnt(0)
	v_mul_f64 v[174:175], v[166:167], v[172:173]
	v_fmac_f64_e32 v[174:175], v[168:169], v[170:171]
	v_add_f64 v[144:145], v[144:145], v[174:175]
	ds_read_b128 v[174:177], v2 offset:1792
	v_mul_f64 v[6:7], v[168:169], v[172:173]
	v_fma_f64 v[6:7], v[166:167], v[170:171], -v[6:7]
	v_add_f64 v[4:5], v[4:5], v[6:7]
	s_waitcnt lgkmcnt(0)
	v_mul_f64 v[182:183], v[174:175], v[180:181]
	v_fmac_f64_e32 v[182:183], v[176:177], v[178:179]
	v_add_f64 v[144:145], v[144:145], v[182:183]
	ds_read_b128 v[182:185], v2 offset:1808
	v_mul_f64 v[6:7], v[176:177], v[180:181]
	v_fma_f64 v[6:7], v[174:175], v[178:179], -v[6:7]
	v_add_f64 v[4:5], v[4:5], v[6:7]
	s_waitcnt lgkmcnt(0)
	v_mul_f64 v[190:191], v[182:183], v[188:189]
	v_fmac_f64_e32 v[190:191], v[184:185], v[186:187]
	v_add_f64 v[144:145], v[144:145], v[190:191]
	ds_read_b128 v[190:193], v2 offset:1824
	v_mul_f64 v[6:7], v[184:185], v[188:189]
	v_fma_f64 v[6:7], v[182:183], v[186:187], -v[6:7]
	v_add_f64 v[4:5], v[4:5], v[6:7]
	s_waitcnt lgkmcnt(0)
	v_mul_f64 v[198:199], v[190:191], v[196:197]
	v_fmac_f64_e32 v[198:199], v[192:193], v[194:195]
	v_add_f64 v[144:145], v[144:145], v[198:199]
	ds_read_b128 v[198:201], v2 offset:1840
	v_mul_f64 v[6:7], v[192:193], v[196:197]
	v_fma_f64 v[6:7], v[190:191], v[194:195], -v[6:7]
	v_add_f64 v[4:5], v[4:5], v[6:7]
	s_waitcnt lgkmcnt(0)
	v_mul_f64 v[6:7], v[200:201], v[204:205]
	v_fma_f64 v[6:7], v[198:199], v[202:203], -v[6:7]
	v_add_f64 v[8:9], v[4:5], v[6:7]
	scratch_load_dwordx4 v[4:7], off, off offset:528
	v_mul_f64 v[206:207], v[198:199], v[204:205]
	v_fmac_f64_e32 v[206:207], v[200:201], v[202:203]
	v_add_f64 v[144:145], v[144:145], v[206:207]
	s_waitcnt vmcnt(0)
	v_add_f64 v[4:5], v[4:5], -v[8:9]
	v_add_f64 v[6:7], v[6:7], -v[144:145]
	scratch_store_dwordx4 off, v[4:7], off offset:528
	s_and_saveexec_b64 s[0:1], vcc
	s_cbranch_execz .LBB121_299
; %bb.298:
	scratch_load_dwordx4 v[6:9], off, s43
	v_mov_b32_e32 v3, v2
	v_mov_b32_e32 v4, v2
	;; [unrolled: 1-line block ×3, first 2 shown]
	v_accvgpr_read_b32 v0, a117
	scratch_store_dwordx4 off, v[2:5], off offset:512
	s_waitcnt vmcnt(1)
	ds_write_b128 v0, v[6:9]
.LBB121_299:
	s_or_b64 exec, exec, s[0:1]
	s_waitcnt lgkmcnt(0)
	; wave barrier
	ds_read_b128 v[16:19], v2 offset:1440
	ds_read_b128 v[12:15], v2 offset:1456
	;; [unrolled: 1-line block ×4, first 2 shown]
	scratch_load_dwordx4 v[20:23], off, off offset:528
	scratch_load_dwordx4 v[40:43], off, off offset:592
	;; [unrolled: 1-line block ×20, first 2 shown]
	v_cmp_lt_u32_e32 vcc, 30, v240
	scratch_load_dwordx4 v[48:51], off, off offset:608
	scratch_load_dwordx4 v[56:59], off, off offset:624
	;; [unrolled: 1-line block ×3, first 2 shown]
	s_waitcnt vmcnt(22) lgkmcnt(3)
	v_mul_f64 v[24:25], v[16:17], v[22:23]
	v_fmac_f64_e32 v[24:25], v[18:19], v[20:21]
	v_add_f64 v[28:29], v[24:25], 0
	scratch_load_dwordx4 v[24:27], off, off offset:544
	s_waitcnt vmcnt(0) lgkmcnt(2)
	v_mul_f64 v[30:31], v[12:13], v[26:27]
	v_fmac_f64_e32 v[30:31], v[14:15], v[24:25]
	v_add_f64 v[32:33], v[28:29], v[30:31]
	scratch_load_dwordx4 v[28:31], off, off offset:560
	v_mul_f64 v[14:15], v[14:15], v[26:27]
	v_fma_f64 v[12:13], v[12:13], v[24:25], -v[14:15]
	s_waitcnt vmcnt(0) lgkmcnt(1)
	v_mul_f64 v[34:35], v[8:9], v[30:31]
	v_fmac_f64_e32 v[34:35], v[10:11], v[28:29]
	v_add_f64 v[36:37], v[32:33], v[34:35]
	scratch_load_dwordx4 v[32:35], off, off offset:576
	v_mul_f64 v[10:11], v[10:11], v[30:31]
	v_fma_f64 v[8:9], v[8:9], v[28:29], -v[10:11]
	s_waitcnt vmcnt(0) lgkmcnt(0)
	v_mul_f64 v[38:39], v[4:5], v[34:35]
	v_fmac_f64_e32 v[38:39], v[6:7], v[32:33]
	v_add_f64 v[44:45], v[36:37], v[38:39]
	ds_read_b128 v[36:39], v2 offset:1504
	v_mul_f64 v[6:7], v[6:7], v[34:35]
	v_fma_f64 v[4:5], v[4:5], v[32:33], -v[6:7]
	s_waitcnt lgkmcnt(0)
	v_mul_f64 v[46:47], v[36:37], v[42:43]
	v_fmac_f64_e32 v[46:47], v[38:39], v[40:41]
	v_add_f64 v[52:53], v[44:45], v[46:47]
	ds_read_b128 v[44:47], v2 offset:1520
	s_waitcnt lgkmcnt(0)
	v_mul_f64 v[54:55], v[44:45], v[50:51]
	v_fmac_f64_e32 v[54:55], v[46:47], v[48:49]
	v_add_f64 v[60:61], v[52:53], v[54:55]
	ds_read_b128 v[52:55], v2 offset:1536
	;; [unrolled: 5-line block ×21, first 2 shown]
	s_waitcnt lgkmcnt(0)
	v_mul_f64 v[2:3], v[206:207], v[212:213]
	v_fmac_f64_e32 v[2:3], v[208:209], v[210:211]
	v_add_f64 v[168:169], v[168:169], v[2:3]
	v_mul_f64 v[2:3], v[18:19], v[22:23]
	v_fma_f64 v[2:3], v[16:17], v[20:21], -v[2:3]
	v_add_f64 v[2:3], v[2:3], 0
	v_add_f64 v[2:3], v[2:3], v[12:13]
	;; [unrolled: 1-line block ×4, first 2 shown]
	v_mul_f64 v[4:5], v[38:39], v[42:43]
	v_fma_f64 v[4:5], v[36:37], v[40:41], -v[4:5]
	v_add_f64 v[2:3], v[2:3], v[4:5]
	v_mul_f64 v[4:5], v[46:47], v[50:51]
	v_fma_f64 v[4:5], v[44:45], v[48:49], -v[4:5]
	v_add_f64 v[2:3], v[2:3], v[4:5]
	;; [unrolled: 3-line block ×22, first 2 shown]
	scratch_load_dwordx4 v[2:5], off, off offset:512
	s_waitcnt vmcnt(0)
	v_add_f64 v[2:3], v[2:3], -v[6:7]
	v_add_f64 v[4:5], v[4:5], -v[168:169]
	scratch_store_dwordx4 off, v[2:5], off offset:512
	s_and_saveexec_b64 s[0:1], vcc
	s_cbranch_execz .LBB121_301
; %bb.300:
	scratch_load_dwordx4 v[2:5], off, s44
	v_mov_b32_e32 v6, 0
	v_mov_b32_e32 v7, v6
	v_mov_b32_e32 v8, v6
	v_mov_b32_e32 v9, v6
	v_accvgpr_read_b32 v0, a117
	scratch_store_dwordx4 off, v[6:9], off offset:496
	s_waitcnt vmcnt(1)
	ds_write_b128 v0, v[2:5]
.LBB121_301:
	s_or_b64 exec, exec, s[0:1]
	v_mov_b32_e32 v2, 0
	s_waitcnt lgkmcnt(0)
	; wave barrier
	ds_read_b128 v[16:19], v2 offset:1424
	ds_read_b128 v[12:15], v2 offset:1440
	;; [unrolled: 1-line block ×4, first 2 shown]
	scratch_load_dwordx4 v[20:23], off, off offset:512
	scratch_load_dwordx4 v[40:43], off, off offset:576
	;; [unrolled: 1-line block ×21, first 2 shown]
	v_cmp_lt_u32_e32 vcc, 29, v240
	scratch_load_dwordx4 v[48:51], off, off offset:592
	scratch_load_dwordx4 v[56:59], off, off offset:608
	;; [unrolled: 1-line block ×3, first 2 shown]
	s_waitcnt vmcnt(23) lgkmcnt(3)
	v_mul_f64 v[24:25], v[16:17], v[22:23]
	v_fmac_f64_e32 v[24:25], v[18:19], v[20:21]
	v_add_f64 v[28:29], v[24:25], 0
	scratch_load_dwordx4 v[24:27], off, off offset:528
	v_mul_f64 v[18:19], v[18:19], v[22:23]
	v_fma_f64 v[16:17], v[16:17], v[20:21], -v[18:19]
	v_add_f64 v[16:17], v[16:17], 0
	s_waitcnt vmcnt(0) lgkmcnt(2)
	v_mul_f64 v[30:31], v[12:13], v[26:27]
	v_fmac_f64_e32 v[30:31], v[14:15], v[24:25]
	v_add_f64 v[32:33], v[28:29], v[30:31]
	scratch_load_dwordx4 v[28:31], off, off offset:544
	v_mul_f64 v[14:15], v[14:15], v[26:27]
	v_fma_f64 v[12:13], v[12:13], v[24:25], -v[14:15]
	v_add_f64 v[12:13], v[16:17], v[12:13]
	;; [unrolled: 8-line block ×3, first 2 shown]
	s_waitcnt vmcnt(0) lgkmcnt(0)
	v_mul_f64 v[38:39], v[4:5], v[34:35]
	v_fmac_f64_e32 v[38:39], v[6:7], v[32:33]
	v_add_f64 v[44:45], v[36:37], v[38:39]
	ds_read_b128 v[36:39], v2 offset:1488
	v_mul_f64 v[6:7], v[6:7], v[34:35]
	v_fma_f64 v[4:5], v[4:5], v[32:33], -v[6:7]
	v_add_f64 v[4:5], v[8:9], v[4:5]
	s_waitcnt lgkmcnt(0)
	v_mul_f64 v[46:47], v[36:37], v[42:43]
	v_fmac_f64_e32 v[46:47], v[38:39], v[40:41]
	v_add_f64 v[52:53], v[44:45], v[46:47]
	ds_read_b128 v[44:47], v2 offset:1504
	v_mul_f64 v[6:7], v[38:39], v[42:43]
	v_fma_f64 v[6:7], v[36:37], v[40:41], -v[6:7]
	v_add_f64 v[4:5], v[4:5], v[6:7]
	s_waitcnt lgkmcnt(0)
	;; [unrolled: 8-line block ×23, first 2 shown]
	v_mul_f64 v[6:7], v[216:217], v[220:221]
	v_fma_f64 v[6:7], v[214:215], v[218:219], -v[6:7]
	v_add_f64 v[8:9], v[4:5], v[6:7]
	scratch_load_dwordx4 v[4:7], off, off offset:496
	v_mul_f64 v[222:223], v[214:215], v[220:221]
	v_fmac_f64_e32 v[222:223], v[216:217], v[218:219]
	v_add_f64 v[160:161], v[160:161], v[222:223]
	s_waitcnt vmcnt(0)
	v_add_f64 v[4:5], v[4:5], -v[8:9]
	v_add_f64 v[6:7], v[6:7], -v[160:161]
	scratch_store_dwordx4 off, v[4:7], off offset:496
	s_and_saveexec_b64 s[0:1], vcc
	s_cbranch_execz .LBB121_303
; %bb.302:
	scratch_load_dwordx4 v[6:9], off, s45
	v_mov_b32_e32 v3, v2
	v_mov_b32_e32 v4, v2
	;; [unrolled: 1-line block ×3, first 2 shown]
	v_accvgpr_read_b32 v0, a117
	scratch_store_dwordx4 off, v[2:5], off offset:480
	s_waitcnt vmcnt(1)
	ds_write_b128 v0, v[6:9]
.LBB121_303:
	s_or_b64 exec, exec, s[0:1]
	s_waitcnt lgkmcnt(0)
	; wave barrier
	ds_read_b128 v[16:19], v2 offset:1408
	ds_read_b128 v[12:15], v2 offset:1424
	;; [unrolled: 1-line block ×4, first 2 shown]
	scratch_load_dwordx4 v[20:23], off, off offset:496
	scratch_load_dwordx4 v[40:43], off, off offset:560
	;; [unrolled: 1-line block ×22, first 2 shown]
	v_cmp_lt_u32_e32 vcc, 28, v240
	scratch_load_dwordx4 v[48:51], off, off offset:576
	scratch_load_dwordx4 v[56:59], off, off offset:592
	;; [unrolled: 1-line block ×3, first 2 shown]
	s_waitcnt vmcnt(24) lgkmcnt(3)
	v_mul_f64 v[24:25], v[16:17], v[22:23]
	v_fmac_f64_e32 v[24:25], v[18:19], v[20:21]
	v_add_f64 v[28:29], v[24:25], 0
	scratch_load_dwordx4 v[24:27], off, off offset:512
	s_waitcnt vmcnt(0) lgkmcnt(2)
	v_mul_f64 v[30:31], v[12:13], v[26:27]
	v_fmac_f64_e32 v[30:31], v[14:15], v[24:25]
	v_add_f64 v[32:33], v[28:29], v[30:31]
	scratch_load_dwordx4 v[28:31], off, off offset:528
	v_mul_f64 v[14:15], v[14:15], v[26:27]
	v_fma_f64 v[12:13], v[12:13], v[24:25], -v[14:15]
	s_waitcnt vmcnt(0) lgkmcnt(1)
	v_mul_f64 v[34:35], v[8:9], v[30:31]
	v_fmac_f64_e32 v[34:35], v[10:11], v[28:29]
	v_add_f64 v[36:37], v[32:33], v[34:35]
	scratch_load_dwordx4 v[32:35], off, off offset:544
	v_mul_f64 v[10:11], v[10:11], v[30:31]
	v_fma_f64 v[8:9], v[8:9], v[28:29], -v[10:11]
	s_waitcnt vmcnt(0) lgkmcnt(0)
	v_mul_f64 v[38:39], v[4:5], v[34:35]
	v_fmac_f64_e32 v[38:39], v[6:7], v[32:33]
	v_add_f64 v[44:45], v[36:37], v[38:39]
	ds_read_b128 v[36:39], v2 offset:1472
	v_mul_f64 v[6:7], v[6:7], v[34:35]
	v_fma_f64 v[4:5], v[4:5], v[32:33], -v[6:7]
	s_waitcnt lgkmcnt(0)
	v_mul_f64 v[46:47], v[36:37], v[42:43]
	v_fmac_f64_e32 v[46:47], v[38:39], v[40:41]
	v_add_f64 v[52:53], v[44:45], v[46:47]
	ds_read_b128 v[44:47], v2 offset:1488
	s_waitcnt lgkmcnt(0)
	v_mul_f64 v[54:55], v[44:45], v[50:51]
	v_fmac_f64_e32 v[54:55], v[46:47], v[48:49]
	v_add_f64 v[60:61], v[52:53], v[54:55]
	ds_read_b128 v[52:55], v2 offset:1504
	;; [unrolled: 5-line block ×23, first 2 shown]
	s_waitcnt lgkmcnt(0)
	v_mul_f64 v[2:3], v[222:223], v[228:229]
	v_fmac_f64_e32 v[2:3], v[224:225], v[226:227]
	v_add_f64 v[176:177], v[176:177], v[2:3]
	v_mul_f64 v[2:3], v[18:19], v[22:23]
	v_fma_f64 v[2:3], v[16:17], v[20:21], -v[2:3]
	v_add_f64 v[2:3], v[2:3], 0
	v_add_f64 v[2:3], v[2:3], v[12:13]
	;; [unrolled: 1-line block ×4, first 2 shown]
	v_mul_f64 v[4:5], v[38:39], v[42:43]
	v_fma_f64 v[4:5], v[36:37], v[40:41], -v[4:5]
	v_add_f64 v[2:3], v[2:3], v[4:5]
	v_mul_f64 v[4:5], v[46:47], v[50:51]
	v_fma_f64 v[4:5], v[44:45], v[48:49], -v[4:5]
	v_add_f64 v[2:3], v[2:3], v[4:5]
	;; [unrolled: 3-line block ×24, first 2 shown]
	scratch_load_dwordx4 v[2:5], off, off offset:480
	s_waitcnt vmcnt(0)
	v_add_f64 v[2:3], v[2:3], -v[6:7]
	v_add_f64 v[4:5], v[4:5], -v[176:177]
	scratch_store_dwordx4 off, v[2:5], off offset:480
	s_and_saveexec_b64 s[0:1], vcc
	s_cbranch_execz .LBB121_305
; %bb.304:
	scratch_load_dwordx4 v[2:5], off, s46
	v_mov_b32_e32 v6, 0
	v_mov_b32_e32 v7, v6
	;; [unrolled: 1-line block ×4, first 2 shown]
	v_accvgpr_read_b32 v0, a117
	scratch_store_dwordx4 off, v[6:9], off offset:464
	s_waitcnt vmcnt(1)
	ds_write_b128 v0, v[2:5]
.LBB121_305:
	s_or_b64 exec, exec, s[0:1]
	v_mov_b32_e32 v2, 0
	s_waitcnt lgkmcnt(0)
	; wave barrier
	ds_read_b128 v[16:19], v2 offset:1392
	ds_read_b128 v[12:15], v2 offset:1408
	;; [unrolled: 1-line block ×4, first 2 shown]
	scratch_load_dwordx4 v[20:23], off, off offset:480
	scratch_load_dwordx4 v[40:43], off, off offset:544
	;; [unrolled: 1-line block ×23, first 2 shown]
	v_cmp_lt_u32_e32 vcc, 27, v240
	scratch_load_dwordx4 v[48:51], off, off offset:560
	scratch_load_dwordx4 v[56:59], off, off offset:576
	;; [unrolled: 1-line block ×3, first 2 shown]
	s_waitcnt vmcnt(25) lgkmcnt(3)
	v_mul_f64 v[24:25], v[16:17], v[22:23]
	v_fmac_f64_e32 v[24:25], v[18:19], v[20:21]
	v_add_f64 v[28:29], v[24:25], 0
	scratch_load_dwordx4 v[24:27], off, off offset:496
	v_mul_f64 v[18:19], v[18:19], v[22:23]
	v_fma_f64 v[16:17], v[16:17], v[20:21], -v[18:19]
	v_add_f64 v[16:17], v[16:17], 0
	s_waitcnt vmcnt(0) lgkmcnt(2)
	v_mul_f64 v[30:31], v[12:13], v[26:27]
	v_fmac_f64_e32 v[30:31], v[14:15], v[24:25]
	v_add_f64 v[32:33], v[28:29], v[30:31]
	scratch_load_dwordx4 v[28:31], off, off offset:512
	v_mul_f64 v[14:15], v[14:15], v[26:27]
	v_fma_f64 v[12:13], v[12:13], v[24:25], -v[14:15]
	v_add_f64 v[12:13], v[16:17], v[12:13]
	;; [unrolled: 8-line block ×3, first 2 shown]
	s_waitcnt vmcnt(0) lgkmcnt(0)
	v_mul_f64 v[38:39], v[4:5], v[34:35]
	v_fmac_f64_e32 v[38:39], v[6:7], v[32:33]
	v_add_f64 v[44:45], v[36:37], v[38:39]
	ds_read_b128 v[36:39], v2 offset:1456
	v_mul_f64 v[6:7], v[6:7], v[34:35]
	v_fma_f64 v[4:5], v[4:5], v[32:33], -v[6:7]
	v_add_f64 v[4:5], v[8:9], v[4:5]
	s_waitcnt lgkmcnt(0)
	v_mul_f64 v[46:47], v[36:37], v[42:43]
	v_fmac_f64_e32 v[46:47], v[38:39], v[40:41]
	v_add_f64 v[52:53], v[44:45], v[46:47]
	ds_read_b128 v[44:47], v2 offset:1472
	v_mul_f64 v[6:7], v[38:39], v[42:43]
	v_fma_f64 v[6:7], v[36:37], v[40:41], -v[6:7]
	v_add_f64 v[4:5], v[4:5], v[6:7]
	s_waitcnt lgkmcnt(0)
	v_mul_f64 v[54:55], v[44:45], v[50:51]
	v_fmac_f64_e32 v[54:55], v[46:47], v[48:49]
	v_add_f64 v[60:61], v[52:53], v[54:55]
	ds_read_b128 v[52:55], v2 offset:1488
	v_mul_f64 v[6:7], v[46:47], v[50:51]
	v_fma_f64 v[6:7], v[44:45], v[48:49], -v[6:7]
	v_add_f64 v[4:5], v[4:5], v[6:7]
	s_waitcnt lgkmcnt(0)
	v_mul_f64 v[62:63], v[52:53], v[58:59]
	v_fmac_f64_e32 v[62:63], v[54:55], v[56:57]
	v_add_f64 v[68:69], v[60:61], v[62:63]
	ds_read_b128 v[60:63], v2 offset:1504
	v_mul_f64 v[6:7], v[54:55], v[58:59]
	v_fma_f64 v[6:7], v[52:53], v[56:57], -v[6:7]
	v_add_f64 v[4:5], v[4:5], v[6:7]
	s_waitcnt lgkmcnt(0)
	v_mul_f64 v[70:71], v[60:61], v[66:67]
	v_fmac_f64_e32 v[70:71], v[62:63], v[64:65]
	v_add_f64 v[76:77], v[68:69], v[70:71]
	ds_read_b128 v[68:71], v2 offset:1520
	v_mul_f64 v[6:7], v[62:63], v[66:67]
	v_fma_f64 v[6:7], v[60:61], v[64:65], -v[6:7]
	v_add_f64 v[4:5], v[4:5], v[6:7]
	s_waitcnt lgkmcnt(0)
	v_mul_f64 v[78:79], v[68:69], v[74:75]
	v_fmac_f64_e32 v[78:79], v[70:71], v[72:73]
	v_add_f64 v[84:85], v[76:77], v[78:79]
	ds_read_b128 v[76:79], v2 offset:1536
	v_mul_f64 v[6:7], v[70:71], v[74:75]
	v_fma_f64 v[6:7], v[68:69], v[72:73], -v[6:7]
	v_add_f64 v[4:5], v[4:5], v[6:7]
	s_waitcnt lgkmcnt(0)
	v_mul_f64 v[86:87], v[76:77], v[82:83]
	v_fmac_f64_e32 v[86:87], v[78:79], v[80:81]
	v_add_f64 v[92:93], v[84:85], v[86:87]
	ds_read_b128 v[84:87], v2 offset:1552
	v_mul_f64 v[6:7], v[78:79], v[82:83]
	v_fma_f64 v[6:7], v[76:77], v[80:81], -v[6:7]
	v_add_f64 v[4:5], v[4:5], v[6:7]
	s_waitcnt lgkmcnt(0)
	v_mul_f64 v[94:95], v[84:85], v[90:91]
	v_fmac_f64_e32 v[94:95], v[86:87], v[88:89]
	v_add_f64 v[100:101], v[92:93], v[94:95]
	ds_read_b128 v[92:95], v2 offset:1568
	v_mul_f64 v[6:7], v[86:87], v[90:91]
	v_fma_f64 v[6:7], v[84:85], v[88:89], -v[6:7]
	v_add_f64 v[4:5], v[4:5], v[6:7]
	s_waitcnt lgkmcnt(0)
	v_mul_f64 v[102:103], v[92:93], v[98:99]
	v_fmac_f64_e32 v[102:103], v[94:95], v[96:97]
	v_add_f64 v[108:109], v[100:101], v[102:103]
	ds_read_b128 v[100:103], v2 offset:1584
	v_mul_f64 v[6:7], v[94:95], v[98:99]
	v_fma_f64 v[6:7], v[92:93], v[96:97], -v[6:7]
	v_add_f64 v[4:5], v[4:5], v[6:7]
	s_waitcnt lgkmcnt(0)
	v_mul_f64 v[110:111], v[100:101], v[106:107]
	v_fmac_f64_e32 v[110:111], v[102:103], v[104:105]
	v_add_f64 v[116:117], v[108:109], v[110:111]
	ds_read_b128 v[108:111], v2 offset:1600
	v_mul_f64 v[6:7], v[102:103], v[106:107]
	v_fma_f64 v[6:7], v[100:101], v[104:105], -v[6:7]
	v_add_f64 v[4:5], v[4:5], v[6:7]
	s_waitcnt lgkmcnt(0)
	v_mul_f64 v[118:119], v[108:109], v[114:115]
	v_fmac_f64_e32 v[118:119], v[110:111], v[112:113]
	v_add_f64 v[124:125], v[116:117], v[118:119]
	ds_read_b128 v[116:119], v2 offset:1616
	v_mul_f64 v[6:7], v[110:111], v[114:115]
	v_fma_f64 v[6:7], v[108:109], v[112:113], -v[6:7]
	v_add_f64 v[4:5], v[4:5], v[6:7]
	s_waitcnt lgkmcnt(0)
	v_mul_f64 v[126:127], v[116:117], v[122:123]
	v_fmac_f64_e32 v[126:127], v[118:119], v[120:121]
	v_add_f64 v[132:133], v[124:125], v[126:127]
	ds_read_b128 v[124:127], v2 offset:1632
	v_mul_f64 v[6:7], v[118:119], v[122:123]
	v_fma_f64 v[6:7], v[116:117], v[120:121], -v[6:7]
	v_add_f64 v[4:5], v[4:5], v[6:7]
	s_waitcnt lgkmcnt(0)
	v_mul_f64 v[134:135], v[124:125], v[130:131]
	v_fmac_f64_e32 v[134:135], v[126:127], v[128:129]
	v_add_f64 v[140:141], v[132:133], v[134:135]
	ds_read_b128 v[132:135], v2 offset:1648
	v_mul_f64 v[6:7], v[126:127], v[130:131]
	v_fma_f64 v[6:7], v[124:125], v[128:129], -v[6:7]
	v_add_f64 v[4:5], v[4:5], v[6:7]
	s_waitcnt lgkmcnt(0)
	v_mul_f64 v[142:143], v[132:133], v[138:139]
	v_fmac_f64_e32 v[142:143], v[134:135], v[136:137]
	v_add_f64 v[148:149], v[140:141], v[142:143]
	ds_read_b128 v[140:143], v2 offset:1664
	v_mul_f64 v[6:7], v[134:135], v[138:139]
	v_fma_f64 v[6:7], v[132:133], v[136:137], -v[6:7]
	v_add_f64 v[4:5], v[4:5], v[6:7]
	s_waitcnt lgkmcnt(0)
	v_mul_f64 v[150:151], v[140:141], v[146:147]
	v_fmac_f64_e32 v[150:151], v[142:143], v[144:145]
	v_add_f64 v[156:157], v[148:149], v[150:151]
	ds_read_b128 v[148:151], v2 offset:1680
	v_mul_f64 v[6:7], v[142:143], v[146:147]
	v_fma_f64 v[6:7], v[140:141], v[144:145], -v[6:7]
	v_add_f64 v[4:5], v[4:5], v[6:7]
	s_waitcnt lgkmcnt(0)
	v_mul_f64 v[158:159], v[148:149], v[154:155]
	v_fmac_f64_e32 v[158:159], v[150:151], v[152:153]
	v_add_f64 v[164:165], v[156:157], v[158:159]
	ds_read_b128 v[156:159], v2 offset:1696
	v_mul_f64 v[6:7], v[150:151], v[154:155]
	v_fma_f64 v[6:7], v[148:149], v[152:153], -v[6:7]
	v_add_f64 v[4:5], v[4:5], v[6:7]
	s_waitcnt lgkmcnt(0)
	v_mul_f64 v[166:167], v[156:157], v[162:163]
	v_fmac_f64_e32 v[166:167], v[158:159], v[160:161]
	v_add_f64 v[172:173], v[164:165], v[166:167]
	ds_read_b128 v[164:167], v2 offset:1712
	v_mul_f64 v[6:7], v[158:159], v[162:163]
	v_fma_f64 v[6:7], v[156:157], v[160:161], -v[6:7]
	v_add_f64 v[4:5], v[4:5], v[6:7]
	s_waitcnt lgkmcnt(0)
	v_mul_f64 v[174:175], v[164:165], v[170:171]
	v_fmac_f64_e32 v[174:175], v[166:167], v[168:169]
	v_add_f64 v[176:177], v[172:173], v[174:175]
	ds_read_b128 v[172:175], v2 offset:1728
	v_mul_f64 v[6:7], v[166:167], v[170:171]
	v_fma_f64 v[6:7], v[164:165], v[168:169], -v[6:7]
	v_add_f64 v[4:5], v[4:5], v[6:7]
	s_waitcnt lgkmcnt(0)
	v_mul_f64 v[182:183], v[172:173], v[180:181]
	v_fmac_f64_e32 v[182:183], v[174:175], v[178:179]
	v_add_f64 v[176:177], v[176:177], v[182:183]
	ds_read_b128 v[182:185], v2 offset:1744
	v_mul_f64 v[6:7], v[174:175], v[180:181]
	v_fma_f64 v[6:7], v[172:173], v[178:179], -v[6:7]
	v_add_f64 v[4:5], v[4:5], v[6:7]
	s_waitcnt lgkmcnt(0)
	v_mul_f64 v[190:191], v[182:183], v[188:189]
	v_fmac_f64_e32 v[190:191], v[184:185], v[186:187]
	v_add_f64 v[176:177], v[176:177], v[190:191]
	ds_read_b128 v[190:193], v2 offset:1760
	v_mul_f64 v[6:7], v[184:185], v[188:189]
	v_fma_f64 v[6:7], v[182:183], v[186:187], -v[6:7]
	v_add_f64 v[4:5], v[4:5], v[6:7]
	s_waitcnt lgkmcnt(0)
	v_mul_f64 v[198:199], v[190:191], v[196:197]
	v_fmac_f64_e32 v[198:199], v[192:193], v[194:195]
	v_add_f64 v[176:177], v[176:177], v[198:199]
	ds_read_b128 v[198:201], v2 offset:1776
	v_mul_f64 v[6:7], v[192:193], v[196:197]
	v_fma_f64 v[6:7], v[190:191], v[194:195], -v[6:7]
	v_add_f64 v[4:5], v[4:5], v[6:7]
	s_waitcnt lgkmcnt(0)
	v_mul_f64 v[206:207], v[198:199], v[204:205]
	v_fmac_f64_e32 v[206:207], v[200:201], v[202:203]
	v_add_f64 v[176:177], v[176:177], v[206:207]
	ds_read_b128 v[206:209], v2 offset:1792
	v_mul_f64 v[6:7], v[200:201], v[204:205]
	v_fma_f64 v[6:7], v[198:199], v[202:203], -v[6:7]
	v_add_f64 v[4:5], v[4:5], v[6:7]
	s_waitcnt lgkmcnt(0)
	v_mul_f64 v[214:215], v[206:207], v[212:213]
	v_fmac_f64_e32 v[214:215], v[208:209], v[210:211]
	v_add_f64 v[176:177], v[176:177], v[214:215]
	ds_read_b128 v[214:217], v2 offset:1808
	v_mul_f64 v[6:7], v[208:209], v[212:213]
	v_fma_f64 v[6:7], v[206:207], v[210:211], -v[6:7]
	v_add_f64 v[4:5], v[4:5], v[6:7]
	s_waitcnt lgkmcnt(0)
	v_mul_f64 v[222:223], v[214:215], v[220:221]
	v_fmac_f64_e32 v[222:223], v[216:217], v[218:219]
	v_add_f64 v[176:177], v[176:177], v[222:223]
	ds_read_b128 v[222:225], v2 offset:1824
	v_mul_f64 v[6:7], v[216:217], v[220:221]
	v_fma_f64 v[6:7], v[214:215], v[218:219], -v[6:7]
	v_add_f64 v[4:5], v[4:5], v[6:7]
	s_waitcnt lgkmcnt(0)
	v_mul_f64 v[230:231], v[222:223], v[228:229]
	v_fmac_f64_e32 v[230:231], v[224:225], v[226:227]
	v_add_f64 v[176:177], v[176:177], v[230:231]
	ds_read_b128 v[230:233], v2 offset:1840
	v_mul_f64 v[6:7], v[224:225], v[228:229]
	v_fma_f64 v[6:7], v[222:223], v[226:227], -v[6:7]
	v_add_f64 v[4:5], v[4:5], v[6:7]
	s_waitcnt lgkmcnt(0)
	v_mul_f64 v[6:7], v[232:233], v[236:237]
	v_fma_f64 v[6:7], v[230:231], v[234:235], -v[6:7]
	v_add_f64 v[8:9], v[4:5], v[6:7]
	scratch_load_dwordx4 v[4:7], off, off offset:464
	v_mul_f64 v[238:239], v[230:231], v[236:237]
	v_fmac_f64_e32 v[238:239], v[232:233], v[234:235]
	v_add_f64 v[176:177], v[176:177], v[238:239]
	s_waitcnt vmcnt(0)
	v_add_f64 v[4:5], v[4:5], -v[8:9]
	v_add_f64 v[6:7], v[6:7], -v[176:177]
	scratch_store_dwordx4 off, v[4:7], off offset:464
	s_and_saveexec_b64 s[0:1], vcc
	s_cbranch_execz .LBB121_307
; %bb.306:
	scratch_load_dwordx4 v[6:9], off, s47
	v_mov_b32_e32 v3, v2
	v_mov_b32_e32 v4, v2
	;; [unrolled: 1-line block ×3, first 2 shown]
	v_accvgpr_read_b32 v0, a117
	scratch_store_dwordx4 off, v[2:5], off offset:448
	s_waitcnt vmcnt(1)
	ds_write_b128 v0, v[6:9]
.LBB121_307:
	s_or_b64 exec, exec, s[0:1]
	s_waitcnt lgkmcnt(0)
	; wave barrier
	ds_read_b128 v[16:19], v2 offset:1376
	ds_read_b128 v[12:15], v2 offset:1392
	ds_read_b128 v[8:11], v2 offset:1408
	ds_read_b128 v[4:7], v2 offset:1424
	scratch_load_dwordx4 v[20:23], off, off offset:464
	scratch_load_dwordx4 v[40:43], off, off offset:528
	;; [unrolled: 1-line block ×24, first 2 shown]
	v_cmp_lt_u32_e32 vcc, 26, v240
	scratch_load_dwordx4 v[48:51], off, off offset:544
	scratch_load_dwordx4 v[56:59], off, off offset:560
	;; [unrolled: 1-line block ×3, first 2 shown]
	ds_read_b128 v[244:247], v2 offset:1840
	s_waitcnt vmcnt(26) lgkmcnt(4)
	v_mul_f64 v[24:25], v[16:17], v[22:23]
	v_fmac_f64_e32 v[24:25], v[18:19], v[20:21]
	v_add_f64 v[28:29], v[24:25], 0
	scratch_load_dwordx4 v[24:27], off, off offset:480
	s_waitcnt vmcnt(0) lgkmcnt(3)
	v_mul_f64 v[30:31], v[12:13], v[26:27]
	v_fmac_f64_e32 v[30:31], v[14:15], v[24:25]
	v_add_f64 v[32:33], v[28:29], v[30:31]
	scratch_load_dwordx4 v[28:31], off, off offset:496
	v_mul_f64 v[14:15], v[14:15], v[26:27]
	v_fma_f64 v[12:13], v[12:13], v[24:25], -v[14:15]
	s_waitcnt vmcnt(0) lgkmcnt(2)
	v_mul_f64 v[34:35], v[8:9], v[30:31]
	v_fmac_f64_e32 v[34:35], v[10:11], v[28:29]
	v_add_f64 v[36:37], v[32:33], v[34:35]
	scratch_load_dwordx4 v[32:35], off, off offset:512
	v_mul_f64 v[10:11], v[10:11], v[30:31]
	v_fma_f64 v[8:9], v[8:9], v[28:29], -v[10:11]
	s_waitcnt vmcnt(0) lgkmcnt(1)
	v_mul_f64 v[38:39], v[4:5], v[34:35]
	v_fmac_f64_e32 v[38:39], v[6:7], v[32:33]
	v_add_f64 v[44:45], v[36:37], v[38:39]
	ds_read_b128 v[36:39], v2 offset:1440
	v_mul_f64 v[6:7], v[6:7], v[34:35]
	v_fma_f64 v[4:5], v[4:5], v[32:33], -v[6:7]
	s_waitcnt lgkmcnt(0)
	v_mul_f64 v[46:47], v[36:37], v[42:43]
	v_fmac_f64_e32 v[46:47], v[38:39], v[40:41]
	v_add_f64 v[52:53], v[44:45], v[46:47]
	ds_read_b128 v[44:47], v2 offset:1456
	s_waitcnt lgkmcnt(0)
	v_mul_f64 v[54:55], v[44:45], v[50:51]
	v_fmac_f64_e32 v[54:55], v[46:47], v[48:49]
	v_add_f64 v[60:61], v[52:53], v[54:55]
	ds_read_b128 v[52:55], v2 offset:1472
	;; [unrolled: 5-line block ×24, first 2 shown]
	v_mul_f64 v[2:3], v[244:245], v[250:251]
	v_fmac_f64_e32 v[2:3], v[246:247], v[248:249]
	s_waitcnt lgkmcnt(0)
	v_mul_f64 v[238:239], v[230:231], v[236:237]
	v_fmac_f64_e32 v[238:239], v[232:233], v[234:235]
	v_add_f64 v[184:185], v[184:185], v[238:239]
	v_add_f64 v[184:185], v[184:185], v[2:3]
	v_mul_f64 v[2:3], v[18:19], v[22:23]
	v_fma_f64 v[2:3], v[16:17], v[20:21], -v[2:3]
	v_add_f64 v[2:3], v[2:3], 0
	v_add_f64 v[2:3], v[2:3], v[12:13]
	;; [unrolled: 1-line block ×4, first 2 shown]
	v_mul_f64 v[4:5], v[38:39], v[42:43]
	v_fma_f64 v[4:5], v[36:37], v[40:41], -v[4:5]
	v_add_f64 v[2:3], v[2:3], v[4:5]
	v_mul_f64 v[4:5], v[46:47], v[50:51]
	v_fma_f64 v[4:5], v[44:45], v[48:49], -v[4:5]
	v_add_f64 v[2:3], v[2:3], v[4:5]
	;; [unrolled: 3-line block ×26, first 2 shown]
	scratch_load_dwordx4 v[2:5], off, off offset:448
	s_waitcnt vmcnt(0)
	v_add_f64 v[2:3], v[2:3], -v[6:7]
	v_add_f64 v[4:5], v[4:5], -v[184:185]
	scratch_store_dwordx4 off, v[2:5], off offset:448
	s_and_saveexec_b64 s[0:1], vcc
	s_cbranch_execz .LBB121_309
; %bb.308:
	scratch_load_dwordx4 v[2:5], off, s48
	v_mov_b32_e32 v6, 0
	v_mov_b32_e32 v7, v6
	;; [unrolled: 1-line block ×4, first 2 shown]
	v_accvgpr_read_b32 v0, a117
	scratch_store_dwordx4 off, v[6:9], off offset:432
	s_waitcnt vmcnt(1)
	ds_write_b128 v0, v[2:5]
.LBB121_309:
	s_or_b64 exec, exec, s[0:1]
	s_waitcnt lgkmcnt(0)
	; wave barrier
	scratch_load_dwordx4 v[16:19], off, off offset:448
	scratch_load_dwordx4 v[12:15], off, off offset:464
	;; [unrolled: 1-line block ×32, first 2 shown]
	v_mov_b32_e32 v2, 0
	ds_read_b128 v[132:135], v2 offset:1360
	ds_read_b128 v[136:139], v2 offset:1376
	ds_read_b128 v[140:143], v2 offset:1392
	ds_read_b128 v[144:147], v2 offset:1408
	ds_read_b128 v[148:151], v2 offset:1424
	ds_read_b128 v[152:155], v2 offset:1440
	ds_read_b128 v[156:159], v2 offset:1456
	ds_read_b128 v[160:163], v2 offset:1472
	ds_read_b128 v[164:167], v2 offset:1488
	ds_read_b128 v[168:171], v2 offset:1504
	ds_read_b128 v[172:175], v2 offset:1520
	ds_read_b128 v[176:179], v2 offset:1536
	ds_read_b128 v[180:183], v2 offset:1552
	ds_read_b128 v[184:187], v2 offset:1568
	ds_read_b128 v[188:191], v2 offset:1584
	ds_read_b128 v[192:195], v2 offset:1600
	ds_read_b128 v[196:199], v2 offset:1616
	v_cmp_lt_u32_e32 vcc, 25, v240
	s_waitcnt vmcnt(31) lgkmcnt(14)
	v_mul_f64 v[200:201], v[132:133], v[18:19]
	s_waitcnt vmcnt(30)
	v_mul_f64 v[202:203], v[136:137], v[14:15]
	v_fmac_f64_e32 v[200:201], v[134:135], v[16:17]
	s_waitcnt vmcnt(29)
	v_mul_f64 v[204:205], v[140:141], v[10:11]
	v_fmac_f64_e32 v[202:203], v[138:139], v[12:13]
	v_add_f64 v[200:201], v[200:201], 0
	s_waitcnt vmcnt(28) lgkmcnt(13)
	v_mul_f64 v[206:207], v[144:145], v[6:7]
	v_fmac_f64_e32 v[204:205], v[142:143], v[8:9]
	v_add_f64 v[200:201], v[200:201], v[202:203]
	s_waitcnt vmcnt(27) lgkmcnt(12)
	;; [unrolled: 4-line block ×12, first 2 shown]
	v_mul_f64 v[228:229], v[188:189], v[62:63]
	v_fmac_f64_e32 v[226:227], v[186:187], v[56:57]
	v_add_f64 v[200:201], v[200:201], v[224:225]
	v_fmac_f64_e32 v[228:229], v[190:191], v[60:61]
	v_add_f64 v[200:201], v[200:201], v[226:227]
	s_waitcnt vmcnt(16) lgkmcnt(1)
	v_mul_f64 v[202:203], v[192:193], v[66:67]
	v_add_f64 v[200:201], v[200:201], v[228:229]
	v_fmac_f64_e32 v[202:203], v[194:195], v[64:65]
	s_waitcnt vmcnt(15) lgkmcnt(0)
	v_mul_f64 v[206:207], v[196:197], v[70:71]
	v_add_f64 v[204:205], v[200:201], v[202:203]
	ds_read_b128 v[200:203], v2 offset:1632
	v_fmac_f64_e32 v[206:207], v[198:199], v[68:69]
	v_add_f64 v[208:209], v[204:205], v[206:207]
	ds_read_b128 v[204:207], v2 offset:1648
	v_mul_f64 v[18:19], v[134:135], v[18:19]
	s_waitcnt vmcnt(14) lgkmcnt(1)
	v_mul_f64 v[210:211], v[200:201], v[74:75]
	v_fmac_f64_e32 v[210:211], v[202:203], v[72:73]
	v_add_f64 v[212:213], v[208:209], v[210:211]
	s_waitcnt vmcnt(13) lgkmcnt(0)
	v_mul_f64 v[214:215], v[204:205], v[78:79]
	ds_read_b128 v[208:211], v2 offset:1664
	v_fmac_f64_e32 v[214:215], v[206:207], v[76:77]
	v_add_f64 v[216:217], v[212:213], v[214:215]
	ds_read_b128 v[212:215], v2 offset:1680
	v_fma_f64 v[246:247], v[132:133], v[16:17], -v[18:19]
	s_waitcnt vmcnt(12) lgkmcnt(1)
	v_mul_f64 v[218:219], v[208:209], v[82:83]
	v_fmac_f64_e32 v[218:219], v[210:211], v[80:81]
	v_add_f64 v[220:221], v[216:217], v[218:219]
	s_waitcnt vmcnt(11) lgkmcnt(0)
	v_mul_f64 v[222:223], v[212:213], v[86:87]
	ds_read_b128 v[216:219], v2 offset:1696
	v_fmac_f64_e32 v[222:223], v[214:215], v[84:85]
	v_add_f64 v[224:225], v[220:221], v[222:223]
	ds_read_b128 v[220:223], v2 offset:1712
	ds_read_b128 v[16:19], v2 offset:1792
	s_waitcnt vmcnt(10) lgkmcnt(2)
	v_mul_f64 v[226:227], v[216:217], v[90:91]
	v_fmac_f64_e32 v[226:227], v[218:219], v[88:89]
	v_add_f64 v[228:229], v[224:225], v[226:227]
	s_waitcnt vmcnt(9) lgkmcnt(1)
	v_mul_f64 v[230:231], v[220:221], v[94:95]
	ds_read_b128 v[224:227], v2 offset:1728
	v_fmac_f64_e32 v[230:231], v[222:223], v[92:93]
	v_add_f64 v[232:233], v[228:229], v[230:231]
	ds_read_b128 v[228:231], v2 offset:1744
	v_mul_f64 v[14:15], v[138:139], v[14:15]
	s_waitcnt vmcnt(8) lgkmcnt(1)
	v_mul_f64 v[234:235], v[224:225], v[98:99]
	v_fmac_f64_e32 v[234:235], v[226:227], v[96:97]
	v_add_f64 v[236:237], v[232:233], v[234:235]
	s_waitcnt vmcnt(7) lgkmcnt(0)
	v_mul_f64 v[238:239], v[228:229], v[102:103]
	ds_read_b128 v[232:235], v2 offset:1760
	v_fmac_f64_e32 v[238:239], v[230:231], v[100:101]
	v_add_f64 v[244:245], v[236:237], v[238:239]
	ds_read_b128 v[236:239], v2 offset:1776
	v_fma_f64 v[136:137], v[136:137], v[12:13], -v[14:15]
	s_waitcnt vmcnt(6) lgkmcnt(1)
	v_mul_f64 v[132:133], v[232:233], v[106:107]
	v_fmac_f64_e32 v[132:133], v[234:235], v[104:105]
	v_add_f64 v[132:133], v[244:245], v[132:133]
	s_waitcnt vmcnt(5) lgkmcnt(0)
	v_mul_f64 v[134:135], v[236:237], v[110:111]
	v_fmac_f64_e32 v[134:135], v[238:239], v[108:109]
	v_add_f64 v[132:133], v[132:133], v[134:135]
	ds_read_b128 v[12:15], v2 offset:1808
	s_waitcnt vmcnt(4)
	v_mul_f64 v[134:135], v[16:17], v[114:115]
	v_fmac_f64_e32 v[134:135], v[18:19], v[112:113]
	v_add_f64 v[138:139], v[132:133], v[134:135]
	ds_read_b128 v[132:135], v2 offset:1824
	v_mul_f64 v[10:11], v[142:143], v[10:11]
	v_fma_f64 v[140:141], v[140:141], v[8:9], -v[10:11]
	ds_read_b128 v[8:11], v2 offset:1840
	s_waitcnt vmcnt(3) lgkmcnt(2)
	v_mul_f64 v[142:143], v[12:13], v[118:119]
	v_fmac_f64_e32 v[142:143], v[14:15], v[116:117]
	v_add_f64 v[138:139], v[138:139], v[142:143]
	s_waitcnt vmcnt(2) lgkmcnt(1)
	v_mul_f64 v[142:143], v[132:133], v[122:123]
	v_fmac_f64_e32 v[142:143], v[134:135], v[120:121]
	v_add_f64 v[138:139], v[138:139], v[142:143]
	;; [unrolled: 4-line block ×3, first 2 shown]
	v_add_f64 v[142:143], v[246:247], 0
	v_add_f64 v[136:137], v[142:143], v[136:137]
	v_mul_f64 v[6:7], v[146:147], v[6:7]
	v_add_f64 v[136:137], v[136:137], v[140:141]
	v_fma_f64 v[4:5], v[144:145], v[4:5], -v[6:7]
	v_mul_f64 v[6:7], v[150:151], v[22:23]
	v_add_f64 v[4:5], v[136:137], v[4:5]
	v_fma_f64 v[6:7], v[148:149], v[20:21], -v[6:7]
	v_add_f64 v[4:5], v[4:5], v[6:7]
	v_mul_f64 v[6:7], v[154:155], v[26:27]
	v_fma_f64 v[6:7], v[152:153], v[24:25], -v[6:7]
	v_add_f64 v[4:5], v[4:5], v[6:7]
	v_mul_f64 v[6:7], v[158:159], v[30:31]
	;; [unrolled: 3-line block ×26, first 2 shown]
	v_fma_f64 v[6:7], v[8:9], v[124:125], -v[6:7]
	v_add_f64 v[4:5], v[4:5], v[6:7]
	s_waitcnt vmcnt(0)
	v_add_f64 v[4:5], v[128:129], -v[4:5]
	v_add_f64 v[6:7], v[130:131], -v[138:139]
	scratch_store_dwordx4 off, v[4:7], off offset:432
	s_and_saveexec_b64 s[0:1], vcc
	s_cbranch_execz .LBB121_311
; %bb.310:
	scratch_load_dwordx4 v[6:9], off, s49
	v_mov_b32_e32 v3, v2
	v_mov_b32_e32 v4, v2
	;; [unrolled: 1-line block ×3, first 2 shown]
	v_accvgpr_read_b32 v0, a117
	scratch_store_dwordx4 off, v[2:5], off offset:416
	s_waitcnt vmcnt(1)
	ds_write_b128 v0, v[6:9]
.LBB121_311:
	s_or_b64 exec, exec, s[0:1]
	s_waitcnt lgkmcnt(0)
	; wave barrier
	scratch_load_dwordx4 v[140:143], off, off offset:432
	scratch_load_dwordx4 v[148:151], off, off offset:448
	;; [unrolled: 1-line block ×16, first 2 shown]
	ds_read_b128 v[188:191], v2 offset:1344
	ds_read_b128 v[184:187], v2 offset:1360
	scratch_load_dwordx4 v[56:59], off, off offset:688
	ds_read_b128 v[192:195], v2 offset:1376
	ds_read_b128 v[68:71], v2 offset:1392
	scratch_load_dwordx4 v[60:63], off, off offset:704
	ds_read_b128 v[88:91], v2 offset:1408
	ds_read_b128 v[84:87], v2 offset:1424
	;; [unrolled: 1-line block ×4, first 2 shown]
	scratch_load_dwordx4 v[64:67], off, off offset:720
	ds_read_b128 v[100:103], v2 offset:1472
	ds_read_b128 v[96:99], v2 offset:1488
	scratch_load_dwordx4 v[72:75], off, off offset:736
	ds_read_b128 v[116:119], v2 offset:1504
	ds_read_b128 v[112:115], v2 offset:1520
	ds_read_b128 v[108:111], v2 offset:1536
	ds_read_b128 v[104:107], v2 offset:1552
	scratch_load_dwordx4 v[92:95], off, off offset:752
	ds_read_b128 v[132:135], v2 offset:1568
	ds_read_b128 v[128:131], v2 offset:1584
	ds_read_b128 v[124:127], v2 offset:1600
	scratch_load_dwordx4 v[120:123], off, off offset:768
	scratch_load_dwordx4 v[136:139], off, off offset:784
	;; [unrolled: 1-line block ×11, first 2 shown]
	v_cmp_lt_u32_e32 vcc, 24, v240
	s_waitcnt vmcnt(31) lgkmcnt(14)
	v_mul_f64 v[200:201], v[188:189], v[142:143]
	s_waitcnt vmcnt(30)
	v_mul_f64 v[202:203], v[184:185], v[150:151]
	v_fmac_f64_e32 v[200:201], v[190:191], v[140:141]
	s_waitcnt vmcnt(29)
	v_mul_f64 v[204:205], v[192:193], v[154:155]
	v_fmac_f64_e32 v[202:203], v[186:187], v[148:149]
	v_add_f64 v[200:201], v[200:201], 0
	s_waitcnt vmcnt(28) lgkmcnt(13)
	v_mul_f64 v[206:207], v[68:69], v[6:7]
	v_fmac_f64_e32 v[204:205], v[194:195], v[152:153]
	v_add_f64 v[200:201], v[200:201], v[202:203]
	s_waitcnt vmcnt(27) lgkmcnt(12)
	;; [unrolled: 4-line block ×13, first 2 shown]
	v_mul_f64 v[230:231], v[128:129], v[54:55]
	v_fmac_f64_e32 v[228:229], v[134:135], v[48:49]
	v_add_f64 v[200:201], v[200:201], v[226:227]
	v_add_f64 v[200:201], v[200:201], v[228:229]
	v_fmac_f64_e32 v[230:231], v[130:131], v[52:53]
	v_add_f64 v[204:205], v[200:201], v[230:231]
	ds_read_b128 v[200:203], v2 offset:1616
	s_waitcnt vmcnt(15) lgkmcnt(1)
	v_mul_f64 v[206:207], v[124:125], v[58:59]
	v_fmac_f64_e32 v[206:207], v[126:127], v[56:57]
	v_add_f64 v[208:209], v[204:205], v[206:207]
	ds_read_b128 v[204:207], v2 offset:1632
	s_waitcnt vmcnt(14) lgkmcnt(1)
	v_mul_f64 v[210:211], v[200:201], v[62:63]
	;; [unrolled: 5-line block ×10, first 2 shown]
	v_fmac_f64_e32 v[246:247], v[234:235], v[160:161]
	v_mul_f64 v[142:143], v[190:191], v[142:143]
	v_add_f64 v[246:247], v[244:245], v[246:247]
	v_fma_f64 v[244:245], v[188:189], v[140:141], -v[142:143]
	ds_read_b128 v[140:143], v2 offset:1776
	s_waitcnt vmcnt(5) lgkmcnt(1)
	v_mul_f64 v[188:189], v[236:237], v[166:167]
	v_fmac_f64_e32 v[188:189], v[238:239], v[164:165]
	v_mul_f64 v[150:151], v[186:187], v[150:151]
	v_add_f64 v[188:189], v[246:247], v[188:189]
	v_fma_f64 v[246:247], v[184:185], v[148:149], -v[150:151]
	ds_read_b128 v[148:151], v2 offset:1792
	s_waitcnt vmcnt(4) lgkmcnt(1)
	v_mul_f64 v[184:185], v[140:141], v[170:171]
	v_fmac_f64_e32 v[184:185], v[142:143], v[168:169]
	v_add_f64 v[188:189], v[188:189], v[184:185]
	ds_read_b128 v[184:187], v2 offset:1808
	v_mul_f64 v[154:155], v[194:195], v[154:155]
	s_waitcnt vmcnt(3) lgkmcnt(1)
	v_mul_f64 v[190:191], v[148:149], v[174:175]
	v_fma_f64 v[250:251], v[192:193], v[152:153], -v[154:155]
	ds_read_b128 v[152:155], v2 offset:1824
	v_fmac_f64_e32 v[190:191], v[150:151], v[172:173]
	v_add_f64 v[248:249], v[188:189], v[190:191]
	ds_read_b128 v[188:191], v2 offset:1840
	s_waitcnt vmcnt(2) lgkmcnt(2)
	v_mul_f64 v[192:193], v[184:185], v[178:179]
	v_fmac_f64_e32 v[192:193], v[186:187], v[176:177]
	v_add_f64 v[2:3], v[248:249], v[192:193]
	s_waitcnt vmcnt(1) lgkmcnt(1)
	v_mul_f64 v[192:193], v[152:153], v[182:183]
	v_fmac_f64_e32 v[192:193], v[154:155], v[180:181]
	v_add_f64 v[2:3], v[2:3], v[192:193]
	s_waitcnt vmcnt(0) lgkmcnt(0)
	v_mul_f64 v[192:193], v[188:189], v[198:199]
	v_fmac_f64_e32 v[192:193], v[190:191], v[196:197]
	v_add_f64 v[2:3], v[2:3], v[192:193]
	scratch_load_dwordx4 v[192:195], off, off offset:416
	v_add_f64 v[244:245], v[244:245], 0
	v_add_f64 v[244:245], v[244:245], v[246:247]
	v_mul_f64 v[6:7], v[70:71], v[6:7]
	v_add_f64 v[244:245], v[244:245], v[250:251]
	v_fma_f64 v[4:5], v[68:69], v[4:5], -v[6:7]
	v_mul_f64 v[6:7], v[90:91], v[10:11]
	v_add_f64 v[4:5], v[244:245], v[4:5]
	v_fma_f64 v[6:7], v[88:89], v[8:9], -v[6:7]
	v_add_f64 v[4:5], v[4:5], v[6:7]
	v_mul_f64 v[6:7], v[86:87], v[14:15]
	v_fma_f64 v[6:7], v[84:85], v[12:13], -v[6:7]
	v_add_f64 v[4:5], v[4:5], v[6:7]
	v_mul_f64 v[6:7], v[82:83], v[18:19]
	;; [unrolled: 3-line block ×27, first 2 shown]
	v_fma_f64 v[6:7], v[188:189], v[196:197], -v[6:7]
	v_add_f64 v[4:5], v[4:5], v[6:7]
	s_waitcnt vmcnt(0)
	v_add_f64 v[4:5], v[192:193], -v[4:5]
	v_add_f64 v[6:7], v[194:195], -v[2:3]
	scratch_store_dwordx4 off, v[4:7], off offset:416
	s_and_saveexec_b64 s[0:1], vcc
	s_cbranch_execz .LBB121_313
; %bb.312:
	scratch_load_dwordx4 v[2:5], off, s50
	v_mov_b32_e32 v6, 0
	v_mov_b32_e32 v7, v6
	;; [unrolled: 1-line block ×4, first 2 shown]
	v_accvgpr_read_b32 v0, a117
	scratch_store_dwordx4 off, v[6:9], off offset:400
	s_waitcnt vmcnt(1)
	ds_write_b128 v0, v[2:5]
.LBB121_313:
	s_or_b64 exec, exec, s[0:1]
	s_waitcnt lgkmcnt(0)
	; wave barrier
	scratch_load_dwordx4 v[108:111], off, off offset:416
	scratch_load_dwordx4 v[116:119], off, off offset:432
	;; [unrolled: 1-line block ×33, first 2 shown]
	v_mov_b32_e32 v2, 0
	ds_read_b128 v[220:223], v2 offset:1328
	ds_read_b128 v[224:227], v2 offset:1344
	;; [unrolled: 1-line block ×16, first 2 shown]
	v_cmp_lt_u32_e32 vcc, 23, v240
	s_waitcnt vmcnt(32) lgkmcnt(14)
	v_mul_f64 v[180:181], v[220:221], v[110:111]
	s_waitcnt vmcnt(31)
	v_mul_f64 v[182:183], v[224:225], v[118:119]
	v_fmac_f64_e32 v[180:181], v[222:223], v[108:109]
	s_waitcnt vmcnt(30) lgkmcnt(13)
	v_mul_f64 v[184:185], v[234:235], v[122:123]
	v_fmac_f64_e32 v[182:183], v[226:227], v[116:117]
	v_add_f64 v[180:181], v[180:181], 0
	s_waitcnt vmcnt(29) lgkmcnt(12)
	v_mul_f64 v[186:187], v[244:245], v[126:127]
	v_fmac_f64_e32 v[184:185], v[236:237], v[120:121]
	v_add_f64 v[180:181], v[180:181], v[182:183]
	;; [unrolled: 4-line block ×13, first 2 shown]
	v_fmac_f64_e32 v[208:209], v[142:143], v[40:41]
	v_add_f64 v[180:181], v[180:181], v[206:207]
	v_add_f64 v[184:185], v[180:181], v[208:209]
	ds_read_b128 v[180:183], v2 offset:1584
	s_waitcnt vmcnt(17) lgkmcnt(1)
	v_mul_f64 v[186:187], v[136:137], v[46:47]
	v_fmac_f64_e32 v[186:187], v[138:139], v[44:45]
	v_add_f64 v[188:189], v[184:185], v[186:187]
	ds_read_b128 v[184:187], v2 offset:1600
	s_waitcnt vmcnt(16) lgkmcnt(1)
	v_mul_f64 v[190:191], v[180:181], v[50:51]
	v_fmac_f64_e32 v[190:191], v[182:183], v[48:49]
	;; [unrolled: 5-line block ×10, first 2 shown]
	v_mul_f64 v[110:111], v[222:223], v[110:111]
	v_add_f64 v[228:229], v[228:229], v[230:231]
	v_fma_f64 v[230:231], v[220:221], v[108:109], -v[110:111]
	ds_read_b128 v[108:111], v2 offset:1744
	s_waitcnt vmcnt(7) lgkmcnt(1)
	v_mul_f64 v[220:221], v[216:217], v[86:87]
	v_mul_f64 v[118:119], v[226:227], v[118:119]
	v_fmac_f64_e32 v[220:221], v[218:219], v[84:85]
	v_fma_f64 v[232:233], v[224:225], v[116:117], -v[118:119]
	ds_read_b128 v[116:119], v2 offset:1760
	s_waitcnt vmcnt(6) lgkmcnt(1)
	v_mul_f64 v[222:223], v[108:109], v[90:91]
	v_add_f64 v[220:221], v[228:229], v[220:221]
	v_fmac_f64_e32 v[222:223], v[110:111], v[88:89]
	v_add_f64 v[224:225], v[220:221], v[222:223]
	ds_read_b128 v[220:223], v2 offset:1776
	v_mul_f64 v[122:123], v[236:237], v[122:123]
	v_fma_f64 v[234:235], v[234:235], v[120:121], -v[122:123]
	ds_read_b128 v[120:123], v2 offset:1792
	s_waitcnt vmcnt(5) lgkmcnt(2)
	v_mul_f64 v[226:227], v[116:117], v[94:95]
	v_fmac_f64_e32 v[226:227], v[118:119], v[92:93]
	v_mul_f64 v[126:127], v[246:247], v[126:127]
	v_add_f64 v[224:225], v[224:225], v[226:227]
	s_waitcnt vmcnt(4) lgkmcnt(1)
	v_mul_f64 v[226:227], v[220:221], v[98:99]
	v_fma_f64 v[236:237], v[244:245], v[124:125], -v[126:127]
	ds_read_b128 v[124:127], v2 offset:1808
	v_fmac_f64_e32 v[226:227], v[222:223], v[96:97]
	v_add_f64 v[228:229], v[224:225], v[226:227]
	s_waitcnt vmcnt(3) lgkmcnt(1)
	v_mul_f64 v[238:239], v[120:121], v[102:103]
	ds_read_b128 v[224:227], v2 offset:1824
	v_fmac_f64_e32 v[238:239], v[122:123], v[100:101]
	v_mul_f64 v[130:131], v[250:251], v[130:131]
	v_add_f64 v[228:229], v[228:229], v[238:239]
	v_fma_f64 v[238:239], v[248:249], v[128:129], -v[130:131]
	ds_read_b128 v[128:131], v2 offset:1840
	s_waitcnt vmcnt(2) lgkmcnt(2)
	v_mul_f64 v[244:245], v[124:125], v[106:107]
	v_fmac_f64_e32 v[244:245], v[126:127], v[104:105]
	v_add_f64 v[228:229], v[228:229], v[244:245]
	s_waitcnt vmcnt(1) lgkmcnt(1)
	v_mul_f64 v[244:245], v[224:225], v[114:115]
	v_fmac_f64_e32 v[244:245], v[226:227], v[112:113]
	v_add_f64 v[228:229], v[228:229], v[244:245]
	;; [unrolled: 4-line block ×3, first 2 shown]
	scratch_load_dwordx4 v[244:247], off, off offset:400
	v_add_f64 v[230:231], v[230:231], 0
	v_add_f64 v[230:231], v[230:231], v[232:233]
	;; [unrolled: 1-line block ×4, first 2 shown]
	v_mul_f64 v[6:7], v[178:179], v[6:7]
	v_add_f64 v[230:231], v[230:231], v[238:239]
	v_fma_f64 v[4:5], v[176:177], v[4:5], -v[6:7]
	v_mul_f64 v[6:7], v[174:175], v[10:11]
	v_add_f64 v[4:5], v[230:231], v[4:5]
	v_fma_f64 v[6:7], v[172:173], v[8:9], -v[6:7]
	v_add_f64 v[4:5], v[4:5], v[6:7]
	v_mul_f64 v[6:7], v[170:171], v[14:15]
	v_fma_f64 v[6:7], v[168:169], v[12:13], -v[6:7]
	v_add_f64 v[4:5], v[4:5], v[6:7]
	v_mul_f64 v[6:7], v[166:167], v[18:19]
	;; [unrolled: 3-line block ×26, first 2 shown]
	v_fma_f64 v[6:7], v[128:129], v[132:133], -v[6:7]
	v_add_f64 v[4:5], v[4:5], v[6:7]
	s_waitcnt vmcnt(0)
	v_add_f64 v[4:5], v[244:245], -v[4:5]
	v_add_f64 v[6:7], v[246:247], -v[228:229]
	scratch_store_dwordx4 off, v[4:7], off offset:400
	s_and_saveexec_b64 s[0:1], vcc
	s_cbranch_execz .LBB121_315
; %bb.314:
	scratch_load_dwordx4 v[6:9], off, s51
	v_mov_b32_e32 v3, v2
	v_mov_b32_e32 v4, v2
	;; [unrolled: 1-line block ×3, first 2 shown]
	v_accvgpr_read_b32 v0, a117
	scratch_store_dwordx4 off, v[2:5], off offset:384
	s_waitcnt vmcnt(1)
	ds_write_b128 v0, v[6:9]
.LBB121_315:
	s_or_b64 exec, exec, s[0:1]
	s_waitcnt lgkmcnt(0)
	; wave barrier
	scratch_load_dwordx4 v[144:147], off, off offset:400
	scratch_load_dwordx4 v[152:155], off, off offset:416
	;; [unrolled: 1-line block ×16, first 2 shown]
	ds_read_b128 v[196:199], v2 offset:1312
	ds_read_b128 v[188:191], v2 offset:1328
	ds_read_b128 v[180:183], v2 offset:1344
	scratch_load_dwordx4 v[48:51], off, off offset:656
	ds_read_b128 v[192:195], v2 offset:1360
	ds_read_b128 v[184:187], v2 offset:1376
	ds_read_b128 v[64:67], v2 offset:1392
	scratch_load_dwordx4 v[52:55], off, off offset:672
	;; [unrolled: 4-line block ×5, first 2 shown]
	ds_read_b128 v[116:119], v2 offset:1552
	ds_read_b128 v[112:115], v2 offset:1568
	scratch_load_dwordx4 v[108:111], off, off offset:736
	scratch_load_dwordx4 v[120:123], off, off offset:752
	;; [unrolled: 1-line block ×12, first 2 shown]
	v_cmp_lt_u32_e32 vcc, 22, v240
	s_waitcnt vmcnt(32) lgkmcnt(14)
	v_mul_f64 v[204:205], v[196:197], v[146:147]
	s_waitcnt vmcnt(31)
	v_mul_f64 v[206:207], v[188:189], v[154:155]
	v_fmac_f64_e32 v[204:205], v[198:199], v[144:145]
	s_waitcnt vmcnt(30)
	v_mul_f64 v[208:209], v[180:181], v[158:159]
	v_fmac_f64_e32 v[206:207], v[190:191], v[152:153]
	v_add_f64 v[204:205], v[204:205], 0
	s_waitcnt vmcnt(29) lgkmcnt(13)
	v_mul_f64 v[210:211], v[192:193], v[162:163]
	v_fmac_f64_e32 v[208:209], v[182:183], v[156:157]
	v_add_f64 v[204:205], v[204:205], v[206:207]
	s_waitcnt vmcnt(28) lgkmcnt(12)
	;; [unrolled: 4-line block ×12, first 2 shown]
	v_mul_f64 v[232:233], v[96:97], v[42:43]
	v_fmac_f64_e32 v[230:231], v[102:103], v[36:37]
	v_add_f64 v[204:205], v[204:205], v[228:229]
	v_fmac_f64_e32 v[232:233], v[98:99], v[40:41]
	v_add_f64 v[204:205], v[204:205], v[230:231]
	s_waitcnt vmcnt(17) lgkmcnt(1)
	v_mul_f64 v[206:207], v[116:117], v[46:47]
	v_add_f64 v[204:205], v[204:205], v[232:233]
	v_fmac_f64_e32 v[206:207], v[118:119], v[44:45]
	s_waitcnt vmcnt(16) lgkmcnt(0)
	v_mul_f64 v[210:211], v[112:113], v[50:51]
	v_add_f64 v[208:209], v[204:205], v[206:207]
	ds_read_b128 v[204:207], v2 offset:1584
	v_fmac_f64_e32 v[210:211], v[114:115], v[48:49]
	v_add_f64 v[212:213], v[208:209], v[210:211]
	ds_read_b128 v[208:211], v2 offset:1600
	v_mul_f64 v[146:147], v[198:199], v[146:147]
	s_waitcnt vmcnt(15) lgkmcnt(1)
	v_mul_f64 v[214:215], v[204:205], v[54:55]
	v_fmac_f64_e32 v[214:215], v[206:207], v[52:53]
	v_add_f64 v[216:217], v[212:213], v[214:215]
	s_waitcnt vmcnt(14) lgkmcnt(0)
	v_mul_f64 v[218:219], v[208:209], v[58:59]
	ds_read_b128 v[212:215], v2 offset:1616
	v_fmac_f64_e32 v[218:219], v[210:211], v[56:57]
	v_add_f64 v[220:221], v[216:217], v[218:219]
	ds_read_b128 v[216:219], v2 offset:1632
	v_mul_f64 v[154:155], v[190:191], v[154:155]
	s_waitcnt vmcnt(13) lgkmcnt(1)
	v_mul_f64 v[222:223], v[212:213], v[62:63]
	v_fmac_f64_e32 v[222:223], v[214:215], v[60:61]
	v_add_f64 v[224:225], v[220:221], v[222:223]
	s_waitcnt vmcnt(12) lgkmcnt(0)
	v_mul_f64 v[226:227], v[216:217], v[94:95]
	ds_read_b128 v[220:223], v2 offset:1648
	v_fmac_f64_e32 v[226:227], v[218:219], v[92:93]
	v_add_f64 v[228:229], v[224:225], v[226:227]
	ds_read_b128 v[224:227], v2 offset:1664
	v_fma_f64 v[248:249], v[188:189], v[152:153], -v[154:155]
	s_waitcnt vmcnt(11) lgkmcnt(1)
	v_mul_f64 v[230:231], v[220:221], v[110:111]
	v_fmac_f64_e32 v[230:231], v[222:223], v[108:109]
	v_add_f64 v[232:233], v[228:229], v[230:231]
	s_waitcnt vmcnt(10) lgkmcnt(0)
	v_mul_f64 v[234:235], v[224:225], v[122:123]
	ds_read_b128 v[228:231], v2 offset:1680
	v_fmac_f64_e32 v[234:235], v[226:227], v[120:121]
	v_add_f64 v[236:237], v[232:233], v[234:235]
	ds_read_b128 v[232:235], v2 offset:1696
	ds_read_b128 v[152:155], v2 offset:1744
	s_waitcnt vmcnt(9) lgkmcnt(2)
	v_mul_f64 v[238:239], v[228:229], v[126:127]
	v_fmac_f64_e32 v[238:239], v[230:231], v[124:125]
	v_add_f64 v[244:245], v[236:237], v[238:239]
	s_waitcnt vmcnt(8) lgkmcnt(1)
	v_mul_f64 v[246:247], v[232:233], v[130:131]
	ds_read_b128 v[236:239], v2 offset:1712
	v_fmac_f64_e32 v[246:247], v[234:235], v[128:129]
	v_add_f64 v[244:245], v[244:245], v[246:247]
	v_fma_f64 v[246:247], v[196:197], v[144:145], -v[146:147]
	ds_read_b128 v[144:147], v2 offset:1728
	s_waitcnt vmcnt(7) lgkmcnt(1)
	v_mul_f64 v[196:197], v[236:237], v[134:135]
	v_fmac_f64_e32 v[196:197], v[238:239], v[132:133]
	v_add_f64 v[188:189], v[244:245], v[196:197]
	v_mul_f64 v[158:159], v[182:183], v[158:159]
	s_waitcnt vmcnt(6) lgkmcnt(0)
	v_mul_f64 v[190:191], v[144:145], v[138:139]
	v_fmac_f64_e32 v[190:191], v[146:147], v[136:137]
	v_add_f64 v[196:197], v[188:189], v[190:191]
	ds_read_b128 v[188:191], v2 offset:1760
	v_fma_f64 v[244:245], v[180:181], v[156:157], -v[158:159]
	ds_read_b128 v[156:159], v2 offset:1776
	s_waitcnt vmcnt(5)
	v_mul_f64 v[198:199], v[152:153], v[142:143]
	v_fmac_f64_e32 v[198:199], v[154:155], v[140:141]
	s_waitcnt vmcnt(4) lgkmcnt(1)
	v_mul_f64 v[180:181], v[188:189], v[150:151]
	v_add_f64 v[196:197], v[196:197], v[198:199]
	v_fmac_f64_e32 v[180:181], v[190:191], v[148:149]
	v_mul_f64 v[162:163], v[194:195], v[162:163]
	v_add_f64 v[198:199], v[196:197], v[180:181]
	v_fma_f64 v[196:197], v[192:193], v[160:161], -v[162:163]
	ds_read_b128 v[160:163], v2 offset:1792
	s_waitcnt vmcnt(3) lgkmcnt(1)
	v_mul_f64 v[192:193], v[156:157], v[166:167]
	ds_read_b128 v[180:183], v2 offset:1808
	v_fmac_f64_e32 v[192:193], v[158:159], v[164:165]
	v_mul_f64 v[170:171], v[186:187], v[170:171]
	v_add_f64 v[192:193], v[198:199], v[192:193]
	v_fma_f64 v[198:199], v[184:185], v[168:169], -v[170:171]
	ds_read_b128 v[168:171], v2 offset:1824
	s_waitcnt vmcnt(2) lgkmcnt(2)
	v_mul_f64 v[184:185], v[160:161], v[174:175]
	v_fmac_f64_e32 v[184:185], v[162:163], v[172:173]
	s_waitcnt vmcnt(1) lgkmcnt(1)
	v_mul_f64 v[186:187], v[180:181], v[178:179]
	v_add_f64 v[184:185], v[192:193], v[184:185]
	v_fmac_f64_e32 v[186:187], v[182:183], v[176:177]
	v_add_f64 v[184:185], v[184:185], v[186:187]
	s_waitcnt vmcnt(0) lgkmcnt(0)
	v_mul_f64 v[186:187], v[168:169], v[202:203]
	v_fmac_f64_e32 v[186:187], v[170:171], v[200:201]
	v_add_f64 v[250:251], v[184:185], v[186:187]
	scratch_load_dwordx4 v[184:187], off, off offset:928
	v_add_f64 v[246:247], v[246:247], 0
	v_add_f64 v[246:247], v[246:247], v[248:249]
	;; [unrolled: 1-line block ×3, first 2 shown]
	scratch_load_dwordx4 v[246:249], off, off offset:384
	v_add_f64 v[196:197], v[244:245], v[196:197]
	v_mul_f64 v[6:7], v[66:67], v[6:7]
	v_add_f64 v[196:197], v[196:197], v[198:199]
	v_fma_f64 v[4:5], v[64:65], v[4:5], -v[6:7]
	v_mul_f64 v[6:7], v[78:79], v[10:11]
	v_add_f64 v[4:5], v[196:197], v[4:5]
	v_fma_f64 v[6:7], v[76:77], v[8:9], -v[6:7]
	v_add_f64 v[4:5], v[4:5], v[6:7]
	v_mul_f64 v[6:7], v[74:75], v[14:15]
	v_fma_f64 v[6:7], v[72:73], v[12:13], -v[6:7]
	v_add_f64 v[4:5], v[4:5], v[6:7]
	v_mul_f64 v[6:7], v[70:71], v[18:19]
	;; [unrolled: 3-line block ×24, first 2 shown]
	ds_read_b128 v[192:195], v2 offset:1840
	v_fma_f64 v[6:7], v[160:161], v[172:173], -v[6:7]
	v_add_f64 v[4:5], v[4:5], v[6:7]
	v_mul_f64 v[6:7], v[182:183], v[178:179]
	v_fma_f64 v[6:7], v[180:181], v[176:177], -v[6:7]
	v_add_f64 v[4:5], v[4:5], v[6:7]
	v_mul_f64 v[6:7], v[170:171], v[202:203]
	v_fma_f64 v[6:7], v[168:169], v[200:201], -v[6:7]
	s_waitcnt vmcnt(1) lgkmcnt(0)
	v_mul_f64 v[2:3], v[192:193], v[186:187]
	v_add_f64 v[4:5], v[4:5], v[6:7]
	v_mul_f64 v[6:7], v[194:195], v[186:187]
	v_fmac_f64_e32 v[2:3], v[194:195], v[184:185]
	v_fma_f64 v[6:7], v[192:193], v[184:185], -v[6:7]
	v_add_f64 v[2:3], v[250:251], v[2:3]
	v_add_f64 v[4:5], v[4:5], v[6:7]
	s_waitcnt vmcnt(0)
	v_add_f64 v[4:5], v[246:247], -v[4:5]
	v_add_f64 v[6:7], v[248:249], -v[2:3]
	scratch_store_dwordx4 off, v[4:7], off offset:384
	s_and_saveexec_b64 s[0:1], vcc
	s_cbranch_execz .LBB121_317
; %bb.316:
	scratch_load_dwordx4 v[2:5], off, s52
	v_mov_b32_e32 v6, 0
	v_mov_b32_e32 v7, v6
	;; [unrolled: 1-line block ×4, first 2 shown]
	v_accvgpr_read_b32 v0, a117
	scratch_store_dwordx4 off, v[6:9], off offset:368
	s_waitcnt vmcnt(1)
	ds_write_b128 v0, v[2:5]
.LBB121_317:
	s_or_b64 exec, exec, s[0:1]
	s_waitcnt lgkmcnt(0)
	; wave barrier
	scratch_load_dwordx4 v[184:187], off, off offset:384
	scratch_load_dwordx4 v[188:191], off, off offset:400
	;; [unrolled: 1-line block ×32, first 2 shown]
	v_mov_b32_e32 v2, 0
	ds_read_b128 v[192:195], v2 offset:1296
	ds_read_b128 v[204:207], v2 offset:1312
	;; [unrolled: 1-line block ×16, first 2 shown]
	v_cmp_lt_u32_e32 vcc, 21, v240
	s_waitcnt vmcnt(31) lgkmcnt(14)
	v_mul_f64 v[104:105], v[192:193], v[186:187]
	s_waitcnt vmcnt(30)
	v_mul_f64 v[106:107], v[204:205], v[190:191]
	v_fmac_f64_e32 v[104:105], v[194:195], v[184:185]
	s_waitcnt vmcnt(29) lgkmcnt(13)
	v_mul_f64 v[112:113], v[216:217], v[198:199]
	v_fmac_f64_e32 v[106:107], v[206:207], v[188:189]
	v_add_f64 v[104:105], v[104:105], 0
	s_waitcnt vmcnt(28) lgkmcnt(12)
	v_mul_f64 v[114:115], v[224:225], v[202:203]
	v_fmac_f64_e32 v[112:113], v[218:219], v[196:197]
	v_add_f64 v[104:105], v[104:105], v[106:107]
	;; [unrolled: 4-line block ×10, first 2 shown]
	ds_read_b128 v[152:155], v2 offset:1552
	ds_read_b128 v[156:159], v2 offset:1568
	s_waitcnt vmcnt(19) lgkmcnt(5)
	v_mul_f64 v[164:165], v[124:125], v[26:27]
	v_fmac_f64_e32 v[162:163], v[134:135], v[20:21]
	v_add_f64 v[104:105], v[104:105], v[160:161]
	s_waitcnt vmcnt(18) lgkmcnt(4)
	v_mul_f64 v[166:167], v[120:121], v[30:31]
	v_fmac_f64_e32 v[164:165], v[126:127], v[24:25]
	v_add_f64 v[104:105], v[104:105], v[162:163]
	;; [unrolled: 4-line block ×4, first 2 shown]
	v_add_f64 v[112:113], v[104:105], v[168:169]
	v_fmac_f64_e32 v[170:171], v[110:111], v[36:37]
	scratch_load_dwordx4 v[104:107], off, off offset:896
	s_waitcnt vmcnt(16) lgkmcnt(1)
	v_mul_f64 v[114:115], v[152:153], v[42:43]
	v_add_f64 v[112:113], v[112:113], v[170:171]
	v_fmac_f64_e32 v[114:115], v[154:155], v[40:41]
	v_add_f64 v[128:129], v[112:113], v[114:115]
	scratch_load_dwordx4 v[112:115], off, off offset:912
	s_waitcnt vmcnt(16) lgkmcnt(0)
	v_mul_f64 v[130:131], v[156:157], v[46:47]
	v_fmac_f64_e32 v[130:131], v[158:159], v[44:45]
	v_add_f64 v[168:169], v[128:129], v[130:131]
	scratch_load_dwordx4 v[128:131], off, off offset:928
	ds_read_b128 v[160:163], v2 offset:1584
	ds_read_b128 v[164:167], v2 offset:1600
	v_mul_f64 v[186:187], v[194:195], v[186:187]
	v_fma_f64 v[252:253], v[192:193], v[184:185], -v[186:187]
	ds_read_b128 v[184:187], v2 offset:1680
	s_waitcnt vmcnt(16) lgkmcnt(2)
	v_mul_f64 v[170:171], v[160:161], v[50:51]
	v_fmac_f64_e32 v[170:171], v[162:163], v[48:49]
	s_waitcnt vmcnt(15) lgkmcnt(1)
	v_mul_f64 v[174:175], v[164:165], v[54:55]
	v_add_f64 v[172:173], v[168:169], v[170:171]
	ds_read_b128 v[168:171], v2 offset:1616
	v_fmac_f64_e32 v[174:175], v[166:167], v[52:53]
	v_add_f64 v[176:177], v[172:173], v[174:175]
	ds_read_b128 v[172:175], v2 offset:1632
	v_mul_f64 v[190:191], v[206:207], v[190:191]
	s_waitcnt vmcnt(14) lgkmcnt(1)
	v_mul_f64 v[178:179], v[168:169], v[58:59]
	v_fmac_f64_e32 v[178:179], v[170:171], v[56:57]
	v_add_f64 v[180:181], v[176:177], v[178:179]
	s_waitcnt vmcnt(13) lgkmcnt(0)
	v_mul_f64 v[182:183], v[172:173], v[62:63]
	ds_read_b128 v[176:179], v2 offset:1648
	v_fmac_f64_e32 v[182:183], v[174:175], v[60:61]
	v_add_f64 v[232:233], v[180:181], v[182:183]
	ds_read_b128 v[180:183], v2 offset:1664
	v_fma_f64 v[254:255], v[204:205], v[188:189], -v[190:191]
	s_waitcnt vmcnt(12) lgkmcnt(1)
	v_mul_f64 v[234:235], v[176:177], v[66:67]
	v_fmac_f64_e32 v[234:235], v[178:179], v[64:65]
	v_add_f64 v[232:233], v[232:233], v[234:235]
	s_waitcnt vmcnt(11) lgkmcnt(0)
	v_mul_f64 v[192:193], v[180:181], v[70:71]
	v_fmac_f64_e32 v[192:193], v[182:183], v[68:69]
	ds_read_b128 v[188:191], v2 offset:1696
	s_waitcnt vmcnt(10)
	v_mul_f64 v[194:195], v[184:185], v[74:75]
	v_add_f64 v[192:193], v[232:233], v[192:193]
	v_fmac_f64_e32 v[194:195], v[186:187], v[72:73]
	v_add_f64 v[204:205], v[192:193], v[194:195]
	ds_read_b128 v[192:195], v2 offset:1712
	v_mul_f64 v[198:199], v[218:219], v[198:199]
	v_fma_f64 v[242:243], v[216:217], v[196:197], -v[198:199]
	ds_read_b128 v[196:199], v2 offset:1728
	s_waitcnt vmcnt(9) lgkmcnt(2)
	v_mul_f64 v[206:207], v[188:189], v[78:79]
	v_fmac_f64_e32 v[206:207], v[190:191], v[76:77]
	v_add_f64 v[204:205], v[204:205], v[206:207]
	s_waitcnt vmcnt(8) lgkmcnt(1)
	v_mul_f64 v[206:207], v[192:193], v[82:83]
	v_fmac_f64_e32 v[206:207], v[194:195], v[80:81]
	v_mul_f64 v[202:203], v[226:227], v[202:203]
	v_add_f64 v[204:205], v[204:205], v[206:207]
	v_fma_f64 v[234:235], v[224:225], v[200:201], -v[202:203]
	ds_read_b128 v[200:203], v2 offset:1744
	s_waitcnt vmcnt(7) lgkmcnt(1)
	v_mul_f64 v[206:207], v[196:197], v[86:87]
	v_fmac_f64_e32 v[206:207], v[198:199], v[84:85]
	v_add_f64 v[216:217], v[204:205], v[206:207]
	ds_read_b128 v[204:207], v2 offset:1760
	v_mul_f64 v[210:211], v[230:231], v[210:211]
	v_fma_f64 v[236:237], v[228:229], v[208:209], -v[210:211]
	ds_read_b128 v[208:211], v2 offset:1776
	s_waitcnt vmcnt(6) lgkmcnt(2)
	v_mul_f64 v[218:219], v[200:201], v[90:91]
	v_fmac_f64_e32 v[218:219], v[202:203], v[88:89]
	v_add_f64 v[216:217], v[216:217], v[218:219]
	s_waitcnt vmcnt(5) lgkmcnt(1)
	v_mul_f64 v[218:219], v[204:205], v[94:95]
	v_fmac_f64_e32 v[218:219], v[206:207], v[92:93]
	v_mul_f64 v[214:215], v[246:247], v[214:215]
	v_fma_f64 v[238:239], v[244:245], v[212:213], -v[214:215]
	ds_read_b128 v[212:215], v2 offset:1792
	v_add_f64 v[216:217], v[216:217], v[218:219]
	s_waitcnt vmcnt(4) lgkmcnt(1)
	v_mul_f64 v[218:219], v[208:209], v[102:103]
	v_fmac_f64_e32 v[218:219], v[210:211], v[100:101]
	v_add_f64 v[224:225], v[216:217], v[218:219]
	ds_read_b128 v[216:219], v2 offset:1808
	v_mul_f64 v[222:223], v[250:251], v[222:223]
	v_fma_f64 v[244:245], v[248:249], v[220:221], -v[222:223]
	ds_read_b128 v[220:223], v2 offset:1824
	s_waitcnt vmcnt(3) lgkmcnt(2)
	v_mul_f64 v[226:227], v[212:213], v[98:99]
	v_fmac_f64_e32 v[226:227], v[214:215], v[96:97]
	v_add_f64 v[224:225], v[224:225], v[226:227]
	s_waitcnt vmcnt(2) lgkmcnt(1)
	v_mul_f64 v[226:227], v[216:217], v[106:107]
	v_fmac_f64_e32 v[226:227], v[218:219], v[104:105]
	v_add_f64 v[224:225], v[224:225], v[226:227]
	;; [unrolled: 4-line block ×3, first 2 shown]
	ds_read_b128 v[224:227], v2 offset:1840
	v_mul_f64 v[6:7], v[150:151], v[6:7]
	v_fma_f64 v[4:5], v[148:149], v[4:5], -v[6:7]
	v_mul_f64 v[6:7], v[146:147], v[10:11]
	v_fma_f64 v[6:7], v[144:145], v[8:9], -v[6:7]
	s_waitcnt vmcnt(0) lgkmcnt(0)
	v_mul_f64 v[230:231], v[224:225], v[130:131]
	v_fmac_f64_e32 v[230:231], v[226:227], v[128:129]
	v_add_f64 v[232:233], v[228:229], v[230:231]
	v_add_f64 v[228:229], v[252:253], 0
	;; [unrolled: 1-line block ×4, first 2 shown]
	scratch_load_dwordx4 v[228:231], off, off offset:368
	v_add_f64 v[234:235], v[246:247], v[234:235]
	v_add_f64 v[234:235], v[234:235], v[236:237]
	;; [unrolled: 1-line block ×6, first 2 shown]
	v_mul_f64 v[6:7], v[142:143], v[14:15]
	v_fma_f64 v[6:7], v[140:141], v[12:13], -v[6:7]
	v_add_f64 v[4:5], v[4:5], v[6:7]
	v_mul_f64 v[6:7], v[138:139], v[18:19]
	v_fma_f64 v[6:7], v[136:137], v[16:17], -v[6:7]
	v_add_f64 v[4:5], v[4:5], v[6:7]
	;; [unrolled: 3-line block ×26, first 2 shown]
	s_waitcnt vmcnt(0)
	v_add_f64 v[4:5], v[228:229], -v[4:5]
	v_add_f64 v[6:7], v[230:231], -v[232:233]
	scratch_store_dwordx4 off, v[4:7], off offset:368
	s_and_saveexec_b64 s[0:1], vcc
	s_cbranch_execz .LBB121_319
; %bb.318:
	scratch_load_dwordx4 v[6:9], off, s53
	v_mov_b32_e32 v3, v2
	v_mov_b32_e32 v4, v2
	;; [unrolled: 1-line block ×3, first 2 shown]
	v_accvgpr_read_b32 v0, a117
	scratch_store_dwordx4 off, v[2:5], off offset:352
	s_waitcnt vmcnt(1)
	ds_write_b128 v0, v[6:9]
.LBB121_319:
	s_or_b64 exec, exec, s[0:1]
	s_waitcnt lgkmcnt(0)
	; wave barrier
	scratch_load_dwordx4 v[140:143], off, off offset:368
	scratch_load_dwordx4 v[144:147], off, off offset:384
	scratch_load_dwordx4 v[148:151], off, off offset:400
	scratch_load_dwordx4 v[152:155], off, off offset:416
	scratch_load_dwordx4 v[156:159], off, off offset:432
	scratch_load_dwordx4 v[160:163], off, off offset:448
	scratch_load_dwordx4 v[164:167], off, off offset:464
	scratch_load_dwordx4 v[4:7], off, off offset:480
	scratch_load_dwordx4 v[8:11], off, off offset:496
	scratch_load_dwordx4 v[12:15], off, off offset:512
	scratch_load_dwordx4 v[16:19], off, off offset:528
	scratch_load_dwordx4 v[20:23], off, off offset:544
	scratch_load_dwordx4 v[24:27], off, off offset:560
	scratch_load_dwordx4 v[28:31], off, off offset:576
	scratch_load_dwordx4 v[32:35], off, off offset:592
	scratch_load_dwordx4 v[36:39], off, off offset:608
	ds_read_b128 v[208:211], v2 offset:1280
	ds_read_b128 v[200:203], v2 offset:1296
	;; [unrolled: 1-line block ×3, first 2 shown]
	scratch_load_dwordx4 v[40:43], off, off offset:624
	ds_read_b128 v[204:207], v2 offset:1328
	ds_read_b128 v[192:195], v2 offset:1344
	;; [unrolled: 1-line block ×3, first 2 shown]
	scratch_load_dwordx4 v[44:47], off, off offset:640
	ds_read_b128 v[196:199], v2 offset:1376
	ds_read_b128 v[64:67], v2 offset:1392
	ds_read_b128 v[60:63], v2 offset:1408
	ds_read_b128 v[52:55], v2 offset:1424
	scratch_load_dwordx4 v[48:51], off, off offset:656
	ds_read_b128 v[72:75], v2 offset:1440
	ds_read_b128 v[68:71], v2 offset:1456
	scratch_load_dwordx4 v[56:59], off, off offset:672
	ds_read_b128 v[92:95], v2 offset:1472
	ds_read_b128 v[88:91], v2 offset:1488
	ds_read_b128 v[84:87], v2 offset:1504
	ds_read_b128 v[80:83], v2 offset:1520
	scratch_load_dwordx4 v[76:79], off, off offset:688
	scratch_load_dwordx4 v[96:99], off, off offset:704
	;; [unrolled: 1-line block ×12, first 2 shown]
	ds_read_b128 v[168:171], v2 offset:1536
	v_accvgpr_write_b32 a116, v240
	v_cmp_lt_u32_e32 vcc, 20, v240
	s_waitcnt vmcnt(31) lgkmcnt(14)
	v_mul_f64 v[172:173], v[208:209], v[142:143]
	s_waitcnt vmcnt(30)
	v_mul_f64 v[174:175], v[200:201], v[146:147]
	v_fmac_f64_e32 v[172:173], v[210:211], v[140:141]
	s_waitcnt vmcnt(29)
	v_mul_f64 v[176:177], v[188:189], v[150:151]
	v_fmac_f64_e32 v[174:175], v[202:203], v[144:145]
	v_add_f64 v[172:173], v[172:173], 0
	s_waitcnt vmcnt(28) lgkmcnt(13)
	v_mul_f64 v[178:179], v[204:205], v[154:155]
	v_fmac_f64_e32 v[176:177], v[190:191], v[148:149]
	v_add_f64 v[172:173], v[172:173], v[174:175]
	s_waitcnt vmcnt(27) lgkmcnt(12)
	;; [unrolled: 4-line block ×10, first 2 shown]
	v_mul_f64 v[224:225], v[92:93], v[26:27]
	v_fmac_f64_e32 v[222:223], v[70:71], v[20:21]
	v_add_f64 v[172:173], v[172:173], v[220:221]
	ds_read_b128 v[212:215], v2 offset:1552
	s_waitcnt vmcnt(18) lgkmcnt(4)
	v_mul_f64 v[226:227], v[88:89], v[30:31]
	v_fmac_f64_e32 v[224:225], v[94:95], v[24:25]
	v_add_f64 v[172:173], v[172:173], v[222:223]
	ds_read_b128 v[216:219], v2 offset:1568
	ds_read_b128 v[220:223], v2 offset:1584
	s_waitcnt vmcnt(17) lgkmcnt(5)
	v_mul_f64 v[228:229], v[84:85], v[34:35]
	v_fmac_f64_e32 v[226:227], v[90:91], v[28:29]
	v_add_f64 v[172:173], v[172:173], v[224:225]
	s_waitcnt vmcnt(16) lgkmcnt(4)
	v_mul_f64 v[230:231], v[80:81], v[38:39]
	v_fmac_f64_e32 v[228:229], v[86:87], v[32:33]
	v_add_f64 v[172:173], v[172:173], v[226:227]
	v_add_f64 v[176:177], v[172:173], v[228:229]
	v_fmac_f64_e32 v[230:231], v[82:83], v[36:37]
	s_waitcnt vmcnt(15) lgkmcnt(3)
	v_mul_f64 v[178:179], v[168:169], v[42:43]
	v_add_f64 v[176:177], v[176:177], v[230:231]
	v_fmac_f64_e32 v[178:179], v[170:171], v[40:41]
	s_waitcnt vmcnt(14) lgkmcnt(2)
	v_mul_f64 v[182:183], v[212:213], v[46:47]
	;; [unrolled: 4-line block ×3, first 2 shown]
	v_add_f64 v[224:225], v[180:181], v[182:183]
	v_fmac_f64_e32 v[226:227], v[218:219], v[48:49]
	v_add_f64 v[228:229], v[224:225], v[226:227]
	ds_read_b128 v[224:227], v2 offset:1600
	s_waitcnt vmcnt(12) lgkmcnt(1)
	v_mul_f64 v[230:231], v[220:221], v[58:59]
	v_fmac_f64_e32 v[230:231], v[222:223], v[56:57]
	v_add_f64 v[232:233], v[228:229], v[230:231]
	ds_read_b128 v[228:231], v2 offset:1616
	s_waitcnt vmcnt(11) lgkmcnt(1)
	v_mul_f64 v[234:235], v[224:225], v[78:79]
	;; [unrolled: 5-line block ×4, first 2 shown]
	v_fmac_f64_e32 v[244:245], v[234:235], v[100:101]
	v_mul_f64 v[142:143], v[210:211], v[142:143]
	v_add_f64 v[242:243], v[242:243], v[244:245]
	v_fma_f64 v[244:245], v[208:209], v[140:141], -v[142:143]
	ds_read_b128 v[140:143], v2 offset:1664
	s_waitcnt vmcnt(8) lgkmcnt(1)
	v_mul_f64 v[208:209], v[236:237], v[106:107]
	v_fmac_f64_e32 v[208:209], v[238:239], v[104:105]
	v_mul_f64 v[146:147], v[202:203], v[146:147]
	v_add_f64 v[208:209], v[242:243], v[208:209]
	v_fma_f64 v[242:243], v[200:201], v[144:145], -v[146:147]
	ds_read_b128 v[144:147], v2 offset:1680
	s_waitcnt vmcnt(7) lgkmcnt(1)
	v_mul_f64 v[200:201], v[140:141], v[110:111]
	scratch_load_dwordx4 v[172:175], off, off offset:880
	v_fmac_f64_e32 v[200:201], v[142:143], v[108:109]
	v_add_f64 v[208:209], v[208:209], v[200:201]
	ds_read_b128 v[200:203], v2 offset:1696
	v_mul_f64 v[150:151], v[190:191], v[150:151]
	scratch_load_dwordx4 v[176:179], off, off offset:896
	scratch_load_dwordx4 v[180:183], off, off offset:912
	v_fma_f64 v[246:247], v[188:189], v[148:149], -v[150:151]
	ds_read_b128 v[148:151], v2 offset:1712
	s_waitcnt vmcnt(9) lgkmcnt(2)
	v_mul_f64 v[210:211], v[144:145], v[114:115]
	v_fmac_f64_e32 v[210:211], v[146:147], v[112:113]
	s_waitcnt vmcnt(8) lgkmcnt(1)
	v_mul_f64 v[188:189], v[200:201], v[118:119]
	v_add_f64 v[208:209], v[208:209], v[210:211]
	v_fmac_f64_e32 v[188:189], v[202:203], v[116:117]
	v_mul_f64 v[154:155], v[206:207], v[154:155]
	s_waitcnt vmcnt(7) lgkmcnt(0)
	v_mul_f64 v[190:191], v[148:149], v[122:123]
	v_add_f64 v[188:189], v[208:209], v[188:189]
	v_fma_f64 v[248:249], v[204:205], v[152:153], -v[154:155]
	ds_read_b128 v[152:155], v2 offset:1728
	v_fmac_f64_e32 v[190:191], v[150:151], v[120:121]
	v_add_f64 v[204:205], v[188:189], v[190:191]
	ds_read_b128 v[188:191], v2 offset:1744
	v_mul_f64 v[158:159], v[194:195], v[158:159]
	s_waitcnt vmcnt(6) lgkmcnt(1)
	v_mul_f64 v[206:207], v[152:153], v[126:127]
	v_fmac_f64_e32 v[206:207], v[154:155], v[124:125]
	v_fma_f64 v[250:251], v[192:193], v[156:157], -v[158:159]
	s_waitcnt vmcnt(5) lgkmcnt(0)
	v_mul_f64 v[192:193], v[188:189], v[130:131]
	v_add_f64 v[204:205], v[204:205], v[206:207]
	v_fmac_f64_e32 v[192:193], v[190:191], v[128:129]
	v_mul_f64 v[162:163], v[186:187], v[162:163]
	v_fma_f64 v[208:209], v[184:185], v[160:161], -v[162:163]
	v_add_f64 v[184:185], v[204:205], v[192:193]
	scratch_load_dwordx4 v[204:207], off, off offset:928
	v_add_f64 v[244:245], v[244:245], 0
	v_add_f64 v[242:243], v[244:245], v[242:243]
	;; [unrolled: 1-line block ×4, first 2 shown]
	scratch_load_dwordx4 v[246:249], off, off offset:352
	v_mul_f64 v[166:167], v[198:199], v[166:167]
	v_add_f64 v[244:245], v[242:243], v[250:251]
	v_fma_f64 v[210:211], v[196:197], v[164:165], -v[166:167]
	v_add_f64 v[208:209], v[244:245], v[208:209]
	v_mul_f64 v[6:7], v[66:67], v[6:7]
	v_add_f64 v[208:209], v[208:209], v[210:211]
	v_fma_f64 v[4:5], v[64:65], v[4:5], -v[6:7]
	v_mul_f64 v[6:7], v[62:63], v[10:11]
	v_add_f64 v[4:5], v[208:209], v[4:5]
	v_fma_f64 v[6:7], v[60:61], v[8:9], -v[6:7]
	v_add_f64 v[4:5], v[4:5], v[6:7]
	v_mul_f64 v[6:7], v[54:55], v[14:15]
	v_fma_f64 v[6:7], v[52:53], v[12:13], -v[6:7]
	v_add_f64 v[4:5], v[4:5], v[6:7]
	v_mul_f64 v[6:7], v[74:75], v[18:19]
	;; [unrolled: 3-line block ×12, first 2 shown]
	v_fma_f64 v[6:7], v[224:225], v[76:77], -v[6:7]
	ds_read_b128 v[156:159], v2 offset:1760
	ds_read_b128 v[160:163], v2 offset:1776
	v_add_f64 v[4:5], v[4:5], v[6:7]
	v_mul_f64 v[6:7], v[230:231], v[98:99]
	v_fma_f64 v[6:7], v[228:229], v[96:97], -v[6:7]
	v_add_f64 v[4:5], v[4:5], v[6:7]
	v_mul_f64 v[6:7], v[234:235], v[102:103]
	v_fma_f64 v[6:7], v[232:233], v[100:101], -v[6:7]
	v_add_f64 v[4:5], v[4:5], v[6:7]
	v_mul_f64 v[6:7], v[238:239], v[106:107]
	s_waitcnt vmcnt(6) lgkmcnt(1)
	v_mul_f64 v[186:187], v[156:157], v[138:139]
	v_fma_f64 v[6:7], v[236:237], v[104:105], -v[6:7]
	v_fmac_f64_e32 v[186:187], v[158:159], v[136:137]
	v_add_f64 v[4:5], v[4:5], v[6:7]
	v_mul_f64 v[6:7], v[142:143], v[110:111]
	v_add_f64 v[192:193], v[184:185], v[186:187]
	ds_read_b128 v[184:187], v2 offset:1792
	ds_read_b128 v[164:167], v2 offset:1808
	v_fma_f64 v[6:7], v[140:141], v[108:109], -v[6:7]
	v_add_f64 v[4:5], v[4:5], v[6:7]
	v_mul_f64 v[6:7], v[146:147], v[114:115]
	v_fma_f64 v[6:7], v[144:145], v[112:113], -v[6:7]
	s_waitcnt vmcnt(5) lgkmcnt(2)
	v_mul_f64 v[194:195], v[160:161], v[134:135]
	v_add_f64 v[4:5], v[4:5], v[6:7]
	v_mul_f64 v[6:7], v[202:203], v[118:119]
	v_fmac_f64_e32 v[194:195], v[162:163], v[132:133]
	v_fma_f64 v[6:7], v[200:201], v[116:117], -v[6:7]
	v_add_f64 v[192:193], v[192:193], v[194:195]
	s_waitcnt vmcnt(4) lgkmcnt(1)
	v_mul_f64 v[194:195], v[184:185], v[174:175]
	v_add_f64 v[4:5], v[4:5], v[6:7]
	v_mul_f64 v[6:7], v[150:151], v[122:123]
	v_fmac_f64_e32 v[194:195], v[186:187], v[172:173]
	v_fma_f64 v[6:7], v[148:149], v[120:121], -v[6:7]
	v_add_f64 v[192:193], v[192:193], v[194:195]
	;; [unrolled: 7-line block ×3, first 2 shown]
	ds_read_b128 v[192:195], v2 offset:1824
	v_add_f64 v[4:5], v[4:5], v[6:7]
	v_mul_f64 v[6:7], v[190:191], v[130:131]
	v_fma_f64 v[6:7], v[188:189], v[128:129], -v[6:7]
	v_add_f64 v[4:5], v[4:5], v[6:7]
	v_mul_f64 v[6:7], v[158:159], v[138:139]
	v_fma_f64 v[6:7], v[156:157], v[136:137], -v[6:7]
	v_add_f64 v[4:5], v[4:5], v[6:7]
	v_mul_f64 v[6:7], v[162:163], v[134:135]
	s_waitcnt vmcnt(2) lgkmcnt(0)
	v_mul_f64 v[198:199], v[192:193], v[182:183]
	v_fma_f64 v[6:7], v[160:161], v[132:133], -v[6:7]
	v_fmac_f64_e32 v[198:199], v[194:195], v[180:181]
	v_add_f64 v[4:5], v[4:5], v[6:7]
	v_mul_f64 v[6:7], v[186:187], v[174:175]
	v_add_f64 v[252:253], v[196:197], v[198:199]
	ds_read_b128 v[196:199], v2 offset:1840
	v_fma_f64 v[6:7], v[184:185], v[172:173], -v[6:7]
	v_add_f64 v[4:5], v[4:5], v[6:7]
	v_mul_f64 v[6:7], v[166:167], v[178:179]
	v_fma_f64 v[6:7], v[164:165], v[176:177], -v[6:7]
	v_add_f64 v[4:5], v[4:5], v[6:7]
	v_mul_f64 v[6:7], v[194:195], v[182:183]
	v_fma_f64 v[6:7], v[192:193], v[180:181], -v[6:7]
	s_waitcnt vmcnt(1) lgkmcnt(0)
	v_mul_f64 v[2:3], v[196:197], v[206:207]
	v_add_f64 v[4:5], v[4:5], v[6:7]
	v_mul_f64 v[6:7], v[198:199], v[206:207]
	v_fmac_f64_e32 v[2:3], v[198:199], v[204:205]
	v_fma_f64 v[6:7], v[196:197], v[204:205], -v[6:7]
	v_add_f64 v[2:3], v[252:253], v[2:3]
	v_add_f64 v[4:5], v[4:5], v[6:7]
	s_waitcnt vmcnt(0)
	v_add_f64 v[4:5], v[246:247], -v[4:5]
	v_add_f64 v[6:7], v[248:249], -v[2:3]
	scratch_store_dwordx4 off, v[4:7], off offset:352
	s_and_saveexec_b64 s[0:1], vcc
	s_cbranch_execz .LBB121_321
; %bb.320:
	scratch_load_dwordx4 v[2:5], off, s54
	v_mov_b32_e32 v6, 0
	v_mov_b32_e32 v7, v6
	;; [unrolled: 1-line block ×4, first 2 shown]
	v_accvgpr_read_b32 v0, a117
	scratch_store_dwordx4 off, v[6:9], off offset:336
	s_waitcnt vmcnt(1)
	ds_write_b128 v0, v[2:5]
.LBB121_321:
	s_or_b64 exec, exec, s[0:1]
	s_waitcnt lgkmcnt(0)
	; wave barrier
	scratch_load_dwordx4 v[168:171], off, off offset:352
	scratch_load_dwordx4 v[172:175], off, off offset:368
	;; [unrolled: 1-line block ×32, first 2 shown]
	v_mov_b32_e32 v2, 0
	ds_read_b128 v[176:179], v2 offset:1264
	ds_read_b128 v[188:191], v2 offset:1280
	ds_read_b128 v[200:203], v2 offset:1296
	ds_read_b128 v[212:215], v2 offset:1312
	ds_read_b128 v[220:223], v2 offset:1328
	ds_read_b128 v[224:227], v2 offset:1344
	ds_read_b128 v[228:231], v2 offset:1360
	ds_read_b128 v[244:247], v2 offset:1376
	ds_read_b128 v[248:251], v2 offset:1392
	ds_read_b128 v[140:143], v2 offset:1408
	ds_read_b128 v[136:139], v2 offset:1424
	ds_read_b128 v[128:131], v2 offset:1440
	ds_read_b128 v[124:127], v2 offset:1456
	ds_read_b128 v[116:119], v2 offset:1472
	ds_read_b128 v[112:115], v2 offset:1488
	ds_read_b128 v[100:103], v2 offset:1504
	ds_read_b128 v[96:99], v2 offset:1520
	v_accvgpr_read_b32 v0, a116
	v_cmp_lt_u32_e32 vcc, 19, v0
	s_waitcnt vmcnt(31) lgkmcnt(14)
	v_mul_f64 v[104:105], v[176:177], v[170:171]
	s_waitcnt vmcnt(30)
	v_mul_f64 v[106:107], v[188:189], v[174:175]
	v_fmac_f64_e32 v[104:105], v[178:179], v[168:169]
	s_waitcnt vmcnt(29)
	v_mul_f64 v[108:109], v[200:201], v[182:183]
	v_fmac_f64_e32 v[106:107], v[190:191], v[172:173]
	v_add_f64 v[104:105], v[104:105], 0
	s_waitcnt vmcnt(28) lgkmcnt(13)
	v_mul_f64 v[110:111], v[212:213], v[186:187]
	v_fmac_f64_e32 v[108:109], v[202:203], v[180:181]
	v_add_f64 v[104:105], v[104:105], v[106:107]
	s_waitcnt vmcnt(27) lgkmcnt(12)
	;; [unrolled: 4-line block ×12, first 2 shown]
	v_mul_f64 v[156:157], v[112:113], v[26:27]
	v_fmac_f64_e32 v[154:155], v[118:119], v[20:21]
	v_add_f64 v[104:105], v[104:105], v[152:153]
	v_fmac_f64_e32 v[156:157], v[114:115], v[24:25]
	v_add_f64 v[104:105], v[104:105], v[154:155]
	s_waitcnt vmcnt(16) lgkmcnt(1)
	v_mul_f64 v[106:107], v[100:101], v[30:31]
	v_add_f64 v[104:105], v[104:105], v[156:157]
	v_fmac_f64_e32 v[106:107], v[102:103], v[28:29]
	v_add_f64 v[108:109], v[104:105], v[106:107]
	ds_read_b128 v[144:147], v2 offset:1536
	ds_read_b128 v[148:151], v2 offset:1552
	scratch_load_dwordx4 v[104:107], off, off offset:864
	s_waitcnt vmcnt(16) lgkmcnt(2)
	v_mul_f64 v[110:111], v[96:97], v[34:35]
	v_fmac_f64_e32 v[110:111], v[98:99], v[32:33]
	v_add_f64 v[120:121], v[108:109], v[110:111]
	scratch_load_dwordx4 v[108:111], off, off offset:880
	s_waitcnt vmcnt(16) lgkmcnt(1)
	v_mul_f64 v[122:123], v[144:145], v[38:39]
	v_fmac_f64_e32 v[122:123], v[146:147], v[36:37]
	v_add_f64 v[132:133], v[120:121], v[122:123]
	s_waitcnt vmcnt(15) lgkmcnt(0)
	v_mul_f64 v[134:135], v[148:149], v[42:43]
	scratch_load_dwordx4 v[120:123], off, off offset:896
	v_fmac_f64_e32 v[134:135], v[150:151], v[40:41]
	v_add_f64 v[160:161], v[132:133], v[134:135]
	scratch_load_dwordx4 v[132:135], off, off offset:912
	ds_read_b128 v[152:155], v2 offset:1568
	ds_read_b128 v[156:159], v2 offset:1584
	v_mul_f64 v[170:171], v[178:179], v[170:171]
	v_fma_f64 v[242:243], v[176:177], v[168:169], -v[170:171]
	ds_read_b128 v[168:171], v2 offset:1632
	s_waitcnt vmcnt(16) lgkmcnt(2)
	v_mul_f64 v[162:163], v[152:153], v[46:47]
	v_fmac_f64_e32 v[162:163], v[154:155], v[44:45]
	s_waitcnt vmcnt(15) lgkmcnt(1)
	v_mul_f64 v[166:167], v[156:157], v[50:51]
	v_add_f64 v[164:165], v[160:161], v[162:163]
	ds_read_b128 v[160:163], v2 offset:1600
	v_fmac_f64_e32 v[166:167], v[158:159], v[48:49]
	v_add_f64 v[232:233], v[164:165], v[166:167]
	ds_read_b128 v[164:167], v2 offset:1616
	v_mul_f64 v[174:175], v[190:191], v[174:175]
	s_waitcnt vmcnt(14) lgkmcnt(1)
	v_mul_f64 v[234:235], v[160:161], v[54:55]
	v_fmac_f64_e32 v[234:235], v[162:163], v[52:53]
	v_add_f64 v[232:233], v[232:233], v[234:235]
	s_waitcnt vmcnt(13) lgkmcnt(0)
	v_mul_f64 v[176:177], v[164:165], v[58:59]
	v_fmac_f64_e32 v[176:177], v[166:167], v[56:57]
	v_fma_f64 v[252:253], v[188:189], v[172:173], -v[174:175]
	ds_read_b128 v[172:175], v2 offset:1648
	s_waitcnt vmcnt(12)
	v_mul_f64 v[178:179], v[168:169], v[62:63]
	v_add_f64 v[176:177], v[232:233], v[176:177]
	v_fmac_f64_e32 v[178:179], v[170:171], v[60:61]
	v_add_f64 v[188:189], v[176:177], v[178:179]
	ds_read_b128 v[176:179], v2 offset:1664
	v_mul_f64 v[182:183], v[202:203], v[182:183]
	v_fma_f64 v[254:255], v[200:201], v[180:181], -v[182:183]
	ds_read_b128 v[180:183], v2 offset:1680
	s_waitcnt vmcnt(11) lgkmcnt(2)
	v_mul_f64 v[190:191], v[172:173], v[66:67]
	v_fmac_f64_e32 v[190:191], v[174:175], v[64:65]
	v_add_f64 v[188:189], v[188:189], v[190:191]
	s_waitcnt vmcnt(10) lgkmcnt(1)
	v_mul_f64 v[190:191], v[176:177], v[70:71]
	v_fmac_f64_e32 v[190:191], v[178:179], v[68:69]
	v_mul_f64 v[186:187], v[214:215], v[186:187]
	v_fma_f64 v[240:241], v[212:213], v[184:185], -v[186:187]
	ds_read_b128 v[184:187], v2 offset:1696
	v_add_f64 v[188:189], v[188:189], v[190:191]
	s_waitcnt vmcnt(9) lgkmcnt(1)
	v_mul_f64 v[190:191], v[180:181], v[74:75]
	v_fmac_f64_e32 v[190:191], v[182:183], v[72:73]
	v_add_f64 v[200:201], v[188:189], v[190:191]
	ds_read_b128 v[188:191], v2 offset:1712
	v_mul_f64 v[194:195], v[222:223], v[194:195]
	v_fma_f64 v[232:233], v[220:221], v[192:193], -v[194:195]
	ds_read_b128 v[192:195], v2 offset:1728
	s_waitcnt vmcnt(8) lgkmcnt(2)
	v_mul_f64 v[202:203], v[184:185], v[78:79]
	v_fmac_f64_e32 v[202:203], v[186:187], v[76:77]
	v_add_f64 v[200:201], v[200:201], v[202:203]
	s_waitcnt vmcnt(7) lgkmcnt(1)
	v_mul_f64 v[202:203], v[188:189], v[82:83]
	v_fmac_f64_e32 v[202:203], v[190:191], v[80:81]
	v_mul_f64 v[198:199], v[226:227], v[198:199]
	v_add_f64 v[200:201], v[200:201], v[202:203]
	v_fma_f64 v[234:235], v[224:225], v[196:197], -v[198:199]
	ds_read_b128 v[196:199], v2 offset:1744
	s_waitcnt vmcnt(6) lgkmcnt(1)
	v_mul_f64 v[202:203], v[192:193], v[86:87]
	v_fmac_f64_e32 v[202:203], v[194:195], v[84:85]
	v_add_f64 v[212:213], v[200:201], v[202:203]
	ds_read_b128 v[200:203], v2 offset:1760
	v_mul_f64 v[206:207], v[230:231], v[206:207]
	v_fma_f64 v[236:237], v[228:229], v[204:205], -v[206:207]
	ds_read_b128 v[204:207], v2 offset:1776
	s_waitcnt vmcnt(5) lgkmcnt(2)
	v_mul_f64 v[214:215], v[196:197], v[94:95]
	v_fmac_f64_e32 v[214:215], v[198:199], v[92:93]
	v_add_f64 v[212:213], v[212:213], v[214:215]
	s_waitcnt vmcnt(4) lgkmcnt(1)
	v_mul_f64 v[214:215], v[200:201], v[90:91]
	v_fmac_f64_e32 v[214:215], v[202:203], v[88:89]
	v_mul_f64 v[210:211], v[246:247], v[210:211]
	v_fma_f64 v[238:239], v[244:245], v[208:209], -v[210:211]
	ds_read_b128 v[208:211], v2 offset:1792
	v_add_f64 v[212:213], v[212:213], v[214:215]
	s_waitcnt vmcnt(3) lgkmcnt(1)
	v_mul_f64 v[214:215], v[204:205], v[106:107]
	v_fmac_f64_e32 v[214:215], v[206:207], v[104:105]
	v_add_f64 v[220:221], v[212:213], v[214:215]
	ds_read_b128 v[212:215], v2 offset:1808
	v_mul_f64 v[218:219], v[250:251], v[218:219]
	v_fma_f64 v[244:245], v[248:249], v[216:217], -v[218:219]
	ds_read_b128 v[216:219], v2 offset:1824
	ds_read_b128 v[224:227], v2 offset:1840
	s_waitcnt vmcnt(2) lgkmcnt(3)
	v_mul_f64 v[222:223], v[208:209], v[110:111]
	v_fmac_f64_e32 v[222:223], v[210:211], v[108:109]
	v_add_f64 v[220:221], v[220:221], v[222:223]
	s_waitcnt vmcnt(1) lgkmcnt(2)
	v_mul_f64 v[222:223], v[212:213], v[122:123]
	v_fmac_f64_e32 v[222:223], v[214:215], v[120:121]
	v_add_f64 v[220:221], v[220:221], v[222:223]
	s_waitcnt vmcnt(0) lgkmcnt(1)
	v_mul_f64 v[222:223], v[216:217], v[134:135]
	v_fmac_f64_e32 v[222:223], v[218:219], v[132:133]
	v_add_f64 v[228:229], v[220:221], v[222:223]
	scratch_load_dwordx4 v[220:223], off, off offset:928
	v_mul_f64 v[6:7], v[142:143], v[6:7]
	v_fma_f64 v[4:5], v[140:141], v[4:5], -v[6:7]
	v_mul_f64 v[6:7], v[138:139], v[10:11]
	v_fma_f64 v[6:7], v[136:137], v[8:9], -v[6:7]
	s_waitcnt vmcnt(0) lgkmcnt(0)
	v_mul_f64 v[230:231], v[224:225], v[222:223]
	v_fmac_f64_e32 v[230:231], v[226:227], v[220:221]
	v_add_f64 v[248:249], v[228:229], v[230:231]
	v_add_f64 v[228:229], v[242:243], 0
	;; [unrolled: 1-line block ×6, first 2 shown]
	scratch_load_dwordx4 v[228:231], off, off offset:336
	v_add_f64 v[232:233], v[246:247], v[234:235]
	v_add_f64 v[232:233], v[232:233], v[236:237]
	;; [unrolled: 1-line block ×6, first 2 shown]
	v_mul_f64 v[6:7], v[130:131], v[14:15]
	v_fma_f64 v[6:7], v[128:129], v[12:13], -v[6:7]
	v_add_f64 v[4:5], v[4:5], v[6:7]
	v_mul_f64 v[6:7], v[126:127], v[18:19]
	v_fma_f64 v[6:7], v[124:125], v[16:17], -v[6:7]
	v_add_f64 v[4:5], v[4:5], v[6:7]
	;; [unrolled: 3-line block ×26, first 2 shown]
	s_waitcnt vmcnt(0)
	v_add_f64 v[4:5], v[228:229], -v[4:5]
	v_add_f64 v[6:7], v[230:231], -v[248:249]
	scratch_store_dwordx4 off, v[4:7], off offset:336
	s_and_saveexec_b64 s[0:1], vcc
	s_cbranch_execz .LBB121_323
; %bb.322:
	scratch_load_dwordx4 v[6:9], off, s55
	v_mov_b32_e32 v3, v2
	v_mov_b32_e32 v4, v2
	;; [unrolled: 1-line block ×3, first 2 shown]
	v_accvgpr_read_b32 v0, a117
	scratch_store_dwordx4 off, v[2:5], off offset:320
	s_waitcnt vmcnt(1)
	ds_write_b128 v0, v[6:9]
.LBB121_323:
	s_or_b64 exec, exec, s[0:1]
	s_waitcnt lgkmcnt(0)
	; wave barrier
	scratch_load_dwordx4 v[168:171], off, off offset:336
	scratch_load_dwordx4 v[172:175], off, off offset:352
	;; [unrolled: 1-line block ×16, first 2 shown]
	ds_read_b128 v[232:235], v2 offset:1248
	ds_read_b128 v[176:179], v2 offset:1264
	scratch_load_dwordx4 v[32:35], off, off offset:592
	ds_read_b128 v[236:239], v2 offset:1280
	ds_read_b128 v[188:191], v2 offset:1296
	;; [unrolled: 1-line block ×5, first 2 shown]
	scratch_load_dwordx4 v[36:39], off, off offset:608
	ds_read_b128 v[224:227], v2 offset:1360
	ds_read_b128 v[220:223], v2 offset:1376
	;; [unrolled: 1-line block ×3, first 2 shown]
	scratch_load_dwordx4 v[40:43], off, off offset:624
	ds_read_b128 v[64:67], v2 offset:1408
	ds_read_b128 v[60:63], v2 offset:1424
	;; [unrolled: 1-line block ×4, first 2 shown]
	scratch_load_dwordx4 v[48:51], off, off offset:640
	ds_read_b128 v[80:83], v2 offset:1472
	ds_read_b128 v[72:75], v2 offset:1488
	;; [unrolled: 1-line block ×3, first 2 shown]
	scratch_load_dwordx4 v[76:79], off, off offset:656
	scratch_load_dwordx4 v[84:87], off, off offset:672
	;; [unrolled: 1-line block ×12, first 2 shown]
	v_accvgpr_read_b32 v0, a116
	v_cmp_lt_u32_e32 vcc, 18, v0
	s_waitcnt vmcnt(31) lgkmcnt(14)
	v_mul_f64 v[128:129], v[232:233], v[170:171]
	s_waitcnt vmcnt(30)
	v_mul_f64 v[130:131], v[176:177], v[174:175]
	v_fmac_f64_e32 v[128:129], v[234:235], v[168:169]
	s_waitcnt vmcnt(29)
	v_mul_f64 v[132:133], v[236:237], v[182:183]
	v_fmac_f64_e32 v[130:131], v[178:179], v[172:173]
	v_add_f64 v[128:129], v[128:129], 0
	s_waitcnt vmcnt(28) lgkmcnt(13)
	v_mul_f64 v[134:135], v[188:189], v[186:187]
	v_fmac_f64_e32 v[132:133], v[238:239], v[180:181]
	v_add_f64 v[128:129], v[128:129], v[130:131]
	s_waitcnt vmcnt(27) lgkmcnt(12)
	;; [unrolled: 4-line block ×13, first 2 shown]
	v_mul_f64 v[158:159], v[72:73], v[30:31]
	v_fmac_f64_e32 v[156:157], v[82:83], v[24:25]
	v_add_f64 v[128:129], v[128:129], v[154:155]
	v_add_f64 v[128:129], v[128:129], v[156:157]
	v_fmac_f64_e32 v[158:159], v[74:75], v[28:29]
	v_add_f64 v[132:133], v[128:129], v[158:159]
	ds_read_b128 v[144:147], v2 offset:1520
	ds_read_b128 v[148:151], v2 offset:1536
	scratch_load_dwordx4 v[128:131], off, off offset:848
	s_waitcnt vmcnt(16) lgkmcnt(2)
	v_mul_f64 v[134:135], v[68:69], v[34:35]
	v_fmac_f64_e32 v[134:135], v[70:71], v[32:33]
	s_waitcnt vmcnt(15) lgkmcnt(1)
	v_mul_f64 v[138:139], v[144:145], v[38:39]
	v_add_f64 v[136:137], v[132:133], v[134:135]
	scratch_load_dwordx4 v[132:135], off, off offset:864
	v_fmac_f64_e32 v[138:139], v[146:147], v[36:37]
	v_add_f64 v[140:141], v[136:137], v[138:139]
	s_waitcnt vmcnt(15) lgkmcnt(0)
	v_mul_f64 v[142:143], v[148:149], v[42:43]
	scratch_load_dwordx4 v[136:139], off, off offset:880
	v_fmac_f64_e32 v[142:143], v[150:151], v[40:41]
	v_add_f64 v[160:161], v[140:141], v[142:143]
	scratch_load_dwordx4 v[140:143], off, off offset:896
	ds_read_b128 v[152:155], v2 offset:1552
	ds_read_b128 v[156:159], v2 offset:1568
	v_mul_f64 v[170:171], v[234:235], v[170:171]
	v_mul_f64 v[174:175], v[178:179], v[174:175]
	;; [unrolled: 1-line block ×3, first 2 shown]
	s_waitcnt vmcnt(16) lgkmcnt(1)
	v_mul_f64 v[162:163], v[152:153], v[50:51]
	v_fmac_f64_e32 v[162:163], v[154:155], v[48:49]
	v_add_f64 v[164:165], v[160:161], v[162:163]
	ds_read_b128 v[160:163], v2 offset:1584
	s_waitcnt vmcnt(15) lgkmcnt(1)
	v_mul_f64 v[166:167], v[156:157], v[78:79]
	v_fmac_f64_e32 v[166:167], v[158:159], v[76:77]
	v_add_f64 v[240:241], v[164:165], v[166:167]
	ds_read_b128 v[164:167], v2 offset:1600
	s_waitcnt vmcnt(14) lgkmcnt(1)
	v_mul_f64 v[242:243], v[160:161], v[86:87]
	v_fmac_f64_e32 v[242:243], v[162:163], v[84:85]
	v_add_f64 v[240:241], v[240:241], v[242:243]
	v_fma_f64 v[242:243], v[232:233], v[168:169], -v[170:171]
	ds_read_b128 v[168:171], v2 offset:1616
	s_waitcnt vmcnt(13) lgkmcnt(1)
	v_mul_f64 v[232:233], v[164:165], v[90:91]
	v_fmac_f64_e32 v[232:233], v[166:167], v[88:89]
	v_add_f64 v[232:233], v[240:241], v[232:233]
	v_fma_f64 v[240:241], v[176:177], v[172:173], -v[174:175]
	ds_read_b128 v[172:175], v2 offset:1632
	s_waitcnt vmcnt(12) lgkmcnt(1)
	v_mul_f64 v[176:177], v[168:169], v[94:95]
	v_fmac_f64_e32 v[176:177], v[170:171], v[92:93]
	v_add_f64 v[232:233], v[232:233], v[176:177]
	ds_read_b128 v[176:179], v2 offset:1648
	v_fma_f64 v[236:237], v[236:237], v[180:181], -v[182:183]
	ds_read_b128 v[180:183], v2 offset:1664
	s_waitcnt vmcnt(11) lgkmcnt(2)
	v_mul_f64 v[234:235], v[172:173], v[98:99]
	v_fmac_f64_e32 v[234:235], v[174:175], v[96:97]
	v_add_f64 v[232:233], v[232:233], v[234:235]
	s_waitcnt vmcnt(10) lgkmcnt(1)
	v_mul_f64 v[234:235], v[176:177], v[102:103]
	v_fmac_f64_e32 v[234:235], v[178:179], v[100:101]
	v_mul_f64 v[186:187], v[190:191], v[186:187]
	s_waitcnt vmcnt(9) lgkmcnt(0)
	v_mul_f64 v[190:191], v[180:181], v[106:107]
	v_fma_f64 v[238:239], v[188:189], v[184:185], -v[186:187]
	ds_read_b128 v[184:187], v2 offset:1680
	v_add_f64 v[188:189], v[232:233], v[234:235]
	v_fmac_f64_e32 v[190:191], v[182:183], v[104:105]
	v_add_f64 v[232:233], v[188:189], v[190:191]
	ds_read_b128 v[188:191], v2 offset:1696
	v_mul_f64 v[194:195], v[230:231], v[194:195]
	v_fma_f64 v[248:249], v[228:229], v[192:193], -v[194:195]
	ds_read_b128 v[192:195], v2 offset:1712
	s_waitcnt vmcnt(8) lgkmcnt(2)
	v_mul_f64 v[234:235], v[184:185], v[110:111]
	v_fmac_f64_e32 v[234:235], v[186:187], v[108:109]
	s_waitcnt vmcnt(7) lgkmcnt(1)
	v_mul_f64 v[228:229], v[188:189], v[114:115]
	v_mul_f64 v[198:199], v[202:203], v[198:199]
	v_add_f64 v[232:233], v[232:233], v[234:235]
	v_fmac_f64_e32 v[228:229], v[190:191], v[112:113]
	v_fma_f64 v[250:251], v[200:201], v[196:197], -v[198:199]
	ds_read_b128 v[196:199], v2 offset:1728
	s_waitcnt vmcnt(6) lgkmcnt(1)
	v_mul_f64 v[200:201], v[192:193], v[118:119]
	v_add_f64 v[228:229], v[232:233], v[228:229]
	v_fmac_f64_e32 v[200:201], v[194:195], v[116:117]
	v_add_f64 v[228:229], v[228:229], v[200:201]
	ds_read_b128 v[200:203], v2 offset:1744
	v_mul_f64 v[206:207], v[214:215], v[206:207]
	v_add_f64 v[242:243], v[242:243], 0
	v_fma_f64 v[252:253], v[212:213], v[204:205], -v[206:207]
	ds_read_b128 v[204:207], v2 offset:1760
	v_add_f64 v[240:241], v[242:243], v[240:241]
	v_add_f64 v[236:237], v[240:241], v[236:237]
	;; [unrolled: 1-line block ×3, first 2 shown]
	s_waitcnt vmcnt(5) lgkmcnt(2)
	v_mul_f64 v[230:231], v[196:197], v[126:127]
	v_add_f64 v[236:237], v[236:237], v[248:249]
	v_fmac_f64_e32 v[230:231], v[198:199], v[124:125]
	s_waitcnt vmcnt(4) lgkmcnt(1)
	v_mul_f64 v[212:213], v[200:201], v[122:123]
	v_add_f64 v[236:237], v[236:237], v[250:251]
	v_add_f64 v[228:229], v[228:229], v[230:231]
	v_fmac_f64_e32 v[212:213], v[202:203], v[120:121]
	v_mul_f64 v[210:211], v[226:227], v[210:211]
	v_add_f64 v[248:249], v[236:237], v[252:253]
	scratch_load_dwordx4 v[236:239], off, off offset:320
	s_waitcnt vmcnt(4) lgkmcnt(0)
	v_mul_f64 v[214:215], v[204:205], v[130:131]
	v_fma_f64 v[244:245], v[224:225], v[208:209], -v[210:211]
	ds_read_b128 v[208:211], v2 offset:1776
	v_add_f64 v[212:213], v[228:229], v[212:213]
	v_fmac_f64_e32 v[214:215], v[206:207], v[128:129]
	v_add_f64 v[224:225], v[212:213], v[214:215]
	ds_read_b128 v[212:215], v2 offset:1792
	v_mul_f64 v[218:219], v[222:223], v[218:219]
	v_fma_f64 v[246:247], v[220:221], v[216:217], -v[218:219]
	ds_read_b128 v[216:219], v2 offset:1808
	s_waitcnt vmcnt(3) lgkmcnt(2)
	v_mul_f64 v[220:221], v[208:209], v[134:135]
	v_fmac_f64_e32 v[220:221], v[210:211], v[132:133]
	s_waitcnt vmcnt(2) lgkmcnt(1)
	v_mul_f64 v[222:223], v[212:213], v[138:139]
	v_add_f64 v[220:221], v[224:225], v[220:221]
	v_fmac_f64_e32 v[222:223], v[214:215], v[136:137]
	v_add_f64 v[220:221], v[220:221], v[222:223]
	ds_read_b128 v[224:227], v2 offset:1824
	scratch_load_dwordx4 v[232:235], off, off offset:928
	s_waitcnt vmcnt(2) lgkmcnt(1)
	v_mul_f64 v[222:223], v[216:217], v[142:143]
	v_fmac_f64_e32 v[222:223], v[218:219], v[140:141]
	v_add_f64 v[228:229], v[220:221], v[222:223]
	scratch_load_dwordx4 v[220:223], off, off offset:912
	v_add_f64 v[240:241], v[248:249], v[244:245]
	v_mul_f64 v[6:7], v[46:47], v[6:7]
	v_add_f64 v[240:241], v[240:241], v[246:247]
	v_fma_f64 v[4:5], v[44:45], v[4:5], -v[6:7]
	v_mul_f64 v[6:7], v[66:67], v[10:11]
	v_add_f64 v[4:5], v[240:241], v[4:5]
	v_fma_f64 v[6:7], v[64:65], v[8:9], -v[6:7]
	v_add_f64 v[4:5], v[4:5], v[6:7]
	v_mul_f64 v[6:7], v[62:63], v[14:15]
	v_fma_f64 v[6:7], v[60:61], v[12:13], -v[6:7]
	v_add_f64 v[4:5], v[4:5], v[6:7]
	v_mul_f64 v[6:7], v[58:59], v[18:19]
	;; [unrolled: 3-line block ×24, first 2 shown]
	v_fma_f64 v[6:7], v[212:213], v[136:137], -v[6:7]
	s_waitcnt vmcnt(0) lgkmcnt(0)
	v_mul_f64 v[230:231], v[224:225], v[222:223]
	v_fmac_f64_e32 v[230:231], v[226:227], v[220:221]
	v_add_f64 v[254:255], v[228:229], v[230:231]
	ds_read_b128 v[228:231], v2 offset:1840
	v_add_f64 v[4:5], v[4:5], v[6:7]
	v_mul_f64 v[6:7], v[218:219], v[142:143]
	v_fma_f64 v[6:7], v[216:217], v[140:141], -v[6:7]
	v_add_f64 v[4:5], v[4:5], v[6:7]
	v_mul_f64 v[6:7], v[226:227], v[222:223]
	v_fma_f64 v[6:7], v[224:225], v[220:221], -v[6:7]
	s_waitcnt lgkmcnt(0)
	v_mul_f64 v[2:3], v[228:229], v[234:235]
	v_add_f64 v[4:5], v[4:5], v[6:7]
	v_mul_f64 v[6:7], v[230:231], v[234:235]
	v_fmac_f64_e32 v[2:3], v[230:231], v[232:233]
	v_fma_f64 v[6:7], v[228:229], v[232:233], -v[6:7]
	v_add_f64 v[2:3], v[254:255], v[2:3]
	v_add_f64 v[4:5], v[4:5], v[6:7]
	v_add_f64 v[4:5], v[236:237], -v[4:5]
	v_add_f64 v[6:7], v[238:239], -v[2:3]
	scratch_store_dwordx4 off, v[4:7], off offset:320
	s_and_saveexec_b64 s[0:1], vcc
	s_cbranch_execz .LBB121_325
; %bb.324:
	scratch_load_dwordx4 v[2:5], off, s56
	v_mov_b32_e32 v6, 0
	v_mov_b32_e32 v7, v6
	;; [unrolled: 1-line block ×4, first 2 shown]
	v_accvgpr_read_b32 v0, a117
	scratch_store_dwordx4 off, v[6:9], off offset:304
	s_waitcnt vmcnt(1)
	ds_write_b128 v0, v[2:5]
.LBB121_325:
	s_or_b64 exec, exec, s[0:1]
	s_waitcnt lgkmcnt(0)
	; wave barrier
	scratch_load_dwordx4 v[80:83], off, off offset:320
	scratch_load_dwordx4 v[84:87], off, off offset:336
	;; [unrolled: 1-line block ×31, first 2 shown]
	v_mov_b32_e32 v2, 0
	ds_read_b128 v[196:199], v2 offset:1232
	ds_read_b128 v[200:203], v2 offset:1248
	;; [unrolled: 1-line block ×20, first 2 shown]
	s_waitcnt vmcnt(30) lgkmcnt(14)
	v_mul_f64 v[140:141], v[196:197], v[82:83]
	s_waitcnt vmcnt(29)
	v_mul_f64 v[142:143], v[200:201], v[86:87]
	v_fmac_f64_e32 v[140:141], v[198:199], v[80:81]
	s_waitcnt vmcnt(28)
	v_mul_f64 v[152:153], v[204:205], v[90:91]
	v_fmac_f64_e32 v[142:143], v[202:203], v[84:85]
	v_add_f64 v[140:141], v[140:141], 0
	s_waitcnt vmcnt(27)
	v_mul_f64 v[154:155], v[208:209], v[94:95]
	v_fmac_f64_e32 v[152:153], v[206:207], v[88:89]
	v_add_f64 v[140:141], v[140:141], v[142:143]
	;; [unrolled: 4-line block ×4, first 2 shown]
	s_waitcnt vmcnt(24) lgkmcnt(13)
	v_mul_f64 v[164:165], v[220:221], v[106:107]
	v_fmac_f64_e32 v[162:163], v[218:219], v[100:101]
	v_add_f64 v[140:141], v[140:141], v[160:161]
	s_waitcnt vmcnt(23) lgkmcnt(12)
	v_mul_f64 v[166:167], v[224:225], v[110:111]
	v_fmac_f64_e32 v[164:165], v[222:223], v[104:105]
	v_add_f64 v[140:141], v[140:141], v[162:163]
	;; [unrolled: 4-line block ×8, first 2 shown]
	v_fmac_f64_e32 v[178:179], v[146:147], v[12:13]
	v_add_f64 v[140:141], v[140:141], v[176:177]
	v_add_f64 v[140:141], v[140:141], v[178:179]
	ds_read_b128 v[176:179], v2 offset:1504
	s_waitcnt vmcnt(16) lgkmcnt(6)
	v_mul_f64 v[180:181], v[136:137], v[18:19]
	s_waitcnt vmcnt(15) lgkmcnt(5)
	v_mul_f64 v[182:183], v[132:133], v[22:23]
	v_fmac_f64_e32 v[180:181], v[138:139], v[16:17]
	v_add_f64 v[152:153], v[140:141], v[180:181]
	v_fmac_f64_e32 v[182:183], v[134:135], v[20:21]
	scratch_load_dwordx4 v[140:143], off, off offset:816
	s_waitcnt vmcnt(15) lgkmcnt(4)
	v_mul_f64 v[154:155], v[128:129], v[26:27]
	v_add_f64 v[152:153], v[152:153], v[182:183]
	v_fmac_f64_e32 v[154:155], v[130:131], v[24:25]
	v_add_f64 v[160:161], v[152:153], v[154:155]
	ds_read_b128 v[180:183], v2 offset:1520
	s_waitcnt vmcnt(14) lgkmcnt(1)
	v_mul_f64 v[162:163], v[176:177], v[30:31]
	scratch_load_dwordx4 v[152:155], off, off offset:832
	v_fmac_f64_e32 v[162:163], v[178:179], v[28:29]
	v_add_f64 v[164:165], v[160:161], v[162:163]
	scratch_load_dwordx4 v[160:163], off, off offset:848
	s_waitcnt vmcnt(15) lgkmcnt(0)
	v_mul_f64 v[166:167], v[180:181], v[34:35]
	v_fmac_f64_e32 v[166:167], v[182:183], v[32:33]
	v_add_f64 v[168:169], v[164:165], v[166:167]
	s_waitcnt vmcnt(14)
	v_mul_f64 v[170:171], v[184:185], v[38:39]
	scratch_load_dwordx4 v[164:167], off, off offset:864
	v_fmac_f64_e32 v[170:171], v[186:187], v[36:37]
	v_add_f64 v[168:169], v[168:169], v[170:171]
	s_waitcnt vmcnt(14)
	v_mul_f64 v[170:171], v[188:189], v[42:43]
	scratch_load_dwordx4 v[172:175], off, off offset:880
	v_fmac_f64_e32 v[170:171], v[190:191], v[40:41]
	v_add_f64 v[232:233], v[168:169], v[170:171]
	scratch_load_dwordx4 v[168:171], off, off offset:896
	v_mul_f64 v[82:83], v[198:199], v[82:83]
	v_fma_f64 v[240:241], v[196:197], v[80:81], -v[82:83]
	ds_read_b128 v[196:199], v2 offset:1584
	s_waitcnt vmcnt(15)
	v_mul_f64 v[80:81], v[192:193], v[46:47]
	v_fmac_f64_e32 v[80:81], v[194:195], v[44:45]
	v_add_f64 v[232:233], v[232:233], v[80:81]
	v_mul_f64 v[80:81], v[202:203], v[86:87]
	v_fma_f64 v[242:243], v[200:201], v[84:85], -v[80:81]
	scratch_load_dwordx4 v[80:83], off, off offset:912
	ds_read_b128 v[84:87], v2 offset:1600
	v_mul_f64 v[90:91], v[206:207], v[90:91]
	v_fma_f64 v[252:253], v[204:205], v[88:89], -v[90:91]
	ds_read_b128 v[88:91], v2 offset:1616
	s_waitcnt vmcnt(15) lgkmcnt(2)
	v_mul_f64 v[200:201], v[196:197], v[50:51]
	v_fmac_f64_e32 v[200:201], v[198:199], v[48:49]
	s_waitcnt vmcnt(14) lgkmcnt(1)
	v_mul_f64 v[202:203], v[84:85], v[54:55]
	v_add_f64 v[200:201], v[232:233], v[200:201]
	v_fmac_f64_e32 v[202:203], v[86:87], v[52:53]
	v_mul_f64 v[94:95], v[210:211], v[94:95]
	v_fma_f64 v[254:255], v[208:209], v[92:93], -v[94:95]
	ds_read_b128 v[92:95], v2 offset:1632
	v_add_f64 v[200:201], v[200:201], v[202:203]
	s_waitcnt vmcnt(13) lgkmcnt(1)
	v_mul_f64 v[202:203], v[88:89], v[58:59]
	v_fmac_f64_e32 v[202:203], v[90:91], v[56:57]
	v_add_f64 v[204:205], v[200:201], v[202:203]
	ds_read_b128 v[200:203], v2 offset:1648
	v_mul_f64 v[98:99], v[214:215], v[98:99]
	v_fma_f64 v[232:233], v[212:213], v[96:97], -v[98:99]
	ds_read_b128 v[96:99], v2 offset:1664
	s_waitcnt vmcnt(12) lgkmcnt(2)
	v_mul_f64 v[206:207], v[92:93], v[62:63]
	v_fmac_f64_e32 v[206:207], v[94:95], v[60:61]
	v_add_f64 v[204:205], v[204:205], v[206:207]
	s_waitcnt vmcnt(11) lgkmcnt(1)
	v_mul_f64 v[206:207], v[200:201], v[66:67]
	v_fmac_f64_e32 v[206:207], v[202:203], v[64:65]
	v_mul_f64 v[102:103], v[218:219], v[102:103]
	v_add_f64 v[204:205], v[204:205], v[206:207]
	v_fma_f64 v[4:5], v[216:217], v[100:101], -v[102:103]
	ds_read_b128 v[100:103], v2 offset:1680
	s_waitcnt vmcnt(10) lgkmcnt(1)
	v_mul_f64 v[206:207], v[96:97], v[70:71]
	v_fmac_f64_e32 v[206:207], v[98:99], v[68:69]
	v_add_f64 v[208:209], v[204:205], v[206:207]
	ds_read_b128 v[204:207], v2 offset:1696
	v_mul_f64 v[106:107], v[222:223], v[106:107]
	v_fma_f64 v[0:1], v[220:221], v[104:105], -v[106:107]
	ds_read_b128 v[104:107], v2 offset:1712
	s_waitcnt vmcnt(9) lgkmcnt(2)
	v_mul_f64 v[210:211], v[100:101], v[74:75]
	v_fmac_f64_e32 v[210:211], v[102:103], v[72:73]
	v_add_f64 v[208:209], v[208:209], v[210:211]
	s_waitcnt vmcnt(8) lgkmcnt(1)
	v_mul_f64 v[210:211], v[204:205], v[78:79]
	v_fmac_f64_e32 v[210:211], v[206:207], v[76:77]
	v_mul_f64 v[6:7], v[226:227], v[110:111]
	v_fma_f64 v[6:7], v[224:225], v[108:109], -v[6:7]
	ds_read_b128 v[108:111], v2 offset:1728
	v_add_f64 v[208:209], v[208:209], v[210:211]
	s_waitcnt vmcnt(7) lgkmcnt(1)
	v_mul_f64 v[210:211], v[104:105], v[126:127]
	v_fmac_f64_e32 v[210:211], v[106:107], v[124:125]
	v_mul_f64 v[114:115], v[230:231], v[114:115]
	v_add_f64 v[212:213], v[208:209], v[210:211]
	ds_read_b128 v[208:211], v2 offset:1744
	v_fma_f64 v[112:113], v[228:229], v[112:113], -v[114:115]
	v_accvgpr_write_b32 a119, v113
	v_accvgpr_write_b32 a118, v112
	ds_read_b128 v[112:115], v2 offset:1760
	s_waitcnt vmcnt(6) lgkmcnt(2)
	v_mul_f64 v[214:215], v[108:109], v[142:143]
	v_fmac_f64_e32 v[214:215], v[110:111], v[140:141]
	v_add_f64 v[212:213], v[212:213], v[214:215]
	s_waitcnt vmcnt(5) lgkmcnt(1)
	v_mul_f64 v[214:215], v[208:209], v[154:155]
	v_fmac_f64_e32 v[214:215], v[210:211], v[152:153]
	v_mul_f64 v[118:119], v[246:247], v[118:119]
	v_add_f64 v[212:213], v[212:213], v[214:215]
	v_fma_f64 v[238:239], v[244:245], v[116:117], -v[118:119]
	ds_read_b128 v[116:119], v2 offset:1776
	s_waitcnt vmcnt(4) lgkmcnt(1)
	v_mul_f64 v[214:215], v[112:113], v[162:163]
	v_fmac_f64_e32 v[214:215], v[114:115], v[160:161]
	v_add_f64 v[216:217], v[212:213], v[214:215]
	ds_read_b128 v[212:215], v2 offset:1792
	v_mul_f64 v[122:123], v[250:251], v[122:123]
	v_fma_f64 v[244:245], v[248:249], v[120:121], -v[122:123]
	ds_read_b128 v[120:123], v2 offset:1808
	s_waitcnt vmcnt(3) lgkmcnt(2)
	v_mul_f64 v[218:219], v[116:117], v[166:167]
	v_fmac_f64_e32 v[218:219], v[118:119], v[164:165]
	v_add_f64 v[216:217], v[216:217], v[218:219]
	s_waitcnt vmcnt(2) lgkmcnt(1)
	v_mul_f64 v[218:219], v[212:213], v[174:175]
	v_fmac_f64_e32 v[218:219], v[214:215], v[172:173]
	v_add_f64 v[216:217], v[216:217], v[218:219]
	;; [unrolled: 4-line block ×3, first 2 shown]
	ds_read_b128 v[216:219], v2 offset:1824
	ds_read_b128 v[224:227], v2 offset:1840
	s_waitcnt vmcnt(0) lgkmcnt(1)
	v_mul_f64 v[222:223], v[216:217], v[82:83]
	v_fmac_f64_e32 v[222:223], v[218:219], v[80:81]
	v_add_f64 v[228:229], v[220:221], v[222:223]
	scratch_load_dwordx4 v[220:223], off, off offset:928
	s_waitcnt vmcnt(0) lgkmcnt(0)
	v_mul_f64 v[230:231], v[224:225], v[222:223]
	v_fmac_f64_e32 v[230:231], v[226:227], v[220:221]
	v_add_f64 v[248:249], v[228:229], v[230:231]
	v_add_f64 v[228:229], v[240:241], 0
	;; [unrolled: 1-line block ×7, first 2 shown]
	scratch_load_dwordx4 v[228:231], off, off offset:304
	v_add_f64 v[246:247], v[4:5], v[0:1]
	v_accvgpr_read_b32 v4, a118
	v_add_f64 v[0:1], v[246:247], v[6:7]
	v_accvgpr_read_b32 v5, a119
	v_add_f64 v[0:1], v[0:1], v[4:5]
	v_add_f64 v[0:1], v[0:1], v[238:239]
	v_mul_f64 v[4:5], v[158:159], v[236:237]
	v_add_f64 v[0:1], v[0:1], v[244:245]
	v_fma_f64 v[4:5], v[156:157], v[234:235], -v[4:5]
	v_add_f64 v[0:1], v[0:1], v[4:5]
	v_mul_f64 v[4:5], v[150:151], v[10:11]
	v_fma_f64 v[4:5], v[148:149], v[8:9], -v[4:5]
	v_add_f64 v[0:1], v[0:1], v[4:5]
	v_mul_f64 v[4:5], v[146:147], v[14:15]
	;; [unrolled: 3-line block ×27, first 2 shown]
	v_fma_f64 v[4:5], v[224:225], v[220:221], -v[4:5]
	v_add_f64 v[0:1], v[0:1], v[4:5]
	s_waitcnt vmcnt(0)
	v_add_f64 v[4:5], v[228:229], -v[0:1]
	v_accvgpr_read_b32 v0, a116
	v_add_f64 v[6:7], v[230:231], -v[248:249]
	v_cmp_lt_u32_e32 vcc, 17, v0
	scratch_store_dwordx4 off, v[4:7], off offset:304
	s_and_saveexec_b64 s[0:1], vcc
	s_cbranch_execz .LBB121_327
; %bb.326:
	scratch_load_dwordx4 v[6:9], off, s57
	v_mov_b32_e32 v3, v2
	v_mov_b32_e32 v4, v2
	;; [unrolled: 1-line block ×3, first 2 shown]
	v_accvgpr_read_b32 v0, a117
	scratch_store_dwordx4 off, v[2:5], off offset:288
	s_waitcnt vmcnt(1)
	ds_write_b128 v0, v[6:9]
.LBB121_327:
	s_or_b64 exec, exec, s[0:1]
	s_waitcnt lgkmcnt(0)
	; wave barrier
	scratch_load_dwordx4 v[132:135], off, off offset:304
	scratch_load_dwordx4 v[160:163], off, off offset:320
	;; [unrolled: 1-line block ×16, first 2 shown]
	ds_read_b128 v[156:159], v2 offset:1216
	ds_read_b128 v[172:175], v2 offset:1232
	scratch_load_dwordx4 v[24:27], off, off offset:560
	ds_read_b128 v[232:235], v2 offset:1248
	ds_read_b128 v[228:231], v2 offset:1264
	scratch_load_dwordx4 v[28:31], off, off offset:576
	ds_read_b128 v[236:239], v2 offset:1280
	ds_read_b128 v[184:187], v2 offset:1296
	ds_read_b128 v[224:227], v2 offset:1312
	ds_read_b128 v[196:199], v2 offset:1328
	ds_read_b128 v[208:211], v2 offset:1344
	scratch_load_dwordx4 v[32:35], off, off offset:592
	ds_read_b128 v[220:223], v2 offset:1360
	ds_read_b128 v[216:219], v2 offset:1376
	;; [unrolled: 1-line block ×3, first 2 shown]
	scratch_load_dwordx4 v[36:39], off, off offset:608
	ds_read_b128 v[64:67], v2 offset:1408
	ds_read_b128 v[60:63], v2 offset:1424
	;; [unrolled: 1-line block ×5, first 2 shown]
	scratch_load_dwordx4 v[52:55], off, off offset:624
	scratch_load_dwordx4 v[68:71], off, off offset:640
	;; [unrolled: 1-line block ×11, first 2 shown]
	ds_read_b128 v[144:147], v2 offset:1520
	ds_read_b128 v[148:151], v2 offset:1536
	;; [unrolled: 1-line block ×3, first 2 shown]
	s_waitcnt vmcnt(30) lgkmcnt(14)
	v_mul_f64 v[0:1], v[156:157], v[134:135]
	s_waitcnt vmcnt(29)
	v_mul_f64 v[108:109], v[172:173], v[162:163]
	v_fmac_f64_e32 v[0:1], v[158:159], v[132:133]
	s_waitcnt vmcnt(28)
	v_mul_f64 v[110:111], v[232:233], v[166:167]
	v_fmac_f64_e32 v[108:109], v[174:175], v[160:161]
	v_add_f64 v[0:1], v[0:1], 0
	s_waitcnt vmcnt(27)
	v_mul_f64 v[112:113], v[228:229], v[170:171]
	v_fmac_f64_e32 v[110:111], v[234:235], v[164:165]
	v_add_f64 v[0:1], v[0:1], v[108:109]
	;; [unrolled: 4-line block ×4, first 2 shown]
	s_waitcnt vmcnt(24) lgkmcnt(13)
	v_mul_f64 v[118:119], v[224:225], v[190:191]
	v_fmac_f64_e32 v[116:117], v[186:187], v[180:181]
	v_add_f64 v[0:1], v[0:1], v[114:115]
	s_waitcnt vmcnt(23) lgkmcnt(12)
	v_mul_f64 v[120:121], v[196:197], v[194:195]
	v_fmac_f64_e32 v[118:119], v[226:227], v[188:189]
	v_add_f64 v[0:1], v[0:1], v[116:117]
	;; [unrolled: 4-line block ×9, first 2 shown]
	v_fmac_f64_e32 v[138:139], v[58:59], v[16:17]
	v_add_f64 v[0:1], v[0:1], v[136:137]
	v_add_f64 v[0:1], v[0:1], v[138:139]
	ds_read_b128 v[136:139], v2 offset:1488
	s_waitcnt vmcnt(15) lgkmcnt(5)
	v_mul_f64 v[140:141], v[48:49], v[22:23]
	v_fmac_f64_e32 v[140:141], v[50:51], v[20:21]
	s_waitcnt vmcnt(14) lgkmcnt(4)
	v_mul_f64 v[112:113], v[44:45], v[26:27]
	scratch_load_dwordx4 v[108:111], off, off offset:800
	v_add_f64 v[0:1], v[0:1], v[140:141]
	v_fmac_f64_e32 v[112:113], v[46:47], v[24:25]
	v_add_f64 v[0:1], v[0:1], v[112:113]
	scratch_load_dwordx4 v[112:115], off, off offset:816
	ds_read_b128 v[140:143], v2 offset:1504
	s_waitcnt vmcnt(15) lgkmcnt(1)
	v_mul_f64 v[116:117], v[136:137], v[30:31]
	v_fmac_f64_e32 v[116:117], v[138:139], v[28:29]
	v_add_f64 v[0:1], v[0:1], v[116:117]
	scratch_load_dwordx4 v[116:119], off, off offset:832
	s_waitcnt vmcnt(15) lgkmcnt(0)
	v_mul_f64 v[120:121], v[140:141], v[34:35]
	v_fmac_f64_e32 v[120:121], v[142:143], v[32:33]
	s_waitcnt vmcnt(14)
	v_mul_f64 v[124:125], v[144:145], v[38:39]
	v_add_f64 v[0:1], v[0:1], v[120:121]
	scratch_load_dwordx4 v[120:123], off, off offset:848
	v_fmac_f64_e32 v[124:125], v[146:147], v[36:37]
	v_add_f64 v[0:1], v[0:1], v[124:125]
	s_waitcnt vmcnt(14)
	v_mul_f64 v[124:125], v[148:149], v[54:55]
	scratch_load_dwordx4 v[128:131], off, off offset:864
	v_fmac_f64_e32 v[124:125], v[150:151], v[52:53]
	v_add_f64 v[0:1], v[0:1], v[124:125]
	scratch_load_dwordx4 v[124:127], off, off offset:880
	v_mul_f64 v[134:135], v[158:159], v[134:135]
	v_fma_f64 v[240:241], v[156:157], v[132:133], -v[134:135]
	ds_read_b128 v[156:159], v2 offset:1568
	s_waitcnt vmcnt(15)
	v_mul_f64 v[132:133], v[152:153], v[70:71]
	v_fmac_f64_e32 v[132:133], v[154:155], v[68:69]
	v_add_f64 v[0:1], v[0:1], v[132:133]
	v_mul_f64 v[132:133], v[174:175], v[162:163]
	v_fma_f64 v[242:243], v[172:173], v[160:161], -v[132:133]
	scratch_load_dwordx4 v[132:135], off, off offset:896
	ds_read_b128 v[160:163], v2 offset:1584
	v_mul_f64 v[166:167], v[234:235], v[166:167]
	v_fma_f64 v[248:249], v[232:233], v[164:165], -v[166:167]
	ds_read_b128 v[164:167], v2 offset:1600
	s_waitcnt vmcnt(15) lgkmcnt(2)
	v_mul_f64 v[172:173], v[156:157], v[74:75]
	v_fmac_f64_e32 v[172:173], v[158:159], v[72:73]
	v_add_f64 v[0:1], v[0:1], v[172:173]
	s_waitcnt vmcnt(14) lgkmcnt(1)
	v_mul_f64 v[172:173], v[160:161], v[78:79]
	v_fmac_f64_e32 v[172:173], v[162:163], v[76:77]
	v_mul_f64 v[170:171], v[230:231], v[170:171]
	v_fma_f64 v[250:251], v[228:229], v[168:169], -v[170:171]
	ds_read_b128 v[168:171], v2 offset:1616
	v_add_f64 v[0:1], v[0:1], v[172:173]
	s_waitcnt vmcnt(13) lgkmcnt(1)
	v_mul_f64 v[172:173], v[164:165], v[82:83]
	v_fmac_f64_e32 v[172:173], v[166:167], v[80:81]
	v_add_f64 v[0:1], v[0:1], v[172:173]
	ds_read_b128 v[172:175], v2 offset:1632
	v_mul_f64 v[178:179], v[238:239], v[178:179]
	v_fma_f64 v[236:237], v[236:237], v[176:177], -v[178:179]
	ds_read_b128 v[176:179], v2 offset:1648
	s_waitcnt vmcnt(12) lgkmcnt(2)
	v_mul_f64 v[228:229], v[168:169], v[86:87]
	v_fmac_f64_e32 v[228:229], v[170:171], v[84:85]
	v_add_f64 v[0:1], v[0:1], v[228:229]
	s_waitcnt vmcnt(11) lgkmcnt(1)
	v_mul_f64 v[228:229], v[172:173], v[90:91]
	v_mul_f64 v[182:183], v[186:187], v[182:183]
	v_fmac_f64_e32 v[228:229], v[174:175], v[88:89]
	v_fma_f64 v[238:239], v[184:185], v[180:181], -v[182:183]
	ds_read_b128 v[180:183], v2 offset:1664
	s_waitcnt vmcnt(10) lgkmcnt(1)
	v_mul_f64 v[184:185], v[176:177], v[94:95]
	v_add_f64 v[0:1], v[0:1], v[228:229]
	v_fmac_f64_e32 v[184:185], v[178:179], v[92:93]
	v_add_f64 v[0:1], v[0:1], v[184:185]
	ds_read_b128 v[184:187], v2 offset:1680
	v_mul_f64 v[190:191], v[226:227], v[190:191]
	v_fma_f64 v[252:253], v[224:225], v[188:189], -v[190:191]
	ds_read_b128 v[188:191], v2 offset:1696
	s_waitcnt vmcnt(9) lgkmcnt(2)
	v_mul_f64 v[228:229], v[180:181], v[98:99]
	v_fmac_f64_e32 v[228:229], v[182:183], v[96:97]
	s_waitcnt vmcnt(8) lgkmcnt(1)
	v_mul_f64 v[224:225], v[184:185], v[102:103]
	v_mul_f64 v[194:195], v[198:199], v[194:195]
	v_add_f64 v[0:1], v[0:1], v[228:229]
	v_fmac_f64_e32 v[224:225], v[186:187], v[100:101]
	v_fma_f64 v[254:255], v[196:197], v[192:193], -v[194:195]
	s_waitcnt vmcnt(7) lgkmcnt(0)
	v_mul_f64 v[196:197], v[188:189], v[106:107]
	ds_read_b128 v[192:195], v2 offset:1712
	v_add_f64 v[0:1], v[0:1], v[224:225]
	v_fmac_f64_e32 v[196:197], v[190:191], v[104:105]
	v_add_f64 v[0:1], v[0:1], v[196:197]
	ds_read_b128 v[196:199], v2 offset:1728
	v_mul_f64 v[202:203], v[210:211], v[202:203]
	v_fma_f64 v[244:245], v[208:209], v[200:201], -v[202:203]
	ds_read_b128 v[200:203], v2 offset:1744
	s_waitcnt vmcnt(6) lgkmcnt(2)
	v_mul_f64 v[224:225], v[192:193], v[110:111]
	v_fmac_f64_e32 v[224:225], v[194:195], v[108:109]
	s_waitcnt vmcnt(5) lgkmcnt(1)
	v_mul_f64 v[208:209], v[196:197], v[114:115]
	v_add_f64 v[0:1], v[0:1], v[224:225]
	v_fmac_f64_e32 v[208:209], v[198:199], v[112:113]
	v_add_f64 v[208:209], v[0:1], v[208:209]
	v_mul_f64 v[0:1], v[222:223], v[206:207]
	v_fma_f64 v[0:1], v[220:221], v[204:205], -v[0:1]
	ds_read_b128 v[204:207], v2 offset:1760
	s_waitcnt vmcnt(4) lgkmcnt(1)
	v_mul_f64 v[210:211], v[200:201], v[118:119]
	v_fmac_f64_e32 v[210:211], v[202:203], v[116:117]
	v_add_f64 v[220:221], v[208:209], v[210:211]
	ds_read_b128 v[208:211], v2 offset:1776
	v_mul_f64 v[214:215], v[218:219], v[214:215]
	v_fma_f64 v[246:247], v[216:217], v[212:213], -v[214:215]
	ds_read_b128 v[212:215], v2 offset:1792
	s_waitcnt vmcnt(3) lgkmcnt(2)
	v_mul_f64 v[216:217], v[204:205], v[122:123]
	v_fmac_f64_e32 v[216:217], v[206:207], v[120:121]
	s_waitcnt vmcnt(2) lgkmcnt(1)
	v_mul_f64 v[218:219], v[208:209], v[130:131]
	v_add_f64 v[216:217], v[220:221], v[216:217]
	v_fmac_f64_e32 v[218:219], v[210:211], v[128:129]
	v_add_f64 v[216:217], v[216:217], v[218:219]
	s_waitcnt vmcnt(1) lgkmcnt(0)
	v_mul_f64 v[218:219], v[212:213], v[126:127]
	v_fmac_f64_e32 v[218:219], v[214:215], v[124:125]
	v_add_f64 v[220:221], v[216:217], v[218:219]
	ds_read_b128 v[216:219], v2 offset:1808
	ds_read_b128 v[224:227], v2 offset:1824
	scratch_load_dwordx4 v[232:235], off, off offset:928
	v_accvgpr_write_b32 a119, v1
	v_accvgpr_write_b32 a118, v0
	s_waitcnt vmcnt(1) lgkmcnt(1)
	v_mul_f64 v[222:223], v[216:217], v[134:135]
	v_fmac_f64_e32 v[222:223], v[218:219], v[132:133]
	v_add_f64 v[228:229], v[220:221], v[222:223]
	scratch_load_dwordx4 v[220:223], off, off offset:912
	v_mul_f64 v[6:7], v[42:43], v[6:7]
	v_fma_f64 v[4:5], v[40:41], v[4:5], -v[6:7]
	s_waitcnt vmcnt(0) lgkmcnt(0)
	v_mul_f64 v[230:231], v[224:225], v[222:223]
	v_fmac_f64_e32 v[230:231], v[226:227], v[220:221]
	v_add_f64 v[0:1], v[228:229], v[230:231]
	ds_read_b128 v[228:231], v2 offset:1840
	s_waitcnt lgkmcnt(0)
	v_mul_f64 v[2:3], v[228:229], v[234:235]
	v_fmac_f64_e32 v[2:3], v[230:231], v[232:233]
	v_add_f64 v[2:3], v[0:1], v[2:3]
	v_add_f64 v[0:1], v[240:241], 0
	;; [unrolled: 1-line block ×7, first 2 shown]
	scratch_load_dwordx4 v[236:239], off, off offset:288
	v_add_f64 v[0:1], v[0:1], v[252:253]
	v_add_f64 v[0:1], v[0:1], v[254:255]
	;; [unrolled: 1-line block ×3, first 2 shown]
	v_accvgpr_read_b32 v0, a118
	v_accvgpr_read_b32 v1, a119
	v_add_f64 v[0:1], v[248:249], v[0:1]
	v_add_f64 v[0:1], v[0:1], v[246:247]
	;; [unrolled: 1-line block ×3, first 2 shown]
	v_mul_f64 v[4:5], v[66:67], v[10:11]
	v_fma_f64 v[4:5], v[64:65], v[8:9], -v[4:5]
	v_add_f64 v[0:1], v[0:1], v[4:5]
	v_mul_f64 v[4:5], v[62:63], v[14:15]
	v_fma_f64 v[4:5], v[60:61], v[12:13], -v[4:5]
	v_add_f64 v[0:1], v[0:1], v[4:5]
	;; [unrolled: 3-line block ×28, first 2 shown]
	s_waitcnt vmcnt(0)
	v_add_f64 v[4:5], v[236:237], -v[0:1]
	v_accvgpr_read_b32 v0, a116
	v_add_f64 v[6:7], v[238:239], -v[2:3]
	v_cmp_lt_u32_e32 vcc, 16, v0
	scratch_store_dwordx4 off, v[4:7], off offset:288
	s_and_saveexec_b64 s[0:1], vcc
	s_cbranch_execz .LBB121_329
; %bb.328:
	scratch_load_dwordx4 v[2:5], off, s58
	v_mov_b32_e32 v6, 0
	v_mov_b32_e32 v7, v6
	;; [unrolled: 1-line block ×4, first 2 shown]
	v_accvgpr_read_b32 v0, a117
	scratch_store_dwordx4 off, v[6:9], off offset:272
	s_waitcnt vmcnt(1)
	ds_write_b128 v0, v[2:5]
.LBB121_329:
	s_or_b64 exec, exec, s[0:1]
	s_waitcnt lgkmcnt(0)
	; wave barrier
	scratch_load_dwordx4 v[112:115], off, off offset:288
	scratch_load_dwordx4 v[116:119], off, off offset:304
	;; [unrolled: 1-line block ×30, first 2 shown]
	v_mov_b32_e32 v2, 0
	ds_read_b128 v[144:147], v2 offset:1200
	ds_read_b128 v[156:159], v2 offset:1216
	;; [unrolled: 1-line block ×20, first 2 shown]
	s_waitcnt vmcnt(29) lgkmcnt(14)
	v_mul_f64 v[0:1], v[144:145], v[114:115]
	s_waitcnt vmcnt(28)
	v_mul_f64 v[88:89], v[156:157], v[118:119]
	v_fmac_f64_e32 v[0:1], v[146:147], v[112:113]
	s_waitcnt vmcnt(27)
	v_mul_f64 v[90:91], v[168:169], v[122:123]
	v_fmac_f64_e32 v[88:89], v[158:159], v[116:117]
	v_add_f64 v[0:1], v[0:1], 0
	s_waitcnt vmcnt(26)
	v_mul_f64 v[92:93], v[180:181], v[154:155]
	v_fmac_f64_e32 v[90:91], v[170:171], v[120:121]
	v_add_f64 v[0:1], v[0:1], v[88:89]
	;; [unrolled: 4-line block ×4, first 2 shown]
	s_waitcnt vmcnt(23) lgkmcnt(13)
	v_mul_f64 v[98:99], v[212:213], v[174:175]
	v_fmac_f64_e32 v[96:97], v[206:207], v[164:165]
	v_add_f64 v[0:1], v[0:1], v[94:95]
	s_waitcnt vmcnt(22) lgkmcnt(12)
	v_mul_f64 v[100:101], v[216:217], v[178:179]
	v_fmac_f64_e32 v[98:99], v[214:215], v[172:173]
	v_add_f64 v[0:1], v[0:1], v[96:97]
	;; [unrolled: 4-line block ×9, first 2 shown]
	v_fmac_f64_e32 v[126:127], v[82:83], v[8:9]
	v_add_f64 v[0:1], v[0:1], v[124:125]
	scratch_load_dwordx4 v[88:91], off, off offset:768
	s_waitcnt vmcnt(15) lgkmcnt(4)
	v_mul_f64 v[128:129], v[76:77], v[236:237]
	v_add_f64 v[0:1], v[0:1], v[126:127]
	ds_read_b128 v[124:127], v2 offset:1472
	v_fmac_f64_e32 v[128:129], v[78:79], v[234:235]
	v_add_f64 v[0:1], v[0:1], v[128:129]
	ds_read_b128 v[128:131], v2 offset:1488
	s_waitcnt vmcnt(14) lgkmcnt(5)
	v_mul_f64 v[92:93], v[72:73], v[18:19]
	v_fmac_f64_e32 v[92:93], v[74:75], v[16:17]
	v_add_f64 v[0:1], v[0:1], v[92:93]
	s_waitcnt vmcnt(13) lgkmcnt(1)
	v_mul_f64 v[96:97], v[124:125], v[22:23]
	scratch_load_dwordx4 v[92:95], off, off offset:784
	v_fmac_f64_e32 v[96:97], v[126:127], v[20:21]
	v_add_f64 v[0:1], v[0:1], v[96:97]
	s_waitcnt vmcnt(13) lgkmcnt(0)
	v_mul_f64 v[100:101], v[128:129], v[26:27]
	scratch_load_dwordx4 v[96:99], off, off offset:800
	v_fmac_f64_e32 v[100:101], v[130:131], v[24:25]
	v_add_f64 v[0:1], v[0:1], v[100:101]
	scratch_load_dwordx4 v[100:103], off, off offset:816
	s_waitcnt vmcnt(14)
	v_mul_f64 v[104:105], v[132:133], v[30:31]
	v_fmac_f64_e32 v[104:105], v[134:135], v[28:29]
	v_add_f64 v[0:1], v[0:1], v[104:105]
	s_waitcnt vmcnt(13)
	v_mul_f64 v[104:105], v[136:137], v[34:35]
	v_fmac_f64_e32 v[104:105], v[138:139], v[32:33]
	v_add_f64 v[0:1], v[0:1], v[104:105]
	scratch_load_dwordx4 v[104:107], off, off offset:832
	s_waitcnt vmcnt(13)
	v_mul_f64 v[108:109], v[140:141], v[38:39]
	v_fmac_f64_e32 v[108:109], v[142:143], v[36:37]
	v_add_f64 v[0:1], v[0:1], v[108:109]
	scratch_load_dwordx4 v[108:111], off, off offset:848
	v_mul_f64 v[114:115], v[146:147], v[114:115]
	v_fma_f64 v[240:241], v[144:145], v[112:113], -v[114:115]
	v_mul_f64 v[112:113], v[158:159], v[118:119]
	ds_read_b128 v[148:151], v2 offset:1552
	ds_read_b128 v[144:147], v2 offset:1568
	v_fma_f64 v[242:243], v[156:157], v[116:117], -v[112:113]
	scratch_load_dwordx4 v[116:119], off, off offset:864
	scratch_load_dwordx4 v[112:115], off, off offset:880
	v_mul_f64 v[122:123], v[170:171], v[122:123]
	v_fma_f64 v[252:253], v[168:169], v[120:121], -v[122:123]
	scratch_load_dwordx4 v[120:123], off, off offset:896
	s_waitcnt vmcnt(16) lgkmcnt(1)
	v_mul_f64 v[156:157], v[148:149], v[42:43]
	v_fmac_f64_e32 v[156:157], v[150:151], v[40:41]
	v_mul_f64 v[154:155], v[182:183], v[154:155]
	v_add_f64 v[0:1], v[0:1], v[156:157]
	v_fma_f64 v[254:255], v[180:181], v[152:153], -v[154:155]
	ds_read_b128 v[152:155], v2 offset:1584
	s_waitcnt vmcnt(15) lgkmcnt(1)
	v_mul_f64 v[156:157], v[144:145], v[46:47]
	v_fmac_f64_e32 v[156:157], v[146:147], v[44:45]
	v_add_f64 v[0:1], v[0:1], v[156:157]
	ds_read_b128 v[156:159], v2 offset:1600
	v_mul_f64 v[162:163], v[194:195], v[162:163]
	v_fma_f64 v[232:233], v[192:193], v[160:161], -v[162:163]
	ds_read_b128 v[160:163], v2 offset:1616
	s_waitcnt vmcnt(14) lgkmcnt(2)
	v_mul_f64 v[168:169], v[152:153], v[50:51]
	v_fmac_f64_e32 v[168:169], v[154:155], v[48:49]
	v_mul_f64 v[166:167], v[206:207], v[166:167]
	v_add_f64 v[0:1], v[0:1], v[168:169]
	s_waitcnt vmcnt(13) lgkmcnt(1)
	v_mul_f64 v[168:169], v[156:157], v[54:55]
	v_fma_f64 v[12:13], v[204:205], v[164:165], -v[166:167]
	ds_read_b128 v[164:167], v2 offset:1632
	v_accvgpr_write_b32 a121, v7
	v_fmac_f64_e32 v[168:169], v[158:159], v[52:53]
	v_accvgpr_write_b32 a120, v6
	v_accvgpr_write_b32 a119, v5
	;; [unrolled: 1-line block ×3, first 2 shown]
	v_add_f64 v[0:1], v[0:1], v[168:169]
	s_waitcnt vmcnt(12) lgkmcnt(1)
	v_mul_f64 v[6:7], v[160:161], v[58:59]
	ds_read_b128 v[168:171], v2 offset:1648
	v_fmac_f64_e32 v[6:7], v[162:163], v[56:57]
	v_accvgpr_write_b32 a125, v11
	v_add_f64 v[0:1], v[0:1], v[6:7]
	v_mul_f64 v[6:7], v[214:215], v[174:175]
	v_accvgpr_write_b32 a124, v10
	v_accvgpr_write_b32 a123, v9
	;; [unrolled: 1-line block ×3, first 2 shown]
	v_fma_f64 v[8:9], v[212:213], v[172:173], -v[6:7]
	s_waitcnt vmcnt(11) lgkmcnt(1)
	v_mul_f64 v[6:7], v[164:165], v[62:63]
	v_fmac_f64_e32 v[6:7], v[166:167], v[60:61]
	ds_read_b128 v[172:175], v2 offset:1664
	v_add_f64 v[0:1], v[0:1], v[6:7]
	s_waitcnt vmcnt(10) lgkmcnt(1)
	v_mul_f64 v[6:7], v[168:169], v[66:67]
	v_fmac_f64_e32 v[6:7], v[170:171], v[64:65]
	v_add_f64 v[0:1], v[0:1], v[6:7]
	v_mul_f64 v[6:7], v[218:219], v[178:179]
	v_fma_f64 v[10:11], v[216:217], v[176:177], -v[6:7]
	ds_read_b128 v[176:179], v2 offset:1680
	ds_read_b128 v[180:183], v2 offset:1696
	s_waitcnt vmcnt(9) lgkmcnt(2)
	v_mul_f64 v[6:7], v[172:173], v[70:71]
	v_fmac_f64_e32 v[6:7], v[174:175], v[68:69]
	v_add_f64 v[0:1], v[0:1], v[6:7]
	s_waitcnt vmcnt(8) lgkmcnt(1)
	v_mul_f64 v[6:7], v[176:177], v[90:91]
	v_fmac_f64_e32 v[6:7], v[178:179], v[88:89]
	v_add_f64 v[0:1], v[0:1], v[6:7]
	v_mul_f64 v[6:7], v[222:223], v[186:187]
	v_fma_f64 v[4:5], v[220:221], v[184:185], -v[6:7]
	ds_read_b128 v[184:187], v2 offset:1712
	v_mul_f64 v[6:7], v[226:227], v[190:191]
	v_fma_f64 v[6:7], v[224:225], v[188:189], -v[6:7]
	ds_read_b128 v[188:191], v2 offset:1728
	s_waitcnt vmcnt(7) lgkmcnt(2)
	v_mul_f64 v[14:15], v[180:181], v[94:95]
	v_fmac_f64_e32 v[14:15], v[182:183], v[92:93]
	v_add_f64 v[0:1], v[0:1], v[14:15]
	s_waitcnt vmcnt(6) lgkmcnt(1)
	v_mul_f64 v[14:15], v[184:185], v[98:99]
	v_fmac_f64_e32 v[14:15], v[186:187], v[96:97]
	v_add_f64 v[0:1], v[0:1], v[14:15]
	s_waitcnt vmcnt(5) lgkmcnt(0)
	v_mul_f64 v[14:15], v[188:189], v[102:103]
	ds_read_b128 v[192:195], v2 offset:1744
	v_fmac_f64_e32 v[14:15], v[190:191], v[100:101]
	v_add_f64 v[14:15], v[0:1], v[14:15]
	v_mul_f64 v[0:1], v[230:231], v[198:199]
	v_fma_f64 v[0:1], v[228:229], v[196:197], -v[0:1]
	ds_read_b128 v[196:199], v2 offset:1760
	v_mul_f64 v[202:203], v[246:247], v[202:203]
	s_waitcnt vmcnt(4) lgkmcnt(1)
	v_mul_f64 v[204:205], v[192:193], v[106:107]
	v_fma_f64 v[238:239], v[244:245], v[200:201], -v[202:203]
	ds_read_b128 v[200:203], v2 offset:1776
	v_fmac_f64_e32 v[204:205], v[194:195], v[104:105]
	v_add_f64 v[14:15], v[14:15], v[204:205]
	ds_read_b128 v[204:207], v2 offset:1792
	s_waitcnt vmcnt(3) lgkmcnt(2)
	v_mul_f64 v[212:213], v[196:197], v[110:111]
	v_mul_f64 v[210:211], v[250:251], v[210:211]
	v_fmac_f64_e32 v[212:213], v[198:199], v[108:109]
	v_fma_f64 v[244:245], v[248:249], v[208:209], -v[210:211]
	ds_read_b128 v[208:211], v2 offset:1808
	ds_read_b128 v[216:219], v2 offset:1824
	v_add_f64 v[14:15], v[14:15], v[212:213]
	s_waitcnt vmcnt(2) lgkmcnt(3)
	v_mul_f64 v[212:213], v[200:201], v[118:119]
	v_fmac_f64_e32 v[212:213], v[202:203], v[116:117]
	v_add_f64 v[14:15], v[14:15], v[212:213]
	s_waitcnt vmcnt(1) lgkmcnt(2)
	v_mul_f64 v[212:213], v[204:205], v[114:115]
	v_fmac_f64_e32 v[212:213], v[206:207], v[112:113]
	;; [unrolled: 4-line block ×3, first 2 shown]
	v_add_f64 v[14:15], v[14:15], v[212:213]
	scratch_load_dwordx4 v[212:215], off, off offset:912
	ds_read_b128 v[224:227], v2 offset:1840
	s_waitcnt vmcnt(0) lgkmcnt(1)
	v_mul_f64 v[220:221], v[216:217], v[214:215]
	v_fmac_f64_e32 v[220:221], v[218:219], v[212:213]
	v_add_f64 v[14:15], v[14:15], v[220:221]
	scratch_load_dwordx4 v[220:223], off, off offset:928
	s_waitcnt vmcnt(0) lgkmcnt(0)
	v_mul_f64 v[228:229], v[224:225], v[222:223]
	v_fmac_f64_e32 v[228:229], v[226:227], v[220:221]
	v_add_f64 v[248:249], v[14:15], v[228:229]
	scratch_load_dwordx4 v[228:231], off, off offset:272
	v_add_f64 v[14:15], v[240:241], 0
	v_add_f64 v[14:15], v[14:15], v[242:243]
	;; [unrolled: 1-line block ×10, first 2 shown]
	v_accvgpr_read_b32 v6, a118
	v_accvgpr_read_b32 v8, a120
	;; [unrolled: 1-line block ×3, first 2 shown]
	v_add_f64 v[0:1], v[4:5], v[0:1]
	v_accvgpr_read_b32 v7, a119
	v_mul_f64 v[4:5], v[86:87], v[8:9]
	v_add_f64 v[0:1], v[0:1], v[238:239]
	v_fma_f64 v[4:5], v[84:85], v[6:7], -v[4:5]
	v_accvgpr_read_b32 v6, a122
	v_add_f64 v[0:1], v[0:1], v[244:245]
	v_accvgpr_read_b32 v8, a124
	v_accvgpr_read_b32 v9, a125
	v_add_f64 v[0:1], v[0:1], v[4:5]
	v_accvgpr_read_b32 v7, a123
	v_mul_f64 v[4:5], v[82:83], v[8:9]
	v_fma_f64 v[4:5], v[80:81], v[6:7], -v[4:5]
	v_add_f64 v[0:1], v[0:1], v[4:5]
	v_mul_f64 v[4:5], v[78:79], v[236:237]
	v_fma_f64 v[4:5], v[76:77], v[234:235], -v[4:5]
	v_add_f64 v[0:1], v[0:1], v[4:5]
	;; [unrolled: 3-line block ×27, first 2 shown]
	s_waitcnt vmcnt(0)
	v_add_f64 v[4:5], v[228:229], -v[0:1]
	v_accvgpr_read_b32 v0, a116
	v_add_f64 v[6:7], v[230:231], -v[248:249]
	v_cmp_lt_u32_e32 vcc, 15, v0
	scratch_store_dwordx4 off, v[4:7], off offset:272
	s_and_saveexec_b64 s[0:1], vcc
	s_cbranch_execz .LBB121_331
; %bb.330:
	scratch_load_dwordx4 v[6:9], off, s59
	v_mov_b32_e32 v3, v2
	v_mov_b32_e32 v4, v2
	;; [unrolled: 1-line block ×3, first 2 shown]
	v_accvgpr_read_b32 v0, a117
	scratch_store_dwordx4 off, v[2:5], off offset:256
	s_waitcnt vmcnt(1)
	ds_write_b128 v0, v[6:9]
.LBB121_331:
	s_or_b64 exec, exec, s[0:1]
	s_waitcnt lgkmcnt(0)
	; wave barrier
	scratch_load_dwordx4 v[88:91], off, off offset:272
	scratch_load_dwordx4 v[92:95], off, off offset:288
	;; [unrolled: 1-line block ×17, first 2 shown]
	ds_read_b128 v[212:215], v2 offset:1184
	ds_read_b128 v[204:207], v2 offset:1200
	;; [unrolled: 1-line block ×3, first 2 shown]
	scratch_load_dwordx4 v[20:23], off, off offset:544
	ds_read_b128 v[216:219], v2 offset:1232
	ds_read_b128 v[208:211], v2 offset:1248
	;; [unrolled: 1-line block ×5, first 2 shown]
	scratch_load_dwordx4 v[24:27], off, off offset:560
	ds_read_b128 v[180:183], v2 offset:1312
	ds_read_b128 v[160:163], v2 offset:1328
	;; [unrolled: 1-line block ×3, first 2 shown]
	scratch_load_dwordx4 v[28:31], off, off offset:576
	ds_read_b128 v[172:175], v2 offset:1360
	ds_read_b128 v[148:151], v2 offset:1376
	ds_read_b128 v[44:47], v2 offset:1392
	ds_read_b128 v[40:43], v2 offset:1408
	ds_read_b128 v[32:35], v2 offset:1424
	scratch_load_dwordx4 v[36:39], off, off offset:592
	ds_read_b128 v[48:51], v2 offset:1440
	scratch_load_dwordx4 v[52:55], off, off offset:608
	scratch_load_dwordx4 v[56:59], off, off offset:624
	scratch_load_dwordx4 v[60:63], off, off offset:640
	scratch_load_dwordx4 v[64:67], off, off offset:656
	scratch_load_dwordx4 v[68:71], off, off offset:672
	scratch_load_dwordx4 v[72:75], off, off offset:688
	scratch_load_dwordx4 v[76:79], off, off offset:704
	scratch_load_dwordx4 v[80:83], off, off offset:720
	scratch_load_dwordx4 v[84:87], off, off offset:736
	ds_read_b128 v[140:143], v2 offset:1456
	ds_read_b128 v[232:235], v2 offset:1520
	;; [unrolled: 1-line block ×3, first 2 shown]
	s_waitcnt vmcnt(29) lgkmcnt(14)
	v_mul_f64 v[0:1], v[212:213], v[90:91]
	s_waitcnt vmcnt(28)
	v_mul_f64 v[152:153], v[204:205], v[94:95]
	v_fmac_f64_e32 v[0:1], v[214:215], v[88:89]
	s_waitcnt vmcnt(27)
	v_mul_f64 v[154:155], v[196:197], v[98:99]
	v_fmac_f64_e32 v[152:153], v[206:207], v[92:93]
	v_add_f64 v[0:1], v[0:1], 0
	s_waitcnt vmcnt(26)
	v_mul_f64 v[164:165], v[216:217], v[102:103]
	v_fmac_f64_e32 v[154:155], v[198:199], v[96:97]
	v_add_f64 v[0:1], v[0:1], v[152:153]
	;; [unrolled: 4-line block ×4, first 2 shown]
	s_waitcnt vmcnt(23) lgkmcnt(13)
	v_mul_f64 v[170:171], v[184:185], v[114:115]
	v_fmac_f64_e32 v[168:169], v[202:203], v[108:109]
	v_add_f64 v[0:1], v[0:1], v[166:167]
	s_waitcnt vmcnt(22) lgkmcnt(12)
	v_mul_f64 v[176:177], v[156:157], v[118:119]
	v_fmac_f64_e32 v[170:171], v[186:187], v[112:113]
	v_add_f64 v[0:1], v[0:1], v[168:169]
	;; [unrolled: 4-line block ×10, first 2 shown]
	v_fmac_f64_e32 v[224:225], v[34:35], v[12:13]
	v_add_f64 v[0:1], v[0:1], v[222:223]
	ds_read_b128 v[220:223], v2 offset:1472
	v_add_f64 v[0:1], v[0:1], v[224:225]
	ds_read_b128 v[224:227], v2 offset:1488
	s_waitcnt vmcnt(13) lgkmcnt(5)
	v_mul_f64 v[164:165], v[48:49], v[18:19]
	scratch_load_dwordx4 v[152:155], off, off offset:752
	v_fmac_f64_e32 v[164:165], v[50:51], v[16:17]
	s_waitcnt vmcnt(13) lgkmcnt(4)
	v_mul_f64 v[168:169], v[140:141], v[22:23]
	v_add_f64 v[0:1], v[0:1], v[164:165]
	v_fmac_f64_e32 v[168:169], v[142:143], v[20:21]
	scratch_load_dwordx4 v[164:167], off, off offset:768
	v_add_f64 v[0:1], v[0:1], v[168:169]
	s_waitcnt vmcnt(13) lgkmcnt(1)
	v_mul_f64 v[176:177], v[220:221], v[26:27]
	scratch_load_dwordx4 v[168:171], off, off offset:784
	v_fmac_f64_e32 v[176:177], v[222:223], v[24:25]
	s_waitcnt vmcnt(13) lgkmcnt(0)
	v_mul_f64 v[188:189], v[224:225], v[30:31]
	v_add_f64 v[0:1], v[0:1], v[176:177]
	scratch_load_dwordx4 v[176:179], off, off offset:800
	v_fmac_f64_e32 v[188:189], v[226:227], v[28:29]
	v_add_f64 v[0:1], v[0:1], v[188:189]
	s_waitcnt vmcnt(13)
	v_mul_f64 v[188:189], v[228:229], v[38:39]
	v_fmac_f64_e32 v[188:189], v[230:231], v[36:37]
	v_add_f64 v[0:1], v[0:1], v[188:189]
	scratch_load_dwordx4 v[188:191], off, off offset:816
	s_waitcnt vmcnt(13)
	v_mul_f64 v[192:193], v[232:233], v[54:55]
	v_fmac_f64_e32 v[192:193], v[234:235], v[52:53]
	v_mul_f64 v[90:91], v[214:215], v[90:91]
	v_add_f64 v[0:1], v[0:1], v[192:193]
	scratch_load_dwordx4 v[192:195], off, off offset:832
	v_fma_f64 v[240:241], v[212:213], v[88:89], -v[90:91]
	v_mul_f64 v[88:89], v[206:207], v[94:95]
	ds_read_b128 v[236:239], v2 offset:1536
	ds_read_b128 v[212:215], v2 offset:1552
	v_fma_f64 v[242:243], v[204:205], v[92:93], -v[88:89]
	scratch_load_dwordx4 v[92:95], off, off offset:848
	scratch_load_dwordx4 v[88:91], off, off offset:864
	v_mul_f64 v[98:99], v[198:199], v[98:99]
	v_fma_f64 v[248:249], v[196:197], v[96:97], -v[98:99]
	scratch_load_dwordx4 v[96:99], off, off offset:880
	s_waitcnt vmcnt(16) lgkmcnt(1)
	v_mul_f64 v[204:205], v[236:237], v[58:59]
	v_mul_f64 v[102:103], v[218:219], v[102:103]
	v_fmac_f64_e32 v[204:205], v[238:239], v[56:57]
	v_fma_f64 v[216:217], v[216:217], v[100:101], -v[102:103]
	ds_read_b128 v[100:103], v2 offset:1568
	s_waitcnt vmcnt(15) lgkmcnt(1)
	v_mul_f64 v[196:197], v[212:213], v[62:63]
	v_add_f64 v[0:1], v[0:1], v[204:205]
	v_fmac_f64_e32 v[196:197], v[214:215], v[60:61]
	v_add_f64 v[0:1], v[0:1], v[196:197]
	ds_read_b128 v[196:199], v2 offset:1584
	v_mul_f64 v[106:107], v[210:211], v[106:107]
	v_fma_f64 v[218:219], v[208:209], v[104:105], -v[106:107]
	ds_read_b128 v[104:107], v2 offset:1600
	s_waitcnt vmcnt(14) lgkmcnt(2)
	v_mul_f64 v[204:205], v[100:101], v[66:67]
	v_fmac_f64_e32 v[204:205], v[102:103], v[64:65]
	v_add_f64 v[0:1], v[0:1], v[204:205]
	s_waitcnt vmcnt(13) lgkmcnt(1)
	v_mul_f64 v[204:205], v[196:197], v[70:71]
	v_mul_f64 v[110:111], v[202:203], v[110:111]
	v_fmac_f64_e32 v[204:205], v[198:199], v[68:69]
	v_fma_f64 v[250:251], v[200:201], v[108:109], -v[110:111]
	ds_read_b128 v[108:111], v2 offset:1616
	s_waitcnt vmcnt(12) lgkmcnt(1)
	v_mul_f64 v[200:201], v[104:105], v[74:75]
	v_add_f64 v[0:1], v[0:1], v[204:205]
	v_fmac_f64_e32 v[200:201], v[106:107], v[72:73]
	v_add_f64 v[0:1], v[0:1], v[200:201]
	ds_read_b128 v[200:203], v2 offset:1632
	v_mul_f64 v[114:115], v[186:187], v[114:115]
	v_fma_f64 v[252:253], v[184:185], v[112:113], -v[114:115]
	ds_read_b128 v[112:115], v2 offset:1648
	s_waitcnt vmcnt(11) lgkmcnt(2)
	v_mul_f64 v[184:185], v[108:109], v[78:79]
	v_fmac_f64_e32 v[184:185], v[110:111], v[76:77]
	v_add_f64 v[0:1], v[0:1], v[184:185]
	s_waitcnt vmcnt(10) lgkmcnt(1)
	v_mul_f64 v[184:185], v[200:201], v[82:83]
	v_mul_f64 v[118:119], v[158:159], v[118:119]
	v_fmac_f64_e32 v[184:185], v[202:203], v[80:81]
	v_fma_f64 v[254:255], v[156:157], v[116:117], -v[118:119]
	s_waitcnt vmcnt(9) lgkmcnt(0)
	v_mul_f64 v[156:157], v[112:113], v[86:87]
	v_add_f64 v[0:1], v[0:1], v[184:185]
	ds_read_b128 v[116:119], v2 offset:1664
	v_fmac_f64_e32 v[156:157], v[114:115], v[84:85]
	v_add_f64 v[0:1], v[0:1], v[156:157]
	ds_read_b128 v[156:159], v2 offset:1680
	v_mul_f64 v[122:123], v[182:183], v[122:123]
	v_fma_f64 v[244:245], v[180:181], v[120:121], -v[122:123]
	ds_read_b128 v[120:123], v2 offset:1696
	v_accvgpr_write_b32 a121, v7
	v_mul_f64 v[126:127], v[162:163], v[126:127]
	v_accvgpr_write_b32 a120, v6
	v_accvgpr_write_b32 a119, v5
	;; [unrolled: 1-line block ×3, first 2 shown]
	v_fma_f64 v[4:5], v[160:161], v[124:125], -v[126:127]
	ds_read_b128 v[124:127], v2 offset:1712
	s_waitcnt vmcnt(8) lgkmcnt(3)
	v_mul_f64 v[184:185], v[116:117], v[154:155]
	v_fmac_f64_e32 v[184:185], v[118:119], v[152:153]
	s_waitcnt vmcnt(7) lgkmcnt(2)
	v_mul_f64 v[180:181], v[156:157], v[166:167]
	v_add_f64 v[0:1], v[0:1], v[184:185]
	v_fmac_f64_e32 v[180:181], v[158:159], v[164:165]
	s_waitcnt vmcnt(6) lgkmcnt(1)
	v_mul_f64 v[6:7], v[120:121], v[170:171]
	ds_read_b128 v[160:163], v2 offset:1728
	v_add_f64 v[0:1], v[0:1], v[180:181]
	v_fmac_f64_e32 v[6:7], v[122:123], v[168:169]
	v_add_f64 v[0:1], v[0:1], v[6:7]
	s_waitcnt vmcnt(5) lgkmcnt(1)
	v_mul_f64 v[6:7], v[124:125], v[178:179]
	v_fmac_f64_e32 v[6:7], v[126:127], v[176:177]
	v_add_f64 v[0:1], v[0:1], v[6:7]
	v_mul_f64 v[6:7], v[146:147], v[130:131]
	v_fma_f64 v[6:7], v[144:145], v[128:129], -v[6:7]
	ds_read_b128 v[128:131], v2 offset:1744
	s_waitcnt vmcnt(4) lgkmcnt(1)
	v_mul_f64 v[144:145], v[160:161], v[190:191]
	v_fmac_f64_e32 v[144:145], v[162:163], v[188:189]
	v_add_f64 v[180:181], v[0:1], v[144:145]
	v_mul_f64 v[0:1], v[174:175], v[134:135]
	v_fma_f64 v[0:1], v[172:173], v[132:133], -v[0:1]
	ds_read_b128 v[132:135], v2 offset:1760
	ds_read_b128 v[144:147], v2 offset:1776
	v_mul_f64 v[138:139], v[150:151], v[138:139]
	v_fma_f64 v[246:247], v[148:149], v[136:137], -v[138:139]
	ds_read_b128 v[136:139], v2 offset:1792
	s_waitcnt vmcnt(3) lgkmcnt(3)
	v_mul_f64 v[172:173], v[128:129], v[194:195]
	v_fmac_f64_e32 v[172:173], v[130:131], v[192:193]
	s_waitcnt vmcnt(2) lgkmcnt(2)
	v_mul_f64 v[148:149], v[132:133], v[94:95]
	v_add_f64 v[172:173], v[180:181], v[172:173]
	v_fmac_f64_e32 v[148:149], v[134:135], v[92:93]
	s_waitcnt vmcnt(1) lgkmcnt(1)
	v_mul_f64 v[150:151], v[144:145], v[90:91]
	v_add_f64 v[148:149], v[172:173], v[148:149]
	v_fmac_f64_e32 v[150:151], v[146:147], v[88:89]
	v_add_f64 v[148:149], v[148:149], v[150:151]
	ds_read_b128 v[172:175], v2 offset:1808
	scratch_load_dwordx4 v[208:211], off, off offset:928
	s_waitcnt vmcnt(1) lgkmcnt(1)
	v_mul_f64 v[150:151], v[136:137], v[98:99]
	v_fmac_f64_e32 v[150:151], v[138:139], v[96:97]
	v_add_f64 v[180:181], v[148:149], v[150:151]
	scratch_load_dwordx4 v[148:151], off, off offset:896
	ds_read_b128 v[184:187], v2 offset:1824
	v_accvgpr_write_b32 a123, v1
	v_accvgpr_write_b32 a122, v0
	s_waitcnt vmcnt(0) lgkmcnt(1)
	v_mul_f64 v[182:183], v[172:173], v[150:151]
	v_fmac_f64_e32 v[182:183], v[174:175], v[148:149]
	v_add_f64 v[204:205], v[180:181], v[182:183]
	scratch_load_dwordx4 v[180:183], off, off offset:912
	s_waitcnt vmcnt(0) lgkmcnt(0)
	v_mul_f64 v[206:207], v[184:185], v[182:183]
	v_fmac_f64_e32 v[206:207], v[186:187], v[180:181]
	v_add_f64 v[0:1], v[204:205], v[206:207]
	ds_read_b128 v[204:207], v2 offset:1840
	s_waitcnt lgkmcnt(0)
	v_mul_f64 v[2:3], v[204:205], v[210:211]
	v_fmac_f64_e32 v[2:3], v[206:207], v[208:209]
	v_add_f64 v[2:3], v[0:1], v[2:3]
	v_add_f64 v[0:1], v[240:241], 0
	;; [unrolled: 1-line block ×6, first 2 shown]
	scratch_load_dwordx4 v[216:219], off, off offset:256
	v_add_f64 v[0:1], v[0:1], v[250:251]
	v_add_f64 v[0:1], v[0:1], v[252:253]
	v_add_f64 v[0:1], v[0:1], v[254:255]
	v_add_f64 v[0:1], v[0:1], v[244:245]
	v_add_f64 v[0:1], v[0:1], v[4:5]
	v_add_f64 v[248:249], v[0:1], v[6:7]
	v_accvgpr_read_b32 v0, a122
	v_accvgpr_read_b32 v243, a121
	v_accvgpr_read_b32 v1, a123
	v_accvgpr_read_b32 v242, a120
	v_add_f64 v[0:1], v[248:249], v[0:1]
	v_accvgpr_read_b32 v241, a119
	v_accvgpr_read_b32 v240, a118
	v_mul_f64 v[4:5], v[46:47], v[242:243]
	v_add_f64 v[0:1], v[0:1], v[246:247]
	v_fma_f64 v[4:5], v[44:45], v[240:241], -v[4:5]
	v_add_f64 v[0:1], v[0:1], v[4:5]
	v_mul_f64 v[4:5], v[42:43], v[10:11]
	v_fma_f64 v[4:5], v[40:41], v[8:9], -v[4:5]
	v_add_f64 v[0:1], v[0:1], v[4:5]
	v_mul_f64 v[4:5], v[34:35], v[14:15]
	;; [unrolled: 3-line block ×28, first 2 shown]
	v_fma_f64 v[4:5], v[204:205], v[208:209], -v[4:5]
	v_add_f64 v[0:1], v[0:1], v[4:5]
	s_waitcnt vmcnt(0)
	v_add_f64 v[4:5], v[216:217], -v[0:1]
	v_accvgpr_read_b32 v0, a116
	v_add_f64 v[6:7], v[218:219], -v[2:3]
	v_cmp_lt_u32_e32 vcc, 14, v0
	scratch_store_dwordx4 off, v[4:7], off offset:256
	s_and_saveexec_b64 s[0:1], vcc
	s_cbranch_execz .LBB121_333
; %bb.332:
	scratch_load_dwordx4 v[2:5], off, s60
	v_mov_b32_e32 v6, 0
	v_mov_b32_e32 v7, v6
	;; [unrolled: 1-line block ×4, first 2 shown]
	v_accvgpr_read_b32 v0, a117
	scratch_store_dwordx4 off, v[6:9], off offset:240
	s_waitcnt vmcnt(1)
	ds_write_b128 v0, v[2:5]
.LBB121_333:
	s_or_b64 exec, exec, s[0:1]
	s_waitcnt lgkmcnt(0)
	; wave barrier
	scratch_load_dwordx4 v[96:99], off, off offset:256
	scratch_load_dwordx4 v[100:103], off, off offset:272
	;; [unrolled: 1-line block ×30, first 2 shown]
	v_mov_b32_e32 v2, 0
	ds_read_b128 v[136:139], v2 offset:1168
	ds_read_b128 v[144:147], v2 offset:1184
	;; [unrolled: 1-line block ×20, first 2 shown]
	s_waitcnt vmcnt(29) lgkmcnt(14)
	v_mul_f64 v[0:1], v[136:137], v[98:99]
	s_waitcnt vmcnt(28)
	v_mul_f64 v[72:73], v[144:145], v[102:103]
	v_fmac_f64_e32 v[0:1], v[138:139], v[96:97]
	s_waitcnt vmcnt(27)
	v_mul_f64 v[74:75], v[148:149], v[106:107]
	v_fmac_f64_e32 v[72:73], v[146:147], v[100:101]
	v_add_f64 v[0:1], v[0:1], 0
	s_waitcnt vmcnt(26)
	v_mul_f64 v[76:77], v[164:165], v[110:111]
	v_fmac_f64_e32 v[74:75], v[150:151], v[104:105]
	v_add_f64 v[0:1], v[0:1], v[72:73]
	;; [unrolled: 4-line block ×4, first 2 shown]
	s_waitcnt vmcnt(23) lgkmcnt(13)
	v_mul_f64 v[82:83], v[200:201], v[158:159]
	v_fmac_f64_e32 v[80:81], v[190:191], v[152:153]
	v_add_f64 v[0:1], v[0:1], v[78:79]
	s_waitcnt vmcnt(22) lgkmcnt(12)
	v_mul_f64 v[84:85], v[208:209], v[162:163]
	v_fmac_f64_e32 v[82:83], v[202:203], v[156:157]
	v_add_f64 v[0:1], v[0:1], v[80:81]
	;; [unrolled: 4-line block ×9, first 2 shown]
	s_waitcnt vmcnt(14) lgkmcnt(4)
	v_mul_f64 v[120:121], v[68:69], v[6:7]
	v_fmac_f64_e32 v[118:119], v[250:251], v[204:205]
	v_accvgpr_write_b32 a121, v7
	v_add_f64 v[0:1], v[0:1], v[116:117]
	v_fmac_f64_e32 v[120:121], v[70:71], v[4:5]
	v_accvgpr_write_b32 a120, v6
	v_accvgpr_write_b32 a119, v5
	v_accvgpr_write_b32 a118, v4
	v_add_f64 v[0:1], v[0:1], v[118:119]
	ds_read_b128 v[116:119], v2 offset:1440
	s_waitcnt vmcnt(13)
	v_mov_b64_e32 v[4:5], v[8:9]
	v_mov_b64_e32 v[6:7], v[10:11]
	s_waitcnt lgkmcnt(4)
	v_mul_f64 v[76:77], v[64:65], v[6:7]
	scratch_load_dwordx4 v[72:75], off, off offset:736
	v_add_f64 v[0:1], v[0:1], v[120:121]
	v_fmac_f64_e32 v[76:77], v[66:67], v[4:5]
	s_waitcnt vmcnt(13)
	v_mov_b64_e32 v[4:5], v[12:13]
	v_add_f64 v[0:1], v[0:1], v[76:77]
	v_mov_b64_e32 v[6:7], v[14:15]
	scratch_load_dwordx4 v[76:79], off, off offset:752
	ds_read_b128 v[120:123], v2 offset:1456
	s_waitcnt lgkmcnt(1)
	v_mul_f64 v[80:81], v[116:117], v[6:7]
	v_fmac_f64_e32 v[80:81], v[118:119], v[4:5]
	v_add_f64 v[0:1], v[0:1], v[80:81]
	scratch_load_dwordx4 v[80:83], off, off offset:768
	s_waitcnt vmcnt(14) lgkmcnt(0)
	v_mul_f64 v[84:85], v[120:121], v[236:237]
	v_fmac_f64_e32 v[84:85], v[122:123], v[234:235]
	s_waitcnt vmcnt(13)
	v_mul_f64 v[88:89], v[124:125], v[22:23]
	v_add_f64 v[0:1], v[0:1], v[84:85]
	v_fmac_f64_e32 v[88:89], v[126:127], v[20:21]
	scratch_load_dwordx4 v[84:87], off, off offset:784
	v_add_f64 v[0:1], v[0:1], v[88:89]
	s_waitcnt vmcnt(13)
	v_mul_f64 v[88:89], v[128:129], v[26:27]
	v_fmac_f64_e32 v[88:89], v[130:131], v[24:25]
	v_add_f64 v[0:1], v[0:1], v[88:89]
	scratch_load_dwordx4 v[88:91], off, off offset:800
	s_waitcnt vmcnt(13)
	v_mul_f64 v[92:93], v[132:133], v[30:31]
	v_fmac_f64_e32 v[92:93], v[134:135], v[28:29]
	v_add_f64 v[0:1], v[0:1], v[92:93]
	scratch_load_dwordx4 v[92:95], off, off offset:816
	v_mul_f64 v[98:99], v[138:139], v[98:99]
	v_fma_f64 v[240:241], v[136:137], v[96:97], -v[98:99]
	v_mul_f64 v[96:97], v[146:147], v[102:103]
	ds_read_b128 v[140:143], v2 offset:1520
	ds_read_b128 v[136:139], v2 offset:1536
	v_fma_f64 v[242:243], v[144:145], v[100:101], -v[96:97]
	scratch_load_dwordx4 v[100:103], off, off offset:832
	scratch_load_dwordx4 v[96:99], off, off offset:848
	s_waitcnt vmcnt(15) lgkmcnt(1)
	v_mul_f64 v[144:145], v[140:141], v[34:35]
	v_fmac_f64_e32 v[144:145], v[142:143], v[32:33]
	v_mul_f64 v[106:107], v[150:151], v[106:107]
	v_add_f64 v[0:1], v[0:1], v[144:145]
	s_waitcnt vmcnt(14) lgkmcnt(0)
	v_mul_f64 v[144:145], v[136:137], v[38:39]
	v_fma_f64 v[252:253], v[148:149], v[104:105], -v[106:107]
	v_mul_f64 v[104:105], v[166:167], v[110:111]
	v_fmac_f64_e32 v[144:145], v[138:139], v[36:37]
	v_fma_f64 v[254:255], v[164:165], v[108:109], -v[104:105]
	scratch_load_dwordx4 v[104:107], off, off offset:864
	v_add_f64 v[0:1], v[0:1], v[144:145]
	ds_read_b128 v[144:147], v2 offset:1552
	ds_read_b128 v[148:151], v2 offset:1568
	v_mul_f64 v[108:109], v[178:179], v[114:115]
	v_fma_f64 v[232:233], v[176:177], v[112:113], -v[108:109]
	scratch_load_dwordx4 v[108:111], off, off offset:880
	s_waitcnt vmcnt(15) lgkmcnt(1)
	v_mul_f64 v[112:113], v[144:145], v[42:43]
	v_fmac_f64_e32 v[112:113], v[146:147], v[40:41]
	v_add_f64 v[0:1], v[0:1], v[112:113]
	v_mul_f64 v[112:113], v[190:191], v[154:155]
	v_fma_f64 v[16:17], v[188:189], v[152:153], -v[112:113]
	scratch_load_dwordx4 v[112:115], off, off offset:896
	ds_read_b128 v[152:155], v2 offset:1584
	s_waitcnt vmcnt(15) lgkmcnt(1)
	v_mul_f64 v[6:7], v[148:149], v[46:47]
	v_fmac_f64_e32 v[6:7], v[150:151], v[44:45]
	v_accvgpr_write_b32 a129, v15
	v_add_f64 v[0:1], v[0:1], v[6:7]
	v_mul_f64 v[6:7], v[202:203], v[158:159]
	v_accvgpr_write_b32 a128, v14
	v_accvgpr_write_b32 a127, v13
	;; [unrolled: 1-line block ×3, first 2 shown]
	v_fma_f64 v[12:13], v[200:201], v[156:157], -v[6:7]
	ds_read_b128 v[156:159], v2 offset:1600
	s_waitcnt vmcnt(14) lgkmcnt(1)
	v_mul_f64 v[6:7], v[152:153], v[50:51]
	v_fmac_f64_e32 v[6:7], v[154:155], v[48:49]
	v_accvgpr_write_b32 a125, v11
	v_add_f64 v[0:1], v[0:1], v[6:7]
	v_mul_f64 v[6:7], v[210:211], v[162:163]
	v_accvgpr_write_b32 a124, v10
	v_accvgpr_write_b32 a123, v9
	;; [unrolled: 1-line block ×3, first 2 shown]
	v_fma_f64 v[10:11], v[208:209], v[160:161], -v[6:7]
	ds_read_b128 v[160:163], v2 offset:1616
	ds_read_b128 v[164:167], v2 offset:1632
	s_waitcnt vmcnt(13) lgkmcnt(2)
	v_mul_f64 v[6:7], v[156:157], v[54:55]
	v_fmac_f64_e32 v[6:7], v[158:159], v[52:53]
	v_add_f64 v[0:1], v[0:1], v[6:7]
	s_waitcnt vmcnt(12) lgkmcnt(1)
	v_mul_f64 v[6:7], v[160:161], v[62:63]
	v_fmac_f64_e32 v[6:7], v[162:163], v[60:61]
	v_add_f64 v[0:1], v[0:1], v[6:7]
	v_mul_f64 v[6:7], v[214:215], v[170:171]
	v_fma_f64 v[8:9], v[212:213], v[168:169], -v[6:7]
	s_waitcnt vmcnt(11) lgkmcnt(0)
	v_mul_f64 v[6:7], v[164:165], v[58:59]
	v_fmac_f64_e32 v[6:7], v[166:167], v[56:57]
	ds_read_b128 v[168:171], v2 offset:1648
	v_add_f64 v[0:1], v[0:1], v[6:7]
	v_mul_f64 v[6:7], v[218:219], v[174:175]
	v_fma_f64 v[14:15], v[216:217], v[172:173], -v[6:7]
	ds_read_b128 v[172:175], v2 offset:1664
	s_waitcnt vmcnt(10) lgkmcnt(1)
	v_mul_f64 v[6:7], v[168:169], v[74:75]
	ds_read_b128 v[176:179], v2 offset:1680
	v_fmac_f64_e32 v[6:7], v[170:171], v[72:73]
	v_add_f64 v[0:1], v[0:1], v[6:7]
	s_waitcnt vmcnt(9) lgkmcnt(1)
	v_mul_f64 v[6:7], v[172:173], v[78:79]
	v_fmac_f64_e32 v[6:7], v[174:175], v[76:77]
	v_add_f64 v[0:1], v[0:1], v[6:7]
	v_mul_f64 v[6:7], v[222:223], v[182:183]
	v_fma_f64 v[4:5], v[220:221], v[180:181], -v[6:7]
	ds_read_b128 v[180:183], v2 offset:1696
	s_waitcnt vmcnt(8) lgkmcnt(1)
	v_mul_f64 v[6:7], v[176:177], v[82:83]
	v_fmac_f64_e32 v[6:7], v[178:179], v[80:81]
	v_add_f64 v[0:1], v[0:1], v[6:7]
	v_mul_f64 v[6:7], v[226:227], v[186:187]
	v_fma_f64 v[6:7], v[224:225], v[184:185], -v[6:7]
	ds_read_b128 v[184:187], v2 offset:1712
	ds_read_b128 v[188:191], v2 offset:1728
	s_waitcnt vmcnt(7) lgkmcnt(2)
	v_mul_f64 v[18:19], v[180:181], v[86:87]
	v_fmac_f64_e32 v[18:19], v[182:183], v[84:85]
	v_add_f64 v[0:1], v[0:1], v[18:19]
	s_waitcnt vmcnt(6) lgkmcnt(1)
	v_mul_f64 v[18:19], v[184:185], v[90:91]
	v_fmac_f64_e32 v[18:19], v[186:187], v[88:89]
	v_add_f64 v[18:19], v[0:1], v[18:19]
	v_mul_f64 v[0:1], v[230:231], v[194:195]
	v_fma_f64 v[0:1], v[228:229], v[192:193], -v[0:1]
	ds_read_b128 v[192:195], v2 offset:1744
	s_waitcnt vmcnt(5) lgkmcnt(1)
	v_mul_f64 v[200:201], v[188:189], v[94:95]
	v_fmac_f64_e32 v[200:201], v[190:191], v[92:93]
	v_mul_f64 v[198:199], v[246:247], v[198:199]
	v_fma_f64 v[238:239], v[244:245], v[196:197], -v[198:199]
	ds_read_b128 v[196:199], v2 offset:1760
	v_add_f64 v[18:19], v[18:19], v[200:201]
	s_waitcnt vmcnt(4) lgkmcnt(1)
	v_mul_f64 v[200:201], v[192:193], v[102:103]
	v_fmac_f64_e32 v[200:201], v[194:195], v[100:101]
	v_add_f64 v[18:19], v[18:19], v[200:201]
	ds_read_b128 v[200:203], v2 offset:1776
	v_mul_f64 v[206:207], v[250:251], v[206:207]
	v_fma_f64 v[244:245], v[248:249], v[204:205], -v[206:207]
	ds_read_b128 v[204:207], v2 offset:1792
	s_waitcnt vmcnt(3) lgkmcnt(2)
	v_mul_f64 v[208:209], v[196:197], v[98:99]
	v_fmac_f64_e32 v[208:209], v[198:199], v[96:97]
	v_add_f64 v[18:19], v[18:19], v[208:209]
	s_waitcnt vmcnt(2) lgkmcnt(1)
	v_mul_f64 v[208:209], v[200:201], v[106:107]
	v_fmac_f64_e32 v[208:209], v[202:203], v[104:105]
	v_add_f64 v[18:19], v[18:19], v[208:209]
	s_waitcnt vmcnt(1) lgkmcnt(0)
	v_mul_f64 v[208:209], v[204:205], v[110:111]
	v_fmac_f64_e32 v[208:209], v[206:207], v[108:109]
	v_add_f64 v[18:19], v[18:19], v[208:209]
	ds_read_b128 v[208:211], v2 offset:1808
	ds_read_b128 v[216:219], v2 offset:1824
	;; [unrolled: 1-line block ×3, first 2 shown]
	s_waitcnt vmcnt(0) lgkmcnt(2)
	v_mul_f64 v[212:213], v[208:209], v[114:115]
	v_fmac_f64_e32 v[212:213], v[210:211], v[112:113]
	v_add_f64 v[18:19], v[18:19], v[212:213]
	scratch_load_dwordx4 v[212:215], off, off offset:912
	s_waitcnt vmcnt(0) lgkmcnt(1)
	v_mul_f64 v[220:221], v[216:217], v[214:215]
	v_fmac_f64_e32 v[220:221], v[218:219], v[212:213]
	v_add_f64 v[18:19], v[18:19], v[220:221]
	scratch_load_dwordx4 v[220:223], off, off offset:928
	;; [unrolled: 5-line block ×3, first 2 shown]
	v_add_f64 v[18:19], v[240:241], 0
	v_add_f64 v[18:19], v[18:19], v[242:243]
	;; [unrolled: 1-line block ×12, first 2 shown]
	v_accvgpr_read_b32 v6, a118
	v_accvgpr_read_b32 v8, a120
	;; [unrolled: 1-line block ×3, first 2 shown]
	v_add_f64 v[0:1], v[4:5], v[0:1]
	v_accvgpr_read_b32 v7, a119
	v_mul_f64 v[4:5], v[70:71], v[8:9]
	v_add_f64 v[0:1], v[0:1], v[238:239]
	v_fma_f64 v[4:5], v[68:69], v[6:7], -v[4:5]
	v_accvgpr_read_b32 v6, a122
	v_add_f64 v[0:1], v[0:1], v[244:245]
	v_accvgpr_read_b32 v8, a124
	v_accvgpr_read_b32 v9, a125
	v_add_f64 v[0:1], v[0:1], v[4:5]
	v_accvgpr_read_b32 v7, a123
	v_mul_f64 v[4:5], v[66:67], v[8:9]
	v_fma_f64 v[4:5], v[64:65], v[6:7], -v[4:5]
	v_accvgpr_read_b32 v6, a126
	v_accvgpr_read_b32 v8, a128
	;; [unrolled: 1-line block ×3, first 2 shown]
	v_add_f64 v[0:1], v[0:1], v[4:5]
	v_accvgpr_read_b32 v7, a127
	v_mul_f64 v[4:5], v[118:119], v[8:9]
	v_fma_f64 v[4:5], v[116:117], v[6:7], -v[4:5]
	v_add_f64 v[0:1], v[0:1], v[4:5]
	v_mul_f64 v[4:5], v[122:123], v[236:237]
	v_fma_f64 v[4:5], v[120:121], v[234:235], -v[4:5]
	v_add_f64 v[0:1], v[0:1], v[4:5]
	;; [unrolled: 3-line block ×26, first 2 shown]
	s_waitcnt vmcnt(0)
	v_add_f64 v[4:5], v[228:229], -v[0:1]
	v_accvgpr_read_b32 v0, a116
	v_add_f64 v[6:7], v[230:231], -v[248:249]
	v_cmp_lt_u32_e32 vcc, 13, v0
	scratch_store_dwordx4 off, v[4:7], off offset:240
	s_and_saveexec_b64 s[0:1], vcc
	s_cbranch_execz .LBB121_335
; %bb.334:
	scratch_load_dwordx4 v[6:9], off, s61
	v_mov_b32_e32 v3, v2
	v_mov_b32_e32 v4, v2
	;; [unrolled: 1-line block ×3, first 2 shown]
	v_accvgpr_read_b32 v0, a117
	scratch_store_dwordx4 off, v[2:5], off offset:224
	s_waitcnt vmcnt(1)
	ds_write_b128 v0, v[6:9]
.LBB121_335:
	s_or_b64 exec, exec, s[0:1]
	s_waitcnt lgkmcnt(0)
	; wave barrier
	scratch_load_dwordx4 v[72:75], off, off offset:240
	scratch_load_dwordx4 v[76:79], off, off offset:256
	;; [unrolled: 1-line block ×17, first 2 shown]
	ds_read_b128 v[176:179], v2 offset:1152
	ds_read_b128 v[192:195], v2 offset:1168
	;; [unrolled: 1-line block ×3, first 2 shown]
	scratch_load_dwordx4 v[20:23], off, off offset:512
	ds_read_b128 v[236:239], v2 offset:1200
	ds_read_b128 v[232:235], v2 offset:1216
	;; [unrolled: 1-line block ×5, first 2 shown]
	scratch_load_dwordx4 v[168:171], off, off offset:528
	ds_read_b128 v[224:227], v2 offset:1280
	ds_read_b128 v[212:215], v2 offset:1296
	;; [unrolled: 1-line block ×3, first 2 shown]
	scratch_load_dwordx4 v[12:15], off, off offset:544
	ds_read_b128 v[216:219], v2 offset:1328
	ds_read_b128 v[204:207], v2 offset:1344
	;; [unrolled: 1-line block ×5, first 2 shown]
	scratch_load_dwordx4 v[28:31], off, off offset:560
	ds_read_b128 v[32:35], v2 offset:1408
	scratch_load_dwordx4 v[36:39], off, off offset:576
	scratch_load_dwordx4 v[40:43], off, off offset:592
	;; [unrolled: 1-line block ×9, first 2 shown]
	ds_read_b128 v[132:135], v2 offset:1424
	s_waitcnt lgkmcnt(2)
	v_accvgpr_write_b32 a125, v19
	v_accvgpr_write_b32 a124, v18
	;; [unrolled: 1-line block ×4, first 2 shown]
	ds_read_b128 v[172:175], v2 offset:1488
	s_waitcnt vmcnt(29)
	v_mul_f64 v[0:1], v[176:177], v[74:75]
	s_waitcnt vmcnt(28)
	v_mul_f64 v[136:137], v[192:193], v[78:79]
	v_fmac_f64_e32 v[0:1], v[178:179], v[72:73]
	s_waitcnt vmcnt(27)
	v_mul_f64 v[138:139], v[188:189], v[82:83]
	v_fmac_f64_e32 v[136:137], v[194:195], v[76:77]
	v_add_f64 v[0:1], v[0:1], 0
	s_waitcnt vmcnt(26)
	v_mul_f64 v[140:141], v[236:237], v[86:87]
	v_fmac_f64_e32 v[138:139], v[190:191], v[80:81]
	v_add_f64 v[0:1], v[0:1], v[136:137]
	;; [unrolled: 4-line block ×14, first 2 shown]
	v_fmac_f64_e32 v[164:165], v[18:19], v[4:5]
	v_add_f64 v[0:1], v[0:1], v[162:163]
	s_waitcnt vmcnt(13) lgkmcnt(2)
	v_mul_f64 v[140:141], v[32:33], v[26:27]
	scratch_load_dwordx4 v[136:139], off, off offset:720
	v_add_f64 v[0:1], v[0:1], v[164:165]
	v_fmac_f64_e32 v[140:141], v[34:35], v[24:25]
	v_add_f64 v[0:1], v[0:1], v[140:141]
	ds_read_b128 v[160:163], v2 offset:1440
	scratch_load_dwordx4 v[140:143], off, off offset:736
	ds_read_b128 v[164:167], v2 offset:1456
	s_waitcnt vmcnt(13)
	v_mov_b64_e32 v[16:17], v[168:169]
	v_mov_b64_e32 v[18:19], v[170:171]
	ds_read_b128 v[168:171], v2 offset:1472
	s_waitcnt lgkmcnt(4)
	v_mul_f64 v[144:145], v[132:133], v[22:23]
	v_fmac_f64_e32 v[144:145], v[134:135], v[20:21]
	s_waitcnt lgkmcnt(2)
	v_mul_f64 v[148:149], v[160:161], v[18:19]
	v_add_f64 v[0:1], v[0:1], v[144:145]
	v_fmac_f64_e32 v[148:149], v[162:163], v[16:17]
	s_waitcnt vmcnt(12) lgkmcnt(1)
	v_mul_f64 v[152:153], v[164:165], v[14:15]
	scratch_load_dwordx4 v[144:147], off, off offset:752
	v_add_f64 v[0:1], v[0:1], v[148:149]
	v_fmac_f64_e32 v[152:153], v[166:167], v[12:13]
	scratch_load_dwordx4 v[148:151], off, off offset:768
	v_add_f64 v[0:1], v[0:1], v[152:153]
	s_waitcnt vmcnt(13) lgkmcnt(0)
	v_mul_f64 v[152:153], v[168:169], v[30:31]
	v_fmac_f64_e32 v[152:153], v[170:171], v[28:29]
	v_add_f64 v[0:1], v[0:1], v[152:153]
	scratch_load_dwordx4 v[152:155], off, off offset:784
	s_waitcnt vmcnt(13)
	v_mul_f64 v[156:157], v[172:173], v[38:39]
	v_fmac_f64_e32 v[156:157], v[174:175], v[36:37]
	v_mul_f64 v[74:75], v[178:179], v[74:75]
	v_add_f64 v[0:1], v[0:1], v[156:157]
	scratch_load_dwordx4 v[156:159], off, off offset:800
	v_fma_f64 v[240:241], v[176:177], v[72:73], -v[74:75]
	v_mul_f64 v[72:73], v[194:195], v[78:79]
	ds_read_b128 v[180:183], v2 offset:1504
	ds_read_b128 v[176:179], v2 offset:1520
	v_fma_f64 v[242:243], v[192:193], v[76:77], -v[72:73]
	scratch_load_dwordx4 v[76:79], off, off offset:816
	scratch_load_dwordx4 v[72:75], off, off offset:832
	v_mul_f64 v[82:83], v[190:191], v[82:83]
	v_fma_f64 v[248:249], v[188:189], v[80:81], -v[82:83]
	v_mul_f64 v[80:81], v[238:239], v[86:87]
	v_fma_f64 v[236:237], v[236:237], v[84:85], -v[80:81]
	scratch_load_dwordx4 v[80:83], off, off offset:848
	ds_read_b128 v[188:191], v2 offset:1536
	v_mul_f64 v[84:85], v[234:235], v[90:91]
	s_waitcnt vmcnt(16) lgkmcnt(2)
	v_mul_f64 v[192:193], v[180:181], v[42:43]
	v_fma_f64 v[238:239], v[232:233], v[88:89], -v[84:85]
	scratch_load_dwordx4 v[84:87], off, off offset:864
	v_fmac_f64_e32 v[192:193], v[182:183], v[40:41]
	v_add_f64 v[0:1], v[0:1], v[192:193]
	s_waitcnt vmcnt(16) lgkmcnt(1)
	v_mul_f64 v[192:193], v[176:177], v[46:47]
	v_fmac_f64_e32 v[192:193], v[178:179], v[44:45]
	v_add_f64 v[0:1], v[0:1], v[192:193]
	ds_read_b128 v[192:195], v2 offset:1552
	s_waitcnt vmcnt(15) lgkmcnt(1)
	v_mul_f64 v[88:89], v[188:189], v[50:51]
	v_fmac_f64_e32 v[88:89], v[190:191], v[48:49]
	v_add_f64 v[0:1], v[0:1], v[88:89]
	v_mul_f64 v[88:89], v[230:231], v[94:95]
	v_fma_f64 v[250:251], v[228:229], v[92:93], -v[88:89]
	scratch_load_dwordx4 v[88:91], off, off offset:880
	scratch_load_dwordx4 v[232:235], off, off offset:928
	ds_read_b128 v[92:95], v2 offset:1568
	v_mul_f64 v[98:99], v[222:223], v[98:99]
	v_fma_f64 v[252:253], v[220:221], v[96:97], -v[98:99]
	ds_read_b128 v[96:99], v2 offset:1584
	v_mul_f64 v[102:103], v[210:211], v[102:103]
	s_waitcnt vmcnt(16) lgkmcnt(2)
	v_mul_f64 v[228:229], v[192:193], v[54:55]
	v_fma_f64 v[254:255], v[208:209], v[100:101], -v[102:103]
	ds_read_b128 v[100:103], v2 offset:1600
	ds_read_b128 v[208:211], v2 offset:1616
	v_fmac_f64_e32 v[228:229], v[194:195], v[52:53]
	s_waitcnt vmcnt(15) lgkmcnt(3)
	v_mul_f64 v[220:221], v[92:93], v[58:59]
	v_add_f64 v[0:1], v[0:1], v[228:229]
	v_fmac_f64_e32 v[220:221], v[94:95], v[56:57]
	v_mul_f64 v[106:107], v[226:227], v[106:107]
	v_add_f64 v[0:1], v[0:1], v[220:221]
	s_waitcnt vmcnt(14) lgkmcnt(2)
	v_mul_f64 v[220:221], v[96:97], v[62:63]
	v_fma_f64 v[244:245], v[224:225], v[104:105], -v[106:107]
	ds_read_b128 v[104:107], v2 offset:1632
	v_fmac_f64_e32 v[220:221], v[98:99], v[60:61]
	v_mul_f64 v[110:111], v[214:215], v[110:111]
	v_add_f64 v[0:1], v[0:1], v[220:221]
	s_waitcnt vmcnt(13) lgkmcnt(2)
	v_mul_f64 v[220:221], v[100:101], v[70:71]
	v_fma_f64 v[8:9], v[212:213], v[108:109], -v[110:111]
	ds_read_b128 v[108:111], v2 offset:1648
	v_fmac_f64_e32 v[220:221], v[102:103], v[68:69]
	v_accvgpr_write_b32 a121, v7
	v_add_f64 v[0:1], v[0:1], v[220:221]
	s_waitcnt vmcnt(12) lgkmcnt(2)
	v_mul_f64 v[220:221], v[208:209], v[66:67]
	v_accvgpr_write_b32 a120, v6
	v_accvgpr_write_b32 a119, v5
	;; [unrolled: 1-line block ×3, first 2 shown]
	v_fmac_f64_e32 v[220:221], v[210:211], v[64:65]
	s_waitcnt vmcnt(11) lgkmcnt(1)
	v_mul_f64 v[6:7], v[104:105], v[138:139]
	v_add_f64 v[0:1], v[0:1], v[220:221]
	v_fmac_f64_e32 v[6:7], v[106:107], v[136:137]
	v_add_f64 v[0:1], v[0:1], v[6:7]
	s_waitcnt vmcnt(10) lgkmcnt(0)
	v_mul_f64 v[6:7], v[108:109], v[142:143]
	v_fmac_f64_e32 v[6:7], v[110:111], v[140:141]
	ds_read_b128 v[212:215], v2 offset:1664
	v_add_f64 v[0:1], v[0:1], v[6:7]
	v_mul_f64 v[6:7], v[202:203], v[114:115]
	v_fma_f64 v[6:7], v[200:201], v[112:113], -v[6:7]
	ds_read_b128 v[112:115], v2 offset:1680
	v_mul_f64 v[118:119], v[218:219], v[118:119]
	v_fma_f64 v[4:5], v[216:217], v[116:117], -v[118:119]
	ds_read_b128 v[116:119], v2 offset:1696
	s_waitcnt vmcnt(9) lgkmcnt(2)
	v_mul_f64 v[200:201], v[212:213], v[146:147]
	v_fmac_f64_e32 v[200:201], v[214:215], v[144:145]
	s_waitcnt vmcnt(8) lgkmcnt(1)
	v_mul_f64 v[10:11], v[112:113], v[150:151]
	v_add_f64 v[0:1], v[0:1], v[200:201]
	v_fmac_f64_e32 v[10:11], v[114:115], v[148:149]
	v_add_f64 v[0:1], v[0:1], v[10:11]
	ds_read_b128 v[200:203], v2 offset:1712
	s_waitcnt vmcnt(7) lgkmcnt(1)
	v_mul_f64 v[10:11], v[116:117], v[154:155]
	v_fmac_f64_e32 v[10:11], v[118:119], v[152:153]
	v_add_f64 v[10:11], v[0:1], v[10:11]
	v_mul_f64 v[0:1], v[206:207], v[122:123]
	v_fma_f64 v[0:1], v[204:205], v[120:121], -v[0:1]
	ds_read_b128 v[120:123], v2 offset:1728
	v_mul_f64 v[126:127], v[198:199], v[126:127]
	v_fma_f64 v[124:125], v[196:197], v[124:125], -v[126:127]
	s_waitcnt vmcnt(6) lgkmcnt(1)
	v_mul_f64 v[204:205], v[200:201], v[158:159]
	v_accvgpr_write_b32 a127, v125
	v_fmac_f64_e32 v[204:205], v[202:203], v[156:157]
	v_accvgpr_write_b32 a126, v124
	ds_read_b128 v[124:127], v2 offset:1744
	s_waitcnt vmcnt(5) lgkmcnt(1)
	v_mul_f64 v[196:197], v[120:121], v[78:79]
	v_add_f64 v[10:11], v[10:11], v[204:205]
	v_fmac_f64_e32 v[196:197], v[122:123], v[76:77]
	v_add_f64 v[10:11], v[10:11], v[196:197]
	ds_read_b128 v[196:199], v2 offset:1760
	v_mul_f64 v[130:131], v[186:187], v[130:131]
	v_fma_f64 v[246:247], v[184:185], v[128:129], -v[130:131]
	ds_read_b128 v[128:131], v2 offset:1776
	s_waitcnt vmcnt(4) lgkmcnt(2)
	v_mul_f64 v[184:185], v[124:125], v[74:75]
	v_fmac_f64_e32 v[184:185], v[126:127], v[72:73]
	v_add_f64 v[10:11], v[10:11], v[184:185]
	s_waitcnt vmcnt(3) lgkmcnt(1)
	v_mul_f64 v[184:185], v[196:197], v[82:83]
	v_fmac_f64_e32 v[184:185], v[198:199], v[80:81]
	v_add_f64 v[10:11], v[10:11], v[184:185]
	;; [unrolled: 4-line block ×3, first 2 shown]
	ds_read_b128 v[184:187], v2 offset:1792
	ds_read_b128 v[216:219], v2 offset:1808
	;; [unrolled: 1-line block ×3, first 2 shown]
	s_waitcnt vmcnt(1) lgkmcnt(2)
	v_mul_f64 v[204:205], v[184:185], v[90:91]
	v_fmac_f64_e32 v[204:205], v[186:187], v[88:89]
	v_add_f64 v[10:11], v[10:11], v[204:205]
	scratch_load_dwordx4 v[204:207], off, off offset:896
	s_waitcnt vmcnt(0) lgkmcnt(1)
	v_mul_f64 v[220:221], v[216:217], v[206:207]
	v_fmac_f64_e32 v[220:221], v[218:219], v[204:205]
	v_add_f64 v[10:11], v[10:11], v[220:221]
	scratch_load_dwordx4 v[220:223], off, off offset:912
	s_waitcnt vmcnt(0) lgkmcnt(0)
	v_mul_f64 v[228:229], v[224:225], v[222:223]
	v_fmac_f64_e32 v[228:229], v[226:227], v[220:221]
	v_add_f64 v[10:11], v[10:11], v[228:229]
	ds_read_b128 v[228:231], v2 offset:1840
	s_waitcnt lgkmcnt(0)
	v_mul_f64 v[2:3], v[228:229], v[234:235]
	v_fmac_f64_e32 v[2:3], v[230:231], v[232:233]
	v_add_f64 v[2:3], v[10:11], v[2:3]
	v_add_f64 v[10:11], v[240:241], 0
	;; [unrolled: 1-line block ×6, first 2 shown]
	scratch_load_dwordx4 v[236:239], off, off offset:224
	v_add_f64 v[10:11], v[10:11], v[250:251]
	v_add_f64 v[10:11], v[10:11], v[252:253]
	;; [unrolled: 1-line block ×8, first 2 shown]
	v_accvgpr_read_b32 v0, a126
	v_accvgpr_read_b32 v6, a118
	;; [unrolled: 1-line block ×7, first 2 shown]
	v_add_f64 v[0:1], v[248:249], v[0:1]
	v_accvgpr_read_b32 v7, a119
	v_accvgpr_read_b32 v241, a123
	;; [unrolled: 1-line block ×3, first 2 shown]
	v_mul_f64 v[4:5], v[242:243], v[8:9]
	v_add_f64 v[0:1], v[0:1], v[246:247]
	v_fma_f64 v[4:5], v[240:241], v[6:7], -v[4:5]
	v_add_f64 v[0:1], v[0:1], v[4:5]
	v_mul_f64 v[4:5], v[34:35], v[26:27]
	v_fma_f64 v[4:5], v[32:33], v[24:25], -v[4:5]
	v_add_f64 v[0:1], v[0:1], v[4:5]
	v_mul_f64 v[4:5], v[134:135], v[22:23]
	;; [unrolled: 3-line block ×28, first 2 shown]
	v_fma_f64 v[4:5], v[228:229], v[232:233], -v[4:5]
	v_add_f64 v[0:1], v[0:1], v[4:5]
	s_waitcnt vmcnt(0)
	v_add_f64 v[4:5], v[236:237], -v[0:1]
	v_accvgpr_read_b32 v0, a116
	v_add_f64 v[6:7], v[238:239], -v[2:3]
	v_cmp_lt_u32_e32 vcc, 12, v0
	scratch_store_dwordx4 off, v[4:7], off offset:224
	s_and_saveexec_b64 s[0:1], vcc
	s_cbranch_execz .LBB121_337
; %bb.336:
	scratch_load_dwordx4 v[2:5], off, s62
	v_mov_b32_e32 v6, 0
	v_mov_b32_e32 v7, v6
	;; [unrolled: 1-line block ×4, first 2 shown]
	v_accvgpr_read_b32 v0, a117
	scratch_store_dwordx4 off, v[6:9], off offset:208
	s_waitcnt vmcnt(1)
	ds_write_b128 v0, v[2:5]
.LBB121_337:
	s_or_b64 exec, exec, s[0:1]
	s_waitcnt lgkmcnt(0)
	; wave barrier
	scratch_load_dwordx4 v[80:83], off, off offset:224
	scratch_load_dwordx4 v[84:87], off, off offset:240
	;; [unrolled: 1-line block ×29, first 2 shown]
	v_mov_b32_e32 v2, 0
	ds_read_b128 v[132:135], v2 offset:1136
	ds_read_b128 v[136:139], v2 offset:1152
	;; [unrolled: 1-line block ×22, first 2 shown]
	s_waitcnt vmcnt(28) lgkmcnt(14)
	v_mul_f64 v[0:1], v[132:133], v[82:83]
	s_waitcnt vmcnt(27)
	v_mul_f64 v[56:57], v[136:137], v[86:87]
	v_fmac_f64_e32 v[0:1], v[134:135], v[80:81]
	s_waitcnt vmcnt(26)
	v_mul_f64 v[58:59], v[140:141], v[90:91]
	v_fmac_f64_e32 v[56:57], v[138:139], v[84:85]
	v_add_f64 v[0:1], v[0:1], 0
	s_waitcnt vmcnt(25)
	v_mul_f64 v[60:61], v[148:149], v[94:95]
	v_fmac_f64_e32 v[58:59], v[142:143], v[88:89]
	v_add_f64 v[0:1], v[0:1], v[56:57]
	;; [unrolled: 4-line block ×6, first 2 shown]
	s_waitcnt vmcnt(20) lgkmcnt(13)
	v_mul_f64 v[70:71], v[204:205], v[154:155]
	v_fmac_f64_e32 v[68:69], v[198:199], v[144:145]
	v_add_f64 v[0:1], v[0:1], v[66:67]
	s_waitcnt vmcnt(19) lgkmcnt(12)
	v_mul_f64 v[72:73], v[208:209], v[158:159]
	v_fmac_f64_e32 v[70:71], v[206:207], v[152:153]
	v_add_f64 v[0:1], v[0:1], v[68:69]
	;; [unrolled: 4-line block ×8, first 2 shown]
	v_fmac_f64_e32 v[112:113], v[246:247], v[192:193]
	v_add_f64 v[0:1], v[0:1], v[110:111]
	s_waitcnt vmcnt(12) lgkmcnt(5)
	v_mul_f64 v[60:61], v[248:249], v[202:203]
	scratch_load_dwordx4 v[56:59], off, off offset:688
	ds_read_b128 v[108:111], v2 offset:1424
	v_add_f64 v[0:1], v[0:1], v[112:113]
	v_fmac_f64_e32 v[60:61], v[250:251], v[200:201]
	v_add_f64 v[0:1], v[0:1], v[60:61]
	s_waitcnt vmcnt(12) lgkmcnt(5)
	v_mul_f64 v[64:65], v[52:53], v[6:7]
	scratch_load_dwordx4 v[60:63], off, off offset:704
	v_accvgpr_write_b32 a121, v7
	v_fmac_f64_e32 v[64:65], v[54:55], v[4:5]
	v_accvgpr_write_b32 a120, v6
	v_accvgpr_write_b32 a119, v5
	;; [unrolled: 1-line block ×3, first 2 shown]
	ds_read_b128 v[112:115], v2 offset:1440
	s_waitcnt vmcnt(12)
	v_mov_b64_e32 v[4:5], v[8:9]
	v_mov_b64_e32 v[6:7], v[10:11]
	s_waitcnt lgkmcnt(1)
	v_mul_f64 v[68:69], v[108:109], v[6:7]
	v_fmac_f64_e32 v[68:69], v[110:111], v[4:5]
	s_waitcnt vmcnt(11)
	v_mov_b64_e32 v[4:5], v[12:13]
	v_add_f64 v[0:1], v[0:1], v[64:65]
	v_mov_b64_e32 v[6:7], v[14:15]
	scratch_load_dwordx4 v[64:67], off, off offset:720
	v_add_f64 v[0:1], v[0:1], v[68:69]
	s_waitcnt lgkmcnt(0)
	v_mul_f64 v[68:69], v[112:113], v[6:7]
	v_fmac_f64_e32 v[68:69], v[114:115], v[4:5]
	s_waitcnt vmcnt(11)
	v_mov_b64_e32 v[4:5], v[16:17]
	v_add_f64 v[0:1], v[0:1], v[68:69]
	scratch_load_dwordx4 v[68:71], off, off offset:736
	v_mov_b64_e32 v[6:7], v[18:19]
	v_mul_f64 v[76:77], v[116:117], v[6:7]
	scratch_load_dwordx4 v[72:75], off, off offset:752
	v_fmac_f64_e32 v[76:77], v[118:119], v[4:5]
	v_add_f64 v[0:1], v[0:1], v[76:77]
	s_waitcnt vmcnt(12)
	v_mul_f64 v[76:77], v[120:121], v[236:237]
	v_fmac_f64_e32 v[76:77], v[122:123], v[234:235]
	v_add_f64 v[0:1], v[0:1], v[76:77]
	scratch_load_dwordx4 v[76:79], off, off offset:768
	v_mul_f64 v[82:83], v[134:135], v[82:83]
	v_fma_f64 v[240:241], v[132:133], v[80:81], -v[82:83]
	scratch_load_dwordx4 v[80:83], off, off offset:784
	v_mul_f64 v[86:87], v[138:139], v[86:87]
	v_fma_f64 v[242:243], v[136:137], v[84:85], -v[86:87]
	scratch_load_dwordx4 v[84:87], off, off offset:800
	v_mul_f64 v[90:91], v[142:143], v[90:91]
	s_waitcnt vmcnt(14)
	v_mul_f64 v[132:133], v[124:125], v[26:27]
	v_fma_f64 v[252:253], v[140:141], v[88:89], -v[90:91]
	scratch_load_dwordx4 v[88:91], off, off offset:816
	v_fmac_f64_e32 v[132:133], v[126:127], v[24:25]
	s_waitcnt vmcnt(14)
	v_mul_f64 v[136:137], v[128:129], v[30:31]
	v_mul_f64 v[94:95], v[150:151], v[94:95]
	v_add_f64 v[0:1], v[0:1], v[132:133]
	v_fmac_f64_e32 v[136:137], v[130:131], v[28:29]
	v_fma_f64 v[254:255], v[148:149], v[92:93], -v[94:95]
	v_mul_f64 v[92:93], v[162:163], v[98:99]
	ds_read_b128 v[132:135], v2 offset:1520
	v_add_f64 v[0:1], v[0:1], v[136:137]
	ds_read_b128 v[136:139], v2 offset:1536
	v_fma_f64 v[232:233], v[160:161], v[96:97], -v[92:93]
	scratch_load_dwordx4 v[96:99], off, off offset:832
	scratch_load_dwordx4 v[92:95], off, off offset:848
	v_mul_f64 v[102:103], v[174:175], v[102:103]
	v_fma_f64 v[20:21], v[172:173], v[100:101], -v[102:103]
	scratch_load_dwordx4 v[100:103], off, off offset:864
	v_accvgpr_write_b32 a133, v19
	v_mul_f64 v[6:7], v[186:187], v[106:107]
	v_accvgpr_write_b32 a132, v18
	v_accvgpr_write_b32 a131, v17
	;; [unrolled: 1-line block ×3, first 2 shown]
	v_fma_f64 v[16:17], v[184:185], v[104:105], -v[6:7]
	scratch_load_dwordx4 v[104:107], off, off offset:880
	s_waitcnt vmcnt(17) lgkmcnt(1)
	v_mul_f64 v[140:141], v[132:133], v[34:35]
	v_fmac_f64_e32 v[140:141], v[134:135], v[32:33]
	v_add_f64 v[0:1], v[0:1], v[140:141]
	ds_read_b128 v[140:143], v2 offset:1552
	v_accvgpr_write_b32 a129, v15
	v_mul_f64 v[6:7], v[198:199], v[146:147]
	v_accvgpr_write_b32 a128, v14
	v_accvgpr_write_b32 a127, v13
	;; [unrolled: 1-line block ×3, first 2 shown]
	v_fma_f64 v[12:13], v[196:197], v[144:145], -v[6:7]
	ds_read_b128 v[144:147], v2 offset:1568
	s_waitcnt vmcnt(16) lgkmcnt(2)
	v_mul_f64 v[148:149], v[136:137], v[38:39]
	v_fmac_f64_e32 v[148:149], v[138:139], v[36:37]
	v_add_f64 v[0:1], v[0:1], v[148:149]
	s_waitcnt vmcnt(15) lgkmcnt(1)
	v_mul_f64 v[6:7], v[140:141], v[42:43]
	ds_read_b128 v[148:151], v2 offset:1584
	v_fmac_f64_e32 v[6:7], v[142:143], v[40:41]
	v_add_f64 v[0:1], v[0:1], v[6:7]
	s_waitcnt vmcnt(14) lgkmcnt(1)
	v_mul_f64 v[6:7], v[144:145], v[46:47]
	v_fmac_f64_e32 v[6:7], v[146:147], v[44:45]
	v_accvgpr_write_b32 a125, v11
	v_add_f64 v[0:1], v[0:1], v[6:7]
	v_mul_f64 v[6:7], v[206:207], v[154:155]
	v_accvgpr_write_b32 a124, v10
	v_accvgpr_write_b32 a123, v9
	;; [unrolled: 1-line block ×3, first 2 shown]
	v_fma_f64 v[10:11], v[204:205], v[152:153], -v[6:7]
	ds_read_b128 v[152:155], v2 offset:1600
	s_waitcnt vmcnt(13) lgkmcnt(1)
	v_mul_f64 v[6:7], v[148:149], v[50:51]
	v_fmac_f64_e32 v[6:7], v[150:151], v[48:49]
	v_add_f64 v[0:1], v[0:1], v[6:7]
	v_mul_f64 v[6:7], v[210:211], v[158:159]
	v_fma_f64 v[14:15], v[208:209], v[156:157], -v[6:7]
	ds_read_b128 v[156:159], v2 offset:1616
	ds_read_b128 v[160:163], v2 offset:1632
	s_waitcnt vmcnt(12) lgkmcnt(2)
	v_mul_f64 v[6:7], v[152:153], v[58:59]
	v_fmac_f64_e32 v[6:7], v[154:155], v[56:57]
	v_add_f64 v[0:1], v[0:1], v[6:7]
	s_waitcnt vmcnt(11) lgkmcnt(1)
	v_mul_f64 v[6:7], v[156:157], v[62:63]
	v_fmac_f64_e32 v[6:7], v[158:159], v[60:61]
	v_add_f64 v[0:1], v[0:1], v[6:7]
	v_mul_f64 v[6:7], v[214:215], v[166:167]
	v_fma_f64 v[8:9], v[212:213], v[164:165], -v[6:7]
	ds_read_b128 v[164:167], v2 offset:1648
	v_mul_f64 v[18:19], v[218:219], v[170:171]
	v_fma_f64 v[18:19], v[216:217], v[168:169], -v[18:19]
	ds_read_b128 v[168:171], v2 offset:1664
	s_waitcnt vmcnt(10) lgkmcnt(2)
	v_mul_f64 v[6:7], v[160:161], v[66:67]
	v_fmac_f64_e32 v[6:7], v[162:163], v[64:65]
	v_add_f64 v[0:1], v[0:1], v[6:7]
	s_waitcnt vmcnt(9) lgkmcnt(1)
	v_mul_f64 v[6:7], v[164:165], v[70:71]
	ds_read_b128 v[172:175], v2 offset:1680
	v_fmac_f64_e32 v[6:7], v[166:167], v[68:69]
	v_add_f64 v[0:1], v[0:1], v[6:7]
	s_waitcnt vmcnt(8) lgkmcnt(1)
	v_mul_f64 v[6:7], v[168:169], v[74:75]
	v_fmac_f64_e32 v[6:7], v[170:171], v[72:73]
	v_add_f64 v[0:1], v[0:1], v[6:7]
	v_mul_f64 v[6:7], v[222:223], v[178:179]
	v_fma_f64 v[4:5], v[220:221], v[176:177], -v[6:7]
	ds_read_b128 v[176:179], v2 offset:1696
	s_waitcnt vmcnt(7) lgkmcnt(1)
	v_mul_f64 v[6:7], v[172:173], v[78:79]
	v_fmac_f64_e32 v[6:7], v[174:175], v[76:77]
	v_add_f64 v[0:1], v[0:1], v[6:7]
	v_mul_f64 v[6:7], v[226:227], v[182:183]
	v_fma_f64 v[6:7], v[224:225], v[180:181], -v[6:7]
	ds_read_b128 v[180:183], v2 offset:1712
	ds_read_b128 v[184:187], v2 offset:1728
	s_waitcnt vmcnt(6) lgkmcnt(2)
	v_mul_f64 v[22:23], v[176:177], v[82:83]
	v_fmac_f64_e32 v[22:23], v[178:179], v[80:81]
	v_add_f64 v[0:1], v[0:1], v[22:23]
	s_waitcnt vmcnt(5) lgkmcnt(1)
	v_mul_f64 v[22:23], v[180:181], v[86:87]
	v_fmac_f64_e32 v[22:23], v[182:183], v[84:85]
	v_add_f64 v[22:23], v[0:1], v[22:23]
	v_mul_f64 v[0:1], v[230:231], v[190:191]
	v_fma_f64 v[0:1], v[228:229], v[188:189], -v[0:1]
	ds_read_b128 v[188:191], v2 offset:1744
	s_waitcnt vmcnt(4) lgkmcnt(1)
	v_mul_f64 v[196:197], v[184:185], v[90:91]
	v_fmac_f64_e32 v[196:197], v[186:187], v[88:89]
	v_mul_f64 v[194:195], v[246:247], v[194:195]
	v_fma_f64 v[238:239], v[244:245], v[192:193], -v[194:195]
	ds_read_b128 v[192:195], v2 offset:1760
	v_add_f64 v[22:23], v[22:23], v[196:197]
	s_waitcnt vmcnt(3) lgkmcnt(1)
	v_mul_f64 v[196:197], v[188:189], v[98:99]
	v_fmac_f64_e32 v[196:197], v[190:191], v[96:97]
	v_add_f64 v[22:23], v[22:23], v[196:197]
	ds_read_b128 v[196:199], v2 offset:1776
	v_mul_f64 v[202:203], v[250:251], v[202:203]
	v_fma_f64 v[244:245], v[248:249], v[200:201], -v[202:203]
	ds_read_b128 v[200:203], v2 offset:1792
	s_waitcnt vmcnt(2) lgkmcnt(2)
	v_mul_f64 v[204:205], v[192:193], v[94:95]
	v_fmac_f64_e32 v[204:205], v[194:195], v[92:93]
	v_add_f64 v[22:23], v[22:23], v[204:205]
	s_waitcnt vmcnt(1) lgkmcnt(1)
	v_mul_f64 v[204:205], v[196:197], v[102:103]
	v_fmac_f64_e32 v[204:205], v[198:199], v[100:101]
	v_add_f64 v[22:23], v[22:23], v[204:205]
	;; [unrolled: 4-line block ×3, first 2 shown]
	scratch_load_dwordx4 v[204:207], off, off offset:896
	ds_read_b128 v[208:211], v2 offset:1808
	ds_read_b128 v[216:219], v2 offset:1824
	;; [unrolled: 1-line block ×3, first 2 shown]
	s_waitcnt vmcnt(0) lgkmcnt(2)
	v_mul_f64 v[212:213], v[208:209], v[206:207]
	v_fmac_f64_e32 v[212:213], v[210:211], v[204:205]
	v_add_f64 v[22:23], v[22:23], v[212:213]
	scratch_load_dwordx4 v[212:215], off, off offset:912
	s_waitcnt vmcnt(0) lgkmcnt(1)
	v_mul_f64 v[220:221], v[216:217], v[214:215]
	v_fmac_f64_e32 v[220:221], v[218:219], v[212:213]
	v_add_f64 v[22:23], v[22:23], v[220:221]
	scratch_load_dwordx4 v[220:223], off, off offset:928
	;; [unrolled: 5-line block ×3, first 2 shown]
	v_add_f64 v[22:23], v[240:241], 0
	v_add_f64 v[22:23], v[22:23], v[242:243]
	;; [unrolled: 1-line block ×14, first 2 shown]
	v_accvgpr_read_b32 v6, a118
	v_accvgpr_read_b32 v8, a120
	;; [unrolled: 1-line block ×3, first 2 shown]
	v_add_f64 v[0:1], v[4:5], v[0:1]
	v_accvgpr_read_b32 v7, a119
	v_mul_f64 v[4:5], v[54:55], v[8:9]
	v_add_f64 v[0:1], v[0:1], v[238:239]
	v_fma_f64 v[4:5], v[52:53], v[6:7], -v[4:5]
	v_accvgpr_read_b32 v6, a122
	v_add_f64 v[0:1], v[0:1], v[244:245]
	v_accvgpr_read_b32 v8, a124
	v_accvgpr_read_b32 v9, a125
	v_add_f64 v[0:1], v[0:1], v[4:5]
	v_accvgpr_read_b32 v7, a123
	v_mul_f64 v[4:5], v[110:111], v[8:9]
	v_fma_f64 v[4:5], v[108:109], v[6:7], -v[4:5]
	v_accvgpr_read_b32 v6, a126
	v_accvgpr_read_b32 v8, a128
	;; [unrolled: 1-line block ×3, first 2 shown]
	v_add_f64 v[0:1], v[0:1], v[4:5]
	v_accvgpr_read_b32 v7, a127
	v_mul_f64 v[4:5], v[114:115], v[8:9]
	v_fma_f64 v[4:5], v[112:113], v[6:7], -v[4:5]
	v_accvgpr_read_b32 v6, a130
	v_accvgpr_read_b32 v8, a132
	;; [unrolled: 1-line block ×3, first 2 shown]
	v_add_f64 v[0:1], v[0:1], v[4:5]
	v_accvgpr_read_b32 v7, a131
	v_mul_f64 v[4:5], v[118:119], v[8:9]
	v_fma_f64 v[4:5], v[116:117], v[6:7], -v[4:5]
	v_add_f64 v[0:1], v[0:1], v[4:5]
	v_mul_f64 v[4:5], v[122:123], v[236:237]
	v_fma_f64 v[4:5], v[120:121], v[234:235], -v[4:5]
	v_add_f64 v[0:1], v[0:1], v[4:5]
	v_mul_f64 v[4:5], v[126:127], v[26:27]
	v_fma_f64 v[4:5], v[124:125], v[24:25], -v[4:5]
	v_add_f64 v[0:1], v[0:1], v[4:5]
	v_mul_f64 v[4:5], v[130:131], v[30:31]
	v_fma_f64 v[4:5], v[128:129], v[28:29], -v[4:5]
	v_add_f64 v[0:1], v[0:1], v[4:5]
	v_mul_f64 v[4:5], v[134:135], v[34:35]
	v_fma_f64 v[4:5], v[132:133], v[32:33], -v[4:5]
	v_add_f64 v[0:1], v[0:1], v[4:5]
	v_mul_f64 v[4:5], v[138:139], v[38:39]
	v_fma_f64 v[4:5], v[136:137], v[36:37], -v[4:5]
	v_add_f64 v[0:1], v[0:1], v[4:5]
	v_mul_f64 v[4:5], v[142:143], v[42:43]
	v_fma_f64 v[4:5], v[140:141], v[40:41], -v[4:5]
	v_add_f64 v[0:1], v[0:1], v[4:5]
	v_mul_f64 v[4:5], v[146:147], v[46:47]
	v_fma_f64 v[4:5], v[144:145], v[44:45], -v[4:5]
	v_add_f64 v[0:1], v[0:1], v[4:5]
	v_mul_f64 v[4:5], v[150:151], v[50:51]
	v_fma_f64 v[4:5], v[148:149], v[48:49], -v[4:5]
	v_add_f64 v[0:1], v[0:1], v[4:5]
	v_mul_f64 v[4:5], v[154:155], v[58:59]
	v_fma_f64 v[4:5], v[152:153], v[56:57], -v[4:5]
	v_add_f64 v[0:1], v[0:1], v[4:5]
	v_mul_f64 v[4:5], v[158:159], v[62:63]
	v_fma_f64 v[4:5], v[156:157], v[60:61], -v[4:5]
	v_add_f64 v[0:1], v[0:1], v[4:5]
	v_mul_f64 v[4:5], v[162:163], v[66:67]
	v_fma_f64 v[4:5], v[160:161], v[64:65], -v[4:5]
	v_add_f64 v[0:1], v[0:1], v[4:5]
	v_mul_f64 v[4:5], v[166:167], v[70:71]
	v_fma_f64 v[4:5], v[164:165], v[68:69], -v[4:5]
	v_add_f64 v[0:1], v[0:1], v[4:5]
	v_mul_f64 v[4:5], v[170:171], v[74:75]
	v_fma_f64 v[4:5], v[168:169], v[72:73], -v[4:5]
	v_add_f64 v[0:1], v[0:1], v[4:5]
	v_mul_f64 v[4:5], v[174:175], v[78:79]
	v_fma_f64 v[4:5], v[172:173], v[76:77], -v[4:5]
	v_add_f64 v[0:1], v[0:1], v[4:5]
	v_mul_f64 v[4:5], v[178:179], v[82:83]
	v_fma_f64 v[4:5], v[176:177], v[80:81], -v[4:5]
	v_add_f64 v[0:1], v[0:1], v[4:5]
	v_mul_f64 v[4:5], v[182:183], v[86:87]
	v_fma_f64 v[4:5], v[180:181], v[84:85], -v[4:5]
	v_add_f64 v[0:1], v[0:1], v[4:5]
	v_mul_f64 v[4:5], v[186:187], v[90:91]
	v_fma_f64 v[4:5], v[184:185], v[88:89], -v[4:5]
	v_add_f64 v[0:1], v[0:1], v[4:5]
	v_mul_f64 v[4:5], v[190:191], v[98:99]
	v_fma_f64 v[4:5], v[188:189], v[96:97], -v[4:5]
	v_add_f64 v[0:1], v[0:1], v[4:5]
	v_mul_f64 v[4:5], v[194:195], v[94:95]
	v_fma_f64 v[4:5], v[192:193], v[92:93], -v[4:5]
	v_add_f64 v[0:1], v[0:1], v[4:5]
	v_mul_f64 v[4:5], v[198:199], v[102:103]
	v_fma_f64 v[4:5], v[196:197], v[100:101], -v[4:5]
	v_add_f64 v[0:1], v[0:1], v[4:5]
	v_mul_f64 v[4:5], v[202:203], v[106:107]
	v_fma_f64 v[4:5], v[200:201], v[104:105], -v[4:5]
	v_add_f64 v[0:1], v[0:1], v[4:5]
	v_mul_f64 v[4:5], v[210:211], v[206:207]
	v_fma_f64 v[4:5], v[208:209], v[204:205], -v[4:5]
	v_add_f64 v[0:1], v[0:1], v[4:5]
	v_mul_f64 v[4:5], v[218:219], v[214:215]
	v_fma_f64 v[4:5], v[216:217], v[212:213], -v[4:5]
	v_add_f64 v[0:1], v[0:1], v[4:5]
	v_mul_f64 v[4:5], v[226:227], v[222:223]
	v_fma_f64 v[4:5], v[224:225], v[220:221], -v[4:5]
	v_add_f64 v[0:1], v[0:1], v[4:5]
	s_waitcnt vmcnt(0)
	v_add_f64 v[4:5], v[228:229], -v[0:1]
	v_accvgpr_read_b32 v0, a116
	v_add_f64 v[6:7], v[230:231], -v[248:249]
	v_cmp_lt_u32_e32 vcc, 11, v0
	scratch_store_dwordx4 off, v[4:7], off offset:208
	s_and_saveexec_b64 s[0:1], vcc
	s_cbranch_execz .LBB121_339
; %bb.338:
	scratch_load_dwordx4 v[6:9], off, s63
	v_mov_b32_e32 v3, v2
	v_mov_b32_e32 v4, v2
	v_mov_b32_e32 v5, v2
	v_accvgpr_read_b32 v0, a117
	scratch_store_dwordx4 off, v[2:5], off offset:192
	s_waitcnt vmcnt(1)
	ds_write_b128 v0, v[6:9]
.LBB121_339:
	s_or_b64 exec, exec, s[0:1]
	s_waitcnt lgkmcnt(0)
	; wave barrier
	scratch_load_dwordx4 v[80:83], off, off offset:208
	scratch_load_dwordx4 v[84:87], off, off offset:224
	scratch_load_dwordx4 v[88:91], off, off offset:240
	scratch_load_dwordx4 v[92:95], off, off offset:256
	scratch_load_dwordx4 v[96:99], off, off offset:272
	scratch_load_dwordx4 v[100:103], off, off offset:288
	scratch_load_dwordx4 v[104:107], off, off offset:304
	scratch_load_dwordx4 v[144:147], off, off offset:320
	scratch_load_dwordx4 v[152:155], off, off offset:336
	scratch_load_dwordx4 v[156:159], off, off offset:352
	scratch_load_dwordx4 v[164:167], off, off offset:368
	scratch_load_dwordx4 v[168:171], off, off offset:384
	scratch_load_dwordx4 v[176:179], off, off offset:400
	scratch_load_dwordx4 v[180:183], off, off offset:416
	scratch_load_dwordx4 v[188:191], off, off offset:432
	scratch_load_dwordx4 v[192:195], off, off offset:448
	scratch_load_dwordx4 v[200:203], off, off offset:464
	ds_read_b128 v[136:139], v2 offset:1120
	ds_read_b128 v[132:135], v2 offset:1136
	scratch_load_dwordx4 v[4:7], off, off offset:480
	ds_read_b128 v[236:239], v2 offset:1152
	ds_read_b128 v[228:231], v2 offset:1168
	;; [unrolled: 1-line block ×5, first 2 shown]
	scratch_load_dwordx4 v[8:11], off, off offset:496
	ds_read_b128 v[232:235], v2 offset:1232
	ds_read_b128 v[216:219], v2 offset:1248
	;; [unrolled: 1-line block ×3, first 2 shown]
	scratch_load_dwordx4 v[12:15], off, off offset:512
	ds_read_b128 v[220:223], v2 offset:1280
	ds_read_b128 v[172:175], v2 offset:1296
	;; [unrolled: 1-line block ×5, first 2 shown]
	scratch_load_dwordx4 v[16:19], off, off offset:528
	ds_read_b128 v[208:211], v2 offset:1360
	ds_read_b128 v[204:207], v2 offset:1376
	ds_read_b128 v[20:23], v2 offset:1392
	scratch_load_dwordx4 v[24:27], off, off offset:544
	scratch_load_dwordx4 v[28:31], off, off offset:560
	;; [unrolled: 1-line block ×8, first 2 shown]
	ds_read_b128 v[116:119], v2 offset:1440
	ds_read_b128 v[120:123], v2 offset:1456
	;; [unrolled: 1-line block ×4, first 2 shown]
	s_waitcnt vmcnt(28) lgkmcnt(14)
	v_mul_f64 v[0:1], v[136:137], v[82:83]
	s_waitcnt vmcnt(27)
	v_mul_f64 v[56:57], v[132:133], v[86:87]
	v_fmac_f64_e32 v[0:1], v[138:139], v[80:81]
	s_waitcnt vmcnt(26)
	v_mul_f64 v[58:59], v[236:237], v[90:91]
	v_fmac_f64_e32 v[56:57], v[134:135], v[84:85]
	v_add_f64 v[0:1], v[0:1], 0
	s_waitcnt vmcnt(25)
	v_mul_f64 v[60:61], v[228:229], v[94:95]
	v_fmac_f64_e32 v[58:59], v[238:239], v[88:89]
	v_add_f64 v[0:1], v[0:1], v[56:57]
	;; [unrolled: 4-line block ×6, first 2 shown]
	s_waitcnt vmcnt(20) lgkmcnt(13)
	v_mul_f64 v[70:71], v[216:217], v[154:155]
	v_fmac_f64_e32 v[68:69], v[234:235], v[144:145]
	v_add_f64 v[0:1], v[0:1], v[66:67]
	s_waitcnt vmcnt(19) lgkmcnt(12)
	v_mul_f64 v[72:73], v[160:161], v[158:159]
	v_fmac_f64_e32 v[70:71], v[218:219], v[152:153]
	v_add_f64 v[0:1], v[0:1], v[68:69]
	;; [unrolled: 4-line block ×7, first 2 shown]
	v_fmac_f64_e32 v[110:111], v[198:199], v[188:189]
	v_add_f64 v[0:1], v[0:1], v[108:109]
	s_waitcnt vmcnt(13) lgkmcnt(6)
	v_mul_f64 v[112:113], v[208:209], v[194:195]
	v_add_f64 v[0:1], v[0:1], v[110:111]
	scratch_load_dwordx4 v[56:59], off, off offset:672
	scratch_load_dwordx4 v[60:63], off, off offset:688
	ds_read_b128 v[108:111], v2 offset:1408
	s_waitcnt vmcnt(14) lgkmcnt(6)
	v_mul_f64 v[114:115], v[204:205], v[202:203]
	v_fmac_f64_e32 v[112:113], v[210:211], v[192:193]
	v_add_f64 v[0:1], v[0:1], v[112:113]
	v_fmac_f64_e32 v[114:115], v[206:207], v[200:201]
	s_waitcnt vmcnt(13) lgkmcnt(5)
	v_mul_f64 v[64:65], v[20:21], v[6:7]
	v_accvgpr_write_b32 a121, v7
	v_add_f64 v[0:1], v[0:1], v[114:115]
	v_fmac_f64_e32 v[64:65], v[22:23], v[4:5]
	v_accvgpr_write_b32 a120, v6
	v_accvgpr_write_b32 a119, v5
	v_accvgpr_write_b32 a118, v4
	ds_read_b128 v[112:115], v2 offset:1424
	s_waitcnt vmcnt(12)
	v_mov_b64_e32 v[4:5], v[8:9]
	v_mov_b64_e32 v[6:7], v[10:11]
	s_waitcnt lgkmcnt(1)
	v_mul_f64 v[68:69], v[108:109], v[6:7]
	v_fmac_f64_e32 v[68:69], v[110:111], v[4:5]
	s_waitcnt vmcnt(11)
	v_mov_b64_e32 v[4:5], v[12:13]
	v_add_f64 v[0:1], v[0:1], v[64:65]
	v_mov_b64_e32 v[6:7], v[14:15]
	v_add_f64 v[0:1], v[0:1], v[68:69]
	s_waitcnt lgkmcnt(0)
	v_mul_f64 v[68:69], v[112:113], v[6:7]
	scratch_load_dwordx4 v[64:67], off, off offset:704
	v_fmac_f64_e32 v[68:69], v[114:115], v[4:5]
	v_add_f64 v[0:1], v[0:1], v[68:69]
	scratch_load_dwordx4 v[68:71], off, off offset:720
	scratch_load_dwordx4 v[72:75], off, off offset:736
	s_waitcnt vmcnt(13)
	v_mul_f64 v[76:77], v[116:117], v[18:19]
	v_fmac_f64_e32 v[76:77], v[118:119], v[16:17]
	v_add_f64 v[0:1], v[0:1], v[76:77]
	s_waitcnt vmcnt(12)
	v_mul_f64 v[76:77], v[120:121], v[26:27]
	v_fmac_f64_e32 v[76:77], v[122:123], v[24:25]
	v_add_f64 v[0:1], v[0:1], v[76:77]
	scratch_load_dwordx4 v[76:79], off, off offset:752
	v_mul_f64 v[82:83], v[138:139], v[82:83]
	v_fma_f64 v[240:241], v[136:137], v[80:81], -v[82:83]
	scratch_load_dwordx4 v[80:83], off, off offset:768
	v_mul_f64 v[86:87], v[134:135], v[86:87]
	v_fma_f64 v[242:243], v[132:133], v[84:85], -v[86:87]
	scratch_load_dwordx4 v[84:87], off, off offset:784
	s_waitcnt vmcnt(14)
	v_mul_f64 v[136:137], v[124:125], v[30:31]
	v_mul_f64 v[90:91], v[238:239], v[90:91]
	v_fmac_f64_e32 v[136:137], v[126:127], v[28:29]
	v_fma_f64 v[236:237], v[236:237], v[88:89], -v[90:91]
	scratch_load_dwordx4 v[88:91], off, off offset:800
	v_add_f64 v[0:1], v[0:1], v[136:137]
	s_waitcnt vmcnt(14)
	v_mul_f64 v[136:137], v[128:129], v[34:35]
	v_mul_f64 v[94:95], v[230:231], v[94:95]
	v_fmac_f64_e32 v[136:137], v[130:131], v[32:33]
	v_fma_f64 v[238:239], v[228:229], v[92:93], -v[94:95]
	v_mul_f64 v[92:93], v[226:227], v[98:99]
	ds_read_b128 v[132:135], v2 offset:1504
	v_add_f64 v[0:1], v[0:1], v[136:137]
	ds_read_b128 v[136:139], v2 offset:1520
	v_fma_f64 v[248:249], v[224:225], v[96:97], -v[92:93]
	scratch_load_dwordx4 v[96:99], off, off offset:816
	scratch_load_dwordx4 v[92:95], off, off offset:832
	v_mul_f64 v[102:103], v[150:151], v[102:103]
	v_fma_f64 v[250:251], v[148:149], v[100:101], -v[102:103]
	scratch_load_dwordx4 v[100:103], off, off offset:848
	v_mul_f64 v[106:107], v[142:143], v[106:107]
	v_fma_f64 v[252:253], v[140:141], v[104:105], -v[106:107]
	v_mul_f64 v[104:105], v[234:235], v[146:147]
	v_fma_f64 v[254:255], v[232:233], v[144:145], -v[104:105]
	scratch_load_dwordx4 v[104:107], off, off offset:864
	ds_read_b128 v[140:143], v2 offset:1536
	ds_read_b128 v[144:147], v2 offset:1552
	s_waitcnt vmcnt(17) lgkmcnt(3)
	v_mul_f64 v[228:229], v[132:133], v[38:39]
	v_fmac_f64_e32 v[228:229], v[134:135], v[36:37]
	s_waitcnt vmcnt(16) lgkmcnt(2)
	v_mul_f64 v[224:225], v[136:137], v[42:43]
	v_add_f64 v[0:1], v[0:1], v[228:229]
	v_fmac_f64_e32 v[224:225], v[138:139], v[40:41]
	s_waitcnt vmcnt(15) lgkmcnt(1)
	v_mul_f64 v[148:149], v[140:141], v[46:47]
	v_add_f64 v[0:1], v[0:1], v[224:225]
	v_fmac_f64_e32 v[148:149], v[142:143], v[44:45]
	v_add_f64 v[0:1], v[0:1], v[148:149]
	ds_read_b128 v[148:151], v2 offset:1568
	v_mul_f64 v[154:155], v[218:219], v[154:155]
	v_fma_f64 v[244:245], v[216:217], v[152:153], -v[154:155]
	ds_read_b128 v[152:155], v2 offset:1584
	v_accvgpr_write_b32 a129, v15
	v_mul_f64 v[158:159], v[162:163], v[158:159]
	v_accvgpr_write_b32 a128, v14
	v_accvgpr_write_b32 a127, v13
	;; [unrolled: 1-line block ×3, first 2 shown]
	v_fma_f64 v[12:13], v[160:161], v[156:157], -v[158:159]
	ds_read_b128 v[156:159], v2 offset:1600
	ds_read_b128 v[160:163], v2 offset:1616
	s_waitcnt vmcnt(14) lgkmcnt(4)
	v_mul_f64 v[224:225], v[144:145], v[50:51]
	v_fmac_f64_e32 v[224:225], v[146:147], v[48:49]
	s_waitcnt vmcnt(13) lgkmcnt(3)
	v_mul_f64 v[216:217], v[148:149], v[54:55]
	v_add_f64 v[0:1], v[0:1], v[224:225]
	v_fmac_f64_e32 v[216:217], v[150:151], v[52:53]
	s_waitcnt vmcnt(12) lgkmcnt(2)
	v_mul_f64 v[6:7], v[152:153], v[58:59]
	v_add_f64 v[0:1], v[0:1], v[216:217]
	v_fmac_f64_e32 v[6:7], v[154:155], v[56:57]
	v_add_f64 v[0:1], v[0:1], v[6:7]
	s_waitcnt vmcnt(11) lgkmcnt(1)
	v_mul_f64 v[6:7], v[156:157], v[62:63]
	v_fmac_f64_e32 v[6:7], v[158:159], v[60:61]
	v_accvgpr_write_b32 a125, v11
	v_add_f64 v[0:1], v[0:1], v[6:7]
	v_mul_f64 v[6:7], v[222:223], v[166:167]
	v_accvgpr_write_b32 a124, v10
	v_accvgpr_write_b32 a123, v9
	;; [unrolled: 1-line block ×3, first 2 shown]
	v_fma_f64 v[8:9], v[220:221], v[164:165], -v[6:7]
	ds_read_b128 v[164:167], v2 offset:1632
	v_mul_f64 v[170:171], v[174:175], v[170:171]
	v_fma_f64 v[6:7], v[172:173], v[168:169], -v[170:171]
	ds_read_b128 v[168:171], v2 offset:1648
	s_waitcnt vmcnt(10) lgkmcnt(2)
	v_mul_f64 v[216:217], v[160:161], v[66:67]
	v_fmac_f64_e32 v[216:217], v[162:163], v[64:65]
	s_waitcnt vmcnt(9) lgkmcnt(1)
	v_mul_f64 v[10:11], v[164:165], v[70:71]
	v_add_f64 v[0:1], v[0:1], v[216:217]
	v_fmac_f64_e32 v[10:11], v[166:167], v[68:69]
	v_add_f64 v[0:1], v[0:1], v[10:11]
	s_waitcnt vmcnt(8) lgkmcnt(0)
	v_mul_f64 v[10:11], v[168:169], v[74:75]
	v_fmac_f64_e32 v[10:11], v[170:171], v[72:73]
	ds_read_b128 v[172:175], v2 offset:1664
	v_add_f64 v[0:1], v[0:1], v[10:11]
	v_mul_f64 v[10:11], v[214:215], v[178:179]
	v_fma_f64 v[10:11], v[212:213], v[176:177], -v[10:11]
	ds_read_b128 v[176:179], v2 offset:1680
	v_mul_f64 v[182:183], v[186:187], v[182:183]
	v_fma_f64 v[4:5], v[184:185], v[180:181], -v[182:183]
	ds_read_b128 v[180:183], v2 offset:1696
	ds_read_b128 v[184:187], v2 offset:1712
	s_waitcnt vmcnt(7) lgkmcnt(3)
	v_mul_f64 v[212:213], v[172:173], v[78:79]
	v_fmac_f64_e32 v[212:213], v[174:175], v[76:77]
	s_waitcnt vmcnt(6) lgkmcnt(2)
	v_mul_f64 v[14:15], v[176:177], v[82:83]
	v_add_f64 v[0:1], v[0:1], v[212:213]
	v_fmac_f64_e32 v[14:15], v[178:179], v[80:81]
	v_add_f64 v[0:1], v[0:1], v[14:15]
	s_waitcnt vmcnt(5) lgkmcnt(1)
	v_mul_f64 v[14:15], v[180:181], v[86:87]
	v_fmac_f64_e32 v[14:15], v[182:183], v[84:85]
	v_add_f64 v[14:15], v[0:1], v[14:15]
	v_mul_f64 v[0:1], v[198:199], v[190:191]
	v_fma_f64 v[0:1], v[196:197], v[188:189], -v[0:1]
	ds_read_b128 v[188:191], v2 offset:1728
	v_mul_f64 v[194:195], v[210:211], v[194:195]
	s_waitcnt vmcnt(4) lgkmcnt(1)
	v_mul_f64 v[196:197], v[184:185], v[90:91]
	v_fma_f64 v[192:193], v[208:209], v[192:193], -v[194:195]
	v_fmac_f64_e32 v[196:197], v[186:187], v[88:89]
	v_accvgpr_write_b32 a130, v192
	v_accvgpr_write_b32 a131, v193
	ds_read_b128 v[192:195], v2 offset:1744
	v_add_f64 v[14:15], v[14:15], v[196:197]
	s_waitcnt vmcnt(3) lgkmcnt(1)
	v_mul_f64 v[196:197], v[188:189], v[98:99]
	v_fmac_f64_e32 v[196:197], v[190:191], v[96:97]
	v_add_f64 v[14:15], v[14:15], v[196:197]
	ds_read_b128 v[196:199], v2 offset:1760
	v_mul_f64 v[202:203], v[206:207], v[202:203]
	v_fma_f64 v[246:247], v[204:205], v[200:201], -v[202:203]
	ds_read_b128 v[200:203], v2 offset:1776
	s_waitcnt vmcnt(2) lgkmcnt(2)
	v_mul_f64 v[204:205], v[192:193], v[94:95]
	v_fmac_f64_e32 v[204:205], v[194:195], v[92:93]
	v_add_f64 v[14:15], v[14:15], v[204:205]
	s_waitcnt vmcnt(1) lgkmcnt(1)
	v_mul_f64 v[204:205], v[196:197], v[102:103]
	v_fmac_f64_e32 v[204:205], v[198:199], v[100:101]
	v_add_f64 v[14:15], v[14:15], v[204:205]
	;; [unrolled: 4-line block ×3, first 2 shown]
	scratch_load_dwordx4 v[204:207], off, off offset:880
	scratch_load_dwordx4 v[232:235], off, off offset:928
	ds_read_b128 v[208:211], v2 offset:1792
	ds_read_b128 v[216:219], v2 offset:1808
	;; [unrolled: 1-line block ×3, first 2 shown]
	s_waitcnt vmcnt(1) lgkmcnt(2)
	v_mul_f64 v[212:213], v[208:209], v[206:207]
	v_fmac_f64_e32 v[212:213], v[210:211], v[204:205]
	v_add_f64 v[14:15], v[14:15], v[212:213]
	scratch_load_dwordx4 v[212:215], off, off offset:896
	s_waitcnt vmcnt(0) lgkmcnt(1)
	v_mul_f64 v[220:221], v[216:217], v[214:215]
	v_fmac_f64_e32 v[220:221], v[218:219], v[212:213]
	v_add_f64 v[14:15], v[14:15], v[220:221]
	scratch_load_dwordx4 v[220:223], off, off offset:912
	s_waitcnt vmcnt(0) lgkmcnt(0)
	v_mul_f64 v[228:229], v[224:225], v[222:223]
	v_fmac_f64_e32 v[228:229], v[226:227], v[220:221]
	v_add_f64 v[14:15], v[14:15], v[228:229]
	ds_read_b128 v[228:231], v2 offset:1840
	s_waitcnt lgkmcnt(0)
	v_mul_f64 v[2:3], v[228:229], v[234:235]
	v_fmac_f64_e32 v[2:3], v[230:231], v[232:233]
	v_add_f64 v[2:3], v[14:15], v[2:3]
	v_add_f64 v[14:15], v[240:241], 0
	;; [unrolled: 1-line block ×5, first 2 shown]
	scratch_load_dwordx4 v[236:239], off, off offset:192
	v_add_f64 v[14:15], v[14:15], v[248:249]
	v_add_f64 v[14:15], v[14:15], v[250:251]
	;; [unrolled: 1-line block ×10, first 2 shown]
	v_accvgpr_read_b32 v6, a118
	v_add_f64 v[248:249], v[4:5], v[0:1]
	v_accvgpr_read_b32 v0, a130
	v_accvgpr_read_b32 v8, a120
	;; [unrolled: 1-line block ×5, first 2 shown]
	v_mul_f64 v[4:5], v[22:23], v[8:9]
	v_add_f64 v[0:1], v[248:249], v[0:1]
	v_fma_f64 v[4:5], v[20:21], v[6:7], -v[4:5]
	v_accvgpr_read_b32 v6, a122
	v_add_f64 v[0:1], v[0:1], v[246:247]
	v_accvgpr_read_b32 v8, a124
	v_accvgpr_read_b32 v9, a125
	v_add_f64 v[0:1], v[0:1], v[4:5]
	v_accvgpr_read_b32 v7, a123
	v_mul_f64 v[4:5], v[110:111], v[8:9]
	v_fma_f64 v[4:5], v[108:109], v[6:7], -v[4:5]
	v_accvgpr_read_b32 v6, a126
	v_accvgpr_read_b32 v8, a128
	;; [unrolled: 1-line block ×3, first 2 shown]
	v_add_f64 v[0:1], v[0:1], v[4:5]
	v_accvgpr_read_b32 v7, a127
	v_mul_f64 v[4:5], v[114:115], v[8:9]
	v_fma_f64 v[4:5], v[112:113], v[6:7], -v[4:5]
	v_add_f64 v[0:1], v[0:1], v[4:5]
	v_mul_f64 v[4:5], v[118:119], v[18:19]
	v_fma_f64 v[4:5], v[116:117], v[16:17], -v[4:5]
	v_add_f64 v[0:1], v[0:1], v[4:5]
	;; [unrolled: 3-line block ×27, first 2 shown]
	s_waitcnt vmcnt(0)
	v_add_f64 v[4:5], v[236:237], -v[0:1]
	v_accvgpr_read_b32 v0, a116
	v_add_f64 v[6:7], v[238:239], -v[2:3]
	v_cmp_lt_u32_e32 vcc, 10, v0
	scratch_store_dwordx4 off, v[4:7], off offset:192
	s_and_saveexec_b64 s[0:1], vcc
	s_cbranch_execz .LBB121_341
; %bb.340:
	scratch_load_dwordx4 v[2:5], off, s64
	v_mov_b32_e32 v6, 0
	v_mov_b32_e32 v7, v6
	;; [unrolled: 1-line block ×4, first 2 shown]
	v_accvgpr_read_b32 v0, a117
	scratch_store_dwordx4 off, v[6:9], off offset:176
	s_waitcnt vmcnt(1)
	ds_write_b128 v0, v[2:5]
.LBB121_341:
	s_or_b64 exec, exec, s[0:1]
	s_waitcnt lgkmcnt(0)
	; wave barrier
	scratch_load_dwordx4 v[68:71], off, off offset:192
	scratch_load_dwordx4 v[72:75], off, off offset:208
	;; [unrolled: 1-line block ×28, first 2 shown]
	v_mov_b32_e32 v2, 0
	ds_read_b128 v[124:127], v2 offset:1104
	ds_read_b128 v[128:131], v2 offset:1120
	;; [unrolled: 1-line block ×23, first 2 shown]
	s_waitcnt vmcnt(27) lgkmcnt(14)
	v_mul_f64 v[0:1], v[124:125], v[70:71]
	s_waitcnt vmcnt(26)
	v_mul_f64 v[40:41], v[128:129], v[74:75]
	v_fmac_f64_e32 v[0:1], v[126:127], v[68:69]
	s_waitcnt vmcnt(25)
	v_mul_f64 v[42:43], v[132:133], v[78:79]
	v_fmac_f64_e32 v[40:41], v[130:131], v[72:73]
	v_add_f64 v[0:1], v[0:1], 0
	s_waitcnt vmcnt(24)
	v_mul_f64 v[44:45], v[136:137], v[82:83]
	v_fmac_f64_e32 v[42:43], v[134:135], v[76:77]
	v_add_f64 v[0:1], v[0:1], v[40:41]
	;; [unrolled: 4-line block ×7, first 2 shown]
	s_waitcnt vmcnt(18) lgkmcnt(13)
	v_mul_f64 v[56:57], v[200:201], v[146:147]
	v_fmac_f64_e32 v[54:55], v[194:195], v[112:113]
	v_add_f64 v[0:1], v[0:1], v[52:53]
	s_waitcnt vmcnt(17) lgkmcnt(12)
	v_mul_f64 v[58:59], v[204:205], v[150:151]
	v_fmac_f64_e32 v[56:57], v[202:203], v[144:145]
	v_add_f64 v[0:1], v[0:1], v[54:55]
	;; [unrolled: 4-line block ×7, first 2 shown]
	scratch_load_dwordx4 v[40:43], off, off offset:640
	scratch_load_dwordx4 v[44:47], off, off offset:656
	s_waitcnt vmcnt(13) lgkmcnt(6)
	v_mul_f64 v[102:103], v[228:229], v[186:187]
	v_fmac_f64_e32 v[100:101], v[226:227], v[176:177]
	v_add_f64 v[0:1], v[0:1], v[66:67]
	v_add_f64 v[0:1], v[0:1], v[100:101]
	v_fmac_f64_e32 v[102:103], v[230:231], v[184:185]
	v_add_f64 v[0:1], v[0:1], v[102:103]
	ds_read_b128 v[100:103], v2 offset:1408
	s_waitcnt vmcnt(12) lgkmcnt(6)
	v_mul_f64 v[48:49], v[244:245], v[190:191]
	v_fmac_f64_e32 v[48:49], v[246:247], v[188:189]
	v_add_f64 v[0:1], v[0:1], v[48:49]
	s_waitcnt vmcnt(11) lgkmcnt(5)
	v_mul_f64 v[48:49], v[248:249], v[198:199]
	v_fmac_f64_e32 v[48:49], v[250:251], v[196:197]
	v_add_f64 v[0:1], v[0:1], v[48:49]
	scratch_load_dwordx4 v[48:51], off, off offset:672
	scratch_load_dwordx4 v[52:55], off, off offset:688
	s_waitcnt vmcnt(12) lgkmcnt(0)
	v_mul_f64 v[56:57], v[100:101], v[6:7]
	v_accvgpr_write_b32 a121, v7
	v_fmac_f64_e32 v[56:57], v[102:103], v[4:5]
	v_accvgpr_write_b32 a120, v6
	v_accvgpr_write_b32 a119, v5
	;; [unrolled: 1-line block ×3, first 2 shown]
	s_waitcnt vmcnt(11)
	v_mov_b64_e32 v[4:5], v[8:9]
	v_mov_b64_e32 v[6:7], v[10:11]
	v_add_f64 v[0:1], v[0:1], v[56:57]
	v_mul_f64 v[56:57], v[104:105], v[6:7]
	v_fmac_f64_e32 v[56:57], v[106:107], v[4:5]
	v_add_f64 v[0:1], v[0:1], v[56:57]
	scratch_load_dwordx4 v[56:59], off, off offset:704
	s_waitcnt vmcnt(11)
	v_mov_b64_e32 v[4:5], v[12:13]
	v_mov_b64_e32 v[6:7], v[14:15]
	v_mul_f64 v[60:61], v[108:109], v[6:7]
	v_fmac_f64_e32 v[60:61], v[110:111], v[4:5]
	s_waitcnt vmcnt(10)
	v_mov_b64_e32 v[4:5], v[16:17]
	v_mov_b64_e32 v[6:7], v[18:19]
	v_add_f64 v[0:1], v[0:1], v[60:61]
	scratch_load_dwordx4 v[60:63], off, off offset:720
	v_mul_f64 v[64:65], v[116:117], v[6:7]
	v_fmac_f64_e32 v[64:65], v[118:119], v[4:5]
	v_add_f64 v[0:1], v[0:1], v[64:65]
	scratch_load_dwordx4 v[64:67], off, off offset:736
	v_mul_f64 v[70:71], v[126:127], v[70:71]
	s_waitcnt vmcnt(11)
	v_mov_b64_e32 v[4:5], v[20:21]
	v_fma_f64 v[240:241], v[124:125], v[68:69], -v[70:71]
	v_mov_b64_e32 v[6:7], v[22:23]
	scratch_load_dwordx4 v[68:71], off, off offset:752
	v_mul_f64 v[124:125], v[120:121], v[6:7]
	v_mul_f64 v[74:75], v[130:131], v[74:75]
	v_fmac_f64_e32 v[124:125], v[122:123], v[4:5]
	v_fma_f64 v[242:243], v[128:129], v[72:73], -v[74:75]
	scratch_load_dwordx4 v[72:75], off, off offset:768
	v_mul_f64 v[78:79], v[134:135], v[78:79]
	v_add_f64 v[0:1], v[0:1], v[124:125]
	ds_read_b128 v[124:127], v2 offset:1488
	ds_read_b128 v[128:131], v2 offset:1504
	v_fma_f64 v[252:253], v[132:133], v[76:77], -v[78:79]
	v_mul_f64 v[76:77], v[138:139], v[82:83]
	v_fma_f64 v[254:255], v[136:137], v[80:81], -v[76:77]
	scratch_load_dwordx4 v[76:79], off, off offset:784
	s_waitcnt vmcnt(13) lgkmcnt(1)
	v_mul_f64 v[132:133], v[124:125], v[236:237]
	v_fmac_f64_e32 v[132:133], v[126:127], v[234:235]
	v_add_f64 v[0:1], v[0:1], v[132:133]
	s_waitcnt vmcnt(12) lgkmcnt(0)
	v_mul_f64 v[132:133], v[128:129], v[30:31]
	scratch_load_dwordx4 v[80:83], off, off offset:800
	v_fmac_f64_e32 v[132:133], v[130:131], v[28:29]
	v_mul_f64 v[86:87], v[142:143], v[86:87]
	v_add_f64 v[0:1], v[0:1], v[132:133]
	v_fma_f64 v[232:233], v[140:141], v[84:85], -v[86:87]
	ds_read_b128 v[132:135], v2 offset:1520
	v_mul_f64 v[84:85], v[158:159], v[90:91]
	v_fma_f64 v[24:25], v[156:157], v[88:89], -v[84:85]
	scratch_load_dwordx4 v[88:91], off, off offset:816
	scratch_load_dwordx4 v[84:87], off, off offset:832
	v_accvgpr_write_b32 a137, v23
	v_mul_f64 v[6:7], v[170:171], v[94:95]
	v_accvgpr_write_b32 a136, v22
	v_accvgpr_write_b32 a135, v21
	;; [unrolled: 1-line block ×3, first 2 shown]
	v_fma_f64 v[20:21], v[168:169], v[92:93], -v[6:7]
	s_waitcnt vmcnt(14) lgkmcnt(0)
	v_mul_f64 v[6:7], v[132:133], v[34:35]
	v_fmac_f64_e32 v[6:7], v[134:135], v[32:33]
	v_accvgpr_write_b32 a133, v19
	v_add_f64 v[0:1], v[0:1], v[6:7]
	v_mul_f64 v[6:7], v[182:183], v[98:99]
	v_accvgpr_write_b32 a132, v18
	v_accvgpr_write_b32 a131, v17
	v_accvgpr_write_b32 a130, v16
	ds_read_b128 v[136:139], v2 offset:1536
	v_fma_f64 v[16:17], v[180:181], v[96:97], -v[6:7]
	scratch_load_dwordx4 v[96:99], off, off offset:848
	scratch_load_dwordx4 v[92:95], off, off offset:864
	v_accvgpr_write_b32 a129, v15
	v_mul_f64 v[6:7], v[194:195], v[114:115]
	v_accvgpr_write_b32 a128, v14
	v_accvgpr_write_b32 a127, v13
	;; [unrolled: 1-line block ×3, first 2 shown]
	v_fma_f64 v[12:13], v[192:193], v[112:113], -v[6:7]
	scratch_load_dwordx4 v[112:115], off, off offset:880
	ds_read_b128 v[140:143], v2 offset:1552
	s_waitcnt vmcnt(16) lgkmcnt(1)
	v_mul_f64 v[6:7], v[136:137], v[38:39]
	v_fmac_f64_e32 v[6:7], v[138:139], v[36:37]
	v_add_f64 v[0:1], v[0:1], v[6:7]
	v_mul_f64 v[6:7], v[202:203], v[146:147]
	v_fma_f64 v[14:15], v[200:201], v[144:145], -v[6:7]
	ds_read_b128 v[144:147], v2 offset:1568
	s_waitcnt vmcnt(15) lgkmcnt(1)
	v_mul_f64 v[6:7], v[140:141], v[42:43]
	v_fmac_f64_e32 v[6:7], v[142:143], v[40:41]
	v_accvgpr_write_b32 a125, v11
	v_add_f64 v[0:1], v[0:1], v[6:7]
	v_mul_f64 v[6:7], v[206:207], v[150:151]
	v_accvgpr_write_b32 a124, v10
	v_accvgpr_write_b32 a123, v9
	;; [unrolled: 1-line block ×3, first 2 shown]
	v_fma_f64 v[10:11], v[204:205], v[148:149], -v[6:7]
	ds_read_b128 v[148:151], v2 offset:1584
	v_mul_f64 v[18:19], v[210:211], v[154:155]
	v_fma_f64 v[18:19], v[208:209], v[152:153], -v[18:19]
	ds_read_b128 v[152:155], v2 offset:1600
	s_waitcnt vmcnt(14) lgkmcnt(2)
	v_mul_f64 v[6:7], v[144:145], v[46:47]
	v_fmac_f64_e32 v[6:7], v[146:147], v[44:45]
	v_add_f64 v[0:1], v[0:1], v[6:7]
	s_waitcnt vmcnt(13) lgkmcnt(1)
	v_mul_f64 v[6:7], v[148:149], v[50:51]
	ds_read_b128 v[156:159], v2 offset:1616
	v_fmac_f64_e32 v[6:7], v[150:151], v[48:49]
	v_add_f64 v[0:1], v[0:1], v[6:7]
	s_waitcnt vmcnt(12) lgkmcnt(1)
	v_mul_f64 v[6:7], v[152:153], v[54:55]
	v_fmac_f64_e32 v[6:7], v[154:155], v[52:53]
	v_add_f64 v[0:1], v[0:1], v[6:7]
	v_mul_f64 v[6:7], v[214:215], v[162:163]
	v_fma_f64 v[8:9], v[212:213], v[160:161], -v[6:7]
	ds_read_b128 v[160:163], v2 offset:1632
	s_waitcnt vmcnt(11) lgkmcnt(1)
	v_mul_f64 v[6:7], v[156:157], v[58:59]
	v_fmac_f64_e32 v[6:7], v[158:159], v[56:57]
	v_add_f64 v[0:1], v[0:1], v[6:7]
	v_mul_f64 v[6:7], v[218:219], v[166:167]
	v_fma_f64 v[22:23], v[216:217], v[164:165], -v[6:7]
	ds_read_b128 v[164:167], v2 offset:1648
	ds_read_b128 v[168:171], v2 offset:1664
	s_waitcnt vmcnt(10) lgkmcnt(2)
	v_mul_f64 v[6:7], v[160:161], v[62:63]
	v_fmac_f64_e32 v[6:7], v[162:163], v[60:61]
	v_add_f64 v[0:1], v[0:1], v[6:7]
	s_waitcnt vmcnt(9) lgkmcnt(1)
	v_mul_f64 v[6:7], v[164:165], v[66:67]
	v_fmac_f64_e32 v[6:7], v[166:167], v[64:65]
	v_add_f64 v[0:1], v[0:1], v[6:7]
	v_mul_f64 v[6:7], v[222:223], v[174:175]
	v_fma_f64 v[4:5], v[220:221], v[172:173], -v[6:7]
	ds_read_b128 v[172:175], v2 offset:1680
	v_mul_f64 v[6:7], v[226:227], v[178:179]
	v_fma_f64 v[6:7], v[224:225], v[176:177], -v[6:7]
	ds_read_b128 v[176:179], v2 offset:1696
	s_waitcnt vmcnt(8) lgkmcnt(2)
	v_mul_f64 v[26:27], v[168:169], v[70:71]
	v_fmac_f64_e32 v[26:27], v[170:171], v[68:69]
	v_add_f64 v[0:1], v[0:1], v[26:27]
	s_waitcnt vmcnt(7) lgkmcnt(1)
	v_mul_f64 v[26:27], v[172:173], v[74:75]
	v_fmac_f64_e32 v[26:27], v[174:175], v[72:73]
	v_add_f64 v[0:1], v[0:1], v[26:27]
	s_waitcnt vmcnt(6) lgkmcnt(0)
	v_mul_f64 v[26:27], v[176:177], v[78:79]
	v_fmac_f64_e32 v[26:27], v[178:179], v[76:77]
	ds_read_b128 v[180:183], v2 offset:1712
	v_add_f64 v[26:27], v[0:1], v[26:27]
	v_mul_f64 v[0:1], v[230:231], v[186:187]
	v_fma_f64 v[0:1], v[228:229], v[184:185], -v[0:1]
	ds_read_b128 v[184:187], v2 offset:1728
	s_waitcnt vmcnt(5) lgkmcnt(1)
	v_mul_f64 v[192:193], v[180:181], v[82:83]
	v_fmac_f64_e32 v[192:193], v[182:183], v[80:81]
	v_mul_f64 v[190:191], v[246:247], v[190:191]
	v_add_f64 v[26:27], v[26:27], v[192:193]
	v_fma_f64 v[238:239], v[244:245], v[188:189], -v[190:191]
	ds_read_b128 v[188:191], v2 offset:1744
	s_waitcnt vmcnt(4) lgkmcnt(1)
	v_mul_f64 v[192:193], v[184:185], v[90:91]
	v_fmac_f64_e32 v[192:193], v[186:187], v[88:89]
	v_add_f64 v[26:27], v[26:27], v[192:193]
	ds_read_b128 v[192:195], v2 offset:1760
	v_mul_f64 v[198:199], v[250:251], v[198:199]
	v_fma_f64 v[244:245], v[248:249], v[196:197], -v[198:199]
	ds_read_b128 v[196:199], v2 offset:1776
	ds_read_b128 v[208:211], v2 offset:1808
	s_waitcnt vmcnt(3) lgkmcnt(3)
	v_mul_f64 v[200:201], v[188:189], v[86:87]
	v_fmac_f64_e32 v[200:201], v[190:191], v[84:85]
	v_add_f64 v[26:27], v[26:27], v[200:201]
	s_waitcnt vmcnt(2) lgkmcnt(2)
	v_mul_f64 v[200:201], v[192:193], v[98:99]
	v_fmac_f64_e32 v[200:201], v[194:195], v[96:97]
	v_add_f64 v[26:27], v[26:27], v[200:201]
	;; [unrolled: 4-line block ×3, first 2 shown]
	ds_read_b128 v[200:203], v2 offset:1792
	ds_read_b128 v[216:219], v2 offset:1824
	;; [unrolled: 1-line block ×3, first 2 shown]
	s_waitcnt vmcnt(0) lgkmcnt(2)
	v_mul_f64 v[204:205], v[200:201], v[114:115]
	v_fmac_f64_e32 v[204:205], v[202:203], v[112:113]
	v_add_f64 v[26:27], v[26:27], v[204:205]
	scratch_load_dwordx4 v[204:207], off, off offset:896
	s_waitcnt vmcnt(0)
	v_mul_f64 v[212:213], v[208:209], v[206:207]
	v_fmac_f64_e32 v[212:213], v[210:211], v[204:205]
	v_add_f64 v[26:27], v[26:27], v[212:213]
	scratch_load_dwordx4 v[212:215], off, off offset:912
	s_waitcnt vmcnt(0) lgkmcnt(1)
	v_mul_f64 v[220:221], v[216:217], v[214:215]
	v_fmac_f64_e32 v[220:221], v[218:219], v[212:213]
	v_add_f64 v[26:27], v[26:27], v[220:221]
	scratch_load_dwordx4 v[220:223], off, off offset:928
	s_waitcnt vmcnt(0) lgkmcnt(0)
	v_mul_f64 v[228:229], v[224:225], v[222:223]
	v_fmac_f64_e32 v[228:229], v[226:227], v[220:221]
	v_add_f64 v[248:249], v[26:27], v[228:229]
	scratch_load_dwordx4 v[228:231], off, off offset:176
	v_add_f64 v[26:27], v[240:241], 0
	v_add_f64 v[26:27], v[26:27], v[242:243]
	;; [unrolled: 1-line block ×16, first 2 shown]
	v_accvgpr_read_b32 v6, a118
	v_accvgpr_read_b32 v8, a120
	;; [unrolled: 1-line block ×3, first 2 shown]
	v_add_f64 v[0:1], v[4:5], v[0:1]
	v_accvgpr_read_b32 v7, a119
	v_mul_f64 v[4:5], v[102:103], v[8:9]
	v_add_f64 v[0:1], v[0:1], v[238:239]
	v_fma_f64 v[4:5], v[100:101], v[6:7], -v[4:5]
	v_accvgpr_read_b32 v6, a122
	v_add_f64 v[0:1], v[0:1], v[244:245]
	v_accvgpr_read_b32 v8, a124
	v_accvgpr_read_b32 v9, a125
	v_add_f64 v[0:1], v[0:1], v[4:5]
	v_accvgpr_read_b32 v7, a123
	v_mul_f64 v[4:5], v[106:107], v[8:9]
	v_fma_f64 v[4:5], v[104:105], v[6:7], -v[4:5]
	v_accvgpr_read_b32 v6, a126
	v_accvgpr_read_b32 v8, a128
	v_accvgpr_read_b32 v9, a129
	v_add_f64 v[0:1], v[0:1], v[4:5]
	v_accvgpr_read_b32 v7, a127
	v_mul_f64 v[4:5], v[110:111], v[8:9]
	v_fma_f64 v[4:5], v[108:109], v[6:7], -v[4:5]
	v_accvgpr_read_b32 v6, a130
	;; [unrolled: 7-line block ×3, first 2 shown]
	v_accvgpr_read_b32 v8, a136
	v_accvgpr_read_b32 v9, a137
	v_add_f64 v[0:1], v[0:1], v[4:5]
	v_accvgpr_read_b32 v7, a135
	v_mul_f64 v[4:5], v[122:123], v[8:9]
	v_fma_f64 v[4:5], v[120:121], v[6:7], -v[4:5]
	v_add_f64 v[0:1], v[0:1], v[4:5]
	v_mul_f64 v[4:5], v[126:127], v[236:237]
	v_fma_f64 v[4:5], v[124:125], v[234:235], -v[4:5]
	v_add_f64 v[0:1], v[0:1], v[4:5]
	;; [unrolled: 3-line block ×24, first 2 shown]
	s_waitcnt vmcnt(0)
	v_add_f64 v[4:5], v[228:229], -v[0:1]
	v_accvgpr_read_b32 v0, a116
	v_add_f64 v[6:7], v[230:231], -v[248:249]
	v_cmp_lt_u32_e32 vcc, 9, v0
	scratch_store_dwordx4 off, v[4:7], off offset:176
	s_and_saveexec_b64 s[0:1], vcc
	s_cbranch_execz .LBB121_343
; %bb.342:
	scratch_load_dwordx4 v[6:9], off, s65
	v_mov_b32_e32 v3, v2
	v_mov_b32_e32 v4, v2
	;; [unrolled: 1-line block ×3, first 2 shown]
	v_accvgpr_read_b32 v0, a117
	scratch_store_dwordx4 off, v[2:5], off offset:160
	s_waitcnt vmcnt(1)
	ds_write_b128 v0, v[6:9]
.LBB121_343:
	s_or_b64 exec, exec, s[0:1]
	s_waitcnt lgkmcnt(0)
	; wave barrier
	scratch_load_dwordx4 v[40:43], off, off offset:176
	scratch_load_dwordx4 v[44:47], off, off offset:192
	;; [unrolled: 1-line block ×18, first 2 shown]
	ds_read_b128 v[164:167], v2 offset:1088
	ds_read_b128 v[232:235], v2 offset:1104
	;; [unrolled: 1-line block ×6, first 2 shown]
	scratch_load_dwordx4 v[140:143], off, off offset:464
	ds_read_b128 v[224:227], v2 offset:1184
	ds_read_b128 v[212:215], v2 offset:1200
	;; [unrolled: 1-line block ×3, first 2 shown]
	scratch_load_dwordx4 v[4:7], off, off offset:480
	ds_read_b128 v[228:231], v2 offset:1232
	ds_read_b128 v[216:219], v2 offset:1248
	;; [unrolled: 1-line block ×5, first 2 shown]
	scratch_load_dwordx4 v[8:11], off, off offset:496
	ds_read_b128 v[208:211], v2 offset:1312
	ds_read_b128 v[196:199], v2 offset:1328
	;; [unrolled: 1-line block ×3, first 2 shown]
	scratch_load_dwordx4 v[12:15], off, off offset:512
	ds_read_b128 v[200:203], v2 offset:1360
	scratch_load_dwordx4 v[16:19], off, off offset:528
	scratch_load_dwordx4 v[20:23], off, off offset:544
	;; [unrolled: 1-line block ×7, first 2 shown]
	ds_read_b128 v[236:239], v2 offset:1376
	ds_read_b128 v[156:159], v2 offset:1440
	;; [unrolled: 1-line block ×4, first 2 shown]
	s_waitcnt vmcnt(28) lgkmcnt(14)
	v_mul_f64 v[0:1], v[164:165], v[42:43]
	s_waitcnt vmcnt(27)
	v_mul_f64 v[108:109], v[232:233], v[46:47]
	v_fmac_f64_e32 v[0:1], v[166:167], v[40:41]
	s_waitcnt vmcnt(26)
	v_mul_f64 v[110:111], v[168:169], v[50:51]
	v_fmac_f64_e32 v[108:109], v[234:235], v[44:45]
	v_add_f64 v[0:1], v[0:1], 0
	s_waitcnt vmcnt(25)
	v_mul_f64 v[116:117], v[220:221], v[54:55]
	v_fmac_f64_e32 v[110:111], v[170:171], v[48:49]
	v_add_f64 v[0:1], v[0:1], v[108:109]
	;; [unrolled: 4-line block ×6, first 2 shown]
	s_waitcnt vmcnt(20) lgkmcnt(13)
	v_mul_f64 v[126:127], v[180:181], v[78:79]
	v_fmac_f64_e32 v[124:125], v[214:215], v[68:69]
	v_add_f64 v[0:1], v[0:1], v[122:123]
	s_waitcnt vmcnt(19) lgkmcnt(12)
	v_mul_f64 v[128:129], v[228:229], v[82:83]
	v_fmac_f64_e32 v[126:127], v[182:183], v[76:77]
	v_add_f64 v[0:1], v[0:1], v[124:125]
	;; [unrolled: 4-line block ×9, first 2 shown]
	v_add_f64 v[0:1], v[0:1], v[148:149]
	v_fmac_f64_e32 v[150:151], v[186:187], v[112:113]
	s_waitcnt vmcnt(11) lgkmcnt(4)
	v_mul_f64 v[116:117], v[200:201], v[138:139]
	v_add_f64 v[0:1], v[0:1], v[150:151]
	v_fmac_f64_e32 v[116:117], v[202:203], v[136:137]
	v_add_f64 v[0:1], v[0:1], v[116:117]
	ds_read_b128 v[144:147], v2 offset:1392
	s_waitcnt vmcnt(10) lgkmcnt(4)
	v_mul_f64 v[116:117], v[236:237], v[142:143]
	scratch_load_dwordx4 v[108:111], off, off offset:640
	v_fmac_f64_e32 v[116:117], v[238:239], v[140:141]
	v_add_f64 v[0:1], v[0:1], v[116:117]
	scratch_load_dwordx4 v[116:119], off, off offset:656
	ds_read_b128 v[148:151], v2 offset:1408
	scratch_load_dwordx4 v[120:123], off, off offset:672
	s_waitcnt vmcnt(12) lgkmcnt(1)
	v_mul_f64 v[124:125], v[144:145], v[6:7]
	v_fmac_f64_e32 v[124:125], v[146:147], v[4:5]
	v_add_f64 v[0:1], v[0:1], v[124:125]
	s_waitcnt vmcnt(11) lgkmcnt(0)
	v_mul_f64 v[124:125], v[148:149], v[10:11]
	v_fmac_f64_e32 v[124:125], v[150:151], v[8:9]
	s_waitcnt vmcnt(10)
	v_mul_f64 v[128:129], v[152:153], v[14:15]
	v_add_f64 v[0:1], v[0:1], v[124:125]
	scratch_load_dwordx4 v[124:127], off, off offset:688
	v_fmac_f64_e32 v[128:129], v[154:155], v[12:13]
	v_add_f64 v[0:1], v[0:1], v[128:129]
	scratch_load_dwordx4 v[128:131], off, off offset:704
	s_waitcnt vmcnt(11)
	v_mul_f64 v[132:133], v[156:157], v[18:19]
	v_fmac_f64_e32 v[132:133], v[158:159], v[16:17]
	v_add_f64 v[0:1], v[0:1], v[132:133]
	scratch_load_dwordx4 v[132:135], off, off offset:720
	v_mul_f64 v[42:43], v[166:167], v[42:43]
	v_fma_f64 v[240:241], v[164:165], v[40:41], -v[42:43]
	scratch_load_dwordx4 v[40:43], off, off offset:736
	v_mul_f64 v[46:47], v[234:235], v[46:47]
	v_fma_f64 v[242:243], v[232:233], v[44:45], -v[46:47]
	;; [unrolled: 3-line block ×3, first 2 shown]
	v_mul_f64 v[48:49], v[222:223], v[54:55]
	v_fma_f64 v[250:251], v[220:221], v[52:53], -v[48:49]
	scratch_load_dwordx4 v[48:51], off, off offset:768
	scratch_load_dwordx4 v[52:55], off, off offset:784
	s_waitcnt vmcnt(15)
	v_mul_f64 v[164:165], v[160:161], v[22:23]
	v_fmac_f64_e32 v[164:165], v[162:163], v[20:21]
	v_add_f64 v[0:1], v[0:1], v[164:165]
	ds_read_b128 v[164:167], v2 offset:1472
	ds_read_b128 v[168:171], v2 offset:1488
	v_mul_f64 v[58:59], v[174:175], v[58:59]
	v_fma_f64 v[252:253], v[172:173], v[56:57], -v[58:59]
	ds_read_b128 v[172:175], v2 offset:1504
	v_mul_f64 v[56:57], v[178:179], v[62:63]
	v_fma_f64 v[254:255], v[176:177], v[60:61], -v[56:57]
	scratch_load_dwordx4 v[60:63], off, off offset:800
	scratch_load_dwordx4 v[56:59], off, off offset:816
	s_waitcnt vmcnt(16) lgkmcnt(2)
	v_mul_f64 v[232:233], v[164:165], v[34:35]
	v_fmac_f64_e32 v[232:233], v[166:167], v[32:33]
	s_waitcnt vmcnt(15) lgkmcnt(1)
	v_mul_f64 v[220:221], v[168:169], v[38:39]
	v_mul_f64 v[66:67], v[226:227], v[66:67]
	v_add_f64 v[0:1], v[0:1], v[232:233]
	v_fmac_f64_e32 v[220:221], v[170:171], v[36:37]
	v_fma_f64 v[244:245], v[224:225], v[64:65], -v[66:67]
	s_waitcnt vmcnt(14) lgkmcnt(0)
	v_mul_f64 v[64:65], v[172:173], v[30:31]
	v_add_f64 v[0:1], v[0:1], v[220:221]
	v_fmac_f64_e32 v[64:65], v[174:175], v[28:29]
	v_accvgpr_write_b32 a145, v23
	v_add_f64 v[0:1], v[0:1], v[64:65]
	v_mul_f64 v[64:65], v[214:215], v[70:71]
	v_accvgpr_write_b32 a144, v22
	v_accvgpr_write_b32 a143, v21
	;; [unrolled: 1-line block ×3, first 2 shown]
	ds_read_b128 v[176:179], v2 offset:1520
	v_fma_f64 v[20:21], v[212:213], v[68:69], -v[64:65]
	scratch_load_dwordx4 v[68:71], off, off offset:832
	scratch_load_dwordx4 v[64:67], off, off offset:848
	v_accvgpr_write_b32 a129, v7
	v_accvgpr_write_b32 a128, v6
	v_accvgpr_write_b32 a127, v5
	v_accvgpr_write_b32 a126, v4
	v_accvgpr_write_b32 a141, v19
	v_mul_f64 v[6:7], v[182:183], v[78:79]
	v_accvgpr_write_b32 a140, v18
	v_accvgpr_write_b32 a139, v17
	;; [unrolled: 1-line block ×3, first 2 shown]
	v_fma_f64 v[16:17], v[180:181], v[76:77], -v[6:7]
	s_waitcnt vmcnt(15) lgkmcnt(0)
	v_mul_f64 v[76:77], v[176:177], v[26:27]
	v_fmac_f64_e32 v[76:77], v[178:179], v[24:25]
	v_accvgpr_write_b32 a137, v15
	v_add_f64 v[0:1], v[0:1], v[76:77]
	v_mul_f64 v[76:77], v[230:231], v[82:83]
	v_accvgpr_write_b32 a136, v14
	v_accvgpr_write_b32 a135, v13
	;; [unrolled: 1-line block ×3, first 2 shown]
	v_fma_f64 v[12:13], v[228:229], v[80:81], -v[76:77]
	scratch_load_dwordx4 v[76:79], off, off offset:864
	scratch_load_dwordx4 v[232:235], off, off offset:928
	ds_read_b128 v[180:183], v2 offset:1536
	ds_read_b128 v[80:83], v2 offset:1552
	v_accvgpr_write_b32 a133, v11
	v_accvgpr_write_b32 a132, v10
	;; [unrolled: 1-line block ×4, first 2 shown]
	s_waitcnt vmcnt(16) lgkmcnt(1)
	v_mul_f64 v[10:11], v[180:181], v[74:75]
	v_fmac_f64_e32 v[10:11], v[182:183], v[72:73]
	v_add_f64 v[0:1], v[0:1], v[10:11]
	v_mul_f64 v[10:11], v[218:219], v[86:87]
	v_fma_f64 v[10:11], v[216:217], v[84:85], -v[10:11]
	ds_read_b128 v[84:87], v2 offset:1568
	v_mul_f64 v[90:91], v[190:191], v[90:91]
	v_fma_f64 v[8:9], v[188:189], v[88:89], -v[90:91]
	ds_read_b128 v[88:91], v2 offset:1584
	s_waitcnt vmcnt(15) lgkmcnt(2)
	v_mul_f64 v[212:213], v[80:81], v[110:111]
	v_fmac_f64_e32 v[212:213], v[82:83], v[108:109]
	s_waitcnt vmcnt(14) lgkmcnt(1)
	v_mul_f64 v[14:15], v[84:85], v[118:119]
	v_add_f64 v[0:1], v[0:1], v[212:213]
	v_fmac_f64_e32 v[14:15], v[86:87], v[116:117]
	v_add_f64 v[0:1], v[0:1], v[14:15]
	s_waitcnt vmcnt(13) lgkmcnt(0)
	v_mul_f64 v[14:15], v[88:89], v[122:123]
	v_fmac_f64_e32 v[14:15], v[90:91], v[120:121]
	ds_read_b128 v[188:191], v2 offset:1600
	v_add_f64 v[0:1], v[0:1], v[14:15]
	v_mul_f64 v[14:15], v[206:207], v[94:95]
	v_fma_f64 v[14:15], v[204:205], v[92:93], -v[14:15]
	ds_read_b128 v[92:95], v2 offset:1616
	v_mul_f64 v[98:99], v[194:195], v[98:99]
	v_fma_f64 v[6:7], v[192:193], v[96:97], -v[98:99]
	ds_read_b128 v[96:99], v2 offset:1632
	ds_read_b128 v[192:195], v2 offset:1648
	s_waitcnt vmcnt(12) lgkmcnt(3)
	v_mul_f64 v[204:205], v[188:189], v[126:127]
	v_fmac_f64_e32 v[204:205], v[190:191], v[124:125]
	s_waitcnt vmcnt(11) lgkmcnt(2)
	v_mul_f64 v[18:19], v[92:93], v[130:131]
	v_add_f64 v[0:1], v[0:1], v[204:205]
	v_fmac_f64_e32 v[18:19], v[94:95], v[128:129]
	v_add_f64 v[0:1], v[0:1], v[18:19]
	s_waitcnt vmcnt(10) lgkmcnt(1)
	v_mul_f64 v[18:19], v[96:97], v[134:135]
	v_fmac_f64_e32 v[18:19], v[98:99], v[132:133]
	v_add_f64 v[0:1], v[0:1], v[18:19]
	v_mul_f64 v[18:19], v[210:211], v[102:103]
	v_fma_f64 v[18:19], v[208:209], v[100:101], -v[18:19]
	ds_read_b128 v[100:103], v2 offset:1664
	v_mul_f64 v[106:107], v[198:199], v[106:107]
	v_fma_f64 v[4:5], v[196:197], v[104:105], -v[106:107]
	ds_read_b128 v[104:107], v2 offset:1680
	s_waitcnt vmcnt(9) lgkmcnt(2)
	v_mul_f64 v[204:205], v[192:193], v[42:43]
	v_fmac_f64_e32 v[204:205], v[194:195], v[40:41]
	s_waitcnt vmcnt(8) lgkmcnt(1)
	v_mul_f64 v[22:23], v[100:101], v[46:47]
	v_add_f64 v[0:1], v[0:1], v[204:205]
	v_fmac_f64_e32 v[22:23], v[102:103], v[44:45]
	v_add_f64 v[0:1], v[0:1], v[22:23]
	s_waitcnt vmcnt(7) lgkmcnt(0)
	v_mul_f64 v[22:23], v[104:105], v[50:51]
	ds_read_b128 v[196:199], v2 offset:1696
	v_fmac_f64_e32 v[22:23], v[106:107], v[48:49]
	v_add_f64 v[0:1], v[0:1], v[22:23]
	v_mul_f64 v[22:23], v[186:187], v[114:115]
	v_fma_f64 v[22:23], v[184:185], v[112:113], -v[22:23]
	ds_read_b128 v[112:115], v2 offset:1712
	s_waitcnt vmcnt(6) lgkmcnt(1)
	v_mul_f64 v[184:185], v[196:197], v[54:55]
	v_fmac_f64_e32 v[184:185], v[198:199], v[52:53]
	v_add_f64 v[184:185], v[0:1], v[184:185]
	v_mul_f64 v[0:1], v[202:203], v[138:139]
	v_fma_f64 v[0:1], v[200:201], v[136:137], -v[0:1]
	ds_read_b128 v[136:139], v2 offset:1728
	s_waitcnt vmcnt(5) lgkmcnt(1)
	v_mul_f64 v[186:187], v[112:113], v[62:63]
	v_fmac_f64_e32 v[186:187], v[114:115], v[60:61]
	v_add_f64 v[200:201], v[184:185], v[186:187]
	ds_read_b128 v[184:187], v2 offset:1744
	v_mul_f64 v[142:143], v[238:239], v[142:143]
	v_fma_f64 v[246:247], v[236:237], v[140:141], -v[142:143]
	ds_read_b128 v[140:143], v2 offset:1760
	ds_read_b128 v[208:211], v2 offset:1792
	s_waitcnt vmcnt(4) lgkmcnt(3)
	v_mul_f64 v[202:203], v[136:137], v[58:59]
	v_fmac_f64_e32 v[202:203], v[138:139], v[56:57]
	v_add_f64 v[200:201], v[200:201], v[202:203]
	s_waitcnt vmcnt(3) lgkmcnt(2)
	v_mul_f64 v[202:203], v[184:185], v[70:71]
	v_fmac_f64_e32 v[202:203], v[186:187], v[68:69]
	v_add_f64 v[200:201], v[200:201], v[202:203]
	;; [unrolled: 4-line block ×3, first 2 shown]
	ds_read_b128 v[200:203], v2 offset:1776
	ds_read_b128 v[216:219], v2 offset:1808
	;; [unrolled: 1-line block ×3, first 2 shown]
	s_waitcnt vmcnt(1) lgkmcnt(2)
	v_mul_f64 v[206:207], v[200:201], v[78:79]
	v_fmac_f64_e32 v[206:207], v[202:203], v[76:77]
	v_add_f64 v[212:213], v[204:205], v[206:207]
	scratch_load_dwordx4 v[204:207], off, off offset:880
	s_waitcnt vmcnt(0)
	v_mul_f64 v[214:215], v[208:209], v[206:207]
	v_fmac_f64_e32 v[214:215], v[210:211], v[204:205]
	v_add_f64 v[220:221], v[212:213], v[214:215]
	scratch_load_dwordx4 v[212:215], off, off offset:896
	s_waitcnt vmcnt(0) lgkmcnt(1)
	v_mul_f64 v[222:223], v[216:217], v[214:215]
	v_fmac_f64_e32 v[222:223], v[218:219], v[212:213]
	v_add_f64 v[228:229], v[220:221], v[222:223]
	scratch_load_dwordx4 v[220:223], off, off offset:912
	s_waitcnt vmcnt(0) lgkmcnt(0)
	v_mul_f64 v[230:231], v[224:225], v[222:223]
	v_fmac_f64_e32 v[230:231], v[226:227], v[220:221]
	v_add_f64 v[236:237], v[228:229], v[230:231]
	ds_read_b128 v[228:231], v2 offset:1840
	s_waitcnt lgkmcnt(0)
	v_mul_f64 v[2:3], v[228:229], v[234:235]
	v_fmac_f64_e32 v[2:3], v[230:231], v[232:233]
	v_add_f64 v[2:3], v[236:237], v[2:3]
	v_add_f64 v[236:237], v[240:241], 0
	;; [unrolled: 1-line block ×9, first 2 shown]
	scratch_load_dwordx4 v[236:239], off, off offset:160
	v_add_f64 v[16:17], v[20:21], v[16:17]
	v_add_f64 v[12:13], v[16:17], v[12:13]
	v_add_f64 v[10:11], v[12:13], v[10:11]
	v_add_f64 v[8:9], v[10:11], v[8:9]
	v_add_f64 v[8:9], v[8:9], v[14:15]
	v_add_f64 v[6:7], v[8:9], v[6:7]
	v_add_f64 v[6:7], v[6:7], v[18:19]
	v_add_f64 v[4:5], v[6:7], v[4:5]
	v_accvgpr_read_b32 v6, a126
	v_accvgpr_read_b32 v8, a128
	;; [unrolled: 1-line block ×3, first 2 shown]
	v_add_f64 v[248:249], v[4:5], v[22:23]
	v_accvgpr_read_b32 v7, a127
	v_mul_f64 v[4:5], v[146:147], v[8:9]
	v_add_f64 v[0:1], v[248:249], v[0:1]
	v_fma_f64 v[4:5], v[144:145], v[6:7], -v[4:5]
	v_accvgpr_read_b32 v6, a130
	v_add_f64 v[0:1], v[0:1], v[246:247]
	v_accvgpr_read_b32 v8, a132
	v_accvgpr_read_b32 v9, a133
	v_add_f64 v[0:1], v[0:1], v[4:5]
	v_accvgpr_read_b32 v7, a131
	v_mul_f64 v[4:5], v[150:151], v[8:9]
	v_fma_f64 v[4:5], v[148:149], v[6:7], -v[4:5]
	v_accvgpr_read_b32 v6, a134
	v_accvgpr_read_b32 v8, a136
	v_accvgpr_read_b32 v9, a137
	v_add_f64 v[0:1], v[0:1], v[4:5]
	v_accvgpr_read_b32 v7, a135
	v_mul_f64 v[4:5], v[154:155], v[8:9]
	v_fma_f64 v[4:5], v[152:153], v[6:7], -v[4:5]
	v_accvgpr_read_b32 v6, a138
	;; [unrolled: 7-line block ×3, first 2 shown]
	v_accvgpr_read_b32 v8, a144
	v_accvgpr_read_b32 v9, a145
	v_add_f64 v[0:1], v[0:1], v[4:5]
	v_accvgpr_read_b32 v7, a143
	v_mul_f64 v[4:5], v[162:163], v[8:9]
	v_fma_f64 v[4:5], v[160:161], v[6:7], -v[4:5]
	v_add_f64 v[0:1], v[0:1], v[4:5]
	v_mul_f64 v[4:5], v[166:167], v[34:35]
	v_fma_f64 v[4:5], v[164:165], v[32:33], -v[4:5]
	v_add_f64 v[0:1], v[0:1], v[4:5]
	;; [unrolled: 3-line block ×25, first 2 shown]
	s_waitcnt vmcnt(0)
	v_add_f64 v[4:5], v[236:237], -v[0:1]
	v_accvgpr_read_b32 v0, a116
	v_add_f64 v[6:7], v[238:239], -v[2:3]
	v_cmp_lt_u32_e32 vcc, 8, v0
	scratch_store_dwordx4 off, v[4:7], off offset:160
	s_and_saveexec_b64 s[0:1], vcc
	s_cbranch_execz .LBB121_345
; %bb.344:
	scratch_load_dwordx4 v[2:5], off, s66
	v_mov_b32_e32 v6, 0
	v_mov_b32_e32 v7, v6
	;; [unrolled: 1-line block ×4, first 2 shown]
	v_accvgpr_read_b32 v0, a117
	scratch_store_dwordx4 off, v[6:9], off offset:144
	s_waitcnt vmcnt(1)
	ds_write_b128 v0, v[2:5]
.LBB121_345:
	s_or_b64 exec, exec, s[0:1]
	s_waitcnt lgkmcnt(0)
	; wave barrier
	scratch_load_dwordx4 v[56:59], off, off offset:160
	scratch_load_dwordx4 v[60:63], off, off offset:176
	;; [unrolled: 1-line block ×28, first 2 shown]
	v_mov_b32_e32 v2, 0
	ds_read_b128 v[116:119], v2 offset:1072
	ds_read_b128 v[120:123], v2 offset:1088
	;; [unrolled: 1-line block ×22, first 2 shown]
	s_waitcnt vmcnt(27) lgkmcnt(14)
	v_mul_f64 v[0:1], v[116:117], v[58:59]
	s_waitcnt vmcnt(26)
	v_mul_f64 v[32:33], v[120:121], v[62:63]
	v_fmac_f64_e32 v[0:1], v[118:119], v[56:57]
	s_waitcnt vmcnt(25)
	v_mul_f64 v[34:35], v[124:125], v[66:67]
	v_fmac_f64_e32 v[32:33], v[122:123], v[60:61]
	v_add_f64 v[0:1], v[0:1], 0
	v_fmac_f64_e32 v[34:35], v[126:127], v[64:65]
	v_add_f64 v[0:1], v[0:1], v[32:33]
	v_add_f64 v[0:1], v[0:1], v[34:35]
	scratch_load_dwordx4 v[32:35], off, off offset:608
	s_waitcnt vmcnt(25)
	v_mul_f64 v[36:37], v[128:129], v[70:71]
	s_waitcnt vmcnt(24)
	v_mul_f64 v[38:39], v[132:133], v[74:75]
	v_fmac_f64_e32 v[36:37], v[130:131], v[68:69]
	s_waitcnt vmcnt(23)
	v_mul_f64 v[40:41], v[140:141], v[78:79]
	v_fmac_f64_e32 v[38:39], v[134:135], v[72:73]
	v_add_f64 v[0:1], v[0:1], v[36:37]
	s_waitcnt vmcnt(22)
	v_mul_f64 v[42:43], v[152:153], v[82:83]
	v_fmac_f64_e32 v[40:41], v[142:143], v[76:77]
	v_add_f64 v[0:1], v[0:1], v[38:39]
	;; [unrolled: 4-line block ×3, first 2 shown]
	s_waitcnt vmcnt(20) lgkmcnt(13)
	v_mul_f64 v[46:47], v[176:177], v[94:95]
	v_fmac_f64_e32 v[44:45], v[166:167], v[84:85]
	v_add_f64 v[0:1], v[0:1], v[42:43]
	s_waitcnt vmcnt(19) lgkmcnt(12)
	v_mul_f64 v[48:49], v[188:189], v[98:99]
	v_fmac_f64_e32 v[46:47], v[178:179], v[92:93]
	v_add_f64 v[0:1], v[0:1], v[44:45]
	;; [unrolled: 4-line block ×9, first 2 shown]
	v_add_f64 v[0:1], v[0:1], v[104:105]
	v_fmac_f64_e32 v[106:107], v[222:223], v[168:169]
	s_waitcnt vmcnt(11) lgkmcnt(4)
	v_mul_f64 v[40:41], v[224:225], v[174:175]
	v_add_f64 v[0:1], v[0:1], v[106:107]
	v_fmac_f64_e32 v[40:41], v[226:227], v[172:173]
	scratch_load_dwordx4 v[36:39], off, off offset:624
	v_add_f64 v[0:1], v[0:1], v[40:41]
	s_waitcnt vmcnt(11) lgkmcnt(3)
	v_mul_f64 v[40:41], v[228:229], v[182:183]
	v_fmac_f64_e32 v[40:41], v[230:231], v[180:181]
	s_waitcnt vmcnt(10) lgkmcnt(2)
	v_mul_f64 v[44:45], v[244:245], v[186:187]
	v_add_f64 v[0:1], v[0:1], v[40:41]
	v_fmac_f64_e32 v[44:45], v[246:247], v[184:185]
	scratch_load_dwordx4 v[40:43], off, off offset:640
	ds_read_b128 v[88:91], v2 offset:1408
	v_add_f64 v[0:1], v[0:1], v[44:45]
	s_waitcnt vmcnt(10) lgkmcnt(2)
	v_mul_f64 v[44:45], v[248:249], v[194:195]
	v_fmac_f64_e32 v[44:45], v[250:251], v[192:193]
	v_add_f64 v[0:1], v[0:1], v[44:45]
	scratch_load_dwordx4 v[44:47], off, off offset:656
	ds_read_b128 v[104:107], v2 offset:1424
	s_waitcnt vmcnt(10) lgkmcnt(1)
	v_mul_f64 v[48:49], v[88:89], v[6:7]
	v_accvgpr_write_b32 a121, v7
	v_fmac_f64_e32 v[48:49], v[90:91], v[4:5]
	v_accvgpr_write_b32 a120, v6
	v_accvgpr_write_b32 a119, v5
	;; [unrolled: 1-line block ×3, first 2 shown]
	s_waitcnt vmcnt(9)
	v_mov_b64_e32 v[4:5], v[8:9]
	v_add_f64 v[0:1], v[0:1], v[48:49]
	scratch_load_dwordx4 v[48:51], off, off offset:672
	v_mov_b64_e32 v[6:7], v[10:11]
	s_waitcnt lgkmcnt(0)
	v_mul_f64 v[52:53], v[104:105], v[6:7]
	v_fmac_f64_e32 v[52:53], v[106:107], v[4:5]
	v_add_f64 v[0:1], v[0:1], v[52:53]
	scratch_load_dwordx4 v[52:55], off, off offset:688
	v_mul_f64 v[58:59], v[118:119], v[58:59]
	s_waitcnt vmcnt(10)
	v_mov_b64_e32 v[4:5], v[12:13]
	v_fma_f64 v[240:241], v[116:117], v[56:57], -v[58:59]
	scratch_load_dwordx4 v[56:59], off, off offset:704
	v_mov_b64_e32 v[6:7], v[14:15]
	v_mul_f64 v[112:113], v[108:109], v[6:7]
	v_fmac_f64_e32 v[112:113], v[110:111], v[4:5]
	v_add_f64 v[0:1], v[0:1], v[112:113]
	ds_read_b128 v[112:115], v2 offset:1456
	ds_read_b128 v[116:119], v2 offset:1472
	v_mul_f64 v[62:63], v[122:123], v[62:63]
	v_fma_f64 v[242:243], v[120:121], v[60:61], -v[62:63]
	scratch_load_dwordx4 v[60:63], off, off offset:720
	s_waitcnt vmcnt(11)
	v_mov_b64_e32 v[4:5], v[16:17]
	v_mul_f64 v[66:67], v[126:127], v[66:67]
	v_mov_b64_e32 v[6:7], v[18:19]
	v_fma_f64 v[252:253], v[124:125], v[64:65], -v[66:67]
	scratch_load_dwordx4 v[64:67], off, off offset:736
	s_waitcnt lgkmcnt(1)
	v_mul_f64 v[120:121], v[112:113], v[6:7]
	v_fmac_f64_e32 v[120:121], v[114:115], v[4:5]
	s_waitcnt vmcnt(11)
	v_mov_b64_e32 v[4:5], v[20:21]
	v_mov_b64_e32 v[6:7], v[22:23]
	v_add_f64 v[0:1], v[0:1], v[120:121]
	s_waitcnt lgkmcnt(0)
	v_mul_f64 v[120:121], v[116:117], v[6:7]
	v_fmac_f64_e32 v[120:121], v[118:119], v[4:5]
	v_mul_f64 v[70:71], v[130:131], v[70:71]
	v_add_f64 v[0:1], v[0:1], v[120:121]
	v_fma_f64 v[254:255], v[128:129], v[68:69], -v[70:71]
	scratch_load_dwordx4 v[68:71], off, off offset:752
	ds_read_b128 v[120:123], v2 offset:1488
	ds_read_b128 v[124:127], v2 offset:1504
	v_mul_f64 v[74:75], v[134:135], v[74:75]
	v_accvgpr_write_b32 a125, v11
	v_fma_f64 v[232:233], v[132:133], v[72:73], -v[74:75]
	scratch_load_dwordx4 v[72:75], off, off offset:768
	v_accvgpr_write_b32 a124, v10
	v_accvgpr_write_b32 a123, v9
	;; [unrolled: 1-line block ×3, first 2 shown]
	v_mul_f64 v[78:79], v[142:143], v[78:79]
	s_waitcnt vmcnt(12)
	v_mov_b64_e32 v[8:9], v[24:25]
	v_fma_f64 v[28:29], v[140:141], v[76:77], -v[78:79]
	v_mov_b64_e32 v[10:11], v[26:27]
	scratch_load_dwordx4 v[76:79], off, off offset:784
	s_waitcnt lgkmcnt(1)
	v_mul_f64 v[6:7], v[120:121], v[10:11]
	v_fmac_f64_e32 v[6:7], v[122:123], v[8:9]
	v_accvgpr_write_b32 a141, v27
	v_add_f64 v[0:1], v[0:1], v[6:7]
	v_mul_f64 v[6:7], v[154:155], v[82:83]
	v_accvgpr_write_b32 a140, v26
	v_accvgpr_write_b32 a139, v25
	;; [unrolled: 1-line block ×3, first 2 shown]
	v_fma_f64 v[24:25], v[152:153], v[80:81], -v[6:7]
	s_waitcnt vmcnt(12) lgkmcnt(0)
	v_mul_f64 v[6:7], v[124:125], v[236:237]
	v_fmac_f64_e32 v[6:7], v[126:127], v[234:235]
	scratch_load_dwordx4 v[80:83], off, off offset:800
	v_accvgpr_write_b32 a137, v23
	v_add_f64 v[0:1], v[0:1], v[6:7]
	v_mul_f64 v[6:7], v[166:167], v[86:87]
	v_accvgpr_write_b32 a136, v22
	v_accvgpr_write_b32 a135, v21
	v_accvgpr_write_b32 a134, v20
	v_fma_f64 v[20:21], v[164:165], v[84:85], -v[6:7]
	scratch_load_dwordx4 v[84:87], off, off offset:816
	ds_read_b128 v[132:135], v2 offset:1520
	ds_read_b128 v[128:131], v2 offset:1536
	v_accvgpr_write_b32 a133, v19
	v_mul_f64 v[6:7], v[178:179], v[94:95]
	v_accvgpr_write_b32 a129, v15
	v_accvgpr_write_b32 a132, v18
	;; [unrolled: 1-line block ×4, first 2 shown]
	v_fma_f64 v[16:17], v[176:177], v[92:93], -v[6:7]
	v_mul_f64 v[6:7], v[190:191], v[98:99]
	v_accvgpr_write_b32 a128, v14
	v_accvgpr_write_b32 a127, v13
	v_accvgpr_write_b32 a126, v12
	v_fma_f64 v[14:15], v[188:189], v[96:97], -v[6:7]
	scratch_load_dwordx4 v[96:99], off, off offset:832
	scratch_load_dwordx4 v[92:95], off, off offset:848
	s_waitcnt vmcnt(15) lgkmcnt(1)
	v_mul_f64 v[6:7], v[132:133], v[34:35]
	v_fmac_f64_e32 v[6:7], v[134:135], v[32:33]
	v_add_f64 v[0:1], v[0:1], v[6:7]
	v_mul_f64 v[6:7], v[198:199], v[102:103]
	v_fma_f64 v[12:13], v[196:197], v[100:101], -v[6:7]
	scratch_load_dwordx4 v[100:103], off, off offset:864
	v_mul_f64 v[6:7], v[202:203], v[138:139]
	v_fma_f64 v[18:19], v[200:201], v[136:137], -v[6:7]
	ds_read_b128 v[136:139], v2 offset:1552
	ds_read_b128 v[140:143], v2 offset:1568
	s_waitcnt vmcnt(15) lgkmcnt(2)
	v_mul_f64 v[6:7], v[128:129], v[38:39]
	v_fmac_f64_e32 v[6:7], v[130:131], v[36:37]
	v_add_f64 v[0:1], v[0:1], v[6:7]
	s_waitcnt vmcnt(14) lgkmcnt(1)
	v_mul_f64 v[6:7], v[136:137], v[42:43]
	v_fmac_f64_e32 v[6:7], v[138:139], v[40:41]
	v_add_f64 v[0:1], v[0:1], v[6:7]
	v_mul_f64 v[6:7], v[206:207], v[146:147]
	v_fma_f64 v[10:11], v[204:205], v[144:145], -v[6:7]
	ds_read_b128 v[144:147], v2 offset:1584
	s_waitcnt vmcnt(13) lgkmcnt(1)
	v_mul_f64 v[6:7], v[140:141], v[46:47]
	v_fmac_f64_e32 v[6:7], v[142:143], v[44:45]
	v_add_f64 v[0:1], v[0:1], v[6:7]
	v_mul_f64 v[6:7], v[210:211], v[150:151]
	v_fma_f64 v[22:23], v[208:209], v[148:149], -v[6:7]
	ds_read_b128 v[148:151], v2 offset:1600
	s_waitcnt vmcnt(12) lgkmcnt(1)
	v_mul_f64 v[6:7], v[144:145], v[50:51]
	ds_read_b128 v[152:155], v2 offset:1616
	v_fmac_f64_e32 v[6:7], v[146:147], v[48:49]
	v_add_f64 v[0:1], v[0:1], v[6:7]
	v_mul_f64 v[6:7], v[214:215], v[158:159]
	v_fma_f64 v[8:9], v[212:213], v[156:157], -v[6:7]
	s_waitcnt vmcnt(11) lgkmcnt(1)
	v_mul_f64 v[6:7], v[148:149], v[54:55]
	v_fmac_f64_e32 v[6:7], v[150:151], v[52:53]
	ds_read_b128 v[156:159], v2 offset:1632
	v_add_f64 v[0:1], v[0:1], v[6:7]
	s_waitcnt vmcnt(10) lgkmcnt(1)
	v_mul_f64 v[6:7], v[152:153], v[58:59]
	v_fmac_f64_e32 v[6:7], v[154:155], v[56:57]
	v_add_f64 v[0:1], v[0:1], v[6:7]
	v_mul_f64 v[6:7], v[218:219], v[162:163]
	v_fma_f64 v[26:27], v[216:217], v[160:161], -v[6:7]
	ds_read_b128 v[160:163], v2 offset:1648
	ds_read_b128 v[164:167], v2 offset:1664
	s_waitcnt vmcnt(9) lgkmcnt(2)
	v_mul_f64 v[6:7], v[156:157], v[62:63]
	v_fmac_f64_e32 v[6:7], v[158:159], v[60:61]
	v_add_f64 v[0:1], v[0:1], v[6:7]
	s_waitcnt vmcnt(8) lgkmcnt(1)
	v_mul_f64 v[6:7], v[160:161], v[66:67]
	v_fmac_f64_e32 v[6:7], v[162:163], v[64:65]
	v_add_f64 v[0:1], v[0:1], v[6:7]
	v_mul_f64 v[6:7], v[222:223], v[170:171]
	v_fma_f64 v[4:5], v[220:221], v[168:169], -v[6:7]
	ds_read_b128 v[168:171], v2 offset:1680
	v_mul_f64 v[6:7], v[226:227], v[174:175]
	v_fma_f64 v[6:7], v[224:225], v[172:173], -v[6:7]
	ds_read_b128 v[172:175], v2 offset:1696
	s_waitcnt vmcnt(7) lgkmcnt(2)
	v_mul_f64 v[30:31], v[164:165], v[70:71]
	v_fmac_f64_e32 v[30:31], v[166:167], v[68:69]
	v_add_f64 v[0:1], v[0:1], v[30:31]
	s_waitcnt vmcnt(6) lgkmcnt(1)
	v_mul_f64 v[30:31], v[168:169], v[74:75]
	v_fmac_f64_e32 v[30:31], v[170:171], v[72:73]
	v_add_f64 v[0:1], v[0:1], v[30:31]
	s_waitcnt vmcnt(5) lgkmcnt(0)
	v_mul_f64 v[30:31], v[172:173], v[78:79]
	ds_read_b128 v[176:179], v2 offset:1712
	v_fmac_f64_e32 v[30:31], v[174:175], v[76:77]
	v_add_f64 v[30:31], v[0:1], v[30:31]
	v_mul_f64 v[0:1], v[230:231], v[182:183]
	v_fma_f64 v[0:1], v[228:229], v[180:181], -v[0:1]
	ds_read_b128 v[180:183], v2 offset:1728
	v_mul_f64 v[186:187], v[246:247], v[186:187]
	s_waitcnt vmcnt(4) lgkmcnt(1)
	v_mul_f64 v[188:189], v[176:177], v[82:83]
	v_fma_f64 v[238:239], v[244:245], v[184:185], -v[186:187]
	ds_read_b128 v[184:187], v2 offset:1744
	v_fmac_f64_e32 v[188:189], v[178:179], v[80:81]
	v_add_f64 v[30:31], v[30:31], v[188:189]
	ds_read_b128 v[188:191], v2 offset:1760
	s_waitcnt vmcnt(3) lgkmcnt(2)
	v_mul_f64 v[196:197], v[180:181], v[86:87]
	v_mul_f64 v[194:195], v[250:251], v[194:195]
	v_fmac_f64_e32 v[196:197], v[182:183], v[84:85]
	v_fma_f64 v[244:245], v[248:249], v[192:193], -v[194:195]
	ds_read_b128 v[192:195], v2 offset:1776
	ds_read_b128 v[200:203], v2 offset:1792
	v_add_f64 v[30:31], v[30:31], v[196:197]
	s_waitcnt vmcnt(2) lgkmcnt(3)
	v_mul_f64 v[196:197], v[184:185], v[98:99]
	v_fmac_f64_e32 v[196:197], v[186:187], v[96:97]
	v_add_f64 v[30:31], v[30:31], v[196:197]
	s_waitcnt vmcnt(1) lgkmcnt(2)
	v_mul_f64 v[196:197], v[188:189], v[94:95]
	v_fmac_f64_e32 v[196:197], v[190:191], v[92:93]
	;; [unrolled: 4-line block ×3, first 2 shown]
	v_add_f64 v[30:31], v[30:31], v[196:197]
	scratch_load_dwordx4 v[196:199], off, off offset:880
	ds_read_b128 v[208:211], v2 offset:1808
	ds_read_b128 v[216:219], v2 offset:1824
	;; [unrolled: 1-line block ×3, first 2 shown]
	s_waitcnt vmcnt(0) lgkmcnt(3)
	v_mul_f64 v[204:205], v[200:201], v[198:199]
	v_fmac_f64_e32 v[204:205], v[202:203], v[196:197]
	v_add_f64 v[30:31], v[30:31], v[204:205]
	scratch_load_dwordx4 v[204:207], off, off offset:896
	s_waitcnt vmcnt(0) lgkmcnt(2)
	v_mul_f64 v[212:213], v[208:209], v[206:207]
	v_fmac_f64_e32 v[212:213], v[210:211], v[204:205]
	v_add_f64 v[30:31], v[30:31], v[212:213]
	scratch_load_dwordx4 v[212:215], off, off offset:912
	;; [unrolled: 5-line block ×3, first 2 shown]
	s_waitcnt vmcnt(0) lgkmcnt(0)
	v_mul_f64 v[228:229], v[224:225], v[222:223]
	v_fmac_f64_e32 v[228:229], v[226:227], v[220:221]
	v_add_f64 v[248:249], v[30:31], v[228:229]
	v_add_f64 v[30:31], v[240:241], 0
	;; [unrolled: 1-line block ×3, first 2 shown]
	scratch_load_dwordx4 v[228:231], off, off offset:144
	v_add_f64 v[30:31], v[30:31], v[252:253]
	v_add_f64 v[30:31], v[30:31], v[254:255]
	;; [unrolled: 1-line block ×16, first 2 shown]
	v_accvgpr_read_b32 v6, a118
	v_accvgpr_read_b32 v8, a120
	;; [unrolled: 1-line block ×3, first 2 shown]
	v_add_f64 v[0:1], v[4:5], v[0:1]
	v_accvgpr_read_b32 v7, a119
	v_mul_f64 v[4:5], v[90:91], v[8:9]
	v_add_f64 v[0:1], v[0:1], v[238:239]
	v_fma_f64 v[4:5], v[88:89], v[6:7], -v[4:5]
	v_accvgpr_read_b32 v6, a122
	v_add_f64 v[0:1], v[0:1], v[244:245]
	v_accvgpr_read_b32 v8, a124
	v_accvgpr_read_b32 v9, a125
	v_add_f64 v[0:1], v[0:1], v[4:5]
	v_accvgpr_read_b32 v7, a123
	v_mul_f64 v[4:5], v[106:107], v[8:9]
	v_fma_f64 v[4:5], v[104:105], v[6:7], -v[4:5]
	v_accvgpr_read_b32 v6, a126
	v_accvgpr_read_b32 v8, a128
	v_accvgpr_read_b32 v9, a129
	v_add_f64 v[0:1], v[0:1], v[4:5]
	v_accvgpr_read_b32 v7, a127
	v_mul_f64 v[4:5], v[110:111], v[8:9]
	v_fma_f64 v[4:5], v[108:109], v[6:7], -v[4:5]
	v_accvgpr_read_b32 v6, a130
	;; [unrolled: 7-line block ×4, first 2 shown]
	v_accvgpr_read_b32 v8, a140
	v_accvgpr_read_b32 v9, a141
	v_add_f64 v[0:1], v[0:1], v[4:5]
	v_accvgpr_read_b32 v7, a139
	v_mul_f64 v[4:5], v[122:123], v[8:9]
	v_fma_f64 v[4:5], v[120:121], v[6:7], -v[4:5]
	v_add_f64 v[0:1], v[0:1], v[4:5]
	v_mul_f64 v[4:5], v[126:127], v[236:237]
	v_fma_f64 v[4:5], v[124:125], v[234:235], -v[4:5]
	v_add_f64 v[0:1], v[0:1], v[4:5]
	;; [unrolled: 3-line block ×23, first 2 shown]
	s_waitcnt vmcnt(0)
	v_add_f64 v[4:5], v[228:229], -v[0:1]
	v_accvgpr_read_b32 v0, a116
	v_add_f64 v[6:7], v[230:231], -v[248:249]
	v_cmp_lt_u32_e32 vcc, 7, v0
	scratch_store_dwordx4 off, v[4:7], off offset:144
	s_and_saveexec_b64 s[0:1], vcc
	s_cbranch_execz .LBB121_347
; %bb.346:
	scratch_load_dwordx4 v[6:9], off, s67
	v_mov_b32_e32 v3, v2
	v_mov_b32_e32 v4, v2
	v_mov_b32_e32 v5, v2
	v_accvgpr_read_b32 v0, a117
	scratch_store_dwordx4 off, v[2:5], off offset:128
	s_waitcnt vmcnt(1)
	ds_write_b128 v0, v[6:9]
.LBB121_347:
	s_or_b64 exec, exec, s[0:1]
	s_waitcnt lgkmcnt(0)
	; wave barrier
	scratch_load_dwordx4 v[56:59], off, off offset:144
	scratch_load_dwordx4 v[60:63], off, off offset:160
	;; [unrolled: 1-line block ×18, first 2 shown]
	ds_read_b128 v[116:119], v2 offset:1056
	ds_read_b128 v[220:223], v2 offset:1072
	;; [unrolled: 1-line block ×6, first 2 shown]
	scratch_load_dwordx4 v[180:183], off, off offset:432
	ds_read_b128 v[204:207], v2 offset:1152
	ds_read_b128 v[132:135], v2 offset:1168
	scratch_load_dwordx4 v[184:187], off, off offset:448
	ds_read_b128 v[224:227], v2 offset:1184
	ds_read_b128 v[216:219], v2 offset:1200
	;; [unrolled: 1-line block ×5, first 2 shown]
	scratch_load_dwordx4 v[192:195], off, off offset:464
	ds_read_b128 v[200:203], v2 offset:1264
	ds_read_b128 v[164:167], v2 offset:1280
	scratch_load_dwordx4 v[4:7], off, off offset:480
	ds_read_b128 v[212:215], v2 offset:1296
	ds_read_b128 v[188:191], v2 offset:1312
	;; [unrolled: 1-line block ×3, first 2 shown]
	scratch_load_dwordx4 v[8:11], off, off offset:496
	scratch_load_dwordx4 v[12:15], off, off offset:512
	;; [unrolled: 1-line block ×6, first 2 shown]
	ds_read_b128 v[228:231], v2 offset:1344
	ds_read_b128 v[232:235], v2 offset:1360
	;; [unrolled: 1-line block ×4, first 2 shown]
	s_waitcnt vmcnt(27) lgkmcnt(14)
	v_mul_f64 v[0:1], v[116:117], v[58:59]
	s_waitcnt vmcnt(26)
	v_mul_f64 v[32:33], v[220:221], v[62:63]
	v_fmac_f64_e32 v[0:1], v[118:119], v[56:57]
	s_waitcnt vmcnt(25)
	v_mul_f64 v[34:35], v[208:209], v[66:67]
	v_fmac_f64_e32 v[32:33], v[222:223], v[60:61]
	v_add_f64 v[0:1], v[0:1], 0
	v_fmac_f64_e32 v[34:35], v[210:211], v[64:65]
	v_add_f64 v[0:1], v[0:1], v[32:33]
	v_add_f64 v[0:1], v[0:1], v[34:35]
	scratch_load_dwordx4 v[32:35], off, off offset:592
	s_waitcnt vmcnt(25)
	v_mul_f64 v[36:37], v[120:121], v[70:71]
	s_waitcnt vmcnt(24)
	v_mul_f64 v[38:39], v[128:129], v[74:75]
	v_fmac_f64_e32 v[36:37], v[122:123], v[68:69]
	s_waitcnt vmcnt(23)
	v_mul_f64 v[40:41], v[124:125], v[78:79]
	v_fmac_f64_e32 v[38:39], v[130:131], v[72:73]
	v_add_f64 v[0:1], v[0:1], v[36:37]
	s_waitcnt vmcnt(22)
	v_mul_f64 v[42:43], v[204:205], v[82:83]
	v_fmac_f64_e32 v[40:41], v[126:127], v[76:77]
	v_add_f64 v[0:1], v[0:1], v[38:39]
	;; [unrolled: 4-line block ×3, first 2 shown]
	s_waitcnt vmcnt(20) lgkmcnt(13)
	v_mul_f64 v[46:47], v[224:225], v[94:95]
	v_fmac_f64_e32 v[44:45], v[134:135], v[84:85]
	v_add_f64 v[0:1], v[0:1], v[42:43]
	s_waitcnt vmcnt(19) lgkmcnt(12)
	v_mul_f64 v[48:49], v[216:217], v[98:99]
	v_fmac_f64_e32 v[46:47], v[226:227], v[92:93]
	v_add_f64 v[0:1], v[0:1], v[44:45]
	;; [unrolled: 4-line block ×9, first 2 shown]
	v_fmac_f64_e32 v[106:107], v[190:191], v[168:169]
	v_add_f64 v[0:1], v[0:1], v[104:105]
	s_waitcnt vmcnt(11) lgkmcnt(4)
	v_mul_f64 v[40:41], v[176:177], v[174:175]
	v_add_f64 v[0:1], v[0:1], v[106:107]
	v_fmac_f64_e32 v[40:41], v[178:179], v[172:173]
	scratch_load_dwordx4 v[36:39], off, off offset:608
	v_add_f64 v[0:1], v[0:1], v[40:41]
	s_waitcnt vmcnt(11) lgkmcnt(3)
	v_mul_f64 v[40:41], v[228:229], v[182:183]
	v_fmac_f64_e32 v[40:41], v[230:231], v[180:181]
	v_add_f64 v[0:1], v[0:1], v[40:41]
	scratch_load_dwordx4 v[40:43], off, off offset:624
	ds_read_b128 v[88:91], v2 offset:1392
	s_waitcnt vmcnt(11) lgkmcnt(3)
	v_mul_f64 v[44:45], v[232:233], v[186:187]
	v_fmac_f64_e32 v[44:45], v[234:235], v[184:185]
	v_add_f64 v[0:1], v[0:1], v[44:45]
	s_waitcnt vmcnt(10) lgkmcnt(2)
	v_mul_f64 v[44:45], v[236:237], v[194:195]
	v_fmac_f64_e32 v[44:45], v[238:239], v[192:193]
	s_waitcnt vmcnt(9) lgkmcnt(0)
	v_mul_f64 v[48:49], v[88:89], v[6:7]
	ds_read_b128 v[104:107], v2 offset:1408
	v_add_f64 v[0:1], v[0:1], v[44:45]
	scratch_load_dwordx4 v[44:47], off, off offset:640
	v_fmac_f64_e32 v[48:49], v[90:91], v[4:5]
	v_accvgpr_write_b32 a121, v7
	v_add_f64 v[0:1], v[0:1], v[48:49]
	scratch_load_dwordx4 v[48:51], off, off offset:656
	v_accvgpr_write_b32 a120, v6
	v_accvgpr_write_b32 a119, v5
	;; [unrolled: 1-line block ×3, first 2 shown]
	s_waitcnt vmcnt(10)
	v_mov_b64_e32 v[4:5], v[8:9]
	v_mov_b64_e32 v[6:7], v[10:11]
	s_waitcnt lgkmcnt(0)
	v_mul_f64 v[52:53], v[104:105], v[6:7]
	v_fmac_f64_e32 v[52:53], v[106:107], v[4:5]
	v_add_f64 v[0:1], v[0:1], v[52:53]
	scratch_load_dwordx4 v[52:55], off, off offset:672
	v_mul_f64 v[58:59], v[118:119], v[58:59]
	v_fma_f64 v[240:241], v[116:117], v[56:57], -v[58:59]
	scratch_load_dwordx4 v[56:59], off, off offset:688
	v_mul_f64 v[62:63], v[222:223], v[62:63]
	v_fma_f64 v[242:243], v[220:221], v[60:61], -v[62:63]
	scratch_load_dwordx4 v[60:63], off, off offset:704
	s_waitcnt vmcnt(12)
	v_mov_b64_e32 v[4:5], v[12:13]
	v_mul_f64 v[66:67], v[210:211], v[66:67]
	v_mov_b64_e32 v[6:7], v[14:15]
	v_fma_f64 v[248:249], v[208:209], v[64:65], -v[66:67]
	scratch_load_dwordx4 v[64:67], off, off offset:720
	v_mul_f64 v[112:113], v[108:109], v[6:7]
	v_fmac_f64_e32 v[112:113], v[110:111], v[4:5]
	v_add_f64 v[0:1], v[0:1], v[112:113]
	ds_read_b128 v[112:115], v2 offset:1440
	ds_read_b128 v[116:119], v2 offset:1456
	s_waitcnt vmcnt(12)
	v_mov_b64_e32 v[4:5], v[16:17]
	v_mul_f64 v[70:71], v[122:123], v[70:71]
	v_mov_b64_e32 v[6:7], v[18:19]
	v_fma_f64 v[250:251], v[120:121], v[68:69], -v[70:71]
	scratch_load_dwordx4 v[68:71], off, off offset:736
	v_mul_f64 v[74:75], v[130:131], v[74:75]
	s_waitcnt lgkmcnt(1)
	v_mul_f64 v[220:221], v[112:113], v[6:7]
	v_fma_f64 v[252:253], v[128:129], v[72:73], -v[74:75]
	scratch_load_dwordx4 v[72:75], off, off offset:752
	v_fmac_f64_e32 v[220:221], v[114:115], v[4:5]
	s_waitcnt vmcnt(13)
	v_mov_b64_e32 v[4:5], v[20:21]
	ds_read_b128 v[120:123], v2 offset:1472
	v_mul_f64 v[78:79], v[126:127], v[78:79]
	v_mov_b64_e32 v[6:7], v[22:23]
	v_fma_f64 v[254:255], v[124:125], v[76:77], -v[78:79]
	scratch_load_dwordx4 v[76:79], off, off offset:768
	s_waitcnt lgkmcnt(1)
	v_mul_f64 v[208:209], v[116:117], v[6:7]
	ds_read_b128 v[124:127], v2 offset:1488
	v_fmac_f64_e32 v[208:209], v[118:119], v[4:5]
	s_waitcnt vmcnt(13)
	v_mov_b64_e32 v[4:5], v[24:25]
	v_mul_f64 v[82:83], v[206:207], v[82:83]
	v_mov_b64_e32 v[6:7], v[26:27]
	v_fma_f64 v[244:245], v[204:205], v[80:81], -v[82:83]
	scratch_load_dwordx4 v[80:83], off, off offset:784
	v_add_f64 v[0:1], v[0:1], v[220:221]
	s_waitcnt lgkmcnt(1)
	v_mul_f64 v[128:129], v[120:121], v[6:7]
	v_add_f64 v[0:1], v[0:1], v[208:209]
	v_fmac_f64_e32 v[128:129], v[122:123], v[4:5]
	v_add_f64 v[0:1], v[0:1], v[128:129]
	s_waitcnt vmcnt(13) lgkmcnt(0)
	v_mul_f64 v[128:129], v[124:125], v[30:31]
	v_accvgpr_write_b32 a141, v27
	v_fmac_f64_e32 v[128:129], v[126:127], v[28:29]
	v_mul_f64 v[86:87], v[134:135], v[86:87]
	v_accvgpr_write_b32 a140, v26
	v_accvgpr_write_b32 a139, v25
	;; [unrolled: 1-line block ×3, first 2 shown]
	v_add_f64 v[0:1], v[0:1], v[128:129]
	v_fma_f64 v[24:25], v[132:133], v[84:85], -v[86:87]
	scratch_load_dwordx4 v[84:87], off, off offset:800
	ds_read_b128 v[132:135], v2 offset:1504
	ds_read_b128 v[128:131], v2 offset:1520
	v_accvgpr_write_b32 a137, v23
	v_mul_f64 v[6:7], v[226:227], v[94:95]
	v_accvgpr_write_b32 a133, v19
	v_accvgpr_write_b32 a136, v22
	;; [unrolled: 1-line block ×4, first 2 shown]
	v_fma_f64 v[20:21], v[224:225], v[92:93], -v[6:7]
	v_mul_f64 v[92:93], v[218:219], v[98:99]
	v_accvgpr_write_b32 a125, v11
	v_accvgpr_write_b32 a132, v18
	v_accvgpr_write_b32 a131, v17
	v_accvgpr_write_b32 a130, v16
	v_fma_f64 v[16:17], v[216:217], v[96:97], -v[92:93]
	scratch_load_dwordx4 v[96:99], off, off offset:816
	scratch_load_dwordx4 v[92:95], off, off offset:832
	v_accvgpr_write_b32 a124, v10
	v_accvgpr_write_b32 a123, v9
	;; [unrolled: 1-line block ×3, first 2 shown]
	s_waitcnt vmcnt(15) lgkmcnt(1)
	v_mul_f64 v[10:11], v[132:133], v[34:35]
	v_fmac_f64_e32 v[10:11], v[134:135], v[32:33]
	v_accvgpr_write_b32 a129, v15
	v_add_f64 v[0:1], v[0:1], v[10:11]
	v_mul_f64 v[10:11], v[198:199], v[102:103]
	v_accvgpr_write_b32 a128, v14
	v_accvgpr_write_b32 a127, v13
	v_accvgpr_write_b32 a126, v12
	v_fma_f64 v[12:13], v[196:197], v[100:101], -v[10:11]
	scratch_load_dwordx4 v[100:103], off, off offset:848
	v_mul_f64 v[138:139], v[142:143], v[138:139]
	v_fma_f64 v[10:11], v[140:141], v[136:137], -v[138:139]
	ds_read_b128 v[136:139], v2 offset:1536
	ds_read_b128 v[140:143], v2 offset:1552
	s_waitcnt vmcnt(15) lgkmcnt(2)
	v_mul_f64 v[14:15], v[128:129], v[38:39]
	v_fmac_f64_e32 v[14:15], v[130:131], v[36:37]
	v_add_f64 v[0:1], v[0:1], v[14:15]
	s_waitcnt vmcnt(14) lgkmcnt(1)
	v_mul_f64 v[14:15], v[136:137], v[42:43]
	v_fmac_f64_e32 v[14:15], v[138:139], v[40:41]
	v_add_f64 v[0:1], v[0:1], v[14:15]
	v_mul_f64 v[14:15], v[154:155], v[146:147]
	v_fma_f64 v[14:15], v[152:153], v[144:145], -v[14:15]
	ds_read_b128 v[144:147], v2 offset:1568
	s_waitcnt vmcnt(13) lgkmcnt(1)
	v_mul_f64 v[152:153], v[140:141], v[46:47]
	v_mul_f64 v[150:151], v[202:203], v[150:151]
	v_fmac_f64_e32 v[152:153], v[142:143], v[44:45]
	v_fma_f64 v[8:9], v[200:201], v[148:149], -v[150:151]
	ds_read_b128 v[148:151], v2 offset:1584
	s_waitcnt vmcnt(12) lgkmcnt(1)
	v_mul_f64 v[18:19], v[144:145], v[50:51]
	v_add_f64 v[0:1], v[0:1], v[152:153]
	v_fmac_f64_e32 v[18:19], v[146:147], v[48:49]
	v_add_f64 v[0:1], v[0:1], v[18:19]
	ds_read_b128 v[152:155], v2 offset:1600
	v_mul_f64 v[18:19], v[166:167], v[158:159]
	v_fma_f64 v[18:19], v[164:165], v[156:157], -v[18:19]
	ds_read_b128 v[156:159], v2 offset:1616
	v_mul_f64 v[162:163], v[214:215], v[162:163]
	s_waitcnt vmcnt(11) lgkmcnt(2)
	v_mul_f64 v[164:165], v[148:149], v[54:55]
	v_fma_f64 v[6:7], v[212:213], v[160:161], -v[162:163]
	ds_read_b128 v[160:163], v2 offset:1632
	v_fmac_f64_e32 v[164:165], v[150:151], v[52:53]
	v_add_f64 v[0:1], v[0:1], v[164:165]
	s_waitcnt vmcnt(10) lgkmcnt(2)
	v_mul_f64 v[164:165], v[152:153], v[58:59]
	v_fmac_f64_e32 v[164:165], v[154:155], v[56:57]
	s_waitcnt vmcnt(9) lgkmcnt(1)
	v_mul_f64 v[22:23], v[156:157], v[62:63]
	v_add_f64 v[0:1], v[0:1], v[164:165]
	v_fmac_f64_e32 v[22:23], v[158:159], v[60:61]
	v_add_f64 v[0:1], v[0:1], v[22:23]
	ds_read_b128 v[164:167], v2 offset:1648
	s_waitcnt vmcnt(8) lgkmcnt(1)
	v_mul_f64 v[22:23], v[160:161], v[66:67]
	v_fmac_f64_e32 v[22:23], v[162:163], v[64:65]
	v_add_f64 v[0:1], v[0:1], v[22:23]
	v_mul_f64 v[22:23], v[190:191], v[170:171]
	v_fma_f64 v[22:23], v[188:189], v[168:169], -v[22:23]
	ds_read_b128 v[168:171], v2 offset:1664
	v_mul_f64 v[174:175], v[178:179], v[174:175]
	v_fma_f64 v[4:5], v[176:177], v[172:173], -v[174:175]
	ds_read_b128 v[172:175], v2 offset:1680
	s_waitcnt vmcnt(7) lgkmcnt(2)
	v_mul_f64 v[188:189], v[164:165], v[70:71]
	v_fmac_f64_e32 v[188:189], v[166:167], v[68:69]
	s_waitcnt vmcnt(6) lgkmcnt(1)
	v_mul_f64 v[26:27], v[168:169], v[74:75]
	ds_read_b128 v[176:179], v2 offset:1696
	v_add_f64 v[0:1], v[0:1], v[188:189]
	v_fmac_f64_e32 v[26:27], v[170:171], v[72:73]
	v_add_f64 v[0:1], v[0:1], v[26:27]
	s_waitcnt vmcnt(5) lgkmcnt(1)
	v_mul_f64 v[26:27], v[172:173], v[78:79]
	v_fmac_f64_e32 v[26:27], v[174:175], v[76:77]
	v_add_f64 v[0:1], v[0:1], v[26:27]
	v_mul_f64 v[26:27], v[230:231], v[182:183]
	v_fma_f64 v[26:27], v[228:229], v[180:181], -v[26:27]
	ds_read_b128 v[180:183], v2 offset:1712
	s_waitcnt vmcnt(4) lgkmcnt(1)
	v_mul_f64 v[188:189], v[176:177], v[82:83]
	v_fmac_f64_e32 v[188:189], v[178:179], v[80:81]
	v_add_f64 v[196:197], v[0:1], v[188:189]
	v_mul_f64 v[0:1], v[234:235], v[186:187]
	v_fma_f64 v[0:1], v[232:233], v[184:185], -v[0:1]
	ds_read_b128 v[184:187], v2 offset:1728
	ds_read_b128 v[188:191], v2 offset:1744
	s_waitcnt vmcnt(3) lgkmcnt(2)
	v_mul_f64 v[198:199], v[180:181], v[86:87]
	v_mul_f64 v[194:195], v[238:239], v[194:195]
	v_fmac_f64_e32 v[198:199], v[182:183], v[84:85]
	v_fma_f64 v[246:247], v[236:237], v[192:193], -v[194:195]
	ds_read_b128 v[192:195], v2 offset:1760
	ds_read_b128 v[200:203], v2 offset:1776
	v_add_f64 v[196:197], v[196:197], v[198:199]
	s_waitcnt vmcnt(2) lgkmcnt(3)
	v_mul_f64 v[198:199], v[184:185], v[98:99]
	v_fmac_f64_e32 v[198:199], v[186:187], v[96:97]
	v_add_f64 v[196:197], v[196:197], v[198:199]
	s_waitcnt vmcnt(1) lgkmcnt(2)
	v_mul_f64 v[198:199], v[188:189], v[94:95]
	v_fmac_f64_e32 v[198:199], v[190:191], v[92:93]
	v_add_f64 v[196:197], v[196:197], v[198:199]
	scratch_load_dwordx4 v[232:235], off, off offset:928
	s_waitcnt vmcnt(1) lgkmcnt(1)
	v_mul_f64 v[198:199], v[192:193], v[102:103]
	v_fmac_f64_e32 v[198:199], v[194:195], v[100:101]
	v_add_f64 v[204:205], v[196:197], v[198:199]
	scratch_load_dwordx4 v[196:199], off, off offset:864
	ds_read_b128 v[208:211], v2 offset:1792
	ds_read_b128 v[216:219], v2 offset:1808
	;; [unrolled: 1-line block ×3, first 2 shown]
	s_waitcnt vmcnt(0) lgkmcnt(3)
	v_mul_f64 v[206:207], v[200:201], v[198:199]
	v_fmac_f64_e32 v[206:207], v[202:203], v[196:197]
	v_add_f64 v[212:213], v[204:205], v[206:207]
	scratch_load_dwordx4 v[204:207], off, off offset:880
	s_waitcnt vmcnt(0) lgkmcnt(2)
	v_mul_f64 v[214:215], v[208:209], v[206:207]
	v_fmac_f64_e32 v[214:215], v[210:211], v[204:205]
	v_add_f64 v[220:221], v[212:213], v[214:215]
	scratch_load_dwordx4 v[212:215], off, off offset:896
	;; [unrolled: 5-line block ×3, first 2 shown]
	s_waitcnt vmcnt(0) lgkmcnt(0)
	v_mul_f64 v[230:231], v[224:225], v[222:223]
	v_fmac_f64_e32 v[230:231], v[226:227], v[220:221]
	v_add_f64 v[236:237], v[228:229], v[230:231]
	ds_read_b128 v[228:231], v2 offset:1840
	s_waitcnt lgkmcnt(0)
	v_mul_f64 v[2:3], v[228:229], v[234:235]
	v_fmac_f64_e32 v[2:3], v[230:231], v[232:233]
	v_add_f64 v[2:3], v[236:237], v[2:3]
	v_add_f64 v[236:237], v[240:241], 0
	;; [unrolled: 1-line block ×9, first 2 shown]
	scratch_load_dwordx4 v[236:239], off, off offset:128
	v_add_f64 v[20:21], v[24:25], v[20:21]
	v_add_f64 v[16:17], v[20:21], v[16:17]
	v_add_f64 v[12:13], v[16:17], v[12:13]
	v_add_f64 v[10:11], v[12:13], v[10:11]
	v_add_f64 v[10:11], v[10:11], v[14:15]
	v_add_f64 v[8:9], v[10:11], v[8:9]
	v_add_f64 v[8:9], v[8:9], v[18:19]
	v_add_f64 v[6:7], v[8:9], v[6:7]
	v_add_f64 v[6:7], v[6:7], v[22:23]
	v_add_f64 v[4:5], v[6:7], v[4:5]
	v_accvgpr_read_b32 v6, a118
	v_accvgpr_read_b32 v8, a120
	;; [unrolled: 1-line block ×3, first 2 shown]
	v_add_f64 v[248:249], v[4:5], v[26:27]
	v_accvgpr_read_b32 v7, a119
	v_mul_f64 v[4:5], v[90:91], v[8:9]
	v_add_f64 v[0:1], v[248:249], v[0:1]
	v_fma_f64 v[4:5], v[88:89], v[6:7], -v[4:5]
	v_accvgpr_read_b32 v6, a122
	v_add_f64 v[0:1], v[0:1], v[246:247]
	v_accvgpr_read_b32 v8, a124
	v_accvgpr_read_b32 v9, a125
	v_add_f64 v[0:1], v[0:1], v[4:5]
	v_accvgpr_read_b32 v7, a123
	v_mul_f64 v[4:5], v[106:107], v[8:9]
	v_fma_f64 v[4:5], v[104:105], v[6:7], -v[4:5]
	v_accvgpr_read_b32 v6, a126
	v_accvgpr_read_b32 v8, a128
	v_accvgpr_read_b32 v9, a129
	v_add_f64 v[0:1], v[0:1], v[4:5]
	v_accvgpr_read_b32 v7, a127
	v_mul_f64 v[4:5], v[110:111], v[8:9]
	v_fma_f64 v[4:5], v[108:109], v[6:7], -v[4:5]
	v_accvgpr_read_b32 v6, a130
	;; [unrolled: 7-line block ×4, first 2 shown]
	v_accvgpr_read_b32 v8, a140
	v_accvgpr_read_b32 v9, a141
	v_add_f64 v[0:1], v[0:1], v[4:5]
	v_accvgpr_read_b32 v7, a139
	v_mul_f64 v[4:5], v[122:123], v[8:9]
	v_fma_f64 v[4:5], v[120:121], v[6:7], -v[4:5]
	v_add_f64 v[0:1], v[0:1], v[4:5]
	v_mul_f64 v[4:5], v[126:127], v[30:31]
	v_fma_f64 v[4:5], v[124:125], v[28:29], -v[4:5]
	v_add_f64 v[0:1], v[0:1], v[4:5]
	;; [unrolled: 3-line block ×24, first 2 shown]
	s_waitcnt vmcnt(0)
	v_add_f64 v[4:5], v[236:237], -v[0:1]
	v_accvgpr_read_b32 v0, a116
	v_add_f64 v[6:7], v[238:239], -v[2:3]
	v_cmp_lt_u32_e32 vcc, 6, v0
	scratch_store_dwordx4 off, v[4:7], off offset:128
	s_and_saveexec_b64 s[0:1], vcc
	s_cbranch_execz .LBB121_349
; %bb.348:
	scratch_load_dwordx4 v[2:5], off, s68
	v_mov_b32_e32 v6, 0
	v_mov_b32_e32 v7, v6
	;; [unrolled: 1-line block ×4, first 2 shown]
	v_accvgpr_read_b32 v0, a117
	scratch_store_dwordx4 off, v[6:9], off offset:112
	s_waitcnt vmcnt(1)
	ds_write_b128 v0, v[2:5]
.LBB121_349:
	s_or_b64 exec, exec, s[0:1]
	s_waitcnt lgkmcnt(0)
	; wave barrier
	scratch_load_dwordx4 v[48:51], off, off offset:128
	scratch_load_dwordx4 v[52:55], off, off offset:144
	;; [unrolled: 1-line block ×28, first 2 shown]
	v_mov_b32_e32 v2, 0
	ds_read_b128 v[104:107], v2 offset:1040
	ds_read_b128 v[112:115], v2 offset:1056
	;; [unrolled: 1-line block ×18, first 2 shown]
	scratch_load_dwordx4 a[118:121], off, off offset:576
	scratch_load_dwordx4 a[122:125], off, off offset:592
	ds_read_b128 v[220:223], v2 offset:1328
	ds_read_b128 v[224:227], v2 offset:1344
	;; [unrolled: 1-line block ×4, first 2 shown]
	scratch_load_dwordx4 v[234:237], off, off offset:608
	ds_read_b128 v[248:251], v2 offset:1392
	s_waitcnt vmcnt(30) lgkmcnt(14)
	v_mul_f64 v[0:1], v[104:105], v[50:51]
	s_waitcnt vmcnt(29)
	v_mul_f64 v[24:25], v[112:113], v[54:55]
	v_fmac_f64_e32 v[0:1], v[106:107], v[48:49]
	s_waitcnt vmcnt(28)
	v_mul_f64 v[26:27], v[116:117], v[58:59]
	v_fmac_f64_e32 v[24:25], v[114:115], v[52:53]
	v_add_f64 v[0:1], v[0:1], 0
	s_waitcnt vmcnt(27)
	v_mul_f64 v[28:29], v[120:121], v[62:63]
	v_fmac_f64_e32 v[26:27], v[118:119], v[56:57]
	v_add_f64 v[0:1], v[0:1], v[24:25]
	;; [unrolled: 4-line block ×7, first 2 shown]
	s_waitcnt vmcnt(21) lgkmcnt(13)
	v_mul_f64 v[40:41], v[172:173], v[86:87]
	v_fmac_f64_e32 v[38:39], v[162:163], v[80:81]
	v_add_f64 v[0:1], v[0:1], v[36:37]
	s_waitcnt vmcnt(20) lgkmcnt(12)
	v_mul_f64 v[42:43], v[184:185], v[94:95]
	v_fmac_f64_e32 v[40:41], v[174:175], v[84:85]
	v_add_f64 v[0:1], v[0:1], v[38:39]
	;; [unrolled: 4-line block ×8, first 2 shown]
	v_add_f64 v[0:1], v[0:1], v[96:97]
	v_fmac_f64_e32 v[98:99], v[214:215], v[152:153]
	s_waitcnt vmcnt(13) lgkmcnt(5)
	v_mul_f64 v[32:33], v[216:217], v[158:159]
	v_add_f64 v[0:1], v[0:1], v[98:99]
	v_fmac_f64_e32 v[32:33], v[218:219], v[156:157]
	v_add_f64 v[0:1], v[0:1], v[32:33]
	s_waitcnt vmcnt(12) lgkmcnt(4)
	v_mul_f64 v[32:33], v[220:221], v[166:167]
	v_fmac_f64_e32 v[32:33], v[222:223], v[164:165]
	s_waitcnt vmcnt(11) lgkmcnt(3)
	v_mul_f64 v[36:37], v[224:225], v[170:171]
	v_add_f64 v[0:1], v[0:1], v[32:33]
	v_fmac_f64_e32 v[36:37], v[226:227], v[168:169]
	v_add_f64 v[0:1], v[0:1], v[36:37]
	s_waitcnt vmcnt(10) lgkmcnt(2)
	v_mul_f64 v[36:37], v[228:229], v[178:179]
	v_fmac_f64_e32 v[36:37], v[230:231], v[176:177]
	v_add_f64 v[0:1], v[0:1], v[36:37]
	scratch_load_dwordx4 v[36:39], off, off offset:624
	s_waitcnt vmcnt(10) lgkmcnt(1)
	v_mul_f64 v[40:41], v[244:245], v[182:183]
	v_fmac_f64_e32 v[40:41], v[246:247], v[180:181]
	v_add_f64 v[0:1], v[0:1], v[40:41]
	scratch_load_dwordx4 v[40:43], off, off offset:640
	ds_read_b128 v[88:91], v2 offset:1408
	s_waitcnt vmcnt(10) lgkmcnt(1)
	v_mul_f64 v[44:45], v[248:249], v[190:191]
	v_fmac_f64_e32 v[44:45], v[250:251], v[188:189]
	v_add_f64 v[0:1], v[0:1], v[44:45]
	scratch_load_dwordx4 v[44:47], off, off offset:656
	v_mul_f64 v[50:51], v[106:107], v[50:51]
	v_fma_f64 v[240:241], v[104:105], v[48:49], -v[50:51]
	scratch_load_dwordx4 v[48:51], off, off offset:672
	s_waitcnt vmcnt(11) lgkmcnt(0)
	v_mul_f64 v[96:97], v[88:89], v[6:7]
	v_mul_f64 v[54:55], v[114:115], v[54:55]
	v_fmac_f64_e32 v[96:97], v[90:91], v[4:5]
	v_fma_f64 v[242:243], v[112:113], v[52:53], -v[54:55]
	scratch_load_dwordx4 v[52:55], off, off offset:688
	v_add_f64 v[0:1], v[0:1], v[96:97]
	ds_read_b128 v[96:99], v2 offset:1424
	ds_read_b128 v[104:107], v2 offset:1440
	v_accvgpr_write_b32 a129, v7
	v_accvgpr_write_b32 a128, v6
	;; [unrolled: 1-line block ×4, first 2 shown]
	s_waitcnt vmcnt(11)
	v_mov_b64_e32 v[4:5], v[8:9]
	v_mov_b64_e32 v[6:7], v[10:11]
	v_mul_f64 v[58:59], v[118:119], v[58:59]
	s_waitcnt lgkmcnt(1)
	v_mul_f64 v[112:113], v[96:97], v[6:7]
	v_fma_f64 v[252:253], v[116:117], v[56:57], -v[58:59]
	scratch_load_dwordx4 v[56:59], off, off offset:704
	v_fmac_f64_e32 v[112:113], v[98:99], v[4:5]
	s_waitcnt vmcnt(11)
	v_mov_b64_e32 v[4:5], v[12:13]
	v_mul_f64 v[62:63], v[122:123], v[62:63]
	v_mov_b64_e32 v[6:7], v[14:15]
	v_fma_f64 v[254:255], v[120:121], v[60:61], -v[62:63]
	scratch_load_dwordx4 v[60:63], off, off offset:720
	v_add_f64 v[0:1], v[0:1], v[112:113]
	s_waitcnt lgkmcnt(0)
	v_mul_f64 v[112:113], v[104:105], v[6:7]
	v_fmac_f64_e32 v[112:113], v[106:107], v[4:5]
	v_mul_f64 v[66:67], v[126:127], v[66:67]
	v_add_f64 v[0:1], v[0:1], v[112:113]
	ds_read_b128 v[112:115], v2 offset:1456
	ds_read_b128 v[116:119], v2 offset:1472
	v_fma_f64 v[232:233], v[124:125], v[64:65], -v[66:67]
	scratch_load_dwordx4 v[64:67], off, off offset:736
	v_accvgpr_write_b32 a133, v11
	v_accvgpr_write_b32 a132, v10
	;; [unrolled: 1-line block ×4, first 2 shown]
	s_waitcnt vmcnt(12)
	v_mov_b64_e32 v[8:9], v[16:17]
	v_mov_b64_e32 v[10:11], v[18:19]
	v_mul_f64 v[70:71], v[130:131], v[70:71]
	s_waitcnt lgkmcnt(1)
	v_mul_f64 v[6:7], v[112:113], v[10:11]
	v_fma_f64 v[32:33], v[128:129], v[68:69], -v[70:71]
	scratch_load_dwordx4 v[68:71], off, off offset:752
	v_fmac_f64_e32 v[6:7], v[114:115], v[8:9]
	v_add_f64 v[0:1], v[0:1], v[6:7]
	v_mul_f64 v[6:7], v[134:135], v[74:75]
	v_fma_f64 v[28:29], v[132:133], v[72:73], -v[6:7]
	s_waitcnt vmcnt(12)
	v_mov_b64_e32 v[8:9], v[20:21]
	scratch_load_dwordx4 v[72:75], off, off offset:768
	v_mov_b64_e32 v[10:11], v[22:23]
	s_waitcnt lgkmcnt(0)
	v_mul_f64 v[6:7], v[116:117], v[10:11]
	v_fmac_f64_e32 v[6:7], v[118:119], v[8:9]
	v_add_f64 v[0:1], v[0:1], v[6:7]
	v_mul_f64 v[6:7], v[150:151], v[78:79]
	v_fma_f64 v[24:25], v[148:149], v[76:77], -v[6:7]
	scratch_load_dwordx4 v[76:79], off, off offset:784
	ds_read_b128 v[124:127], v2 offset:1488
	ds_read_b128 v[120:123], v2 offset:1504
	v_accvgpr_write_b32 a145, v23
	v_mul_f64 v[6:7], v[162:163], v[82:83]
	v_accvgpr_write_b32 a141, v19
	v_accvgpr_write_b32 a144, v22
	;; [unrolled: 1-line block ×4, first 2 shown]
	v_fma_f64 v[20:21], v[160:161], v[80:81], -v[6:7]
	v_mul_f64 v[6:7], v[174:175], v[86:87]
	s_waitcnt vmcnt(13)
	v_accvgpr_read_b32 v8, a118
	v_accvgpr_write_b32 a140, v18
	v_accvgpr_write_b32 a139, v17
	;; [unrolled: 1-line block ×3, first 2 shown]
	v_fma_f64 v[16:17], v[172:173], v[84:85], -v[6:7]
	scratch_load_dwordx4 v[84:87], off, off offset:800
	scratch_load_dwordx4 v[80:83], off, off offset:816
	v_accvgpr_read_b32 v10, a120
	v_accvgpr_read_b32 v11, a121
	;; [unrolled: 1-line block ×3, first 2 shown]
	s_waitcnt lgkmcnt(1)
	v_mul_f64 v[6:7], v[124:125], v[10:11]
	v_fmac_f64_e32 v[6:7], v[126:127], v[8:9]
	s_waitcnt vmcnt(14)
	v_accvgpr_read_b32 v8, a122
	v_accvgpr_read_b32 v10, a124
	;; [unrolled: 1-line block ×3, first 2 shown]
	v_add_f64 v[0:1], v[0:1], v[6:7]
	v_accvgpr_read_b32 v9, a123
	s_waitcnt lgkmcnt(0)
	v_mul_f64 v[6:7], v[120:121], v[10:11]
	v_fmac_f64_e32 v[6:7], v[122:123], v[8:9]
	v_accvgpr_write_b32 a137, v15
	v_add_f64 v[0:1], v[0:1], v[6:7]
	v_mul_f64 v[6:7], v[186:187], v[94:95]
	v_accvgpr_write_b32 a136, v14
	v_accvgpr_write_b32 a135, v13
	;; [unrolled: 1-line block ×3, first 2 shown]
	v_fma_f64 v[14:15], v[184:185], v[92:93], -v[6:7]
	scratch_load_dwordx4 v[92:95], off, off offset:832
	v_mul_f64 v[6:7], v[194:195], v[102:103]
	v_fma_f64 v[18:19], v[192:193], v[100:101], -v[6:7]
	scratch_load_dwordx4 v[100:103], off, off offset:848
	v_mul_f64 v[6:7], v[198:199], v[110:111]
	v_fma_f64 v[12:13], v[196:197], v[108:109], -v[6:7]
	scratch_load_dwordx4 v[108:111], off, off offset:864
	ds_read_b128 v[128:131], v2 offset:1520
	ds_read_b128 v[132:135], v2 offset:1536
	;; [unrolled: 1-line block ×5, first 2 shown]
	s_waitcnt vmcnt(16) lgkmcnt(4)
	v_mul_f64 v[6:7], v[128:129], v[236:237]
	v_fmac_f64_e32 v[6:7], v[130:131], v[234:235]
	v_add_f64 v[0:1], v[0:1], v[6:7]
	v_mul_f64 v[6:7], v[202:203], v[138:139]
	v_fma_f64 v[22:23], v[200:201], v[136:137], -v[6:7]
	ds_read_b128 v[136:139], v2 offset:1552
	s_waitcnt vmcnt(15) lgkmcnt(4)
	v_mul_f64 v[6:7], v[132:133], v[38:39]
	v_fmac_f64_e32 v[6:7], v[134:135], v[36:37]
	v_add_f64 v[0:1], v[0:1], v[6:7]
	v_mul_f64 v[6:7], v[206:207], v[142:143]
	v_fma_f64 v[10:11], v[204:205], v[140:141], -v[6:7]
	ds_read_b128 v[140:143], v2 offset:1568
	;; [unrolled: 7-line block ×3, first 2 shown]
	s_waitcnt vmcnt(13) lgkmcnt(1)
	v_mul_f64 v[6:7], v[140:141], v[46:47]
	v_fmac_f64_e32 v[6:7], v[142:143], v[44:45]
	v_add_f64 v[0:1], v[0:1], v[6:7]
	v_mul_f64 v[182:183], v[246:247], v[182:183]
	s_waitcnt vmcnt(12) lgkmcnt(0)
	v_mul_f64 v[6:7], v[144:145], v[50:51]
	v_fmac_f64_e32 v[6:7], v[146:147], v[48:49]
	v_add_f64 v[0:1], v[0:1], v[6:7]
	v_mul_f64 v[6:7], v[214:215], v[154:155]
	v_fma_f64 v[8:9], v[212:213], v[152:153], -v[6:7]
	s_waitcnt vmcnt(11)
	v_mul_f64 v[6:7], v[148:149], v[54:55]
	v_fmac_f64_e32 v[6:7], v[150:151], v[52:53]
	ds_read_b128 v[152:155], v2 offset:1616
	v_add_f64 v[0:1], v[0:1], v[6:7]
	v_mul_f64 v[6:7], v[218:219], v[158:159]
	v_fma_f64 v[30:31], v[216:217], v[156:157], -v[6:7]
	ds_read_b128 v[156:159], v2 offset:1632
	s_waitcnt vmcnt(10) lgkmcnt(1)
	v_mul_f64 v[6:7], v[152:153], v[58:59]
	v_fmac_f64_e32 v[6:7], v[154:155], v[56:57]
	v_add_f64 v[0:1], v[0:1], v[6:7]
	s_waitcnt vmcnt(5)
	v_mul_f64 v[184:185], v[172:173], v[78:79]
	s_waitcnt lgkmcnt(0)
	v_mul_f64 v[6:7], v[156:157], v[62:63]
	v_fmac_f64_e32 v[6:7], v[158:159], v[60:61]
	v_add_f64 v[0:1], v[0:1], v[6:7]
	v_mul_f64 v[6:7], v[222:223], v[166:167]
	v_fma_f64 v[4:5], v[220:221], v[164:165], -v[6:7]
	ds_read_b128 v[164:167], v2 offset:1664
	v_mul_f64 v[6:7], v[160:161], v[66:67]
	v_fmac_f64_e32 v[6:7], v[162:163], v[64:65]
	v_add_f64 v[0:1], v[0:1], v[6:7]
	v_mul_f64 v[6:7], v[226:227], v[170:171]
	v_fma_f64 v[6:7], v[224:225], v[168:169], -v[6:7]
	ds_read_b128 v[168:171], v2 offset:1680
	s_waitcnt lgkmcnt(1)
	v_mul_f64 v[34:35], v[164:165], v[70:71]
	v_fmac_f64_e32 v[34:35], v[166:167], v[68:69]
	v_add_f64 v[0:1], v[0:1], v[34:35]
	v_fmac_f64_e32 v[184:185], v[174:175], v[76:77]
	s_waitcnt lgkmcnt(0)
	v_mul_f64 v[34:35], v[168:169], v[74:75]
	v_fmac_f64_e32 v[34:35], v[170:171], v[72:73]
	v_add_f64 v[34:35], v[0:1], v[34:35]
	v_mul_f64 v[0:1], v[230:231], v[178:179]
	v_fma_f64 v[0:1], v[228:229], v[176:177], -v[0:1]
	ds_read_b128 v[176:179], v2 offset:1712
	v_fma_f64 v[238:239], v[244:245], v[180:181], -v[182:183]
	ds_read_b128 v[180:183], v2 offset:1728
	v_add_f64 v[34:35], v[34:35], v[184:185]
	v_mul_f64 v[190:191], v[250:251], v[190:191]
	s_waitcnt vmcnt(4) lgkmcnt(1)
	v_mul_f64 v[184:185], v[176:177], v[86:87]
	v_fmac_f64_e32 v[184:185], v[178:179], v[84:85]
	v_add_f64 v[34:35], v[34:35], v[184:185]
	ds_read_b128 v[184:187], v2 offset:1744
	v_fma_f64 v[244:245], v[248:249], v[188:189], -v[190:191]
	ds_read_b128 v[188:191], v2 offset:1760
	s_waitcnt vmcnt(3) lgkmcnt(2)
	v_mul_f64 v[192:193], v[180:181], v[82:83]
	v_fmac_f64_e32 v[192:193], v[182:183], v[80:81]
	v_add_f64 v[34:35], v[34:35], v[192:193]
	s_waitcnt vmcnt(2) lgkmcnt(1)
	v_mul_f64 v[192:193], v[184:185], v[94:95]
	v_fmac_f64_e32 v[192:193], v[186:187], v[92:93]
	v_add_f64 v[34:35], v[34:35], v[192:193]
	;; [unrolled: 4-line block ×3, first 2 shown]
	ds_read_b128 v[192:195], v2 offset:1776
	ds_read_b128 v[200:203], v2 offset:1792
	;; [unrolled: 1-line block ×5, first 2 shown]
	s_waitcnt vmcnt(0) lgkmcnt(4)
	v_mul_f64 v[196:197], v[192:193], v[110:111]
	v_fmac_f64_e32 v[196:197], v[194:195], v[108:109]
	v_add_f64 v[34:35], v[34:35], v[196:197]
	scratch_load_dwordx4 v[196:199], off, off offset:880
	s_waitcnt vmcnt(0) lgkmcnt(3)
	v_mul_f64 v[204:205], v[200:201], v[198:199]
	v_fmac_f64_e32 v[204:205], v[202:203], v[196:197]
	v_add_f64 v[34:35], v[34:35], v[204:205]
	scratch_load_dwordx4 v[204:207], off, off offset:896
	;; [unrolled: 5-line block ×4, first 2 shown]
	s_waitcnt vmcnt(0) lgkmcnt(0)
	v_mul_f64 v[228:229], v[224:225], v[222:223]
	v_fmac_f64_e32 v[228:229], v[226:227], v[220:221]
	v_add_f64 v[248:249], v[34:35], v[228:229]
	v_add_f64 v[34:35], v[240:241], 0
	;; [unrolled: 1-line block ×6, first 2 shown]
	scratch_load_dwordx4 v[228:231], off, off offset:112
	v_add_f64 v[32:33], v[34:35], v[32:33]
	v_add_f64 v[28:29], v[32:33], v[28:29]
	;; [unrolled: 1-line block ×15, first 2 shown]
	v_accvgpr_read_b32 v6, a126
	v_accvgpr_read_b32 v8, a128
	v_accvgpr_read_b32 v9, a129
	v_add_f64 v[0:1], v[4:5], v[0:1]
	v_accvgpr_read_b32 v7, a127
	v_mul_f64 v[4:5], v[90:91], v[8:9]
	v_add_f64 v[0:1], v[0:1], v[238:239]
	v_fma_f64 v[4:5], v[88:89], v[6:7], -v[4:5]
	v_accvgpr_read_b32 v6, a130
	v_add_f64 v[0:1], v[0:1], v[244:245]
	v_accvgpr_read_b32 v8, a132
	v_accvgpr_read_b32 v9, a133
	v_add_f64 v[0:1], v[0:1], v[4:5]
	v_accvgpr_read_b32 v7, a131
	v_mul_f64 v[4:5], v[98:99], v[8:9]
	v_fma_f64 v[4:5], v[96:97], v[6:7], -v[4:5]
	v_accvgpr_read_b32 v6, a134
	v_accvgpr_read_b32 v8, a136
	v_accvgpr_read_b32 v9, a137
	v_add_f64 v[0:1], v[0:1], v[4:5]
	v_accvgpr_read_b32 v7, a135
	v_mul_f64 v[4:5], v[106:107], v[8:9]
	v_fma_f64 v[4:5], v[104:105], v[6:7], -v[4:5]
	v_accvgpr_read_b32 v6, a138
	v_accvgpr_read_b32 v8, a140
	v_accvgpr_read_b32 v9, a141
	v_add_f64 v[0:1], v[0:1], v[4:5]
	v_accvgpr_read_b32 v7, a139
	v_mul_f64 v[4:5], v[114:115], v[8:9]
	v_fma_f64 v[4:5], v[112:113], v[6:7], -v[4:5]
	v_accvgpr_read_b32 v6, a142
	v_accvgpr_read_b32 v8, a144
	v_accvgpr_read_b32 v9, a145
	v_add_f64 v[0:1], v[0:1], v[4:5]
	v_accvgpr_read_b32 v7, a143
	v_mul_f64 v[4:5], v[118:119], v[8:9]
	v_fma_f64 v[4:5], v[116:117], v[6:7], -v[4:5]
	v_accvgpr_read_b32 v6, a118
	v_accvgpr_read_b32 v8, a120
	v_accvgpr_read_b32 v9, a121
	v_add_f64 v[0:1], v[0:1], v[4:5]
	v_accvgpr_read_b32 v7, a119
	v_mul_f64 v[4:5], v[126:127], v[8:9]
	v_fma_f64 v[4:5], v[124:125], v[6:7], -v[4:5]
	v_accvgpr_read_b32 v6, a122
	v_accvgpr_read_b32 v8, a124
	v_accvgpr_read_b32 v9, a125
	v_add_f64 v[0:1], v[0:1], v[4:5]
	v_accvgpr_read_b32 v7, a123
	v_mul_f64 v[4:5], v[122:123], v[8:9]
	v_fma_f64 v[4:5], v[120:121], v[6:7], -v[4:5]
	v_add_f64 v[0:1], v[0:1], v[4:5]
	v_mul_f64 v[4:5], v[130:131], v[236:237]
	v_fma_f64 v[4:5], v[128:129], v[234:235], -v[4:5]
	v_add_f64 v[0:1], v[0:1], v[4:5]
	;; [unrolled: 3-line block ×22, first 2 shown]
	s_waitcnt vmcnt(0)
	v_add_f64 v[4:5], v[228:229], -v[0:1]
	v_accvgpr_read_b32 v0, a116
	v_add_f64 v[6:7], v[230:231], -v[248:249]
	v_cmp_lt_u32_e32 vcc, 5, v0
	scratch_store_dwordx4 off, v[4:7], off offset:112
	s_and_saveexec_b64 s[0:1], vcc
	s_cbranch_execz .LBB121_351
; %bb.350:
	scratch_load_dwordx4 v[6:9], off, s69
	v_mov_b32_e32 v3, v2
	v_mov_b32_e32 v4, v2
	;; [unrolled: 1-line block ×3, first 2 shown]
	v_accvgpr_read_b32 v0, a117
	scratch_store_dwordx4 off, v[2:5], off offset:96
	s_waitcnt vmcnt(1)
	ds_write_b128 v0, v[6:9]
.LBB121_351:
	s_or_b64 exec, exec, s[0:1]
	s_waitcnt lgkmcnt(0)
	; wave barrier
	scratch_load_dwordx4 v[48:51], off, off offset:112
	scratch_load_dwordx4 v[52:55], off, off offset:128
	;; [unrolled: 1-line block ×18, first 2 shown]
	ds_read_b128 v[104:107], v2 offset:1024
	ds_read_b128 v[208:211], v2 offset:1040
	;; [unrolled: 1-line block ×6, first 2 shown]
	scratch_load_dwordx4 v[164:167], off, off offset:400
	ds_read_b128 v[192:195], v2 offset:1120
	ds_read_b128 v[124:127], v2 offset:1136
	scratch_load_dwordx4 v[168:171], off, off offset:416
	ds_read_b128 v[212:215], v2 offset:1152
	ds_read_b128 v[204:207], v2 offset:1168
	;; [unrolled: 1-line block ×5, first 2 shown]
	scratch_load_dwordx4 v[176:179], off, off offset:432
	ds_read_b128 v[200:203], v2 offset:1232
	ds_read_b128 v[172:175], v2 offset:1248
	scratch_load_dwordx4 v[180:183], off, off offset:448
	ds_read_b128 v[216:219], v2 offset:1264
	ds_read_b128 v[184:187], v2 offset:1280
	;; [unrolled: 1-line block ×3, first 2 shown]
	scratch_load_dwordx4 v[188:191], off, off offset:464
	scratch_load_dwordx4 v[4:7], off, off offset:480
	;; [unrolled: 1-line block ×8, first 2 shown]
	ds_read_b128 v[220:223], v2 offset:1312
	ds_read_b128 v[224:227], v2 offset:1328
	;; [unrolled: 1-line block ×5, first 2 shown]
	s_waitcnt vmcnt(29) lgkmcnt(14)
	v_mul_f64 v[0:1], v[104:105], v[50:51]
	s_waitcnt vmcnt(28)
	v_mul_f64 v[24:25], v[208:209], v[54:55]
	v_fmac_f64_e32 v[0:1], v[106:107], v[48:49]
	s_waitcnt vmcnt(27)
	v_mul_f64 v[26:27], v[196:197], v[58:59]
	v_fmac_f64_e32 v[24:25], v[210:211], v[52:53]
	v_add_f64 v[0:1], v[0:1], 0
	s_waitcnt vmcnt(26)
	v_mul_f64 v[28:29], v[112:113], v[62:63]
	v_fmac_f64_e32 v[26:27], v[198:199], v[56:57]
	v_add_f64 v[0:1], v[0:1], v[24:25]
	;; [unrolled: 4-line block ×7, first 2 shown]
	s_waitcnt vmcnt(20) lgkmcnt(13)
	v_mul_f64 v[40:41], v[204:205], v[86:87]
	v_fmac_f64_e32 v[38:39], v[214:215], v[80:81]
	v_add_f64 v[0:1], v[0:1], v[36:37]
	s_waitcnt vmcnt(19) lgkmcnt(12)
	v_mul_f64 v[42:43], v[128:129], v[94:95]
	v_fmac_f64_e32 v[40:41], v[206:207], v[84:85]
	v_add_f64 v[0:1], v[0:1], v[38:39]
	;; [unrolled: 4-line block ×8, first 2 shown]
	v_fmac_f64_e32 v[98:99], v[186:187], v[152:153]
	v_add_f64 v[0:1], v[0:1], v[96:97]
	s_waitcnt vmcnt(12) lgkmcnt(5)
	v_mul_f64 v[32:33], v[160:161], v[158:159]
	v_add_f64 v[0:1], v[0:1], v[98:99]
	v_fmac_f64_e32 v[32:33], v[162:163], v[156:157]
	v_add_f64 v[0:1], v[0:1], v[32:33]
	s_waitcnt vmcnt(11) lgkmcnt(4)
	v_mul_f64 v[32:33], v[220:221], v[166:167]
	v_fmac_f64_e32 v[32:33], v[222:223], v[164:165]
	v_add_f64 v[0:1], v[0:1], v[32:33]
	scratch_load_dwordx4 v[32:35], off, off offset:592
	s_waitcnt vmcnt(11) lgkmcnt(3)
	v_mul_f64 v[36:37], v[224:225], v[170:171]
	v_fmac_f64_e32 v[36:37], v[226:227], v[168:169]
	v_add_f64 v[0:1], v[0:1], v[36:37]
	s_waitcnt vmcnt(10) lgkmcnt(2)
	v_mul_f64 v[36:37], v[228:229], v[178:179]
	v_fmac_f64_e32 v[36:37], v[230:231], v[176:177]
	v_add_f64 v[0:1], v[0:1], v[36:37]
	scratch_load_dwordx4 v[36:39], off, off offset:608
	s_waitcnt vmcnt(10) lgkmcnt(1)
	v_mul_f64 v[40:41], v[232:233], v[182:183]
	v_fmac_f64_e32 v[40:41], v[234:235], v[180:181]
	ds_read_b128 v[88:91], v2 offset:1392
	s_waitcnt vmcnt(9) lgkmcnt(1)
	v_mul_f64 v[44:45], v[236:237], v[190:191]
	v_add_f64 v[0:1], v[0:1], v[40:41]
	scratch_load_dwordx4 v[40:43], off, off offset:624
	v_fmac_f64_e32 v[44:45], v[238:239], v[188:189]
	v_add_f64 v[0:1], v[0:1], v[44:45]
	scratch_load_dwordx4 v[44:47], off, off offset:640
	v_mul_f64 v[50:51], v[106:107], v[50:51]
	v_fma_f64 v[240:241], v[104:105], v[48:49], -v[50:51]
	scratch_load_dwordx4 v[48:51], off, off offset:656
	s_waitcnt vmcnt(11) lgkmcnt(0)
	v_mul_f64 v[96:97], v[88:89], v[6:7]
	v_mul_f64 v[54:55], v[210:211], v[54:55]
	v_fmac_f64_e32 v[96:97], v[90:91], v[4:5]
	v_fma_f64 v[242:243], v[208:209], v[52:53], -v[54:55]
	scratch_load_dwordx4 v[52:55], off, off offset:672
	v_mul_f64 v[58:59], v[198:199], v[58:59]
	v_add_f64 v[0:1], v[0:1], v[96:97]
	ds_read_b128 v[96:99], v2 offset:1408
	ds_read_b128 v[104:107], v2 offset:1424
	v_fma_f64 v[248:249], v[196:197], v[56:57], -v[58:59]
	scratch_load_dwordx4 v[56:59], off, off offset:688
	v_mul_f64 v[62:63], v[114:115], v[62:63]
	v_accvgpr_write_b32 a129, v7
	v_fma_f64 v[250:251], v[112:113], v[60:61], -v[62:63]
	scratch_load_dwordx4 v[60:63], off, off offset:704
	v_accvgpr_write_b32 a128, v6
	v_accvgpr_write_b32 a127, v5
	;; [unrolled: 1-line block ×3, first 2 shown]
	s_waitcnt vmcnt(13)
	v_mov_b64_e32 v[4:5], v[8:9]
	v_mov_b64_e32 v[6:7], v[10:11]
	s_waitcnt lgkmcnt(1)
	v_mul_f64 v[208:209], v[96:97], v[6:7]
	v_fmac_f64_e32 v[208:209], v[98:99], v[4:5]
	s_waitcnt vmcnt(12)
	v_mov_b64_e32 v[4:5], v[12:13]
	ds_read_b128 v[112:115], v2 offset:1440
	v_mov_b64_e32 v[6:7], v[14:15]
	s_waitcnt lgkmcnt(1)
	v_mul_f64 v[196:197], v[104:105], v[6:7]
	v_mul_f64 v[66:67], v[122:123], v[66:67]
	;; [unrolled: 1-line block ×3, first 2 shown]
	v_fmac_f64_e32 v[196:197], v[106:107], v[4:5]
	v_fma_f64 v[252:253], v[120:121], v[64:65], -v[66:67]
	scratch_load_dwordx4 v[64:67], off, off offset:720
	v_fma_f64 v[254:255], v[116:117], v[68:69], -v[70:71]
	ds_read_b128 v[116:119], v2 offset:1456
	s_waitcnt vmcnt(12)
	v_mov_b64_e32 v[4:5], v[16:17]
	v_mov_b64_e32 v[6:7], v[18:19]
	scratch_load_dwordx4 v[68:71], off, off offset:736
	s_waitcnt lgkmcnt(1)
	v_mul_f64 v[120:121], v[112:113], v[6:7]
	v_mul_f64 v[74:75], v[194:195], v[74:75]
	v_add_f64 v[0:1], v[0:1], v[208:209]
	v_fmac_f64_e32 v[120:121], v[114:115], v[4:5]
	v_fma_f64 v[244:245], v[192:193], v[72:73], -v[74:75]
	s_waitcnt vmcnt(12)
	v_mov_b64_e32 v[4:5], v[20:21]
	scratch_load_dwordx4 v[72:75], off, off offset:752
	v_add_f64 v[0:1], v[0:1], v[196:197]
	v_mov_b64_e32 v[6:7], v[22:23]
	v_add_f64 v[0:1], v[0:1], v[120:121]
	s_waitcnt lgkmcnt(0)
	v_mul_f64 v[120:121], v[116:117], v[6:7]
	v_fmac_f64_e32 v[120:121], v[118:119], v[4:5]
	v_mul_f64 v[78:79], v[126:127], v[78:79]
	v_add_f64 v[0:1], v[0:1], v[120:121]
	v_fma_f64 v[28:29], v[124:125], v[76:77], -v[78:79]
	scratch_load_dwordx4 v[76:79], off, off offset:768
	ds_read_b128 v[124:127], v2 offset:1472
	ds_read_b128 v[120:123], v2 offset:1488
	v_mul_f64 v[6:7], v[214:215], v[82:83]
	v_fma_f64 v[24:25], v[212:213], v[80:81], -v[6:7]
	s_waitcnt vmcnt(13)
	v_accvgpr_read_b32 v4, a118
	v_accvgpr_write_b32 a133, v11
	v_accvgpr_write_b32 a145, v23
	v_mul_f64 v[80:81], v[206:207], v[86:87]
	v_accvgpr_read_b32 v6, a120
	v_accvgpr_read_b32 v7, a121
	v_accvgpr_write_b32 a132, v10
	v_accvgpr_write_b32 a131, v9
	;; [unrolled: 1-line block ×6, first 2 shown]
	v_fma_f64 v[20:21], v[204:205], v[84:85], -v[80:81]
	scratch_load_dwordx4 v[84:87], off, off offset:784
	v_accvgpr_read_b32 v5, a119
	s_waitcnt lgkmcnt(1)
	v_mul_f64 v[10:11], v[124:125], v[6:7]
	v_fmac_f64_e32 v[10:11], v[126:127], v[4:5]
	s_waitcnt vmcnt(13)
	v_accvgpr_read_b32 v4, a122
	v_accvgpr_read_b32 v6, a124
	;; [unrolled: 1-line block ×3, first 2 shown]
	v_add_f64 v[0:1], v[0:1], v[10:11]
	v_accvgpr_read_b32 v5, a123
	s_waitcnt lgkmcnt(0)
	v_mul_f64 v[10:11], v[120:121], v[6:7]
	v_fmac_f64_e32 v[10:11], v[122:123], v[4:5]
	v_accvgpr_write_b32 a141, v19
	scratch_load_dwordx4 v[80:83], off, off offset:800
	v_add_f64 v[0:1], v[0:1], v[10:11]
	v_mul_f64 v[10:11], v[130:131], v[94:95]
	v_accvgpr_write_b32 a137, v15
	v_accvgpr_write_b32 a140, v18
	;; [unrolled: 1-line block ×4, first 2 shown]
	v_fma_f64 v[16:17], v[128:129], v[92:93], -v[10:11]
	v_mul_f64 v[92:93], v[134:135], v[102:103]
	v_accvgpr_write_b32 a136, v14
	v_accvgpr_write_b32 a135, v13
	;; [unrolled: 1-line block ×3, first 2 shown]
	v_fma_f64 v[12:13], v[132:133], v[100:101], -v[92:93]
	scratch_load_dwordx4 v[92:95], off, off offset:816
	ds_read_b128 v[128:131], v2 offset:1504
	ds_read_b128 v[132:135], v2 offset:1520
	scratch_load_dwordx4 v[100:103], off, off offset:832
	v_mul_f64 v[14:15], v[150:151], v[110:111]
	v_fma_f64 v[14:15], v[148:149], v[108:109], -v[14:15]
	s_waitcnt vmcnt(15) lgkmcnt(1)
	v_mul_f64 v[108:109], v[128:129], v[34:35]
	v_fmac_f64_e32 v[108:109], v[130:131], v[32:33]
	v_add_f64 v[0:1], v[0:1], v[108:109]
	v_mul_f64 v[108:109], v[202:203], v[138:139]
	v_fma_f64 v[10:11], v[200:201], v[136:137], -v[108:109]
	scratch_load_dwordx4 v[108:111], off, off offset:848
	s_waitcnt vmcnt(15) lgkmcnt(0)
	v_mul_f64 v[18:19], v[132:133], v[38:39]
	v_fmac_f64_e32 v[18:19], v[134:135], v[36:37]
	ds_read_b128 v[136:139], v2 offset:1536
	v_add_f64 v[0:1], v[0:1], v[18:19]
	v_mul_f64 v[18:19], v[174:175], v[142:143]
	v_fma_f64 v[18:19], v[172:173], v[140:141], -v[18:19]
	ds_read_b128 v[140:143], v2 offset:1552
	v_mul_f64 v[146:147], v[218:219], v[146:147]
	v_fma_f64 v[8:9], v[216:217], v[144:145], -v[146:147]
	ds_read_b128 v[144:147], v2 offset:1568
	s_waitcnt vmcnt(14) lgkmcnt(2)
	v_mul_f64 v[148:149], v[136:137], v[42:43]
	v_fmac_f64_e32 v[148:149], v[138:139], v[40:41]
	s_waitcnt vmcnt(13) lgkmcnt(1)
	v_mul_f64 v[22:23], v[140:141], v[46:47]
	v_add_f64 v[0:1], v[0:1], v[148:149]
	v_fmac_f64_e32 v[22:23], v[142:143], v[44:45]
	ds_read_b128 v[148:151], v2 offset:1584
	v_add_f64 v[0:1], v[0:1], v[22:23]
	s_waitcnt vmcnt(12) lgkmcnt(1)
	v_mul_f64 v[22:23], v[144:145], v[50:51]
	v_fmac_f64_e32 v[22:23], v[146:147], v[48:49]
	v_add_f64 v[0:1], v[0:1], v[22:23]
	v_mul_f64 v[22:23], v[186:187], v[154:155]
	v_fma_f64 v[22:23], v[184:185], v[152:153], -v[22:23]
	ds_read_b128 v[152:155], v2 offset:1600
	v_mul_f64 v[158:159], v[162:163], v[158:159]
	v_fma_f64 v[6:7], v[160:161], v[156:157], -v[158:159]
	ds_read_b128 v[156:159], v2 offset:1616
	s_waitcnt vmcnt(11) lgkmcnt(2)
	v_mul_f64 v[172:173], v[148:149], v[54:55]
	v_fmac_f64_e32 v[172:173], v[150:151], v[52:53]
	s_waitcnt vmcnt(10) lgkmcnt(1)
	v_mul_f64 v[26:27], v[152:153], v[58:59]
	v_add_f64 v[0:1], v[0:1], v[172:173]
	v_fmac_f64_e32 v[26:27], v[154:155], v[56:57]
	v_add_f64 v[0:1], v[0:1], v[26:27]
	s_waitcnt vmcnt(9) lgkmcnt(0)
	v_mul_f64 v[26:27], v[156:157], v[62:63]
	v_fmac_f64_e32 v[26:27], v[158:159], v[60:61]
	ds_read_b128 v[160:163], v2 offset:1632
	v_add_f64 v[0:1], v[0:1], v[26:27]
	v_mul_f64 v[26:27], v[222:223], v[166:167]
	v_fma_f64 v[26:27], v[220:221], v[164:165], -v[26:27]
	ds_read_b128 v[164:167], v2 offset:1648
	v_mul_f64 v[170:171], v[226:227], v[170:171]
	v_fma_f64 v[4:5], v[224:225], v[168:169], -v[170:171]
	ds_read_b128 v[168:171], v2 offset:1664
	s_waitcnt vmcnt(8) lgkmcnt(2)
	v_mul_f64 v[172:173], v[160:161], v[66:67]
	v_fmac_f64_e32 v[172:173], v[162:163], v[64:65]
	s_waitcnt vmcnt(7) lgkmcnt(1)
	v_mul_f64 v[30:31], v[164:165], v[70:71]
	v_add_f64 v[0:1], v[0:1], v[172:173]
	v_fmac_f64_e32 v[30:31], v[166:167], v[68:69]
	v_add_f64 v[0:1], v[0:1], v[30:31]
	ds_read_b128 v[172:175], v2 offset:1680
	s_waitcnt vmcnt(6) lgkmcnt(1)
	v_mul_f64 v[30:31], v[168:169], v[74:75]
	v_fmac_f64_e32 v[30:31], v[170:171], v[72:73]
	v_add_f64 v[30:31], v[0:1], v[30:31]
	v_mul_f64 v[0:1], v[230:231], v[178:179]
	v_fma_f64 v[0:1], v[228:229], v[176:177], -v[0:1]
	ds_read_b128 v[176:179], v2 offset:1696
	v_mul_f64 v[182:183], v[234:235], v[182:183]
	s_waitcnt vmcnt(5) lgkmcnt(1)
	v_mul_f64 v[184:185], v[172:173], v[78:79]
	v_fma_f64 v[180:181], v[232:233], v[180:181], -v[182:183]
	v_fmac_f64_e32 v[184:185], v[174:175], v[76:77]
	v_accvgpr_write_b32 a146, v180
	v_mul_f64 v[190:191], v[238:239], v[190:191]
	v_accvgpr_write_b32 a147, v181
	ds_read_b128 v[180:183], v2 offset:1712
	v_add_f64 v[30:31], v[30:31], v[184:185]
	v_fma_f64 v[246:247], v[236:237], v[188:189], -v[190:191]
	scratch_load_dwordx4 v[236:239], off, off offset:96
	s_waitcnt vmcnt(5) lgkmcnt(1)
	v_mul_f64 v[184:185], v[176:177], v[86:87]
	v_fmac_f64_e32 v[184:185], v[178:179], v[84:85]
	v_add_f64 v[30:31], v[30:31], v[184:185]
	ds_read_b128 v[184:187], v2 offset:1728
	ds_read_b128 v[188:191], v2 offset:1744
	s_waitcnt vmcnt(4) lgkmcnt(2)
	v_mul_f64 v[192:193], v[180:181], v[82:83]
	v_fmac_f64_e32 v[192:193], v[182:183], v[80:81]
	v_add_f64 v[30:31], v[30:31], v[192:193]
	s_waitcnt vmcnt(3) lgkmcnt(1)
	v_mul_f64 v[192:193], v[184:185], v[94:95]
	v_fmac_f64_e32 v[192:193], v[186:187], v[92:93]
	v_add_f64 v[30:31], v[30:31], v[192:193]
	s_waitcnt vmcnt(2) lgkmcnt(0)
	v_mul_f64 v[192:193], v[188:189], v[102:103]
	v_fmac_f64_e32 v[192:193], v[190:191], v[100:101]
	v_add_f64 v[30:31], v[30:31], v[192:193]
	ds_read_b128 v[192:195], v2 offset:1760
	ds_read_b128 v[200:203], v2 offset:1776
	scratch_load_dwordx4 v[232:235], off, off offset:928
	ds_read_b128 v[208:211], v2 offset:1792
	ds_read_b128 v[216:219], v2 offset:1808
	s_waitcnt vmcnt(2) lgkmcnt(3)
	v_mul_f64 v[196:197], v[192:193], v[110:111]
	v_fmac_f64_e32 v[196:197], v[194:195], v[108:109]
	v_add_f64 v[30:31], v[30:31], v[196:197]
	scratch_load_dwordx4 v[196:199], off, off offset:864
	ds_read_b128 v[224:227], v2 offset:1824
	s_waitcnt vmcnt(0) lgkmcnt(3)
	v_mul_f64 v[204:205], v[200:201], v[198:199]
	v_fmac_f64_e32 v[204:205], v[202:203], v[196:197]
	v_add_f64 v[30:31], v[30:31], v[204:205]
	scratch_load_dwordx4 v[204:207], off, off offset:880
	s_waitcnt vmcnt(0) lgkmcnt(2)
	v_mul_f64 v[212:213], v[208:209], v[206:207]
	v_fmac_f64_e32 v[212:213], v[210:211], v[204:205]
	v_add_f64 v[30:31], v[30:31], v[212:213]
	scratch_load_dwordx4 v[212:215], off, off offset:896
	;; [unrolled: 5-line block ×3, first 2 shown]
	s_waitcnt vmcnt(0) lgkmcnt(0)
	v_mul_f64 v[228:229], v[224:225], v[222:223]
	v_fmac_f64_e32 v[228:229], v[226:227], v[220:221]
	v_add_f64 v[30:31], v[30:31], v[228:229]
	ds_read_b128 v[228:231], v2 offset:1840
	s_waitcnt lgkmcnt(0)
	v_mul_f64 v[2:3], v[228:229], v[234:235]
	v_fmac_f64_e32 v[2:3], v[230:231], v[232:233]
	v_add_f64 v[2:3], v[30:31], v[2:3]
	v_add_f64 v[30:31], v[240:241], 0
	;; [unrolled: 1-line block ×21, first 2 shown]
	v_accvgpr_read_b32 v6, a126
	v_add_f64 v[248:249], v[4:5], v[0:1]
	v_accvgpr_read_b32 v0, a146
	v_accvgpr_read_b32 v8, a128
	;; [unrolled: 1-line block ×5, first 2 shown]
	v_mul_f64 v[4:5], v[90:91], v[8:9]
	v_add_f64 v[0:1], v[248:249], v[0:1]
	v_fma_f64 v[4:5], v[88:89], v[6:7], -v[4:5]
	v_accvgpr_read_b32 v6, a130
	v_add_f64 v[0:1], v[0:1], v[246:247]
	v_accvgpr_read_b32 v8, a132
	v_accvgpr_read_b32 v9, a133
	v_add_f64 v[0:1], v[0:1], v[4:5]
	v_accvgpr_read_b32 v7, a131
	v_mul_f64 v[4:5], v[98:99], v[8:9]
	v_fma_f64 v[4:5], v[96:97], v[6:7], -v[4:5]
	v_accvgpr_read_b32 v6, a134
	v_accvgpr_read_b32 v8, a136
	v_accvgpr_read_b32 v9, a137
	v_add_f64 v[0:1], v[0:1], v[4:5]
	v_accvgpr_read_b32 v7, a135
	v_mul_f64 v[4:5], v[106:107], v[8:9]
	v_fma_f64 v[4:5], v[104:105], v[6:7], -v[4:5]
	v_accvgpr_read_b32 v6, a138
	;; [unrolled: 7-line block ×5, first 2 shown]
	v_accvgpr_read_b32 v8, a124
	v_accvgpr_read_b32 v9, a125
	v_add_f64 v[0:1], v[0:1], v[4:5]
	v_accvgpr_read_b32 v7, a123
	v_mul_f64 v[4:5], v[122:123], v[8:9]
	v_fma_f64 v[4:5], v[120:121], v[6:7], -v[4:5]
	v_add_f64 v[0:1], v[0:1], v[4:5]
	v_mul_f64 v[4:5], v[130:131], v[34:35]
	v_fma_f64 v[4:5], v[128:129], v[32:33], -v[4:5]
	v_add_f64 v[0:1], v[0:1], v[4:5]
	;; [unrolled: 3-line block ×23, first 2 shown]
	v_add_f64 v[4:5], v[236:237], -v[0:1]
	v_accvgpr_read_b32 v0, a116
	v_add_f64 v[6:7], v[238:239], -v[2:3]
	v_cmp_lt_u32_e32 vcc, 4, v0
	scratch_store_dwordx4 off, v[4:7], off offset:96
	s_and_saveexec_b64 s[0:1], vcc
	s_cbranch_execz .LBB121_353
; %bb.352:
	scratch_load_dwordx4 v[2:5], off, s70
	v_mov_b32_e32 v6, 0
	v_mov_b32_e32 v7, v6
	;; [unrolled: 1-line block ×4, first 2 shown]
	v_accvgpr_read_b32 v0, a117
	scratch_store_dwordx4 off, v[6:9], off offset:80
	s_waitcnt vmcnt(1)
	ds_write_b128 v0, v[2:5]
.LBB121_353:
	s_or_b64 exec, exec, s[0:1]
	s_waitcnt lgkmcnt(0)
	; wave barrier
	scratch_load_dwordx4 v[40:43], off, off offset:96
	scratch_load_dwordx4 v[44:47], off, off offset:112
	;; [unrolled: 1-line block ×29, first 2 shown]
	v_mov_b32_e32 v2, 0
	ds_read_b128 v[80:83], v2 offset:1008
	ds_read_b128 v[100:103], v2 offset:1024
	;; [unrolled: 1-line block ×18, first 2 shown]
	scratch_load_dwordx4 a[118:121], off, off offset:560
	scratch_load_dwordx4 a[122:125], off, off offset:576
	ds_read_b128 v[228:231], v2 offset:1360
	ds_read_b128 v[244:247], v2 offset:1376
	scratch_load_dwordx4 a[126:129], off, off offset:592
	scratch_load_dwordx4 v[234:237], off, off offset:608
	ds_read_b128 v[248:251], v2 offset:1392
	scratch_load_dwordx4 a[130:133], off, off offset:624
	ds_read_b128 v[224:227], v2 offset:1344
	s_waitcnt vmcnt(33) lgkmcnt(14)
	v_mul_f64 v[0:1], v[80:81], v[42:43]
	s_waitcnt vmcnt(32)
	v_mul_f64 v[20:21], v[100:101], v[46:47]
	v_fmac_f64_e32 v[0:1], v[82:83], v[40:41]
	s_waitcnt vmcnt(31)
	v_mul_f64 v[22:23], v[104:105], v[50:51]
	v_fmac_f64_e32 v[20:21], v[102:103], v[44:45]
	v_add_f64 v[0:1], v[0:1], 0
	s_waitcnt vmcnt(30)
	v_mul_f64 v[24:25], v[108:109], v[54:55]
	v_fmac_f64_e32 v[22:23], v[106:107], v[48:49]
	v_add_f64 v[0:1], v[0:1], v[20:21]
	s_waitcnt vmcnt(29)
	v_mul_f64 v[26:27], v[112:113], v[58:59]
	v_fmac_f64_e32 v[24:25], v[110:111], v[52:53]
	v_add_f64 v[0:1], v[0:1], v[22:23]
	s_waitcnt vmcnt(28)
	v_mul_f64 v[28:29], v[116:117], v[62:63]
	v_fmac_f64_e32 v[26:27], v[114:115], v[56:57]
	v_add_f64 v[0:1], v[0:1], v[24:25]
	s_waitcnt vmcnt(27)
	v_mul_f64 v[30:31], v[120:121], v[66:67]
	v_fmac_f64_e32 v[28:29], v[118:119], v[60:61]
	v_add_f64 v[0:1], v[0:1], v[26:27]
	s_waitcnt vmcnt(26)
	v_mul_f64 v[32:33], v[132:133], v[70:71]
	v_fmac_f64_e32 v[30:31], v[122:123], v[64:65]
	v_add_f64 v[0:1], v[0:1], v[28:29]
	s_waitcnt vmcnt(25) lgkmcnt(13)
	v_mul_f64 v[34:35], v[144:145], v[74:75]
	v_fmac_f64_e32 v[32:33], v[134:135], v[68:69]
	v_add_f64 v[0:1], v[0:1], v[30:31]
	s_waitcnt vmcnt(24) lgkmcnt(12)
	v_mul_f64 v[36:37], v[156:157], v[78:79]
	v_fmac_f64_e32 v[34:35], v[146:147], v[72:73]
	v_add_f64 v[0:1], v[0:1], v[32:33]
	;; [unrolled: 4-line block ×7, first 2 shown]
	v_fmac_f64_e32 v[218:219], v[198:199], v[124:125]
	v_add_f64 v[0:1], v[0:1], v[216:217]
	ds_read_b128 v[212:215], v2 offset:1296
	s_waitcnt vmcnt(18) lgkmcnt(7)
	v_mul_f64 v[220:221], v[200:201], v[130:131]
	v_add_f64 v[0:1], v[0:1], v[218:219]
	ds_read_b128 v[216:219], v2 offset:1312
	v_fmac_f64_e32 v[220:221], v[202:203], v[128:129]
	s_waitcnt vmcnt(17) lgkmcnt(7)
	v_mul_f64 v[20:21], v[204:205], v[138:139]
	v_add_f64 v[0:1], v[0:1], v[220:221]
	v_fmac_f64_e32 v[20:21], v[206:207], v[136:137]
	s_waitcnt vmcnt(16) lgkmcnt(6)
	v_mul_f64 v[24:25], v[208:209], v[142:143]
	ds_read_b128 v[220:223], v2 offset:1328
	v_add_f64 v[0:1], v[0:1], v[20:21]
	v_fmac_f64_e32 v[24:25], v[210:211], v[140:141]
	v_add_f64 v[0:1], v[0:1], v[24:25]
	s_waitcnt vmcnt(15) lgkmcnt(2)
	v_mul_f64 v[24:25], v[212:213], v[150:151]
	v_fmac_f64_e32 v[24:25], v[214:215], v[148:149]
	s_waitcnt vmcnt(14) lgkmcnt(1)
	v_mul_f64 v[28:29], v[216:217], v[154:155]
	v_add_f64 v[0:1], v[0:1], v[24:25]
	v_fmac_f64_e32 v[28:29], v[218:219], v[152:153]
	v_add_f64 v[0:1], v[0:1], v[28:29]
	s_waitcnt vmcnt(13) lgkmcnt(0)
	v_mul_f64 v[28:29], v[220:221], v[162:163]
	v_fmac_f64_e32 v[28:29], v[222:223], v[160:161]
	s_waitcnt vmcnt(12)
	v_mul_f64 v[32:33], v[224:225], v[166:167]
	v_add_f64 v[0:1], v[0:1], v[28:29]
	v_fmac_f64_e32 v[32:33], v[226:227], v[164:165]
	v_add_f64 v[0:1], v[0:1], v[32:33]
	s_waitcnt vmcnt(11)
	v_mul_f64 v[32:33], v[228:229], v[174:175]
	v_fmac_f64_e32 v[32:33], v[230:231], v[172:173]
	s_waitcnt vmcnt(10)
	v_mul_f64 v[36:37], v[244:245], v[178:179]
	v_mul_f64 v[42:43], v[82:83], v[42:43]
	v_add_f64 v[0:1], v[0:1], v[32:33]
	v_fmac_f64_e32 v[36:37], v[246:247], v[176:177]
	v_fma_f64 v[240:241], v[80:81], v[40:41], -v[42:43]
	ds_read_b128 v[80:83], v2 offset:1408
	s_waitcnt vmcnt(9)
	v_mul_f64 v[40:41], v[248:249], v[186:187]
	v_add_f64 v[0:1], v[0:1], v[36:37]
	v_fmac_f64_e32 v[40:41], v[250:251], v[184:185]
	v_add_f64 v[0:1], v[0:1], v[40:41]
	v_mul_f64 v[40:41], v[102:103], v[46:47]
	v_fma_f64 v[242:243], v[100:101], v[44:45], -v[40:41]
	scratch_load_dwordx4 v[40:43], off, off offset:640
	s_waitcnt vmcnt(9) lgkmcnt(0)
	v_mul_f64 v[44:45], v[80:81], v[6:7]
	v_fmac_f64_e32 v[44:45], v[82:83], v[4:5]
	v_add_f64 v[0:1], v[0:1], v[44:45]
	scratch_load_dwordx4 v[44:47], off, off offset:656
	v_mul_f64 v[50:51], v[106:107], v[50:51]
	v_fma_f64 v[252:253], v[104:105], v[48:49], -v[50:51]
	ds_read_b128 v[100:103], v2 offset:1424
	v_mul_f64 v[48:49], v[110:111], v[54:55]
	v_fma_f64 v[254:255], v[108:109], v[52:53], -v[48:49]
	scratch_load_dwordx4 v[52:55], off, off offset:672
	scratch_load_dwordx4 v[48:51], off, off offset:688
	v_accvgpr_write_b32 a137, v7
	v_accvgpr_write_b32 a136, v6
	;; [unrolled: 1-line block ×4, first 2 shown]
	s_waitcnt vmcnt(11)
	v_mov_b64_e32 v[4:5], v[8:9]
	v_mul_f64 v[58:59], v[114:115], v[58:59]
	v_mov_b64_e32 v[6:7], v[10:11]
	v_fma_f64 v[232:233], v[112:113], v[56:57], -v[58:59]
	ds_read_b128 v[104:107], v2 offset:1440
	ds_read_b128 v[108:111], v2 offset:1456
	s_waitcnt lgkmcnt(2)
	v_mul_f64 v[56:57], v[100:101], v[6:7]
	v_fmac_f64_e32 v[56:57], v[102:103], v[4:5]
	v_accvgpr_write_b32 a141, v11
	v_add_f64 v[0:1], v[0:1], v[56:57]
	v_mul_f64 v[56:57], v[118:119], v[62:63]
	v_accvgpr_write_b32 a140, v10
	v_accvgpr_write_b32 a139, v9
	;; [unrolled: 1-line block ×3, first 2 shown]
	v_fma_f64 v[36:37], v[116:117], v[60:61], -v[56:57]
	scratch_load_dwordx4 v[56:59], off, off offset:704
	scratch_load_dwordx4 v[60:63], off, off offset:720
	s_waitcnt vmcnt(12)
	v_mov_b64_e32 v[8:9], v[12:13]
	v_mov_b64_e32 v[10:11], v[14:15]
	s_waitcnt lgkmcnt(1)
	v_mul_f64 v[6:7], v[104:105], v[10:11]
	v_fmac_f64_e32 v[6:7], v[106:107], v[8:9]
	v_add_f64 v[0:1], v[0:1], v[6:7]
	v_mul_f64 v[6:7], v[122:123], v[66:67]
	v_fma_f64 v[32:33], v[120:121], v[64:65], -v[6:7]
	scratch_load_dwordx4 v[64:67], off, off offset:736
	v_mul_f64 v[6:7], v[134:135], v[70:71]
	v_fma_f64 v[28:29], v[132:133], v[68:69], -v[6:7]
	scratch_load_dwordx4 v[68:71], off, off offset:752
	v_mul_f64 v[6:7], v[146:147], v[74:75]
	v_fma_f64 v[24:25], v[144:145], v[72:73], -v[6:7]
	s_waitcnt vmcnt(13)
	v_mov_b64_e32 v[8:9], v[16:17]
	scratch_load_dwordx4 v[72:75], off, off offset:768
	ds_read_b128 v[112:115], v2 offset:1472
	ds_read_b128 v[116:119], v2 offset:1488
	v_mov_b64_e32 v[10:11], v[18:19]
	s_waitcnt lgkmcnt(2)
	v_mul_f64 v[6:7], v[108:109], v[10:11]
	v_fmac_f64_e32 v[6:7], v[110:111], v[8:9]
	v_add_f64 v[0:1], v[0:1], v[6:7]
	v_mul_f64 v[6:7], v[158:159], v[78:79]
	s_waitcnt vmcnt(13)
	v_accvgpr_read_b32 v8, a118
	v_accvgpr_write_b32 a149, v19
	v_fma_f64 v[20:21], v[156:157], v[76:77], -v[6:7]
	v_accvgpr_read_b32 v10, a120
	v_accvgpr_read_b32 v11, a121
	v_mul_f64 v[76:77], v[170:171], v[86:87]
	v_accvgpr_write_b32 a148, v18
	v_accvgpr_write_b32 a147, v17
	;; [unrolled: 1-line block ×3, first 2 shown]
	v_accvgpr_read_b32 v9, a119
	s_waitcnt lgkmcnt(1)
	v_mul_f64 v[6:7], v[112:113], v[10:11]
	v_fma_f64 v[16:17], v[168:169], v[84:85], -v[76:77]
	scratch_load_dwordx4 v[76:79], off, off offset:784
	v_fmac_f64_e32 v[6:7], v[114:115], v[8:9]
	v_accvgpr_write_b32 a145, v15
	v_add_f64 v[0:1], v[0:1], v[6:7]
	v_mul_f64 v[6:7], v[182:183], v[90:91]
	v_mul_f64 v[84:85], v[190:191], v[94:95]
	v_accvgpr_write_b32 a144, v14
	v_accvgpr_write_b32 a143, v13
	;; [unrolled: 1-line block ×3, first 2 shown]
	v_fma_f64 v[18:19], v[180:181], v[88:89], -v[6:7]
	ds_read_b128 v[120:123], v2 offset:1504
	v_fma_f64 v[14:15], v[188:189], v[92:93], -v[84:85]
	scratch_load_dwordx4 v[88:91], off, off offset:800
	scratch_load_dwordx4 v[84:87], off, off offset:816
	v_mul_f64 v[22:23], v[194:195], v[98:99]
	scratch_load_dwordx4 v[92:95], off, off offset:832
	v_fma_f64 v[22:23], v[192:193], v[96:97], -v[22:23]
	v_mul_f64 v[96:97], v[198:199], v[126:127]
	v_fma_f64 v[12:13], v[196:197], v[124:125], -v[96:97]
	scratch_load_dwordx4 v[96:99], off, off offset:848
	s_waitcnt vmcnt(17)
	v_accvgpr_read_b32 v8, a122
	v_accvgpr_read_b32 v10, a124
	;; [unrolled: 1-line block ×4, first 2 shown]
	s_waitcnt lgkmcnt(1)
	v_mul_f64 v[6:7], v[116:117], v[10:11]
	ds_read_b128 v[124:127], v2 offset:1520
	v_fmac_f64_e32 v[6:7], v[118:119], v[8:9]
	s_waitcnt vmcnt(16)
	v_accvgpr_read_b32 v8, a126
	v_mul_f64 v[26:27], v[202:203], v[130:131]
	v_accvgpr_read_b32 v10, a128
	v_accvgpr_read_b32 v11, a129
	v_fma_f64 v[26:27], v[200:201], v[128:129], -v[26:27]
	ds_read_b128 v[128:131], v2 offset:1536
	v_add_f64 v[0:1], v[0:1], v[6:7]
	v_accvgpr_read_b32 v9, a127
	s_waitcnt lgkmcnt(2)
	v_mul_f64 v[6:7], v[120:121], v[10:11]
	v_fmac_f64_e32 v[6:7], v[122:123], v[8:9]
	v_add_f64 v[0:1], v[0:1], v[6:7]
	s_waitcnt vmcnt(15) lgkmcnt(1)
	v_mul_f64 v[6:7], v[124:125], v[236:237]
	s_waitcnt vmcnt(14)
	v_accvgpr_read_b32 v8, a130
	ds_read_b128 v[132:135], v2 offset:1552
	v_fmac_f64_e32 v[6:7], v[126:127], v[234:235]
	v_accvgpr_read_b32 v10, a132
	v_accvgpr_read_b32 v11, a133
	v_add_f64 v[0:1], v[0:1], v[6:7]
	v_accvgpr_read_b32 v9, a131
	s_waitcnt lgkmcnt(1)
	v_mul_f64 v[6:7], v[128:129], v[10:11]
	v_fmac_f64_e32 v[6:7], v[130:131], v[8:9]
	v_add_f64 v[0:1], v[0:1], v[6:7]
	v_mul_f64 v[6:7], v[206:207], v[138:139]
	v_fma_f64 v[10:11], v[204:205], v[136:137], -v[6:7]
	ds_read_b128 v[136:139], v2 offset:1568
	s_waitcnt vmcnt(13) lgkmcnt(1)
	v_mul_f64 v[6:7], v[132:133], v[42:43]
	v_fmac_f64_e32 v[6:7], v[134:135], v[40:41]
	v_add_f64 v[0:1], v[0:1], v[6:7]
	v_mul_f64 v[6:7], v[210:211], v[142:143]
	v_fma_f64 v[30:31], v[208:209], v[140:141], -v[6:7]
	ds_read_b128 v[140:143], v2 offset:1584
	ds_read_b128 v[144:147], v2 offset:1600
	s_waitcnt vmcnt(12) lgkmcnt(2)
	v_mul_f64 v[6:7], v[136:137], v[46:47]
	v_fmac_f64_e32 v[6:7], v[138:139], v[44:45]
	v_add_f64 v[0:1], v[0:1], v[6:7]
	s_waitcnt vmcnt(11) lgkmcnt(1)
	v_mul_f64 v[6:7], v[140:141], v[54:55]
	v_fmac_f64_e32 v[6:7], v[142:143], v[52:53]
	v_add_f64 v[0:1], v[0:1], v[6:7]
	v_mul_f64 v[6:7], v[214:215], v[150:151]
	v_fma_f64 v[8:9], v[212:213], v[148:149], -v[6:7]
	ds_read_b128 v[148:151], v2 offset:1616
	v_mul_f64 v[34:35], v[218:219], v[154:155]
	v_fma_f64 v[34:35], v[216:217], v[152:153], -v[34:35]
	ds_read_b128 v[152:155], v2 offset:1632
	s_waitcnt vmcnt(10) lgkmcnt(2)
	v_mul_f64 v[6:7], v[144:145], v[50:51]
	v_fmac_f64_e32 v[6:7], v[146:147], v[48:49]
	v_add_f64 v[0:1], v[0:1], v[6:7]
	s_waitcnt vmcnt(9) lgkmcnt(1)
	v_mul_f64 v[6:7], v[148:149], v[58:59]
	ds_read_b128 v[156:159], v2 offset:1648
	v_fmac_f64_e32 v[6:7], v[150:151], v[56:57]
	v_add_f64 v[0:1], v[0:1], v[6:7]
	s_waitcnt vmcnt(8) lgkmcnt(1)
	v_mul_f64 v[6:7], v[152:153], v[62:63]
	v_fmac_f64_e32 v[6:7], v[154:155], v[60:61]
	v_add_f64 v[0:1], v[0:1], v[6:7]
	v_mul_f64 v[6:7], v[222:223], v[162:163]
	v_fma_f64 v[4:5], v[220:221], v[160:161], -v[6:7]
	ds_read_b128 v[160:163], v2 offset:1664
	s_waitcnt vmcnt(7) lgkmcnt(1)
	v_mul_f64 v[6:7], v[156:157], v[66:67]
	v_fmac_f64_e32 v[6:7], v[158:159], v[64:65]
	v_add_f64 v[0:1], v[0:1], v[6:7]
	v_mul_f64 v[6:7], v[226:227], v[166:167]
	v_fma_f64 v[6:7], v[224:225], v[164:165], -v[6:7]
	ds_read_b128 v[164:167], v2 offset:1680
	ds_read_b128 v[168:171], v2 offset:1696
	s_waitcnt vmcnt(6) lgkmcnt(2)
	v_mul_f64 v[38:39], v[160:161], v[70:71]
	v_fmac_f64_e32 v[38:39], v[162:163], v[68:69]
	v_add_f64 v[0:1], v[0:1], v[38:39]
	s_waitcnt vmcnt(5) lgkmcnt(1)
	v_mul_f64 v[38:39], v[164:165], v[74:75]
	v_fmac_f64_e32 v[38:39], v[166:167], v[72:73]
	v_add_f64 v[38:39], v[0:1], v[38:39]
	v_mul_f64 v[0:1], v[230:231], v[174:175]
	v_fma_f64 v[0:1], v[228:229], v[172:173], -v[0:1]
	ds_read_b128 v[172:175], v2 offset:1712
	s_waitcnt vmcnt(4) lgkmcnt(1)
	v_mul_f64 v[180:181], v[168:169], v[78:79]
	v_fmac_f64_e32 v[180:181], v[170:171], v[76:77]
	v_mul_f64 v[178:179], v[246:247], v[178:179]
	v_fma_f64 v[238:239], v[244:245], v[176:177], -v[178:179]
	ds_read_b128 v[176:179], v2 offset:1728
	v_add_f64 v[38:39], v[38:39], v[180:181]
	s_waitcnt vmcnt(3) lgkmcnt(1)
	v_mul_f64 v[180:181], v[172:173], v[90:91]
	v_fmac_f64_e32 v[180:181], v[174:175], v[88:89]
	v_add_f64 v[38:39], v[38:39], v[180:181]
	ds_read_b128 v[180:183], v2 offset:1744
	v_mul_f64 v[186:187], v[250:251], v[186:187]
	v_fma_f64 v[244:245], v[248:249], v[184:185], -v[186:187]
	ds_read_b128 v[184:187], v2 offset:1760
	s_waitcnt vmcnt(2) lgkmcnt(2)
	v_mul_f64 v[188:189], v[176:177], v[86:87]
	v_fmac_f64_e32 v[188:189], v[178:179], v[84:85]
	v_add_f64 v[38:39], v[38:39], v[188:189]
	s_waitcnt vmcnt(1) lgkmcnt(1)
	v_mul_f64 v[188:189], v[180:181], v[94:95]
	v_fmac_f64_e32 v[188:189], v[182:183], v[92:93]
	v_add_f64 v[38:39], v[38:39], v[188:189]
	;; [unrolled: 4-line block ×3, first 2 shown]
	scratch_load_dwordx4 v[188:191], off, off offset:864
	ds_read_b128 v[192:195], v2 offset:1776
	ds_read_b128 v[200:203], v2 offset:1792
	;; [unrolled: 1-line block ×5, first 2 shown]
	s_waitcnt vmcnt(0) lgkmcnt(4)
	v_mul_f64 v[196:197], v[192:193], v[190:191]
	v_fmac_f64_e32 v[196:197], v[194:195], v[188:189]
	v_add_f64 v[38:39], v[38:39], v[196:197]
	scratch_load_dwordx4 v[196:199], off, off offset:880
	s_waitcnt vmcnt(0) lgkmcnt(3)
	v_mul_f64 v[204:205], v[200:201], v[198:199]
	v_fmac_f64_e32 v[204:205], v[202:203], v[196:197]
	v_add_f64 v[38:39], v[38:39], v[204:205]
	scratch_load_dwordx4 v[204:207], off, off offset:896
	;; [unrolled: 5-line block ×4, first 2 shown]
	s_waitcnt vmcnt(0) lgkmcnt(0)
	v_mul_f64 v[228:229], v[224:225], v[222:223]
	v_fmac_f64_e32 v[228:229], v[226:227], v[220:221]
	v_add_f64 v[248:249], v[38:39], v[228:229]
	v_add_f64 v[38:39], v[240:241], 0
	;; [unrolled: 1-line block ×8, first 2 shown]
	scratch_load_dwordx4 v[228:231], off, off offset:80
	v_add_f64 v[28:29], v[32:33], v[28:29]
	v_add_f64 v[24:25], v[28:29], v[24:25]
	;; [unrolled: 1-line block ×15, first 2 shown]
	v_accvgpr_read_b32 v6, a134
	v_accvgpr_read_b32 v8, a136
	;; [unrolled: 1-line block ×3, first 2 shown]
	v_add_f64 v[0:1], v[4:5], v[0:1]
	v_accvgpr_read_b32 v7, a135
	v_mul_f64 v[4:5], v[82:83], v[8:9]
	v_add_f64 v[0:1], v[0:1], v[238:239]
	v_fma_f64 v[4:5], v[80:81], v[6:7], -v[4:5]
	v_accvgpr_read_b32 v6, a138
	v_add_f64 v[0:1], v[0:1], v[244:245]
	v_accvgpr_read_b32 v8, a140
	v_accvgpr_read_b32 v9, a141
	v_add_f64 v[0:1], v[0:1], v[4:5]
	v_accvgpr_read_b32 v7, a139
	v_mul_f64 v[4:5], v[102:103], v[8:9]
	v_fma_f64 v[4:5], v[100:101], v[6:7], -v[4:5]
	v_accvgpr_read_b32 v6, a142
	v_accvgpr_read_b32 v8, a144
	v_accvgpr_read_b32 v9, a145
	v_add_f64 v[0:1], v[0:1], v[4:5]
	v_accvgpr_read_b32 v7, a143
	v_mul_f64 v[4:5], v[106:107], v[8:9]
	v_fma_f64 v[4:5], v[104:105], v[6:7], -v[4:5]
	v_accvgpr_read_b32 v6, a146
	;; [unrolled: 7-line block ×5, first 2 shown]
	v_accvgpr_read_b32 v8, a128
	v_accvgpr_read_b32 v9, a129
	v_add_f64 v[0:1], v[0:1], v[4:5]
	v_accvgpr_read_b32 v7, a127
	v_mul_f64 v[4:5], v[122:123], v[8:9]
	v_fma_f64 v[4:5], v[120:121], v[6:7], -v[4:5]
	v_add_f64 v[0:1], v[0:1], v[4:5]
	v_mul_f64 v[4:5], v[126:127], v[236:237]
	v_accvgpr_read_b32 v6, a130
	v_fma_f64 v[4:5], v[124:125], v[234:235], -v[4:5]
	v_accvgpr_read_b32 v8, a132
	v_accvgpr_read_b32 v9, a133
	v_add_f64 v[0:1], v[0:1], v[4:5]
	v_accvgpr_read_b32 v7, a131
	v_mul_f64 v[4:5], v[130:131], v[8:9]
	v_fma_f64 v[4:5], v[128:129], v[6:7], -v[4:5]
	v_add_f64 v[0:1], v[0:1], v[4:5]
	v_mul_f64 v[4:5], v[134:135], v[42:43]
	v_fma_f64 v[4:5], v[132:133], v[40:41], -v[4:5]
	v_add_f64 v[0:1], v[0:1], v[4:5]
	;; [unrolled: 3-line block ×20, first 2 shown]
	s_waitcnt vmcnt(0)
	v_add_f64 v[4:5], v[228:229], -v[0:1]
	v_accvgpr_read_b32 v0, a116
	v_add_f64 v[6:7], v[230:231], -v[248:249]
	v_cmp_lt_u32_e32 vcc, 3, v0
	scratch_store_dwordx4 off, v[4:7], off offset:80
	s_and_saveexec_b64 s[0:1], vcc
	s_cbranch_execz .LBB121_355
; %bb.354:
	scratch_load_dwordx4 v[6:9], off, s71
	v_mov_b32_e32 v3, v2
	v_mov_b32_e32 v4, v2
	v_mov_b32_e32 v5, v2
	v_accvgpr_read_b32 v0, a117
	scratch_store_dwordx4 off, v[2:5], off offset:64
	s_waitcnt vmcnt(1)
	ds_write_b128 v0, v[6:9]
.LBB121_355:
	s_or_b64 exec, exec, s[0:1]
	s_waitcnt lgkmcnt(0)
	; wave barrier
	scratch_load_dwordx4 v[40:43], off, off offset:80
	scratch_load_dwordx4 v[44:47], off, off offset:96
	;; [unrolled: 1-line block ×18, first 2 shown]
	ds_read_b128 v[80:83], v2 offset:992
	ds_read_b128 v[204:207], v2 offset:1008
	ds_read_b128 v[100:103], v2 offset:1024
	ds_read_b128 v[116:119], v2 offset:1040
	ds_read_b128 v[104:107], v2 offset:1056
	ds_read_b128 v[108:111], v2 offset:1072
	scratch_load_dwordx4 v[148:151], off, off offset:368
	ds_read_b128 v[180:183], v2 offset:1088
	ds_read_b128 v[112:115], v2 offset:1104
	scratch_load_dwordx4 v[152:155], off, off offset:384
	ds_read_b128 v[208:211], v2 offset:1120
	ds_read_b128 v[200:203], v2 offset:1136
	;; [unrolled: 1-line block ×5, first 2 shown]
	scratch_load_dwordx4 v[160:163], off, off offset:400
	ds_read_b128 v[196:199], v2 offset:1200
	ds_read_b128 v[192:195], v2 offset:1216
	;; [unrolled: 1-line block ×4, first 2 shown]
	scratch_load_dwordx4 v[164:167], off, off offset:416
	ds_read_b128 v[168:171], v2 offset:1264
	scratch_load_dwordx4 v[172:175], off, off offset:432
	scratch_load_dwordx4 v[176:179], off, off offset:448
	;; [unrolled: 1-line block ×7, first 2 shown]
	ds_read_b128 v[228:231], v2 offset:1344
	ds_read_b128 v[232:235], v2 offset:1360
	scratch_load_dwordx4 a[122:125], off, off offset:576
	scratch_load_dwordx4 a[126:129], off, off offset:592
	ds_read_b128 v[236:239], v2 offset:1376
	scratch_load_dwordx4 a[118:121], off, off offset:560
	ds_read_b128 v[224:227], v2 offset:1328
	s_waitcnt vmcnt(31) lgkmcnt(14)
	v_mul_f64 v[0:1], v[80:81], v[42:43]
	s_waitcnt vmcnt(30)
	v_mul_f64 v[20:21], v[204:205], v[46:47]
	v_fmac_f64_e32 v[0:1], v[82:83], v[40:41]
	s_waitcnt vmcnt(29)
	v_mul_f64 v[22:23], v[100:101], v[50:51]
	v_fmac_f64_e32 v[20:21], v[206:207], v[44:45]
	v_add_f64 v[0:1], v[0:1], 0
	v_fmac_f64_e32 v[22:23], v[102:103], v[48:49]
	v_add_f64 v[0:1], v[0:1], v[20:21]
	v_add_f64 v[0:1], v[0:1], v[22:23]
	scratch_load_dwordx4 v[20:23], off, off offset:544
	s_waitcnt vmcnt(29)
	v_mul_f64 v[24:25], v[116:117], v[54:55]
	s_waitcnt vmcnt(28)
	v_mul_f64 v[26:27], v[104:105], v[58:59]
	v_fmac_f64_e32 v[24:25], v[118:119], v[52:53]
	s_waitcnt vmcnt(27)
	v_mul_f64 v[28:29], v[108:109], v[62:63]
	v_fmac_f64_e32 v[26:27], v[106:107], v[56:57]
	v_add_f64 v[0:1], v[0:1], v[24:25]
	s_waitcnt vmcnt(26)
	v_mul_f64 v[30:31], v[180:181], v[66:67]
	v_fmac_f64_e32 v[28:29], v[110:111], v[60:61]
	v_add_f64 v[0:1], v[0:1], v[26:27]
	;; [unrolled: 4-line block ×3, first 2 shown]
	s_waitcnt vmcnt(24) lgkmcnt(13)
	v_mul_f64 v[34:35], v[208:209], v[74:75]
	v_fmac_f64_e32 v[32:33], v[114:115], v[68:69]
	v_add_f64 v[0:1], v[0:1], v[30:31]
	s_waitcnt vmcnt(23) lgkmcnt(12)
	v_mul_f64 v[36:37], v[200:201], v[78:79]
	v_fmac_f64_e32 v[34:35], v[210:211], v[72:73]
	v_add_f64 v[0:1], v[0:1], v[32:33]
	;; [unrolled: 4-line block ×8, first 2 shown]
	ds_read_b128 v[212:215], v2 offset:1280
	s_waitcnt vmcnt(16) lgkmcnt(6)
	v_mul_f64 v[222:223], v[144:145], v[138:139]
	v_fmac_f64_e32 v[220:221], v[158:159], v[128:129]
	v_add_f64 v[0:1], v[0:1], v[218:219]
	ds_read_b128 v[216:219], v2 offset:1296
	v_add_f64 v[0:1], v[0:1], v[220:221]
	v_fmac_f64_e32 v[222:223], v[146:147], v[136:137]
	v_add_f64 v[0:1], v[0:1], v[222:223]
	s_waitcnt vmcnt(15) lgkmcnt(6)
	v_mul_f64 v[24:25], v[168:169], v[142:143]
	ds_read_b128 v[220:223], v2 offset:1312
	v_fmac_f64_e32 v[24:25], v[170:171], v[140:141]
	v_add_f64 v[0:1], v[0:1], v[24:25]
	s_waitcnt vmcnt(14) lgkmcnt(2)
	v_mul_f64 v[24:25], v[212:213], v[150:151]
	v_fmac_f64_e32 v[24:25], v[214:215], v[148:149]
	s_waitcnt vmcnt(13) lgkmcnt(1)
	v_mul_f64 v[28:29], v[216:217], v[154:155]
	v_add_f64 v[0:1], v[0:1], v[24:25]
	v_fmac_f64_e32 v[28:29], v[218:219], v[152:153]
	v_add_f64 v[0:1], v[0:1], v[28:29]
	s_waitcnt vmcnt(12) lgkmcnt(0)
	v_mul_f64 v[28:29], v[220:221], v[162:163]
	v_fmac_f64_e32 v[28:29], v[222:223], v[160:161]
	s_waitcnt vmcnt(11)
	v_mul_f64 v[32:33], v[224:225], v[166:167]
	v_add_f64 v[0:1], v[0:1], v[28:29]
	v_fmac_f64_e32 v[32:33], v[226:227], v[164:165]
	v_add_f64 v[0:1], v[0:1], v[32:33]
	s_waitcnt vmcnt(10)
	v_mul_f64 v[32:33], v[228:229], v[174:175]
	v_fmac_f64_e32 v[32:33], v[230:231], v[172:173]
	s_waitcnt vmcnt(9)
	v_mul_f64 v[36:37], v[232:233], v[178:179]
	v_add_f64 v[0:1], v[0:1], v[32:33]
	v_fmac_f64_e32 v[36:37], v[234:235], v[176:177]
	v_mul_f64 v[42:43], v[82:83], v[42:43]
	v_add_f64 v[0:1], v[0:1], v[36:37]
	scratch_load_dwordx4 v[36:39], off, off offset:608
	v_fma_f64 v[240:241], v[80:81], v[40:41], -v[42:43]
	ds_read_b128 v[80:83], v2 offset:1392
	s_waitcnt vmcnt(9)
	v_mul_f64 v[40:41], v[236:237], v[186:187]
	v_fmac_f64_e32 v[40:41], v[238:239], v[184:185]
	v_add_f64 v[0:1], v[0:1], v[40:41]
	v_mul_f64 v[40:41], v[206:207], v[46:47]
	v_fma_f64 v[242:243], v[204:205], v[44:45], -v[40:41]
	scratch_load_dwordx4 v[40:43], off, off offset:624
	s_waitcnt vmcnt(9) lgkmcnt(0)
	v_mul_f64 v[44:45], v[80:81], v[6:7]
	v_fmac_f64_e32 v[44:45], v[82:83], v[4:5]
	v_add_f64 v[0:1], v[0:1], v[44:45]
	scratch_load_dwordx4 v[44:47], off, off offset:640
	v_mul_f64 v[50:51], v[102:103], v[50:51]
	v_fma_f64 v[248:249], v[100:101], v[48:49], -v[50:51]
	ds_read_b128 v[100:103], v2 offset:1408
	v_mul_f64 v[48:49], v[118:119], v[54:55]
	v_fma_f64 v[250:251], v[116:117], v[52:53], -v[48:49]
	scratch_load_dwordx4 v[52:55], off, off offset:656
	scratch_load_dwordx4 v[48:51], off, off offset:672
	v_accvgpr_write_b32 a133, v7
	v_accvgpr_write_b32 a132, v6
	;; [unrolled: 1-line block ×4, first 2 shown]
	s_waitcnt vmcnt(11)
	v_mov_b64_e32 v[4:5], v[8:9]
	v_mul_f64 v[58:59], v[106:107], v[58:59]
	v_mov_b64_e32 v[6:7], v[10:11]
	v_fma_f64 v[252:253], v[104:105], v[56:57], -v[58:59]
	s_waitcnt lgkmcnt(0)
	v_mul_f64 v[56:57], v[100:101], v[6:7]
	ds_read_b128 v[104:107], v2 offset:1424
	v_fmac_f64_e32 v[56:57], v[102:103], v[4:5]
	v_add_f64 v[0:1], v[0:1], v[56:57]
	v_mul_f64 v[56:57], v[110:111], v[62:63]
	v_fma_f64 v[254:255], v[108:109], v[60:61], -v[56:57]
	scratch_load_dwordx4 v[56:59], off, off offset:688
	scratch_load_dwordx4 v[60:63], off, off offset:704
	s_waitcnt vmcnt(12)
	v_mov_b64_e32 v[4:5], v[12:13]
	v_mul_f64 v[66:67], v[182:183], v[66:67]
	v_mov_b64_e32 v[6:7], v[14:15]
	v_fma_f64 v[244:245], v[180:181], v[64:65], -v[66:67]
	v_mul_f64 v[64:65], v[114:115], v[70:71]
	v_fma_f64 v[32:33], v[112:113], v[68:69], -v[64:65]
	ds_read_b128 v[112:115], v2 offset:1456
	s_waitcnt lgkmcnt(1)
	v_mul_f64 v[108:109], v[104:105], v[6:7]
	v_fmac_f64_e32 v[108:109], v[106:107], v[4:5]
	v_add_f64 v[0:1], v[0:1], v[108:109]
	ds_read_b128 v[108:111], v2 offset:1440
	ds_read_b128 v[116:119], v2 offset:1472
	scratch_load_dwordx4 v[64:67], off, off offset:720
	scratch_load_dwordx4 v[68:71], off, off offset:736
	v_mul_f64 v[6:7], v[210:211], v[74:75]
	v_fma_f64 v[28:29], v[208:209], v[72:73], -v[6:7]
	s_waitcnt vmcnt(13)
	v_mov_b64_e32 v[4:5], v[16:17]
	v_mov_b64_e32 v[6:7], v[18:19]
	s_waitcnt lgkmcnt(1)
	v_mul_f64 v[72:73], v[108:109], v[6:7]
	v_fmac_f64_e32 v[72:73], v[110:111], v[4:5]
	v_add_f64 v[0:1], v[0:1], v[72:73]
	v_mul_f64 v[72:73], v[202:203], v[78:79]
	v_fma_f64 v[24:25], v[200:201], v[76:77], -v[72:73]
	scratch_load_dwordx4 v[72:75], off, off offset:752
	s_waitcnt vmcnt(10)
	v_mov_b64_e32 v[4:5], v[20:21]
	v_accvgpr_write_b32 a137, v11
	v_mov_b64_e32 v[6:7], v[22:23]
	v_mul_f64 v[76:77], v[190:191], v[86:87]
	v_accvgpr_write_b32 a136, v10
	v_accvgpr_write_b32 a135, v9
	;; [unrolled: 1-line block ×3, first 2 shown]
	v_mul_f64 v[10:11], v[112:113], v[6:7]
	v_fma_f64 v[246:247], v[188:189], v[84:85], -v[76:77]
	scratch_load_dwordx4 v[76:79], off, off offset:768
	v_fmac_f64_e32 v[10:11], v[114:115], v[4:5]
	v_accvgpr_write_b32 a149, v23
	v_add_f64 v[0:1], v[0:1], v[10:11]
	v_mul_f64 v[10:11], v[122:123], v[90:91]
	v_accvgpr_write_b32 a148, v22
	v_accvgpr_write_b32 a147, v21
	;; [unrolled: 1-line block ×3, first 2 shown]
	v_fma_f64 v[20:21], v[120:121], v[88:89], -v[10:11]
	ds_read_b128 v[120:123], v2 offset:1488
	scratch_load_dwordx4 v[88:91], off, off offset:784
	scratch_load_dwordx4 v[84:87], off, off offset:800
	v_accvgpr_write_b32 a141, v15
	v_accvgpr_write_b32 a140, v14
	;; [unrolled: 1-line block ×5, first 2 shown]
	v_mul_f64 v[14:15], v[134:135], v[94:95]
	v_accvgpr_write_b32 a144, v18
	v_accvgpr_write_b32 a143, v17
	;; [unrolled: 1-line block ×3, first 2 shown]
	v_fma_f64 v[16:17], v[132:133], v[92:93], -v[14:15]
	v_mul_f64 v[92:93], v[198:199], v[98:99]
	v_fma_f64 v[14:15], v[196:197], v[96:97], -v[92:93]
	scratch_load_dwordx4 v[92:95], off, off offset:816
	v_mul_f64 v[96:97], v[158:159], v[130:131]
	v_fma_f64 v[12:13], v[156:157], v[128:129], -v[96:97]
	scratch_load_dwordx4 v[96:99], off, off offset:832
	v_accvgpr_read_b32 v4, a118
	v_accvgpr_read_b32 v6, a120
	;; [unrolled: 1-line block ×4, first 2 shown]
	s_waitcnt lgkmcnt(1)
	v_mul_f64 v[10:11], v[116:117], v[6:7]
	v_mul_f64 v[18:19], v[194:195], v[126:127]
	v_fmac_f64_e32 v[10:11], v[118:119], v[4:5]
	v_accvgpr_read_b32 v4, a122
	v_fma_f64 v[18:19], v[192:193], v[124:125], -v[18:19]
	ds_read_b128 v[124:127], v2 offset:1504
	ds_read_b128 v[128:131], v2 offset:1520
	v_accvgpr_read_b32 v6, a124
	v_accvgpr_read_b32 v7, a125
	v_add_f64 v[0:1], v[0:1], v[10:11]
	v_accvgpr_read_b32 v5, a123
	s_waitcnt lgkmcnt(2)
	v_mul_f64 v[10:11], v[120:121], v[6:7]
	v_fmac_f64_e32 v[10:11], v[122:123], v[4:5]
	v_accvgpr_read_b32 v4, a126
	v_accvgpr_read_b32 v6, a128
	;; [unrolled: 1-line block ×3, first 2 shown]
	v_add_f64 v[0:1], v[0:1], v[10:11]
	v_accvgpr_read_b32 v5, a127
	s_waitcnt lgkmcnt(1)
	v_mul_f64 v[10:11], v[124:125], v[6:7]
	ds_read_b128 v[132:135], v2 offset:1536
	v_fmac_f64_e32 v[10:11], v[126:127], v[4:5]
	v_add_f64 v[0:1], v[0:1], v[10:11]
	s_waitcnt vmcnt(14) lgkmcnt(1)
	v_mul_f64 v[10:11], v[128:129], v[38:39]
	v_fmac_f64_e32 v[10:11], v[130:131], v[36:37]
	v_add_f64 v[0:1], v[0:1], v[10:11]
	v_mul_f64 v[10:11], v[146:147], v[138:139]
	v_fma_f64 v[22:23], v[144:145], v[136:137], -v[10:11]
	ds_read_b128 v[136:139], v2 offset:1552
	s_waitcnt vmcnt(13) lgkmcnt(1)
	v_mul_f64 v[10:11], v[132:133], v[42:43]
	v_fmac_f64_e32 v[10:11], v[134:135], v[40:41]
	v_add_f64 v[0:1], v[0:1], v[10:11]
	v_mul_f64 v[10:11], v[170:171], v[142:143]
	v_fma_f64 v[8:9], v[168:169], v[140:141], -v[10:11]
	ds_read_b128 v[140:143], v2 offset:1568
	ds_read_b128 v[144:147], v2 offset:1584
	s_waitcnt vmcnt(12) lgkmcnt(2)
	v_mul_f64 v[10:11], v[136:137], v[46:47]
	v_fmac_f64_e32 v[10:11], v[138:139], v[44:45]
	v_add_f64 v[0:1], v[0:1], v[10:11]
	s_waitcnt vmcnt(11) lgkmcnt(1)
	v_mul_f64 v[10:11], v[140:141], v[54:55]
	v_fmac_f64_e32 v[10:11], v[142:143], v[52:53]
	v_add_f64 v[0:1], v[0:1], v[10:11]
	v_mul_f64 v[10:11], v[214:215], v[150:151]
	v_fma_f64 v[26:27], v[212:213], v[148:149], -v[10:11]
	ds_read_b128 v[148:151], v2 offset:1600
	v_mul_f64 v[154:155], v[218:219], v[154:155]
	v_fma_f64 v[6:7], v[216:217], v[152:153], -v[154:155]
	ds_read_b128 v[152:155], v2 offset:1616
	s_waitcnt vmcnt(10) lgkmcnt(2)
	v_mul_f64 v[10:11], v[144:145], v[50:51]
	v_fmac_f64_e32 v[10:11], v[146:147], v[48:49]
	v_add_f64 v[0:1], v[0:1], v[10:11]
	s_waitcnt vmcnt(9) lgkmcnt(1)
	v_mul_f64 v[10:11], v[148:149], v[58:59]
	ds_read_b128 v[156:159], v2 offset:1632
	v_fmac_f64_e32 v[10:11], v[150:151], v[56:57]
	v_add_f64 v[0:1], v[0:1], v[10:11]
	s_waitcnt vmcnt(8) lgkmcnt(1)
	v_mul_f64 v[10:11], v[152:153], v[62:63]
	v_fmac_f64_e32 v[10:11], v[154:155], v[60:61]
	v_add_f64 v[0:1], v[0:1], v[10:11]
	v_mul_f64 v[10:11], v[222:223], v[162:163]
	v_fma_f64 v[30:31], v[220:221], v[160:161], -v[10:11]
	ds_read_b128 v[160:163], v2 offset:1648
	s_waitcnt vmcnt(7) lgkmcnt(1)
	v_mul_f64 v[10:11], v[156:157], v[66:67]
	v_fmac_f64_e32 v[10:11], v[158:159], v[64:65]
	v_add_f64 v[0:1], v[0:1], v[10:11]
	v_mul_f64 v[10:11], v[226:227], v[166:167]
	v_fma_f64 v[4:5], v[224:225], v[164:165], -v[10:11]
	ds_read_b128 v[164:167], v2 offset:1664
	ds_read_b128 v[168:171], v2 offset:1680
	s_waitcnt vmcnt(6) lgkmcnt(2)
	v_mul_f64 v[10:11], v[160:161], v[70:71]
	v_fmac_f64_e32 v[10:11], v[162:163], v[68:69]
	v_add_f64 v[0:1], v[0:1], v[10:11]
	s_waitcnt vmcnt(5) lgkmcnt(1)
	v_mul_f64 v[10:11], v[164:165], v[74:75]
	v_fmac_f64_e32 v[10:11], v[166:167], v[72:73]
	v_add_f64 v[10:11], v[0:1], v[10:11]
	v_mul_f64 v[0:1], v[230:231], v[174:175]
	v_fma_f64 v[34:35], v[228:229], v[172:173], -v[0:1]
	ds_read_b128 v[172:175], v2 offset:1696
	s_waitcnt vmcnt(4) lgkmcnt(1)
	v_mul_f64 v[180:181], v[168:169], v[78:79]
	v_fmac_f64_e32 v[180:181], v[170:171], v[76:77]
	v_mul_f64 v[0:1], v[234:235], v[178:179]
	v_fma_f64 v[0:1], v[232:233], v[176:177], -v[0:1]
	ds_read_b128 v[176:179], v2 offset:1712
	v_add_f64 v[10:11], v[10:11], v[180:181]
	s_waitcnt vmcnt(3) lgkmcnt(1)
	v_mul_f64 v[180:181], v[172:173], v[90:91]
	v_fmac_f64_e32 v[180:181], v[174:175], v[88:89]
	v_add_f64 v[188:189], v[10:11], v[180:181]
	ds_read_b128 v[180:183], v2 offset:1728
	v_mul_f64 v[10:11], v[238:239], v[186:187]
	v_fma_f64 v[10:11], v[236:237], v[184:185], -v[10:11]
	ds_read_b128 v[184:187], v2 offset:1744
	s_waitcnt vmcnt(2) lgkmcnt(2)
	v_mul_f64 v[190:191], v[176:177], v[86:87]
	v_fmac_f64_e32 v[190:191], v[178:179], v[84:85]
	v_add_f64 v[188:189], v[188:189], v[190:191]
	s_waitcnt vmcnt(1) lgkmcnt(1)
	v_mul_f64 v[190:191], v[180:181], v[94:95]
	v_fmac_f64_e32 v[190:191], v[182:183], v[92:93]
	v_add_f64 v[188:189], v[188:189], v[190:191]
	;; [unrolled: 4-line block ×3, first 2 shown]
	scratch_load_dwordx4 v[188:191], off, off offset:848
	scratch_load_dwordx4 v[232:235], off, off offset:928
	ds_read_b128 v[192:195], v2 offset:1760
	ds_read_b128 v[200:203], v2 offset:1776
	;; [unrolled: 1-line block ×5, first 2 shown]
	s_waitcnt vmcnt(1) lgkmcnt(4)
	v_mul_f64 v[198:199], v[192:193], v[190:191]
	v_fmac_f64_e32 v[198:199], v[194:195], v[188:189]
	v_add_f64 v[204:205], v[196:197], v[198:199]
	scratch_load_dwordx4 v[196:199], off, off offset:864
	s_waitcnt vmcnt(0) lgkmcnt(3)
	v_mul_f64 v[206:207], v[200:201], v[198:199]
	v_fmac_f64_e32 v[206:207], v[202:203], v[196:197]
	v_add_f64 v[212:213], v[204:205], v[206:207]
	scratch_load_dwordx4 v[204:207], off, off offset:880
	;; [unrolled: 5-line block ×4, first 2 shown]
	s_waitcnt vmcnt(0) lgkmcnt(0)
	v_mul_f64 v[230:231], v[224:225], v[222:223]
	v_fmac_f64_e32 v[230:231], v[226:227], v[220:221]
	v_add_f64 v[236:237], v[228:229], v[230:231]
	ds_read_b128 v[228:231], v2 offset:1840
	s_waitcnt lgkmcnt(0)
	v_mul_f64 v[2:3], v[228:229], v[234:235]
	v_fmac_f64_e32 v[2:3], v[230:231], v[232:233]
	v_add_f64 v[2:3], v[236:237], v[2:3]
	v_add_f64 v[236:237], v[240:241], 0
	;; [unrolled: 1-line block ×11, first 2 shown]
	scratch_load_dwordx4 v[236:239], off, off offset:64
	v_add_f64 v[24:25], v[24:25], v[246:247]
	v_add_f64 v[20:21], v[24:25], v[20:21]
	;; [unrolled: 1-line block ×12, first 2 shown]
	v_accvgpr_read_b32 v6, a130
	v_accvgpr_read_b32 v8, a132
	;; [unrolled: 1-line block ×3, first 2 shown]
	v_add_f64 v[248:249], v[4:5], v[34:35]
	v_accvgpr_read_b32 v7, a131
	v_mul_f64 v[4:5], v[82:83], v[8:9]
	v_add_f64 v[0:1], v[248:249], v[0:1]
	v_fma_f64 v[4:5], v[80:81], v[6:7], -v[4:5]
	v_accvgpr_read_b32 v6, a134
	v_add_f64 v[0:1], v[0:1], v[10:11]
	v_accvgpr_read_b32 v8, a136
	v_accvgpr_read_b32 v9, a137
	v_add_f64 v[0:1], v[0:1], v[4:5]
	v_accvgpr_read_b32 v7, a135
	v_mul_f64 v[4:5], v[102:103], v[8:9]
	v_fma_f64 v[4:5], v[100:101], v[6:7], -v[4:5]
	v_accvgpr_read_b32 v6, a138
	v_accvgpr_read_b32 v8, a140
	v_accvgpr_read_b32 v9, a141
	v_add_f64 v[0:1], v[0:1], v[4:5]
	v_accvgpr_read_b32 v7, a139
	v_mul_f64 v[4:5], v[106:107], v[8:9]
	v_fma_f64 v[4:5], v[104:105], v[6:7], -v[4:5]
	v_accvgpr_read_b32 v6, a142
	;; [unrolled: 7-line block ×6, first 2 shown]
	v_accvgpr_read_b32 v8, a128
	v_accvgpr_read_b32 v9, a129
	v_add_f64 v[0:1], v[0:1], v[4:5]
	v_accvgpr_read_b32 v7, a127
	v_mul_f64 v[4:5], v[126:127], v[8:9]
	v_fma_f64 v[4:5], v[124:125], v[6:7], -v[4:5]
	v_add_f64 v[0:1], v[0:1], v[4:5]
	v_mul_f64 v[4:5], v[130:131], v[38:39]
	v_fma_f64 v[4:5], v[128:129], v[36:37], -v[4:5]
	v_add_f64 v[0:1], v[0:1], v[4:5]
	;; [unrolled: 3-line block ×22, first 2 shown]
	s_waitcnt vmcnt(0)
	v_add_f64 v[4:5], v[236:237], -v[0:1]
	v_accvgpr_read_b32 v0, a116
	v_add_f64 v[6:7], v[238:239], -v[2:3]
	v_cmp_lt_u32_e32 vcc, 2, v0
	scratch_store_dwordx4 off, v[4:7], off offset:64
	s_and_saveexec_b64 s[0:1], vcc
	s_cbranch_execz .LBB121_357
; %bb.356:
	scratch_load_dwordx4 v[2:5], off, s72
	v_mov_b32_e32 v6, 0
	v_mov_b32_e32 v7, v6
	;; [unrolled: 1-line block ×4, first 2 shown]
	v_accvgpr_read_b32 v0, a117
	scratch_store_dwordx4 off, v[6:9], off offset:48
	s_waitcnt vmcnt(1)
	ds_write_b128 v0, v[2:5]
.LBB121_357:
	s_or_b64 exec, exec, s[0:1]
	s_waitcnt lgkmcnt(0)
	; wave barrier
	scratch_load_dwordx4 v[16:19], off, off offset:64
	scratch_load_dwordx4 v[20:23], off, off offset:80
	;; [unrolled: 1-line block ×30, first 2 shown]
	v_mov_b32_e32 v2, 0
	ds_read_b128 v[84:87], v2 offset:976
	ds_read_b128 v[96:99], v2 offset:992
	;; [unrolled: 1-line block ×17, first 2 shown]
	scratch_load_dwordx4 a[118:121], off, off offset:544
	scratch_load_dwordx4 a[122:125], off, off offset:560
	;; [unrolled: 1-line block ×4, first 2 shown]
	ds_read_b128 v[228:231], v2 offset:1344
	ds_read_b128 v[236:239], v2 offset:1360
	scratch_load_dwordx4 a[134:137], off, off offset:608
	ds_read_b128 v[244:247], v2 offset:1376
	ds_read_b128 v[248:251], v2 offset:1392
	;; [unrolled: 1-line block ×3, first 2 shown]
	s_waitcnt vmcnt(34) lgkmcnt(14)
	v_mul_f64 v[0:1], v[84:85], v[18:19]
	s_waitcnt vmcnt(33)
	v_mul_f64 v[40:41], v[96:97], v[22:23]
	v_fmac_f64_e32 v[0:1], v[86:87], v[16:17]
	s_waitcnt vmcnt(32)
	v_mul_f64 v[42:43], v[104:105], v[26:27]
	v_fmac_f64_e32 v[40:41], v[98:99], v[20:21]
	v_add_f64 v[0:1], v[0:1], 0
	s_waitcnt vmcnt(31)
	v_mul_f64 v[48:49], v[108:109], v[30:31]
	v_fmac_f64_e32 v[42:43], v[106:107], v[24:25]
	v_add_f64 v[0:1], v[0:1], v[40:41]
	;; [unrolled: 4-line block ×6, first 2 shown]
	s_waitcnt vmcnt(26) lgkmcnt(13)
	v_mul_f64 v[206:207], v[140:141], v[62:63]
	v_fmac_f64_e32 v[204:205], v[126:127], v[52:53]
	v_add_f64 v[0:1], v[0:1], v[58:59]
	s_waitcnt vmcnt(25) lgkmcnt(12)
	v_mul_f64 v[208:209], v[152:153], v[66:67]
	v_fmac_f64_e32 v[206:207], v[142:143], v[60:61]
	v_add_f64 v[0:1], v[0:1], v[204:205]
	;; [unrolled: 4-line block ×6, first 2 shown]
	ds_read_b128 v[204:207], v2 offset:1248
	ds_read_b128 v[208:211], v2 offset:1264
	s_waitcnt vmcnt(20) lgkmcnt(9)
	v_mul_f64 v[218:219], v[192:193], v[90:91]
	v_fmac_f64_e32 v[216:217], v[190:191], v[80:81]
	v_add_f64 v[0:1], v[0:1], v[214:215]
	s_waitcnt vmcnt(19) lgkmcnt(8)
	v_mul_f64 v[220:221], v[196:197], v[94:95]
	v_fmac_f64_e32 v[218:219], v[194:195], v[88:89]
	v_add_f64 v[0:1], v[0:1], v[216:217]
	v_fmac_f64_e32 v[220:221], v[198:199], v[92:93]
	v_add_f64 v[0:1], v[0:1], v[218:219]
	s_waitcnt vmcnt(18) lgkmcnt(7)
	v_mul_f64 v[40:41], v[200:201], v[102:103]
	ds_read_b128 v[212:215], v2 offset:1280
	ds_read_b128 v[216:219], v2 offset:1296
	v_add_f64 v[0:1], v[0:1], v[220:221]
	v_fmac_f64_e32 v[40:41], v[202:203], v[100:101]
	v_add_f64 v[0:1], v[0:1], v[40:41]
	s_waitcnt vmcnt(17) lgkmcnt(3)
	v_mul_f64 v[40:41], v[204:205], v[130:131]
	v_fmac_f64_e32 v[40:41], v[206:207], v[128:129]
	ds_read_b128 v[220:223], v2 offset:1312
	v_add_f64 v[0:1], v[0:1], v[40:41]
	s_waitcnt vmcnt(16) lgkmcnt(3)
	v_mul_f64 v[40:41], v[208:209], v[134:135]
	v_fmac_f64_e32 v[40:41], v[210:211], v[132:133]
	s_waitcnt vmcnt(15) lgkmcnt(2)
	v_mul_f64 v[48:49], v[212:213], v[138:139]
	v_add_f64 v[0:1], v[0:1], v[40:41]
	v_fmac_f64_e32 v[48:49], v[214:215], v[136:137]
	s_waitcnt vmcnt(14) lgkmcnt(1)
	v_mul_f64 v[56:57], v[216:217], v[146:147]
	v_add_f64 v[0:1], v[0:1], v[48:49]
	v_fmac_f64_e32 v[56:57], v[218:219], v[144:145]
	v_add_f64 v[0:1], v[0:1], v[56:57]
	s_waitcnt vmcnt(13) lgkmcnt(0)
	v_mul_f64 v[56:57], v[220:221], v[150:151]
	v_fmac_f64_e32 v[56:57], v[222:223], v[148:149]
	v_add_f64 v[0:1], v[0:1], v[56:57]
	s_waitcnt vmcnt(12)
	v_mul_f64 v[56:57], v[224:225], v[158:159]
	v_fmac_f64_e32 v[56:57], v[226:227], v[156:157]
	s_waitcnt vmcnt(11)
	v_mul_f64 v[232:233], v[228:229], v[162:163]
	v_add_f64 v[0:1], v[0:1], v[56:57]
	v_fmac_f64_e32 v[232:233], v[230:231], v[160:161]
	v_add_f64 v[0:1], v[0:1], v[232:233]
	s_waitcnt vmcnt(10)
	v_mul_f64 v[232:233], v[236:237], v[170:171]
	v_mul_f64 v[18:19], v[86:87], v[18:19]
	v_fmac_f64_e32 v[232:233], v[238:239], v[168:169]
	v_fma_f64 v[240:241], v[84:85], v[16:17], -v[18:19]
	s_waitcnt vmcnt(9)
	v_mul_f64 v[84:85], v[244:245], v[174:175]
	v_add_f64 v[0:1], v[0:1], v[232:233]
	v_fmac_f64_e32 v[84:85], v[246:247], v[172:173]
	v_add_f64 v[0:1], v[0:1], v[84:85]
	ds_read_b128 v[84:87], v2 offset:1408
	scratch_load_dwordx4 v[56:59], off, off offset:624
	scratch_load_dwordx4 v[40:43], off, off offset:640
	scratch_load_dwordx4 v[48:51], off, off offset:656
	v_mul_f64 v[30:31], v[110:111], v[30:31]
	v_mul_f64 v[22:23], v[98:99], v[22:23]
	;; [unrolled: 1-line block ×3, first 2 shown]
	v_fma_f64 v[254:255], v[108:109], v[28:29], -v[30:31]
	s_waitcnt vmcnt(11)
	v_mul_f64 v[28:29], v[248:249], v[182:183]
	v_fma_f64 v[242:243], v[96:97], v[20:21], -v[22:23]
	v_fma_f64 v[252:253], v[104:105], v[24:25], -v[26:27]
	v_fmac_f64_e32 v[28:29], v[250:251], v[180:181]
	ds_read_b128 v[104:107], v2 offset:1440
	s_waitcnt vmcnt(10) lgkmcnt(1)
	v_mul_f64 v[96:97], v[84:85], v[6:7]
	v_add_f64 v[0:1], v[0:1], v[28:29]
	v_fmac_f64_e32 v[96:97], v[86:87], v[4:5]
	v_add_f64 v[0:1], v[0:1], v[96:97]
	ds_read_b128 v[96:99], v2 offset:1424
	v_mul_f64 v[34:35], v[114:115], v[34:35]
	v_accvgpr_write_b32 a141, v7
	v_mul_f64 v[38:39], v[118:119], v[38:39]
	v_fma_f64 v[232:233], v[112:113], v[32:33], -v[34:35]
	v_accvgpr_write_b32 a140, v6
	v_accvgpr_write_b32 a139, v5
	;; [unrolled: 1-line block ×3, first 2 shown]
	v_fma_f64 v[32:33], v[116:117], v[36:37], -v[38:39]
	scratch_load_dwordx4 v[36:39], off, off offset:672
	v_mul_f64 v[6:7], v[122:123], v[46:47]
	v_mul_f64 v[46:47], v[126:127], v[54:55]
	v_fma_f64 v[28:29], v[120:121], v[44:45], -v[6:7]
	v_fma_f64 v[24:25], v[124:125], v[52:53], -v[46:47]
	scratch_load_dwordx4 v[52:55], off, off offset:688
	ds_read_b128 v[112:115], v2 offset:1472
	s_waitcnt vmcnt(11) lgkmcnt(1)
	v_mul_f64 v[44:45], v[96:97], v[10:11]
	v_fmac_f64_e32 v[44:45], v[98:99], v[8:9]
	v_add_f64 v[0:1], v[0:1], v[44:45]
	scratch_load_dwordx4 v[44:47], off, off offset:704
	s_waitcnt vmcnt(11)
	v_mov_b64_e32 v[4:5], v[12:13]
	v_mov_b64_e32 v[6:7], v[14:15]
	v_accvgpr_write_b32 a145, v11
	v_mul_f64 v[108:109], v[104:105], v[6:7]
	v_accvgpr_write_b32 a144, v10
	v_accvgpr_write_b32 a143, v9
	;; [unrolled: 1-line block ×3, first 2 shown]
	v_mul_f64 v[10:11], v[142:143], v[62:63]
	v_fmac_f64_e32 v[108:109], v[106:107], v[4:5]
	v_fma_f64 v[20:21], v[140:141], v[60:61], -v[10:11]
	scratch_load_dwordx4 v[60:63], off, off offset:720
	v_add_f64 v[0:1], v[0:1], v[108:109]
	ds_read_b128 v[108:111], v2 offset:1456
	v_mul_f64 v[66:67], v[154:155], v[66:67]
	v_fma_f64 v[16:17], v[152:153], v[64:65], -v[66:67]
	scratch_load_dwordx4 v[64:67], off, off offset:736
	s_waitcnt vmcnt(12)
	v_accvgpr_read_b32 v4, a118
	v_accvgpr_write_b32 a149, v15
	v_accvgpr_read_b32 v6, a120
	v_accvgpr_read_b32 v7, a121
	v_accvgpr_write_b32 a148, v14
	v_accvgpr_write_b32 a147, v13
	;; [unrolled: 1-line block ×3, first 2 shown]
	v_mul_f64 v[14:15], v[166:167], v[70:71]
	v_accvgpr_read_b32 v5, a119
	s_waitcnt lgkmcnt(0)
	v_mul_f64 v[116:117], v[108:109], v[6:7]
	v_fma_f64 v[14:15], v[164:165], v[68:69], -v[14:15]
	v_mul_f64 v[68:69], v[178:179], v[74:75]
	v_fmac_f64_e32 v[116:117], v[110:111], v[4:5]
	s_waitcnt vmcnt(11)
	v_accvgpr_read_b32 v4, a122
	v_fma_f64 v[12:13], v[176:177], v[72:73], -v[68:69]
	scratch_load_dwordx4 v[68:71], off, off offset:752
	v_accvgpr_read_b32 v6, a124
	v_accvgpr_read_b32 v7, a125
	;; [unrolled: 1-line block ×3, first 2 shown]
	v_mul_f64 v[18:19], v[112:113], v[6:7]
	v_add_f64 v[0:1], v[0:1], v[116:117]
	v_fmac_f64_e32 v[18:19], v[114:115], v[4:5]
	scratch_load_dwordx4 v[72:75], off, off offset:768
	v_add_f64 v[0:1], v[0:1], v[18:19]
	v_mul_f64 v[18:19], v[186:187], v[78:79]
	v_fma_f64 v[18:19], v[184:185], v[76:77], -v[18:19]
	ds_read_b128 v[116:119], v2 offset:1488
	v_mul_f64 v[76:77], v[190:191], v[82:83]
	v_fma_f64 v[184:185], v[188:189], v[80:81], -v[76:77]
	scratch_load_dwordx4 v[80:83], off, off offset:784
	scratch_load_dwordx4 v[76:79], off, off offset:800
	ds_read_b128 v[120:123], v2 offset:1504
	s_waitcnt vmcnt(14)
	v_accvgpr_read_b32 v4, a126
	v_mul_f64 v[90:91], v[194:195], v[90:91]
	v_accvgpr_read_b32 v6, a128
	v_accvgpr_read_b32 v7, a129
	v_fma_f64 v[186:187], v[192:193], v[88:89], -v[90:91]
	v_accvgpr_read_b32 v5, a127
	s_waitcnt lgkmcnt(1)
	v_mul_f64 v[88:89], v[116:117], v[6:7]
	v_fmac_f64_e32 v[88:89], v[118:119], v[4:5]
	s_waitcnt vmcnt(13)
	v_accvgpr_read_b32 v4, a130
	v_add_f64 v[0:1], v[0:1], v[88:89]
	v_mul_f64 v[88:89], v[198:199], v[94:95]
	v_mul_f64 v[22:23], v[202:203], v[102:103]
	v_accvgpr_read_b32 v6, a132
	v_accvgpr_read_b32 v7, a133
	v_fma_f64 v[10:11], v[196:197], v[92:93], -v[88:89]
	scratch_load_dwordx4 v[92:95], off, off offset:816
	scratch_load_dwordx4 v[88:91], off, off offset:832
	v_fma_f64 v[22:23], v[200:201], v[100:101], -v[22:23]
	v_accvgpr_read_b32 v5, a131
	s_waitcnt lgkmcnt(0)
	v_mul_f64 v[100:101], v[120:121], v[6:7]
	v_fmac_f64_e32 v[100:101], v[122:123], v[4:5]
	v_add_f64 v[0:1], v[0:1], v[100:101]
	v_mul_f64 v[100:101], v[206:207], v[130:131]
	v_fma_f64 v[8:9], v[204:205], v[128:129], -v[100:101]
	scratch_load_dwordx4 v[100:103], off, off offset:848
	ds_read_b128 v[124:127], v2 offset:1520
	ds_read_b128 v[128:131], v2 offset:1536
	s_waitcnt vmcnt(15)
	v_accvgpr_read_b32 v4, a134
	v_accvgpr_read_b32 v6, a136
	;; [unrolled: 1-line block ×4, first 2 shown]
	s_waitcnt lgkmcnt(1)
	v_mul_f64 v[26:27], v[124:125], v[6:7]
	v_fmac_f64_e32 v[26:27], v[126:127], v[4:5]
	v_add_f64 v[0:1], v[0:1], v[26:27]
	v_mul_f64 v[26:27], v[210:211], v[134:135]
	v_fma_f64 v[26:27], v[208:209], v[132:133], -v[26:27]
	ds_read_b128 v[132:135], v2 offset:1552
	v_mul_f64 v[138:139], v[214:215], v[138:139]
	v_fma_f64 v[6:7], v[212:213], v[136:137], -v[138:139]
	ds_read_b128 v[136:139], v2 offset:1568
	s_waitcnt vmcnt(14) lgkmcnt(2)
	v_mul_f64 v[140:141], v[128:129], v[58:59]
	v_fmac_f64_e32 v[140:141], v[130:131], v[56:57]
	s_waitcnt vmcnt(13) lgkmcnt(1)
	v_mul_f64 v[30:31], v[132:133], v[42:43]
	v_add_f64 v[0:1], v[0:1], v[140:141]
	v_fmac_f64_e32 v[30:31], v[134:135], v[40:41]
	v_add_f64 v[0:1], v[0:1], v[30:31]
	s_waitcnt vmcnt(12) lgkmcnt(0)
	v_mul_f64 v[30:31], v[136:137], v[50:51]
	v_fmac_f64_e32 v[30:31], v[138:139], v[48:49]
	ds_read_b128 v[140:143], v2 offset:1584
	v_add_f64 v[0:1], v[0:1], v[30:31]
	v_mul_f64 v[30:31], v[218:219], v[146:147]
	v_fma_f64 v[30:31], v[216:217], v[144:145], -v[30:31]
	ds_read_b128 v[144:147], v2 offset:1600
	v_mul_f64 v[150:151], v[222:223], v[150:151]
	v_fma_f64 v[4:5], v[220:221], v[148:149], -v[150:151]
	ds_read_b128 v[148:151], v2 offset:1616
	s_waitcnt vmcnt(11) lgkmcnt(2)
	v_mul_f64 v[152:153], v[140:141], v[38:39]
	v_fmac_f64_e32 v[152:153], v[142:143], v[36:37]
	s_waitcnt vmcnt(10) lgkmcnt(1)
	v_mul_f64 v[34:35], v[144:145], v[54:55]
	v_add_f64 v[0:1], v[0:1], v[152:153]
	v_fmac_f64_e32 v[34:35], v[146:147], v[52:53]
	v_add_f64 v[0:1], v[0:1], v[34:35]
	ds_read_b128 v[152:155], v2 offset:1632
	s_waitcnt vmcnt(9) lgkmcnt(1)
	v_mul_f64 v[34:35], v[148:149], v[46:47]
	v_fmac_f64_e32 v[34:35], v[150:151], v[44:45]
	v_add_f64 v[0:1], v[0:1], v[34:35]
	v_mul_f64 v[34:35], v[226:227], v[158:159]
	v_fma_f64 v[34:35], v[224:225], v[156:157], -v[34:35]
	ds_read_b128 v[156:159], v2 offset:1648
	s_waitcnt vmcnt(8) lgkmcnt(1)
	v_mul_f64 v[164:165], v[152:153], v[62:63]
	v_fmac_f64_e32 v[164:165], v[154:155], v[60:61]
	v_mul_f64 v[162:163], v[230:231], v[162:163]
	v_fma_f64 v[234:235], v[228:229], v[160:161], -v[162:163]
	ds_read_b128 v[160:163], v2 offset:1664
	v_add_f64 v[0:1], v[0:1], v[164:165]
	s_waitcnt vmcnt(7) lgkmcnt(1)
	v_mul_f64 v[164:165], v[156:157], v[66:67]
	v_fmac_f64_e32 v[164:165], v[158:159], v[64:65]
	v_add_f64 v[0:1], v[0:1], v[164:165]
	ds_read_b128 v[164:167], v2 offset:1680
	v_mul_f64 v[170:171], v[238:239], v[170:171]
	v_fma_f64 v[236:237], v[236:237], v[168:169], -v[170:171]
	ds_read_b128 v[168:171], v2 offset:1696
	s_waitcnt vmcnt(6) lgkmcnt(2)
	v_mul_f64 v[176:177], v[160:161], v[70:71]
	v_fmac_f64_e32 v[176:177], v[162:163], v[68:69]
	v_add_f64 v[0:1], v[0:1], v[176:177]
	s_waitcnt vmcnt(5) lgkmcnt(1)
	v_mul_f64 v[176:177], v[164:165], v[74:75]
	v_fmac_f64_e32 v[176:177], v[166:167], v[72:73]
	v_mul_f64 v[174:175], v[246:247], v[174:175]
	v_add_f64 v[0:1], v[0:1], v[176:177]
	v_fma_f64 v[238:239], v[244:245], v[172:173], -v[174:175]
	ds_read_b128 v[172:175], v2 offset:1712
	s_waitcnt vmcnt(4) lgkmcnt(1)
	v_mul_f64 v[176:177], v[168:169], v[82:83]
	v_fmac_f64_e32 v[176:177], v[170:171], v[80:81]
	v_add_f64 v[0:1], v[0:1], v[176:177]
	ds_read_b128 v[176:179], v2 offset:1728
	v_mul_f64 v[182:183], v[250:251], v[182:183]
	v_fma_f64 v[244:245], v[248:249], v[180:181], -v[182:183]
	ds_read_b128 v[180:183], v2 offset:1744
	ds_read_b128 v[248:251], v2 offset:1760
	s_waitcnt vmcnt(3) lgkmcnt(3)
	v_mul_f64 v[188:189], v[172:173], v[78:79]
	v_fmac_f64_e32 v[188:189], v[174:175], v[76:77]
	v_add_f64 v[0:1], v[0:1], v[188:189]
	s_waitcnt vmcnt(2) lgkmcnt(2)
	v_mul_f64 v[188:189], v[176:177], v[94:95]
	v_fmac_f64_e32 v[188:189], v[178:179], v[92:93]
	v_add_f64 v[0:1], v[0:1], v[188:189]
	;; [unrolled: 4-line block ×4, first 2 shown]
	scratch_load_dwordx4 v[188:191], off, off offset:864
	ds_read_b128 v[192:195], v2 offset:1776
	ds_read_b128 v[200:203], v2 offset:1792
	;; [unrolled: 1-line block ×5, first 2 shown]
	s_waitcnt vmcnt(0) lgkmcnt(4)
	v_mul_f64 v[196:197], v[192:193], v[190:191]
	v_fmac_f64_e32 v[196:197], v[194:195], v[188:189]
	v_add_f64 v[0:1], v[0:1], v[196:197]
	scratch_load_dwordx4 v[196:199], off, off offset:880
	s_waitcnt vmcnt(0) lgkmcnt(3)
	v_mul_f64 v[204:205], v[200:201], v[198:199]
	v_fmac_f64_e32 v[204:205], v[202:203], v[196:197]
	v_add_f64 v[0:1], v[0:1], v[204:205]
	scratch_load_dwordx4 v[204:207], off, off offset:896
	;; [unrolled: 5-line block ×4, first 2 shown]
	s_waitcnt vmcnt(0) lgkmcnt(0)
	v_mul_f64 v[228:229], v[224:225], v[222:223]
	v_fmac_f64_e32 v[228:229], v[226:227], v[220:221]
	v_add_f64 v[0:1], v[0:1], v[228:229]
	v_add_f64 v[228:229], v[240:241], 0
	v_add_f64 v[228:229], v[228:229], v[242:243]
	v_add_f64 v[228:229], v[228:229], v[252:253]
	v_add_f64 v[228:229], v[228:229], v[254:255]
	v_add_f64 v[228:229], v[228:229], v[232:233]
	v_add_f64 v[32:33], v[228:229], v[32:33]
	v_add_f64 v[28:29], v[32:33], v[28:29]
	v_add_f64 v[24:25], v[28:29], v[24:25]
	scratch_load_dwordx4 v[228:231], off, off offset:48
	v_add_f64 v[20:21], v[24:25], v[20:21]
	v_add_f64 v[16:17], v[20:21], v[16:17]
	v_add_f64 v[14:15], v[16:17], v[14:15]
	v_add_f64 v[12:13], v[14:15], v[12:13]
	v_add_f64 v[12:13], v[12:13], v[18:19]
	v_add_f64 v[12:13], v[12:13], v[184:185]
	v_add_f64 v[12:13], v[12:13], v[186:187]
	v_add_f64 v[10:11], v[12:13], v[10:11]
	v_add_f64 v[10:11], v[10:11], v[22:23]
	v_add_f64 v[8:9], v[10:11], v[8:9]
	v_add_f64 v[8:9], v[8:9], v[26:27]
	v_add_f64 v[6:7], v[8:9], v[6:7]
	v_add_f64 v[6:7], v[6:7], v[30:31]
	v_add_f64 v[4:5], v[6:7], v[4:5]
	v_add_f64 v[246:247], v[4:5], v[34:35]
	v_accvgpr_read_b32 v8, a138
	v_add_f64 v[4:5], v[246:247], v[234:235]
	v_accvgpr_read_b32 v10, a140
	v_accvgpr_read_b32 v11, a141
	v_add_f64 v[4:5], v[4:5], v[236:237]
	v_accvgpr_read_b32 v9, a139
	v_mul_f64 v[6:7], v[86:87], v[10:11]
	v_add_f64 v[4:5], v[4:5], v[238:239]
	v_fma_f64 v[6:7], v[84:85], v[8:9], -v[6:7]
	v_accvgpr_read_b32 v8, a142
	v_add_f64 v[4:5], v[4:5], v[244:245]
	v_accvgpr_read_b32 v10, a144
	v_accvgpr_read_b32 v11, a145
	v_add_f64 v[4:5], v[4:5], v[6:7]
	v_accvgpr_read_b32 v9, a143
	v_mul_f64 v[6:7], v[98:99], v[10:11]
	v_fma_f64 v[6:7], v[96:97], v[8:9], -v[6:7]
	v_accvgpr_read_b32 v8, a146
	v_accvgpr_read_b32 v10, a148
	v_accvgpr_read_b32 v11, a149
	v_add_f64 v[4:5], v[4:5], v[6:7]
	v_accvgpr_read_b32 v9, a147
	v_mul_f64 v[6:7], v[106:107], v[10:11]
	v_fma_f64 v[6:7], v[104:105], v[8:9], -v[6:7]
	v_accvgpr_read_b32 v8, a118
	v_accvgpr_read_b32 v10, a120
	v_accvgpr_read_b32 v11, a121
	v_add_f64 v[4:5], v[4:5], v[6:7]
	v_accvgpr_read_b32 v9, a119
	v_mul_f64 v[6:7], v[110:111], v[10:11]
	v_fma_f64 v[6:7], v[108:109], v[8:9], -v[6:7]
	v_accvgpr_read_b32 v8, a122
	v_accvgpr_read_b32 v10, a124
	v_accvgpr_read_b32 v11, a125
	v_add_f64 v[4:5], v[4:5], v[6:7]
	v_accvgpr_read_b32 v9, a123
	v_mul_f64 v[6:7], v[114:115], v[10:11]
	v_fma_f64 v[6:7], v[112:113], v[8:9], -v[6:7]
	v_accvgpr_read_b32 v8, a126
	v_accvgpr_read_b32 v10, a128
	v_accvgpr_read_b32 v11, a129
	v_add_f64 v[4:5], v[4:5], v[6:7]
	v_accvgpr_read_b32 v9, a127
	v_mul_f64 v[6:7], v[118:119], v[10:11]
	v_fma_f64 v[6:7], v[116:117], v[8:9], -v[6:7]
	v_accvgpr_read_b32 v8, a130
	v_accvgpr_read_b32 v10, a132
	v_accvgpr_read_b32 v11, a133
	v_add_f64 v[4:5], v[4:5], v[6:7]
	v_accvgpr_read_b32 v9, a131
	v_mul_f64 v[6:7], v[122:123], v[10:11]
	v_fma_f64 v[6:7], v[120:121], v[8:9], -v[6:7]
	v_accvgpr_read_b32 v8, a134
	v_accvgpr_read_b32 v10, a136
	v_accvgpr_read_b32 v11, a137
	v_add_f64 v[4:5], v[4:5], v[6:7]
	v_accvgpr_read_b32 v9, a135
	v_mul_f64 v[6:7], v[126:127], v[10:11]
	v_fma_f64 v[6:7], v[124:125], v[8:9], -v[6:7]
	v_add_f64 v[4:5], v[4:5], v[6:7]
	v_mul_f64 v[6:7], v[130:131], v[58:59]
	v_fma_f64 v[6:7], v[128:129], v[56:57], -v[6:7]
	v_add_f64 v[4:5], v[4:5], v[6:7]
	;; [unrolled: 3-line block ×21, first 2 shown]
	s_waitcnt vmcnt(0)
	v_add_f64 v[6:7], v[230:231], -v[0:1]
	v_accvgpr_read_b32 v0, a116
	v_add_f64 v[4:5], v[228:229], -v[4:5]
	v_cmp_lt_u32_e32 vcc, 1, v0
	scratch_store_dwordx4 off, v[4:7], off offset:48
	s_and_saveexec_b64 s[0:1], vcc
	s_cbranch_execz .LBB121_359
; %bb.358:
	scratch_load_dwordx4 v[6:9], off, s73
	v_mov_b32_e32 v3, v2
	v_mov_b32_e32 v4, v2
	;; [unrolled: 1-line block ×3, first 2 shown]
	v_accvgpr_read_b32 v0, a117
	scratch_store_dwordx4 off, v[2:5], off offset:32
	s_waitcnt vmcnt(1)
	ds_write_b128 v0, v[6:9]
.LBB121_359:
	s_or_b64 exec, exec, s[0:1]
	s_waitcnt lgkmcnt(0)
	; wave barrier
	scratch_load_dwordx4 v[16:19], off, off offset:48
	scratch_load_dwordx4 v[20:23], off, off offset:64
	;; [unrolled: 1-line block ×17, first 2 shown]
	ds_read_b128 v[112:115], v2 offset:960
	ds_read_b128 v[96:99], v2 offset:976
	ds_read_b128 v[84:87], v2 offset:992
	scratch_load_dwordx4 v[120:123], off, off offset:320
	ds_read_b128 v[184:187], v2 offset:1008
	ds_read_b128 v[140:143], v2 offset:1024
	ds_read_b128 v[104:107], v2 offset:1040
	scratch_load_dwordx4 v[132:135], off, off offset:336
	;; [unrolled: 4-line block ×3, first 2 shown]
	ds_read_b128 v[200:203], v2 offset:1104
	ds_read_b128 v[192:195], v2 offset:1120
	;; [unrolled: 1-line block ×5, first 2 shown]
	scratch_load_dwordx4 v[144:147], off, off offset:368
	ds_read_b128 v[180:183], v2 offset:1184
	ds_read_b128 v[152:155], v2 offset:1200
	;; [unrolled: 1-line block ×3, first 2 shown]
	scratch_load_dwordx4 v[148:151], off, off offset:384
	scratch_load_dwordx4 v[156:159], off, off offset:400
	;; [unrolled: 1-line block ×13, first 2 shown]
	ds_read_b128 v[204:207], v2 offset:1232
	scratch_load_dwordx4 a[134:137], off, off offset:592
	scratch_load_dwordx4 a[138:141], off, off offset:608
	ds_read_b128 v[228:231], v2 offset:1328
	ds_read_b128 v[232:235], v2 offset:1344
	;; [unrolled: 1-line block ×4, first 2 shown]
	s_waitcnt vmcnt(35) lgkmcnt(14)
	v_mul_f64 v[0:1], v[112:113], v[18:19]
	s_waitcnt vmcnt(34)
	v_mul_f64 v[48:49], v[96:97], v[22:23]
	v_fmac_f64_e32 v[0:1], v[114:115], v[16:17]
	s_waitcnt vmcnt(33)
	v_mul_f64 v[50:51], v[84:85], v[26:27]
	v_fmac_f64_e32 v[48:49], v[98:99], v[20:21]
	v_add_f64 v[0:1], v[0:1], 0
	s_waitcnt vmcnt(32)
	v_mul_f64 v[56:57], v[184:185], v[30:31]
	v_fmac_f64_e32 v[50:51], v[86:87], v[24:25]
	v_add_f64 v[0:1], v[0:1], v[48:49]
	;; [unrolled: 4-line block ×6, first 2 shown]
	s_waitcnt vmcnt(27) lgkmcnt(13)
	v_mul_f64 v[210:211], v[108:109], v[54:55]
	v_fmac_f64_e32 v[208:209], v[166:167], v[44:45]
	v_add_f64 v[0:1], v[0:1], v[66:67]
	s_waitcnt vmcnt(26) lgkmcnt(12)
	v_mul_f64 v[212:213], v[200:201], v[62:63]
	v_fmac_f64_e32 v[210:211], v[110:111], v[52:53]
	v_add_f64 v[0:1], v[0:1], v[208:209]
	s_waitcnt vmcnt(25) lgkmcnt(11)
	v_mul_f64 v[214:215], v[192:193], v[70:71]
	v_fmac_f64_e32 v[212:213], v[202:203], v[60:61]
	v_add_f64 v[0:1], v[0:1], v[210:211]
	s_waitcnt vmcnt(24) lgkmcnt(10)
	v_mul_f64 v[216:217], v[176:177], v[74:75]
	v_fmac_f64_e32 v[214:215], v[194:195], v[68:69]
	v_add_f64 v[0:1], v[0:1], v[212:213]
	s_waitcnt vmcnt(23) lgkmcnt(9)
	v_mul_f64 v[218:219], v[116:117], v[78:79]
	v_fmac_f64_e32 v[216:217], v[178:179], v[72:73]
	v_add_f64 v[0:1], v[0:1], v[214:215]
	s_waitcnt vmcnt(22) lgkmcnt(8)
	v_mul_f64 v[220:221], v[124:125], v[82:83]
	v_fmac_f64_e32 v[218:219], v[118:119], v[76:77]
	v_add_f64 v[0:1], v[0:1], v[216:217]
	s_waitcnt vmcnt(21) lgkmcnt(7)
	v_mul_f64 v[222:223], v[180:181], v[90:91]
	v_fmac_f64_e32 v[220:221], v[126:127], v[80:81]
	v_add_f64 v[0:1], v[0:1], v[218:219]
	s_waitcnt vmcnt(20) lgkmcnt(6)
	v_mul_f64 v[224:225], v[152:153], v[94:95]
	v_fmac_f64_e32 v[222:223], v[182:183], v[88:89]
	v_add_f64 v[0:1], v[0:1], v[220:221]
	ds_read_b128 v[208:211], v2 offset:1248
	v_fmac_f64_e32 v[224:225], v[154:155], v[92:93]
	v_add_f64 v[0:1], v[0:1], v[222:223]
	s_waitcnt vmcnt(19) lgkmcnt(6)
	v_mul_f64 v[48:49], v[128:129], v[102:103]
	ds_read_b128 v[212:215], v2 offset:1264
	ds_read_b128 v[216:219], v2 offset:1280
	v_add_f64 v[0:1], v[0:1], v[224:225]
	v_fmac_f64_e32 v[48:49], v[130:131], v[100:101]
	v_add_f64 v[0:1], v[0:1], v[48:49]
	s_waitcnt vmcnt(18) lgkmcnt(7)
	v_mul_f64 v[48:49], v[204:205], v[122:123]
	v_fmac_f64_e32 v[48:49], v[206:207], v[120:121]
	ds_read_b128 v[220:223], v2 offset:1296
	ds_read_b128 v[224:227], v2 offset:1312
	v_add_f64 v[0:1], v[0:1], v[48:49]
	s_waitcnt vmcnt(17) lgkmcnt(4)
	v_mul_f64 v[48:49], v[208:209], v[134:135]
	v_fmac_f64_e32 v[48:49], v[210:211], v[132:133]
	s_waitcnt vmcnt(16) lgkmcnt(3)
	v_mul_f64 v[56:57], v[212:213], v[138:139]
	v_add_f64 v[0:1], v[0:1], v[48:49]
	v_fmac_f64_e32 v[56:57], v[214:215], v[136:137]
	s_waitcnt vmcnt(15) lgkmcnt(2)
	v_mul_f64 v[64:65], v[216:217], v[146:147]
	v_add_f64 v[0:1], v[0:1], v[56:57]
	v_fmac_f64_e32 v[64:65], v[218:219], v[144:145]
	v_add_f64 v[0:1], v[0:1], v[64:65]
	s_waitcnt vmcnt(14) lgkmcnt(1)
	v_mul_f64 v[64:65], v[220:221], v[150:151]
	v_fmac_f64_e32 v[64:65], v[222:223], v[148:149]
	v_add_f64 v[0:1], v[0:1], v[64:65]
	s_waitcnt vmcnt(13) lgkmcnt(0)
	v_mul_f64 v[64:65], v[224:225], v[158:159]
	v_fmac_f64_e32 v[64:65], v[226:227], v[156:157]
	v_mul_f64 v[30:31], v[186:187], v[30:31]
	v_add_f64 v[0:1], v[0:1], v[64:65]
	v_fma_f64 v[252:253], v[184:185], v[28:29], -v[30:31]
	scratch_load_dwordx4 v[64:67], off, off offset:624
	scratch_load_dwordx4 v[184:187], off, off offset:640
	s_waitcnt vmcnt(14)
	v_mul_f64 v[240:241], v[228:229], v[162:163]
	v_mul_f64 v[26:27], v[86:87], v[26:27]
	v_fmac_f64_e32 v[240:241], v[230:231], v[160:161]
	v_fma_f64 v[250:251], v[84:85], v[24:25], -v[26:27]
	ds_read_b128 v[84:87], v2 offset:1392
	v_add_f64 v[0:1], v[0:1], v[240:241]
	s_waitcnt vmcnt(13)
	v_mul_f64 v[240:241], v[232:233], v[170:171]
	v_fmac_f64_e32 v[240:241], v[234:235], v[168:169]
	v_mul_f64 v[18:19], v[114:115], v[18:19]
	v_add_f64 v[0:1], v[0:1], v[240:241]
	v_fma_f64 v[240:241], v[112:113], v[16:17], -v[18:19]
	s_waitcnt vmcnt(12)
	v_mul_f64 v[112:113], v[236:237], v[174:175]
	v_fmac_f64_e32 v[112:113], v[238:239], v[172:173]
	v_mul_f64 v[22:23], v[98:99], v[22:23]
	s_waitcnt vmcnt(11)
	v_mul_f64 v[28:29], v[246:247], v[198:199]
	v_mul_f64 v[38:39], v[106:107], v[38:39]
	v_add_f64 v[0:1], v[0:1], v[112:113]
	v_fma_f64 v[242:243], v[96:97], v[20:21], -v[22:23]
	v_fmac_f64_e32 v[28:29], v[248:249], v[196:197]
	v_fma_f64 v[244:245], v[104:105], v[36:37], -v[38:39]
	ds_read_b128 v[104:107], v2 offset:1424
	s_waitcnt vmcnt(10) lgkmcnt(1)
	v_mul_f64 v[96:97], v[84:85], v[6:7]
	v_add_f64 v[0:1], v[0:1], v[28:29]
	v_fmac_f64_e32 v[96:97], v[86:87], v[4:5]
	scratch_load_dwordx4 v[56:59], off, off offset:656
	v_mul_f64 v[42:43], v[190:191], v[42:43]
	v_add_f64 v[0:1], v[0:1], v[96:97]
	ds_read_b128 v[96:99], v2 offset:1408
	ds_read_b128 v[112:115], v2 offset:1456
	v_fma_f64 v[42:43], v[188:189], v[40:41], -v[42:43]
	v_mul_f64 v[40:41], v[166:167], v[46:47]
	v_fma_f64 v[36:37], v[164:165], v[44:45], -v[40:41]
	scratch_load_dwordx4 v[44:47], off, off offset:672
	v_accvgpr_write_b32 a145, v7
	v_accvgpr_write_b32 a144, v6
	;; [unrolled: 1-line block ×4, first 2 shown]
	s_waitcnt vmcnt(11) lgkmcnt(1)
	v_mul_f64 v[6:7], v[96:97], v[10:11]
	v_fmac_f64_e32 v[6:7], v[98:99], v[8:9]
	v_accvgpr_write_b32 a149, v11
	v_mul_f64 v[34:35], v[142:143], v[34:35]
	v_accvgpr_write_b32 a148, v10
	v_accvgpr_write_b32 a147, v9
	;; [unrolled: 1-line block ×3, first 2 shown]
	v_add_f64 v[0:1], v[0:1], v[6:7]
	scratch_load_dwordx4 v[48:51], off, off offset:688
	v_mul_f64 v[6:7], v[110:111], v[54:55]
	s_waitcnt vmcnt(11)
	v_mul_f64 v[10:11], v[104:105], v[14:15]
	v_fma_f64 v[254:255], v[140:141], v[32:33], -v[34:35]
	v_fma_f64 v[32:33], v[108:109], v[52:53], -v[6:7]
	v_fmac_f64_e32 v[10:11], v[106:107], v[12:13]
	scratch_load_dwordx4 v[52:55], off, off offset:704
	v_add_f64 v[0:1], v[0:1], v[10:11]
	v_mul_f64 v[10:11], v[202:203], v[62:63]
	ds_read_b128 v[108:111], v2 offset:1440
	v_fma_f64 v[28:29], v[200:201], v[60:61], -v[10:11]
	scratch_load_dwordx4 v[60:63], off, off offset:720
	v_mul_f64 v[70:71], v[194:195], v[70:71]
	v_fma_f64 v[24:25], v[192:193], v[68:69], -v[70:71]
	v_mul_f64 v[68:69], v[178:179], v[74:75]
	s_waitcnt vmcnt(12)
	v_accvgpr_read_b32 v4, a118
	v_fma_f64 v[20:21], v[176:177], v[72:73], -v[68:69]
	scratch_load_dwordx4 v[68:71], off, off offset:736
	v_accvgpr_write_b32 a153, v15
	v_accvgpr_read_b32 v6, a120
	v_accvgpr_read_b32 v7, a121
	v_accvgpr_write_b32 a152, v14
	v_accvgpr_write_b32 a151, v13
	;; [unrolled: 1-line block ×3, first 2 shown]
	v_accvgpr_read_b32 v5, a119
	s_waitcnt lgkmcnt(0)
	v_mul_f64 v[14:15], v[108:109], v[6:7]
	v_fmac_f64_e32 v[14:15], v[110:111], v[4:5]
	s_waitcnt vmcnt(12)
	v_accvgpr_read_b32 v4, a122
	v_accvgpr_read_b32 v6, a124
	;; [unrolled: 1-line block ×3, first 2 shown]
	v_add_f64 v[0:1], v[0:1], v[14:15]
	v_accvgpr_read_b32 v5, a123
	v_mul_f64 v[14:15], v[112:113], v[6:7]
	scratch_load_dwordx4 v[72:75], off, off offset:752
	v_fmac_f64_e32 v[14:15], v[114:115], v[4:5]
	v_add_f64 v[0:1], v[0:1], v[14:15]
	v_mul_f64 v[14:15], v[118:119], v[78:79]
	v_fma_f64 v[16:17], v[116:117], v[76:77], -v[14:15]
	ds_read_b128 v[116:119], v2 offset:1472
	v_mul_f64 v[18:19], v[126:127], v[82:83]
	v_fma_f64 v[18:19], v[124:125], v[80:81], -v[18:19]
	scratch_load_dwordx4 v[80:83], off, off offset:768
	scratch_load_dwordx4 v[76:79], off, off offset:784
	s_waitcnt vmcnt(14)
	v_accvgpr_read_b32 v4, a126
	v_accvgpr_read_b32 v6, a128
	;; [unrolled: 1-line block ×4, first 2 shown]
	s_waitcnt lgkmcnt(0)
	v_mul_f64 v[22:23], v[116:117], v[6:7]
	v_fmac_f64_e32 v[22:23], v[118:119], v[4:5]
	v_mul_f64 v[90:91], v[182:183], v[90:91]
	v_add_f64 v[0:1], v[0:1], v[22:23]
	v_mul_f64 v[22:23], v[154:155], v[94:95]
	v_fma_f64 v[14:15], v[180:181], v[88:89], -v[90:91]
	ds_read_b128 v[124:127], v2 offset:1488
	v_fma_f64 v[22:23], v[152:153], v[92:93], -v[22:23]
	scratch_load_dwordx4 v[92:95], off, off offset:800
	scratch_load_dwordx4 v[88:91], off, off offset:816
	v_mul_f64 v[102:103], v[130:131], v[102:103]
	v_fma_f64 v[12:13], v[128:129], v[100:101], -v[102:103]
	scratch_load_dwordx4 v[100:103], off, off offset:832
	s_waitcnt vmcnt(16)
	v_accvgpr_read_b32 v4, a130
	v_accvgpr_read_b32 v6, a132
	;; [unrolled: 1-line block ×3, first 2 shown]
	ds_read_b128 v[128:131], v2 offset:1504
	v_accvgpr_read_b32 v5, a131
	s_waitcnt lgkmcnt(1)
	v_mul_f64 v[26:27], v[124:125], v[6:7]
	v_fmac_f64_e32 v[26:27], v[126:127], v[4:5]
	v_add_f64 v[0:1], v[0:1], v[26:27]
	v_mul_f64 v[26:27], v[206:207], v[122:123]
	v_fma_f64 v[26:27], v[204:205], v[120:121], -v[26:27]
	ds_read_b128 v[120:123], v2 offset:1520
	s_waitcnt vmcnt(15)
	v_accvgpr_read_b32 v4, a134
	v_accvgpr_read_b32 v6, a136
	;; [unrolled: 1-line block ×3, first 2 shown]
	v_mul_f64 v[134:135], v[210:211], v[134:135]
	v_accvgpr_read_b32 v5, a135
	s_waitcnt lgkmcnt(1)
	v_mul_f64 v[140:141], v[128:129], v[6:7]
	v_fma_f64 v[10:11], v[208:209], v[132:133], -v[134:135]
	ds_read_b128 v[132:135], v2 offset:1536
	v_fmac_f64_e32 v[140:141], v[130:131], v[4:5]
	s_waitcnt vmcnt(14)
	v_accvgpr_read_b32 v4, a138
	v_mul_f64 v[138:139], v[214:215], v[138:139]
	v_accvgpr_read_b32 v6, a140
	v_accvgpr_read_b32 v7, a141
	v_fma_f64 v[8:9], v[212:213], v[136:137], -v[138:139]
	ds_read_b128 v[136:139], v2 offset:1552
	v_accvgpr_read_b32 v5, a139
	s_waitcnt lgkmcnt(2)
	v_mul_f64 v[30:31], v[120:121], v[6:7]
	v_add_f64 v[0:1], v[0:1], v[140:141]
	v_fmac_f64_e32 v[30:31], v[122:123], v[4:5]
	v_add_f64 v[0:1], v[0:1], v[30:31]
	s_waitcnt vmcnt(13) lgkmcnt(1)
	v_mul_f64 v[30:31], v[132:133], v[66:67]
	s_waitcnt vmcnt(12)
	v_mov_b64_e32 v[4:5], v[184:185]
	v_fmac_f64_e32 v[30:31], v[134:135], v[64:65]
	v_mov_b64_e32 v[6:7], v[186:187]
	v_add_f64 v[0:1], v[0:1], v[30:31]
	s_waitcnt lgkmcnt(0)
	v_mul_f64 v[30:31], v[136:137], v[6:7]
	v_fmac_f64_e32 v[30:31], v[138:139], v[4:5]
	ds_read_b128 v[140:143], v2 offset:1568
	v_add_f64 v[0:1], v[0:1], v[30:31]
	v_mul_f64 v[30:31], v[218:219], v[146:147]
	v_fma_f64 v[30:31], v[216:217], v[144:145], -v[30:31]
	ds_read_b128 v[144:147], v2 offset:1584
	s_waitcnt vmcnt(11) lgkmcnt(1)
	v_mul_f64 v[34:35], v[140:141], v[58:59]
	v_fmac_f64_e32 v[34:35], v[142:143], v[56:57]
	v_add_f64 v[0:1], v[0:1], v[34:35]
	v_mul_f64 v[34:35], v[222:223], v[150:151]
	s_waitcnt vmcnt(10) lgkmcnt(0)
	v_mul_f64 v[152:153], v[144:145], v[46:47]
	v_fma_f64 v[34:35], v[220:221], v[148:149], -v[34:35]
	ds_read_b128 v[148:151], v2 offset:1600
	v_fmac_f64_e32 v[152:153], v[146:147], v[44:45]
	v_add_f64 v[0:1], v[0:1], v[152:153]
	ds_read_b128 v[152:155], v2 offset:1616
	v_mul_f64 v[158:159], v[226:227], v[158:159]
	v_fma_f64 v[6:7], v[224:225], v[156:157], -v[158:159]
	ds_read_b128 v[156:159], v2 offset:1632
	v_mul_f64 v[162:163], v[230:231], v[162:163]
	s_waitcnt vmcnt(9) lgkmcnt(2)
	v_mul_f64 v[164:165], v[148:149], v[50:51]
	v_fma_f64 v[4:5], v[228:229], v[160:161], -v[162:163]
	ds_read_b128 v[160:163], v2 offset:1648
	v_fmac_f64_e32 v[164:165], v[150:151], v[48:49]
	s_waitcnt vmcnt(8) lgkmcnt(2)
	v_mul_f64 v[38:39], v[152:153], v[54:55]
	v_add_f64 v[0:1], v[0:1], v[164:165]
	v_fmac_f64_e32 v[38:39], v[154:155], v[52:53]
	v_add_f64 v[0:1], v[0:1], v[38:39]
	s_waitcnt vmcnt(7) lgkmcnt(1)
	v_mul_f64 v[38:39], v[156:157], v[62:63]
	v_fmac_f64_e32 v[38:39], v[158:159], v[60:61]
	v_add_f64 v[0:1], v[0:1], v[38:39]
	s_waitcnt vmcnt(6) lgkmcnt(0)
	v_mul_f64 v[38:39], v[160:161], v[70:71]
	ds_read_b128 v[164:167], v2 offset:1664
	v_fmac_f64_e32 v[38:39], v[162:163], v[68:69]
	v_add_f64 v[0:1], v[0:1], v[38:39]
	v_mul_f64 v[38:39], v[234:235], v[170:171]
	v_fma_f64 v[38:39], v[232:233], v[168:169], -v[38:39]
	ds_read_b128 v[168:171], v2 offset:1680
	s_waitcnt vmcnt(5) lgkmcnt(1)
	v_mul_f64 v[40:41], v[164:165], v[74:75]
	v_fmac_f64_e32 v[40:41], v[166:167], v[72:73]
	v_add_f64 v[40:41], v[0:1], v[40:41]
	v_mul_f64 v[0:1], v[238:239], v[174:175]
	v_fma_f64 v[0:1], v[236:237], v[172:173], -v[0:1]
	ds_read_b128 v[172:175], v2 offset:1696
	s_waitcnt vmcnt(4) lgkmcnt(1)
	v_mul_f64 v[176:177], v[168:169], v[82:83]
	v_fmac_f64_e32 v[176:177], v[170:171], v[80:81]
	v_add_f64 v[40:41], v[40:41], v[176:177]
	ds_read_b128 v[176:179], v2 offset:1712
	v_mul_f64 v[180:181], v[248:249], v[198:199]
	v_accvgpr_write_b32 a154, v184
	v_fma_f64 v[246:247], v[246:247], v[196:197], -v[180:181]
	ds_read_b128 v[180:183], v2 offset:1728
	ds_read_b128 v[192:195], v2 offset:1760
	v_accvgpr_write_b32 a155, v185
	v_accvgpr_write_b32 a156, v186
	;; [unrolled: 1-line block ×3, first 2 shown]
	s_waitcnt vmcnt(3) lgkmcnt(3)
	v_mul_f64 v[184:185], v[172:173], v[78:79]
	v_fmac_f64_e32 v[184:185], v[174:175], v[76:77]
	v_add_f64 v[40:41], v[40:41], v[184:185]
	s_waitcnt vmcnt(2) lgkmcnt(2)
	v_mul_f64 v[184:185], v[176:177], v[94:95]
	v_fmac_f64_e32 v[184:185], v[178:179], v[92:93]
	v_add_f64 v[40:41], v[40:41], v[184:185]
	;; [unrolled: 4-line block ×3, first 2 shown]
	ds_read_b128 v[184:187], v2 offset:1744
	ds_read_b128 v[200:203], v2 offset:1776
	scratch_load_dwordx4 v[236:239], off, off offset:32
	scratch_load_dwordx4 v[232:235], off, off offset:928
	ds_read_b128 v[208:211], v2 offset:1792
	ds_read_b128 v[216:219], v2 offset:1808
	s_waitcnt vmcnt(2) lgkmcnt(3)
	v_mul_f64 v[188:189], v[184:185], v[102:103]
	v_fmac_f64_e32 v[188:189], v[186:187], v[100:101]
	v_add_f64 v[40:41], v[40:41], v[188:189]
	scratch_load_dwordx4 v[188:191], off, off offset:848
	ds_read_b128 v[224:227], v2 offset:1824
	s_waitcnt vmcnt(0)
	v_mul_f64 v[196:197], v[192:193], v[190:191]
	v_fmac_f64_e32 v[196:197], v[194:195], v[188:189]
	v_add_f64 v[40:41], v[40:41], v[196:197]
	scratch_load_dwordx4 v[196:199], off, off offset:864
	s_waitcnt vmcnt(0) lgkmcnt(3)
	v_mul_f64 v[204:205], v[200:201], v[198:199]
	v_fmac_f64_e32 v[204:205], v[202:203], v[196:197]
	v_add_f64 v[40:41], v[40:41], v[204:205]
	scratch_load_dwordx4 v[204:207], off, off offset:880
	s_waitcnt vmcnt(0) lgkmcnt(2)
	;; [unrolled: 5-line block ×4, first 2 shown]
	v_mul_f64 v[228:229], v[224:225], v[222:223]
	v_fmac_f64_e32 v[228:229], v[226:227], v[220:221]
	v_add_f64 v[40:41], v[40:41], v[228:229]
	ds_read_b128 v[228:231], v2 offset:1840
	s_waitcnt lgkmcnt(0)
	v_mul_f64 v[2:3], v[228:229], v[234:235]
	v_fmac_f64_e32 v[2:3], v[230:231], v[232:233]
	v_add_f64 v[2:3], v[40:41], v[2:3]
	v_add_f64 v[40:41], v[240:241], 0
	;; [unrolled: 1-line block ×25, first 2 shown]
	v_accvgpr_read_b32 v6, a142
	v_accvgpr_read_b32 v8, a144
	;; [unrolled: 1-line block ×3, first 2 shown]
	v_add_f64 v[248:249], v[4:5], v[38:39]
	v_accvgpr_read_b32 v7, a143
	v_mul_f64 v[4:5], v[86:87], v[8:9]
	v_add_f64 v[0:1], v[248:249], v[0:1]
	v_fma_f64 v[4:5], v[84:85], v[6:7], -v[4:5]
	v_accvgpr_read_b32 v6, a146
	v_add_f64 v[0:1], v[0:1], v[246:247]
	v_accvgpr_read_b32 v8, a148
	v_accvgpr_read_b32 v9, a149
	v_add_f64 v[0:1], v[0:1], v[4:5]
	v_accvgpr_read_b32 v7, a147
	v_mul_f64 v[4:5], v[98:99], v[8:9]
	v_fma_f64 v[4:5], v[96:97], v[6:7], -v[4:5]
	v_accvgpr_read_b32 v6, a150
	v_accvgpr_read_b32 v8, a152
	v_accvgpr_read_b32 v9, a153
	v_add_f64 v[0:1], v[0:1], v[4:5]
	v_accvgpr_read_b32 v7, a151
	v_mul_f64 v[4:5], v[106:107], v[8:9]
	v_fma_f64 v[4:5], v[104:105], v[6:7], -v[4:5]
	v_accvgpr_read_b32 v6, a118
	;; [unrolled: 7-line block ×7, first 2 shown]
	v_accvgpr_read_b32 v8, a140
	v_accvgpr_read_b32 v9, a141
	v_add_f64 v[0:1], v[0:1], v[4:5]
	v_accvgpr_read_b32 v7, a139
	v_mul_f64 v[4:5], v[122:123], v[8:9]
	v_fma_f64 v[4:5], v[120:121], v[6:7], -v[4:5]
	v_add_f64 v[0:1], v[0:1], v[4:5]
	v_mul_f64 v[4:5], v[134:135], v[66:67]
	v_accvgpr_read_b32 v6, a154
	v_fma_f64 v[4:5], v[132:133], v[64:65], -v[4:5]
	v_accvgpr_read_b32 v8, a156
	v_accvgpr_read_b32 v9, a157
	v_add_f64 v[0:1], v[0:1], v[4:5]
	v_accvgpr_read_b32 v7, a155
	v_mul_f64 v[4:5], v[138:139], v[8:9]
	v_fma_f64 v[4:5], v[136:137], v[6:7], -v[4:5]
	v_add_f64 v[0:1], v[0:1], v[4:5]
	v_mul_f64 v[4:5], v[142:143], v[58:59]
	v_fma_f64 v[4:5], v[140:141], v[56:57], -v[4:5]
	v_add_f64 v[0:1], v[0:1], v[4:5]
	;; [unrolled: 3-line block ×19, first 2 shown]
	v_add_f64 v[4:5], v[236:237], -v[0:1]
	v_accvgpr_read_b32 v0, a116
	v_add_f64 v[6:7], v[238:239], -v[2:3]
	v_cmp_ne_u32_e32 vcc, 0, v0
	scratch_store_dwordx4 off, v[4:7], off offset:32
	s_and_saveexec_b64 s[0:1], vcc
	s_cbranch_execz .LBB121_361
; %bb.360:
	scratch_load_dwordx4 v[2:5], off, off offset:16
	v_mov_b32_e32 v6, 0
	v_mov_b32_e32 v7, v6
	;; [unrolled: 1-line block ×4, first 2 shown]
	v_accvgpr_read_b32 v0, a117
	scratch_store_dwordx4 off, v[6:9], off offset:16
	s_waitcnt vmcnt(1)
	ds_write_b128 v0, v[2:5]
.LBB121_361:
	s_or_b64 exec, exec, s[0:1]
	s_waitcnt lgkmcnt(0)
	; wave barrier
	scratch_load_dwordx4 v[24:27], off, off offset:32
	scratch_load_dwordx4 v[28:31], off, off offset:48
	;; [unrolled: 1-line block ×30, first 2 shown]
	v_mov_b32_e32 v248, 0
	ds_read_b128 v[80:83], v248 offset:944
	ds_read_b128 v[88:91], v248 offset:960
	ds_read_b128 v[100:103], v248 offset:976
	ds_read_b128 v[104:107], v248 offset:992
	ds_read_b128 v[108:111], v248 offset:1008
	ds_read_b128 v[112:115], v248 offset:1024
	ds_read_b128 v[116:119], v248 offset:1040
	ds_read_b128 v[120:123], v248 offset:1056
	ds_read_b128 v[144:147], v248 offset:1072
	ds_read_b128 v[156:159], v248 offset:1088
	ds_read_b128 v[168:171], v248 offset:1104
	ds_read_b128 v[180:183], v248 offset:1120
	ds_read_b128 v[184:187], v248 offset:1136
	ds_read_b128 v[188:191], v248 offset:1152
	ds_read_b128 v[192:195], v248 offset:1168
	ds_read_b128 v[196:199], v248 offset:1184
	ds_read_b128 v[200:203], v248 offset:1200
	scratch_load_dwordx4 a[120:123], off, off offset:512
	scratch_load_dwordx4 a[124:127], off, off offset:528
	;; [unrolled: 1-line block ×4, first 2 shown]
	ds_read_b128 v[220:223], v248 offset:1280
	ds_read_b128 v[224:227], v248 offset:1296
	;; [unrolled: 1-line block ×4, first 2 shown]
	scratch_load_dwordx4 a[136:139], off, off offset:576
	scratch_load_dwordx4 a[140:143], off, off offset:592
	ds_read_b128 v[236:239], v248 offset:1344
	ds_read_b128 v[244:247], v248 offset:1360
	;; [unrolled: 1-line block ×3, first 2 shown]
	scratch_load_dwordx4 a[144:147], off, off offset:608
	scratch_load_dwordx4 a[148:151], off, off offset:624
	s_and_b64 vcc, exec, s[10:11]
	s_waitcnt vmcnt(37) lgkmcnt(14)
	v_mul_f64 v[8:9], v[80:81], v[26:27]
	s_waitcnt vmcnt(36)
	v_mul_f64 v[10:11], v[88:89], v[30:31]
	v_fmac_f64_e32 v[8:9], v[82:83], v[24:25]
	s_waitcnt vmcnt(35)
	v_mul_f64 v[12:13], v[100:101], v[34:35]
	v_fmac_f64_e32 v[10:11], v[90:91], v[28:29]
	v_add_f64 v[8:9], v[8:9], 0
	s_waitcnt vmcnt(34)
	v_mul_f64 v[14:15], v[104:105], v[38:39]
	v_fmac_f64_e32 v[12:13], v[102:103], v[32:33]
	v_add_f64 v[8:9], v[8:9], v[10:11]
	;; [unrolled: 4-line block ×8, first 2 shown]
	s_waitcnt vmcnt(27) lgkmcnt(13)
	v_mul_f64 v[208:209], v[168:169], v[66:67]
	v_fmac_f64_e32 v[206:207], v[158:159], v[60:61]
	v_add_f64 v[8:9], v[8:9], v[204:205]
	s_waitcnt vmcnt(26) lgkmcnt(12)
	v_mul_f64 v[210:211], v[180:181], v[70:71]
	v_fmac_f64_e32 v[208:209], v[170:171], v[64:65]
	v_add_f64 v[8:9], v[8:9], v[206:207]
	;; [unrolled: 4-line block ×3, first 2 shown]
	ds_read_b128 v[204:207], v248 offset:1216
	s_waitcnt vmcnt(24) lgkmcnt(11)
	v_mul_f64 v[214:215], v[188:189], v[78:79]
	v_fmac_f64_e32 v[212:213], v[186:187], v[72:73]
	v_add_f64 v[8:9], v[8:9], v[210:211]
	s_waitcnt vmcnt(23) lgkmcnt(10)
	v_mul_f64 v[216:217], v[192:193], v[86:87]
	v_fmac_f64_e32 v[214:215], v[190:191], v[76:77]
	v_add_f64 v[8:9], v[8:9], v[212:213]
	ds_read_b128 v[208:211], v248 offset:1232
	s_waitcnt vmcnt(22) lgkmcnt(10)
	v_mul_f64 v[218:219], v[196:197], v[94:95]
	v_fmac_f64_e32 v[216:217], v[194:195], v[84:85]
	v_add_f64 v[8:9], v[8:9], v[214:215]
	ds_read_b128 v[212:215], v248 offset:1248
	v_fmac_f64_e32 v[218:219], v[198:199], v[92:93]
	v_add_f64 v[8:9], v[8:9], v[216:217]
	s_waitcnt vmcnt(21) lgkmcnt(10)
	v_mul_f64 v[10:11], v[200:201], v[98:99]
	v_add_f64 v[8:9], v[8:9], v[218:219]
	v_fmac_f64_e32 v[10:11], v[202:203], v[96:97]
	s_waitcnt vmcnt(20) lgkmcnt(2)
	v_mul_f64 v[14:15], v[204:205], v[126:127]
	ds_read_b128 v[216:219], v248 offset:1264
	v_add_f64 v[12:13], v[8:9], v[10:11]
	v_fmac_f64_e32 v[14:15], v[206:207], v[124:125]
	v_add_f64 v[12:13], v[12:13], v[14:15]
	s_waitcnt vmcnt(19) lgkmcnt(2)
	v_mul_f64 v[14:15], v[208:209], v[130:131]
	v_fmac_f64_e32 v[14:15], v[210:211], v[128:129]
	s_waitcnt vmcnt(18) lgkmcnt(1)
	v_mul_f64 v[18:19], v[212:213], v[134:135]
	v_add_f64 v[16:17], v[12:13], v[14:15]
	v_fmac_f64_e32 v[18:19], v[214:215], v[132:133]
	v_add_f64 v[16:17], v[16:17], v[18:19]
	s_waitcnt vmcnt(17) lgkmcnt(0)
	v_mul_f64 v[18:19], v[216:217], v[138:139]
	v_fmac_f64_e32 v[18:19], v[218:219], v[136:137]
	v_add_f64 v[16:17], v[16:17], v[18:19]
	s_waitcnt vmcnt(16)
	v_mul_f64 v[18:19], v[220:221], v[142:143]
	v_fmac_f64_e32 v[18:19], v[222:223], v[140:141]
	s_waitcnt vmcnt(15)
	v_mul_f64 v[22:23], v[224:225], v[150:151]
	v_add_f64 v[20:21], v[16:17], v[18:19]
	v_fmac_f64_e32 v[22:23], v[226:227], v[148:149]
	s_waitcnt vmcnt(14)
	v_mul_f64 v[242:243], v[228:229], v[154:155]
	v_add_f64 v[240:241], v[20:21], v[22:23]
	v_fmac_f64_e32 v[242:243], v[230:231], v[152:153]
	v_add_f64 v[240:241], v[240:241], v[242:243]
	s_waitcnt vmcnt(13)
	v_mul_f64 v[242:243], v[232:233], v[162:163]
	v_fmac_f64_e32 v[242:243], v[234:235], v[160:161]
	v_mul_f64 v[26:27], v[82:83], v[26:27]
	v_add_f64 v[240:241], v[240:241], v[242:243]
	v_fma_f64 v[242:243], v[80:81], v[24:25], -v[26:27]
	s_waitcnt vmcnt(12)
	v_mul_f64 v[80:81], v[236:237], v[166:167]
	v_mul_f64 v[24:25], v[90:91], v[30:31]
	v_fmac_f64_e32 v[80:81], v[238:239], v[164:165]
	s_waitcnt vmcnt(11)
	v_mul_f64 v[30:31], v[244:245], v[174:175]
	v_fma_f64 v[254:255], v[88:89], v[28:29], -v[24:25]
	v_add_f64 v[28:29], v[240:241], v[80:81]
	v_fmac_f64_e32 v[30:31], v[246:247], v[172:173]
	v_add_f64 v[80:81], v[28:29], v[30:31]
	v_mul_f64 v[28:29], v[102:103], v[34:35]
	v_fma_f64 v[240:241], v[100:101], v[32:33], -v[28:29]
	ds_read_b128 v[88:91], v248 offset:1408
	s_waitcnt vmcnt(10)
	v_mul_f64 v[32:33], v[250:251], v[178:179]
	v_fmac_f64_e32 v[32:33], v[252:253], v[176:177]
	v_add_f64 v[100:101], v[80:81], v[32:33]
	v_mul_f64 v[32:33], v[106:107], v[38:39]
	ds_read_b128 v[80:83], v248 offset:1392
	v_mul_f64 v[2:3], v[110:111], v[42:43]
	v_fma_f64 v[36:37], v[104:105], v[36:37], -v[32:33]
	v_fma_f64 v[32:33], v[108:109], v[40:41], -v[2:3]
	v_mul_f64 v[40:41], v[114:115], v[46:47]
	v_fma_f64 v[28:29], v[112:113], v[44:45], -v[40:41]
	scratch_load_dwordx4 v[40:43], off, off offset:640
	s_waitcnt vmcnt(10)
	v_mov_b64_e32 v[0:1], v[4:5]
	v_mov_b64_e32 v[2:3], v[6:7]
	v_mul_f64 v[44:45], v[118:119], v[50:51]
	v_accvgpr_write_b32 a155, v3
	v_fma_f64 v[24:25], v[116:117], v[48:49], -v[44:45]
	scratch_load_dwordx4 v[44:47], off, off offset:656
	ds_read_b128 v[104:107], v248 offset:1440
	s_waitcnt lgkmcnt(1)
	v_mul_f64 v[6:7], v[80:81], v[2:3]
	v_fmac_f64_e32 v[6:7], v[82:83], v[0:1]
	v_accvgpr_write_b32 a154, v2
	v_accvgpr_write_b32 a153, v1
	;; [unrolled: 1-line block ×3, first 2 shown]
	s_waitcnt vmcnt(10)
	v_accvgpr_read_b32 v0, a116
	v_accvgpr_read_b32 v2, a118
	;; [unrolled: 1-line block ×3, first 2 shown]
	v_add_f64 v[6:7], v[100:101], v[6:7]
	v_accvgpr_read_b32 v1, a117
	v_mul_f64 v[10:11], v[88:89], v[2:3]
	ds_read_b128 v[100:103], v248 offset:1424
	ds_read_b128 v[108:111], v248 offset:1456
	v_fmac_f64_e32 v[10:11], v[90:91], v[0:1]
	v_add_f64 v[6:7], v[6:7], v[10:11]
	v_mul_f64 v[10:11], v[122:123], v[54:55]
	v_fma_f64 v[20:21], v[120:121], v[52:53], -v[10:11]
	scratch_load_dwordx4 v[48:51], off, off offset:672
	v_mul_f64 v[52:53], v[146:147], v[58:59]
	s_waitcnt vmcnt(10)
	v_accvgpr_read_b32 v0, a120
	v_fma_f64 v[16:17], v[144:145], v[56:57], -v[52:53]
	scratch_load_dwordx4 v[52:55], off, off offset:688
	v_accvgpr_read_b32 v2, a122
	v_accvgpr_read_b32 v3, a123
	;; [unrolled: 1-line block ×3, first 2 shown]
	s_waitcnt lgkmcnt(1)
	v_mul_f64 v[56:57], v[100:101], v[2:3]
	v_fmac_f64_e32 v[56:57], v[102:103], v[0:1]
	v_add_f64 v[6:7], v[6:7], v[56:57]
	scratch_load_dwordx4 v[56:59], off, off offset:704
	s_waitcnt vmcnt(11)
	v_accvgpr_read_b32 v0, a124
	v_mul_f64 v[14:15], v[158:159], v[62:63]
	v_accvgpr_read_b32 v2, a126
	v_accvgpr_read_b32 v3, a127
	v_fma_f64 v[14:15], v[156:157], v[60:61], -v[14:15]
	v_mul_f64 v[60:61], v[170:171], v[66:67]
	v_accvgpr_read_b32 v1, a125
	v_mul_f64 v[18:19], v[104:105], v[2:3]
	v_fma_f64 v[12:13], v[168:169], v[64:65], -v[60:61]
	v_fmac_f64_e32 v[18:19], v[106:107], v[0:1]
	scratch_load_dwordx4 v[60:63], off, off offset:720
	v_add_f64 v[6:7], v[6:7], v[18:19]
	v_mul_f64 v[18:19], v[182:183], v[70:71]
	v_fma_f64 v[18:19], v[180:181], v[68:69], -v[18:19]
	scratch_load_dwordx4 v[64:67], off, off offset:736
	v_mul_f64 v[68:69], v[186:187], v[74:75]
	v_fma_f64 v[180:181], v[184:185], v[72:73], -v[68:69]
	ds_read_b128 v[112:115], v248 offset:1472
	ds_read_b128 v[116:119], v248 offset:1488
	s_waitcnt vmcnt(12)
	v_accvgpr_read_b32 v0, a128
	v_mul_f64 v[68:69], v[190:191], v[78:79]
	v_accvgpr_read_b32 v2, a130
	v_accvgpr_read_b32 v3, a131
	v_fma_f64 v[182:183], v[188:189], v[76:77], -v[68:69]
	scratch_load_dwordx4 v[68:71], off, off offset:752
	v_accvgpr_read_b32 v1, a129
	s_waitcnt lgkmcnt(2)
	v_mul_f64 v[72:73], v[108:109], v[2:3]
	v_fmac_f64_e32 v[72:73], v[110:111], v[0:1]
	s_waitcnt vmcnt(12)
	v_accvgpr_read_b32 v0, a132
	v_accvgpr_read_b32 v2, a134
	;; [unrolled: 1-line block ×4, first 2 shown]
	s_waitcnt lgkmcnt(1)
	v_mul_f64 v[76:77], v[112:113], v[2:3]
	v_add_f64 v[6:7], v[6:7], v[72:73]
	v_fmac_f64_e32 v[76:77], v[114:115], v[0:1]
	scratch_load_dwordx4 v[72:75], off, off offset:768
	v_add_f64 v[6:7], v[6:7], v[76:77]
	v_mul_f64 v[76:77], v[194:195], v[86:87]
	v_fma_f64 v[10:11], v[192:193], v[84:85], -v[76:77]
	scratch_load_dwordx4 v[76:79], off, off offset:784
	v_mul_f64 v[22:23], v[198:199], v[94:95]
	v_fma_f64 v[22:23], v[196:197], v[92:93], -v[22:23]
	scratch_load_dwordx4 v[84:87], off, off offset:800
	v_mul_f64 v[92:93], v[202:203], v[98:99]
	v_fma_f64 v[8:9], v[200:201], v[96:97], -v[92:93]
	v_mul_f64 v[92:93], v[206:207], v[126:127]
	v_fma_f64 v[4:5], v[204:205], v[124:125], -v[92:93]
	scratch_load_dwordx4 v[92:95], off, off offset:816
	scratch_load_dwordx4 v[96:99], off, off offset:832
	ds_read_b128 v[120:123], v248 offset:1504
	ds_read_b128 v[124:127], v248 offset:1520
	s_waitcnt vmcnt(16)
	v_accvgpr_read_b32 v0, a136
	v_accvgpr_read_b32 v2, a138
	;; [unrolled: 1-line block ×4, first 2 shown]
	s_waitcnt lgkmcnt(2)
	v_mul_f64 v[26:27], v[116:117], v[2:3]
	v_fmac_f64_e32 v[26:27], v[118:119], v[0:1]
	s_waitcnt vmcnt(15)
	v_accvgpr_read_b32 v0, a140
	v_accvgpr_read_b32 v2, a142
	;; [unrolled: 1-line block ×4, first 2 shown]
	s_waitcnt lgkmcnt(1)
	v_mul_f64 v[30:31], v[120:121], v[2:3]
	v_add_f64 v[6:7], v[6:7], v[26:27]
	v_mul_f64 v[26:27], v[210:211], v[130:131]
	v_fmac_f64_e32 v[30:31], v[122:123], v[0:1]
	s_waitcnt vmcnt(14)
	v_accvgpr_read_b32 v0, a144
	v_fma_f64 v[26:27], v[208:209], v[128:129], -v[26:27]
	v_add_f64 v[6:7], v[6:7], v[30:31]
	v_mul_f64 v[30:31], v[214:215], v[134:135]
	ds_read_b128 v[128:131], v248 offset:1536
	v_accvgpr_read_b32 v2, a146
	v_accvgpr_read_b32 v3, a147
	v_fma_f64 v[30:31], v[212:213], v[132:133], -v[30:31]
	v_accvgpr_read_b32 v1, a145
	s_waitcnt lgkmcnt(1)
	v_mul_f64 v[132:133], v[124:125], v[2:3]
	v_fmac_f64_e32 v[132:133], v[126:127], v[0:1]
	v_mul_f64 v[138:139], v[218:219], v[138:139]
	v_add_f64 v[6:7], v[6:7], v[132:133]
	ds_read_b128 v[132:135], v248 offset:1552
	v_fma_f64 v[2:3], v[216:217], v[136:137], -v[138:139]
	s_waitcnt vmcnt(13)
	v_accvgpr_read_b32 v136, a148
	v_accvgpr_read_b32 v138, a150
	;; [unrolled: 1-line block ×4, first 2 shown]
	s_waitcnt lgkmcnt(1)
	v_mul_f64 v[34:35], v[128:129], v[138:139]
	v_fmac_f64_e32 v[34:35], v[130:131], v[136:137]
	ds_read_b128 v[136:139], v248 offset:1568
	v_add_f64 v[6:7], v[6:7], v[34:35]
	s_waitcnt vmcnt(12) lgkmcnt(1)
	v_mul_f64 v[34:35], v[132:133], v[42:43]
	v_fmac_f64_e32 v[34:35], v[134:135], v[40:41]
	v_add_f64 v[6:7], v[6:7], v[34:35]
	v_mul_f64 v[34:35], v[222:223], v[142:143]
	v_fma_f64 v[34:35], v[220:221], v[140:141], -v[34:35]
	ds_read_b128 v[140:143], v248 offset:1584
	s_waitcnt vmcnt(11) lgkmcnt(1)
	v_mul_f64 v[144:145], v[136:137], v[46:47]
	v_fmac_f64_e32 v[144:145], v[138:139], v[44:45]
	v_add_f64 v[6:7], v[6:7], v[144:145]
	ds_read_b128 v[144:147], v248 offset:1600
	v_mul_f64 v[150:151], v[226:227], v[150:151]
	v_fma_f64 v[0:1], v[224:225], v[148:149], -v[150:151]
	ds_read_b128 v[148:151], v248 offset:1616
	s_waitcnt vmcnt(10) lgkmcnt(2)
	v_mul_f64 v[156:157], v[140:141], v[50:51]
	v_fmac_f64_e32 v[156:157], v[142:143], v[48:49]
	s_waitcnt vmcnt(9) lgkmcnt(1)
	v_mul_f64 v[38:39], v[144:145], v[54:55]
	v_add_f64 v[6:7], v[6:7], v[156:157]
	v_fmac_f64_e32 v[38:39], v[146:147], v[52:53]
	v_add_f64 v[6:7], v[6:7], v[38:39]
	v_mul_f64 v[38:39], v[230:231], v[154:155]
	v_fma_f64 v[38:39], v[228:229], v[152:153], -v[38:39]
	ds_read_b128 v[152:155], v248 offset:1632
	s_waitcnt vmcnt(8) lgkmcnt(1)
	v_mul_f64 v[156:157], v[148:149], v[58:59]
	v_fmac_f64_e32 v[156:157], v[150:151], v[56:57]
	v_add_f64 v[6:7], v[6:7], v[156:157]
	ds_read_b128 v[156:159], v248 offset:1648
	v_mul_f64 v[162:163], v[234:235], v[162:163]
	v_fma_f64 v[232:233], v[232:233], v[160:161], -v[162:163]
	ds_read_b128 v[160:163], v248 offset:1664
	s_waitcnt vmcnt(7) lgkmcnt(2)
	v_mul_f64 v[168:169], v[152:153], v[62:63]
	v_fmac_f64_e32 v[168:169], v[154:155], v[60:61]
	v_add_f64 v[6:7], v[6:7], v[168:169]
	s_waitcnt vmcnt(6) lgkmcnt(1)
	v_mul_f64 v[168:169], v[156:157], v[66:67]
	v_fmac_f64_e32 v[168:169], v[158:159], v[64:65]
	v_mul_f64 v[166:167], v[238:239], v[166:167]
	v_add_f64 v[6:7], v[6:7], v[168:169]
	v_fma_f64 v[234:235], v[236:237], v[164:165], -v[166:167]
	ds_read_b128 v[164:167], v248 offset:1680
	s_waitcnt vmcnt(5) lgkmcnt(1)
	v_mul_f64 v[168:169], v[160:161], v[70:71]
	v_fmac_f64_e32 v[168:169], v[162:163], v[68:69]
	v_add_f64 v[6:7], v[6:7], v[168:169]
	ds_read_b128 v[168:171], v248 offset:1696
	v_mul_f64 v[174:175], v[246:247], v[174:175]
	v_fma_f64 v[238:239], v[244:245], v[172:173], -v[174:175]
	ds_read_b128 v[172:175], v248 offset:1712
	s_waitcnt vmcnt(4) lgkmcnt(2)
	v_mul_f64 v[184:185], v[164:165], v[74:75]
	v_mul_f64 v[178:179], v[252:253], v[178:179]
	v_fmac_f64_e32 v[184:185], v[166:167], v[72:73]
	v_fma_f64 v[244:245], v[250:251], v[176:177], -v[178:179]
	ds_read_b128 v[176:179], v248 offset:1728
	ds_read_b128 v[250:253], v248 offset:1744
	v_add_f64 v[6:7], v[6:7], v[184:185]
	s_waitcnt vmcnt(3) lgkmcnt(3)
	v_mul_f64 v[184:185], v[168:169], v[78:79]
	v_fmac_f64_e32 v[184:185], v[170:171], v[76:77]
	v_add_f64 v[6:7], v[6:7], v[184:185]
	s_waitcnt vmcnt(2) lgkmcnt(2)
	v_mul_f64 v[184:185], v[172:173], v[86:87]
	v_fmac_f64_e32 v[184:185], v[174:175], v[84:85]
	;; [unrolled: 4-line block ×4, first 2 shown]
	v_add_f64 v[6:7], v[6:7], v[184:185]
	scratch_load_dwordx4 v[184:187], off, off offset:848
	ds_read_b128 v[188:191], v248 offset:1760
	ds_read_b128 v[196:199], v248 offset:1776
	;; [unrolled: 1-line block ×6, first 2 shown]
	s_waitcnt vmcnt(0) lgkmcnt(5)
	v_mul_f64 v[192:193], v[188:189], v[186:187]
	v_fmac_f64_e32 v[192:193], v[190:191], v[184:185]
	v_add_f64 v[6:7], v[6:7], v[192:193]
	scratch_load_dwordx4 v[192:195], off, off offset:864
	s_waitcnt vmcnt(0) lgkmcnt(4)
	v_mul_f64 v[200:201], v[196:197], v[194:195]
	v_fmac_f64_e32 v[200:201], v[198:199], v[192:193]
	v_add_f64 v[6:7], v[6:7], v[200:201]
	scratch_load_dwordx4 v[200:203], off, off offset:880
	;; [unrolled: 5-line block ×5, first 2 shown]
	s_waitcnt vmcnt(0) lgkmcnt(0)
	v_mul_f64 v[236:237], v[228:229], v[226:227]
	v_fmac_f64_e32 v[236:237], v[230:231], v[224:225]
	v_add_f64 v[236:237], v[6:7], v[236:237]
	v_add_f64 v[6:7], v[242:243], 0
	;; [unrolled: 1-line block ×27, first 2 shown]
	scratch_load_dwordx4 v[232:235], off, off offset:16
	v_accvgpr_read_b32 v4, a152
	v_accvgpr_read_b32 v6, a154
	;; [unrolled: 1-line block ×4, first 2 shown]
	v_mul_f64 v[2:3], v[82:83], v[6:7]
	v_add_f64 v[0:1], v[246:247], v[238:239]
	v_fma_f64 v[2:3], v[80:81], v[4:5], -v[2:3]
	v_accvgpr_read_b32 v4, a116
	v_add_f64 v[0:1], v[0:1], v[244:245]
	v_accvgpr_read_b32 v6, a118
	v_accvgpr_read_b32 v7, a119
	v_add_f64 v[0:1], v[0:1], v[2:3]
	v_accvgpr_read_b32 v5, a117
	v_mul_f64 v[2:3], v[90:91], v[6:7]
	v_fma_f64 v[2:3], v[88:89], v[4:5], -v[2:3]
	v_accvgpr_read_b32 v4, a120
	v_accvgpr_read_b32 v6, a122
	v_accvgpr_read_b32 v7, a123
	v_add_f64 v[0:1], v[0:1], v[2:3]
	v_accvgpr_read_b32 v5, a121
	v_mul_f64 v[2:3], v[102:103], v[6:7]
	v_fma_f64 v[2:3], v[100:101], v[4:5], -v[2:3]
	v_accvgpr_read_b32 v4, a124
	;; [unrolled: 7-line block ×8, first 2 shown]
	v_accvgpr_read_b32 v6, a150
	v_accvgpr_read_b32 v7, a151
	v_add_f64 v[0:1], v[0:1], v[2:3]
	v_accvgpr_read_b32 v5, a149
	v_mul_f64 v[2:3], v[130:131], v[6:7]
	v_fma_f64 v[2:3], v[128:129], v[4:5], -v[2:3]
	v_add_f64 v[0:1], v[0:1], v[2:3]
	v_mul_f64 v[2:3], v[134:135], v[42:43]
	v_fma_f64 v[2:3], v[132:133], v[40:41], -v[2:3]
	v_add_f64 v[0:1], v[0:1], v[2:3]
	;; [unrolled: 3-line block ×20, first 2 shown]
	s_waitcnt vmcnt(0)
	v_add_f64 v[0:1], v[232:233], -v[0:1]
	v_add_f64 v[2:3], v[234:235], -v[236:237]
	scratch_store_dwordx4 off, v[0:3], off offset:16
	s_cbranch_vccz .LBB121_476
; %bb.362:
	global_load_dword v0, v248, s[8:9] offset:224
	s_waitcnt vmcnt(0)
	v_readfirstlane_b32 s0, v0
	s_add_i32 s0, s0, -1
	s_cmp_lg_u32 s0, 56
	s_cbranch_scc0 .LBB121_364
; %bb.363:
	s_lshl_b32 s0, s0, 4
	s_add_i32 s0, s0, 16
	scratch_load_dwordx4 v[0:3], off, s0
	scratch_load_dwordx4 v[4:7], off, s17
	s_waitcnt vmcnt(1)
	scratch_store_dwordx4 off, v[0:3], s17
	s_waitcnt vmcnt(1)
	scratch_store_dwordx4 off, v[4:7], s0
.LBB121_364:
	v_mov_b32_e32 v0, 0
	global_load_dword v1, v0, s[8:9] offset:220
	s_waitcnt vmcnt(0)
	v_readfirstlane_b32 s0, v1
	s_add_i32 s0, s0, -1
	s_cmp_eq_u32 s0, 55
	s_cbranch_scc1 .LBB121_366
; %bb.365:
	s_lshl_b32 s0, s0, 4
	s_add_i32 s0, s0, 16
	scratch_load_dwordx4 v[2:5], off, s0
	scratch_load_dwordx4 v[6:9], off, s18
	s_waitcnt vmcnt(1)
	scratch_store_dwordx4 off, v[2:5], s18
	s_waitcnt vmcnt(1)
	scratch_store_dwordx4 off, v[6:9], s0
.LBB121_366:
	global_load_dword v0, v0, s[8:9] offset:216
	s_waitcnt vmcnt(0)
	v_readfirstlane_b32 s0, v0
	s_add_i32 s0, s0, -1
	s_cmp_eq_u32 s0, 54
	s_cbranch_scc1 .LBB121_368
; %bb.367:
	s_lshl_b32 s0, s0, 4
	s_add_i32 s0, s0, 16
	scratch_load_dwordx4 v[0:3], off, s0
	scratch_load_dwordx4 v[4:7], off, s19
	s_waitcnt vmcnt(1)
	scratch_store_dwordx4 off, v[0:3], s19
	s_waitcnt vmcnt(1)
	scratch_store_dwordx4 off, v[4:7], s0
.LBB121_368:
	v_mov_b32_e32 v0, 0
	global_load_dword v1, v0, s[8:9] offset:212
	s_waitcnt vmcnt(0)
	v_readfirstlane_b32 s0, v1
	s_add_i32 s0, s0, -1
	s_cmp_eq_u32 s0, 53
	s_cbranch_scc1 .LBB121_370
; %bb.369:
	s_lshl_b32 s0, s0, 4
	s_add_i32 s0, s0, 16
	scratch_load_dwordx4 v[2:5], off, s0
	scratch_load_dwordx4 v[6:9], off, s20
	s_waitcnt vmcnt(1)
	scratch_store_dwordx4 off, v[2:5], s20
	s_waitcnt vmcnt(1)
	scratch_store_dwordx4 off, v[6:9], s0
.LBB121_370:
	global_load_dword v0, v0, s[8:9] offset:208
	s_waitcnt vmcnt(0)
	v_readfirstlane_b32 s0, v0
	s_add_i32 s0, s0, -1
	s_cmp_eq_u32 s0, 52
	s_cbranch_scc1 .LBB121_372
; %bb.371:
	s_lshl_b32 s0, s0, 4
	s_add_i32 s0, s0, 16
	scratch_load_dwordx4 v[0:3], off, s0
	scratch_load_dwordx4 v[4:7], off, s21
	s_waitcnt vmcnt(1)
	scratch_store_dwordx4 off, v[0:3], s21
	s_waitcnt vmcnt(1)
	scratch_store_dwordx4 off, v[4:7], s0
.LBB121_372:
	;; [unrolled: 33-line block ×27, first 2 shown]
	v_mov_b32_e32 v0, 0
	global_load_dword v1, v0, s[8:9] offset:4
	s_waitcnt vmcnt(0)
	v_readfirstlane_b32 s0, v1
	s_add_i32 s0, s0, -1
	s_cmp_eq_u32 s0, 1
	s_cbranch_scc1 .LBB121_474
; %bb.473:
	s_lshl_b32 s0, s0, 4
	s_add_i32 s0, s0, 16
	scratch_load_dwordx4 v[2:5], off, s0
	scratch_load_dwordx4 v[6:9], off, s73
	s_waitcnt vmcnt(1)
	scratch_store_dwordx4 off, v[2:5], s73
	s_waitcnt vmcnt(1)
	scratch_store_dwordx4 off, v[6:9], s0
.LBB121_474:
	global_load_dword v0, v0, s[8:9]
	s_waitcnt vmcnt(0)
	v_readfirstlane_b32 s0, v0
	s_add_i32 s0, s0, -1
	s_cmp_eq_u32 s0, 0
	s_cbranch_scc1 .LBB121_476
; %bb.475:
	s_lshl_b32 s0, s0, 4
	s_add_i32 s0, s0, 16
	scratch_load_dwordx4 v[0:3], off, s0
	scratch_load_dwordx4 v[4:7], off, off offset:16
	s_waitcnt vmcnt(1)
	scratch_store_dwordx4 off, v[0:3], off offset:16
	s_waitcnt vmcnt(1)
	scratch_store_dwordx4 off, v[4:7], s0
.LBB121_476:
	scratch_load_dwordx4 v[0:3], off, off offset:16
	s_nop 0
	v_accvgpr_read_b32 v5, a1
	v_accvgpr_read_b32 v4, a0
	s_waitcnt vmcnt(0)
	flat_store_dwordx4 v[4:5], v[0:3]
	scratch_load_dwordx4 v[0:3], off, s73
	v_accvgpr_read_b32 v5, a3
	v_accvgpr_read_b32 v4, a2
	s_waitcnt vmcnt(0)
	flat_store_dwordx4 v[4:5], v[0:3]
	scratch_load_dwordx4 v[0:3], off, s72
	;; [unrolled: 5-line block ×57, first 2 shown]
	v_accvgpr_read_b32 v4, a114
	v_accvgpr_read_b32 v5, a115
	s_waitcnt vmcnt(0)
	flat_store_dwordx4 v[4:5], v[0:3]
	s_endpgm
	.section	.rodata,"a",@progbits
	.p2align	6, 0x0
	.amdhsa_kernel _ZN9rocsolver6v33100L18getri_kernel_smallILi58E19rocblas_complex_numIdEPKPS3_EEvT1_iilPiilS8_bb
		.amdhsa_group_segment_fixed_size 1864
		.amdhsa_private_segment_fixed_size 960
		.amdhsa_kernarg_size 60
		.amdhsa_user_sgpr_count 2
		.amdhsa_user_sgpr_dispatch_ptr 0
		.amdhsa_user_sgpr_queue_ptr 0
		.amdhsa_user_sgpr_kernarg_segment_ptr 1
		.amdhsa_user_sgpr_dispatch_id 0
		.amdhsa_user_sgpr_kernarg_preload_length 0
		.amdhsa_user_sgpr_kernarg_preload_offset 0
		.amdhsa_user_sgpr_private_segment_size 0
		.amdhsa_uses_dynamic_stack 0
		.amdhsa_enable_private_segment 1
		.amdhsa_system_sgpr_workgroup_id_x 1
		.amdhsa_system_sgpr_workgroup_id_y 0
		.amdhsa_system_sgpr_workgroup_id_z 0
		.amdhsa_system_sgpr_workgroup_info 0
		.amdhsa_system_vgpr_workitem_id 0
		.amdhsa_next_free_vgpr 414
		.amdhsa_next_free_sgpr 95
		.amdhsa_accum_offset 256
		.amdhsa_reserve_vcc 1
		.amdhsa_float_round_mode_32 0
		.amdhsa_float_round_mode_16_64 0
		.amdhsa_float_denorm_mode_32 3
		.amdhsa_float_denorm_mode_16_64 3
		.amdhsa_dx10_clamp 1
		.amdhsa_ieee_mode 1
		.amdhsa_fp16_overflow 0
		.amdhsa_tg_split 0
		.amdhsa_exception_fp_ieee_invalid_op 0
		.amdhsa_exception_fp_denorm_src 0
		.amdhsa_exception_fp_ieee_div_zero 0
		.amdhsa_exception_fp_ieee_overflow 0
		.amdhsa_exception_fp_ieee_underflow 0
		.amdhsa_exception_fp_ieee_inexact 0
		.amdhsa_exception_int_div_zero 0
	.end_amdhsa_kernel
	.section	.text._ZN9rocsolver6v33100L18getri_kernel_smallILi58E19rocblas_complex_numIdEPKPS3_EEvT1_iilPiilS8_bb,"axG",@progbits,_ZN9rocsolver6v33100L18getri_kernel_smallILi58E19rocblas_complex_numIdEPKPS3_EEvT1_iilPiilS8_bb,comdat
.Lfunc_end121:
	.size	_ZN9rocsolver6v33100L18getri_kernel_smallILi58E19rocblas_complex_numIdEPKPS3_EEvT1_iilPiilS8_bb, .Lfunc_end121-_ZN9rocsolver6v33100L18getri_kernel_smallILi58E19rocblas_complex_numIdEPKPS3_EEvT1_iilPiilS8_bb
                                        ; -- End function
	.set _ZN9rocsolver6v33100L18getri_kernel_smallILi58E19rocblas_complex_numIdEPKPS3_EEvT1_iilPiilS8_bb.num_vgpr, 256
	.set _ZN9rocsolver6v33100L18getri_kernel_smallILi58E19rocblas_complex_numIdEPKPS3_EEvT1_iilPiilS8_bb.num_agpr, 158
	.set _ZN9rocsolver6v33100L18getri_kernel_smallILi58E19rocblas_complex_numIdEPKPS3_EEvT1_iilPiilS8_bb.numbered_sgpr, 95
	.set _ZN9rocsolver6v33100L18getri_kernel_smallILi58E19rocblas_complex_numIdEPKPS3_EEvT1_iilPiilS8_bb.num_named_barrier, 0
	.set _ZN9rocsolver6v33100L18getri_kernel_smallILi58E19rocblas_complex_numIdEPKPS3_EEvT1_iilPiilS8_bb.private_seg_size, 960
	.set _ZN9rocsolver6v33100L18getri_kernel_smallILi58E19rocblas_complex_numIdEPKPS3_EEvT1_iilPiilS8_bb.uses_vcc, 1
	.set _ZN9rocsolver6v33100L18getri_kernel_smallILi58E19rocblas_complex_numIdEPKPS3_EEvT1_iilPiilS8_bb.uses_flat_scratch, 0
	.set _ZN9rocsolver6v33100L18getri_kernel_smallILi58E19rocblas_complex_numIdEPKPS3_EEvT1_iilPiilS8_bb.has_dyn_sized_stack, 0
	.set _ZN9rocsolver6v33100L18getri_kernel_smallILi58E19rocblas_complex_numIdEPKPS3_EEvT1_iilPiilS8_bb.has_recursion, 0
	.set _ZN9rocsolver6v33100L18getri_kernel_smallILi58E19rocblas_complex_numIdEPKPS3_EEvT1_iilPiilS8_bb.has_indirect_call, 0
	.section	.AMDGPU.csdata,"",@progbits
; Kernel info:
; codeLenInByte = 142164
; TotalNumSgprs: 101
; NumVgprs: 256
; NumAgprs: 158
; TotalNumVgprs: 414
; ScratchSize: 960
; MemoryBound: 0
; FloatMode: 240
; IeeeMode: 1
; LDSByteSize: 1864 bytes/workgroup (compile time only)
; SGPRBlocks: 12
; VGPRBlocks: 51
; NumSGPRsForWavesPerEU: 101
; NumVGPRsForWavesPerEU: 414
; AccumOffset: 256
; Occupancy: 1
; WaveLimiterHint : 1
; COMPUTE_PGM_RSRC2:SCRATCH_EN: 1
; COMPUTE_PGM_RSRC2:USER_SGPR: 2
; COMPUTE_PGM_RSRC2:TRAP_HANDLER: 0
; COMPUTE_PGM_RSRC2:TGID_X_EN: 1
; COMPUTE_PGM_RSRC2:TGID_Y_EN: 0
; COMPUTE_PGM_RSRC2:TGID_Z_EN: 0
; COMPUTE_PGM_RSRC2:TIDIG_COMP_CNT: 0
; COMPUTE_PGM_RSRC3_GFX90A:ACCUM_OFFSET: 63
; COMPUTE_PGM_RSRC3_GFX90A:TG_SPLIT: 0
	.section	.text._ZN9rocsolver6v33100L18getri_kernel_smallILi59E19rocblas_complex_numIdEPKPS3_EEvT1_iilPiilS8_bb,"axG",@progbits,_ZN9rocsolver6v33100L18getri_kernel_smallILi59E19rocblas_complex_numIdEPKPS3_EEvT1_iilPiilS8_bb,comdat
	.globl	_ZN9rocsolver6v33100L18getri_kernel_smallILi59E19rocblas_complex_numIdEPKPS3_EEvT1_iilPiilS8_bb ; -- Begin function _ZN9rocsolver6v33100L18getri_kernel_smallILi59E19rocblas_complex_numIdEPKPS3_EEvT1_iilPiilS8_bb
	.p2align	8
	.type	_ZN9rocsolver6v33100L18getri_kernel_smallILi59E19rocblas_complex_numIdEPKPS3_EEvT1_iilPiilS8_bb,@function
_ZN9rocsolver6v33100L18getri_kernel_smallILi59E19rocblas_complex_numIdEPKPS3_EEvT1_iilPiilS8_bb: ; @_ZN9rocsolver6v33100L18getri_kernel_smallILi59E19rocblas_complex_numIdEPKPS3_EEvT1_iilPiilS8_bb
; %bb.0:
	v_mov_b32_e32 v240, v0
	v_cmp_gt_u32_e32 vcc, 59, v240
	s_and_saveexec_b64 s[4:5], vcc
	s_cbranch_execz .LBB122_250
; %bb.1:
	s_load_dword s14, s[0:1], 0x38
	s_load_dwordx2 s[8:9], s[0:1], 0x0
	s_load_dwordx4 s[4:7], s[0:1], 0x28
	s_waitcnt lgkmcnt(0)
	s_bitcmp1_b32 s14, 8
	s_cselect_b64 s[10:11], -1, 0
	s_ashr_i32 s3, s2, 31
	s_lshl_b64 s[12:13], s[2:3], 3
	s_add_u32 s8, s8, s12
	s_addc_u32 s9, s9, s13
	s_load_dwordx2 s[12:13], s[8:9], 0x0
	s_bfe_u32 s8, s14, 0x10008
	s_cmp_eq_u32 s8, 0
                                        ; implicit-def: $sgpr8_sgpr9
	s_cbranch_scc1 .LBB122_3
; %bb.2:
	s_load_dword s8, s[0:1], 0x20
	s_load_dwordx2 s[14:15], s[0:1], 0x18
	s_mul_i32 s9, s4, s3
	s_mul_hi_u32 s16, s4, s2
	s_add_i32 s16, s16, s9
	s_mul_i32 s5, s5, s2
	s_add_i32 s5, s16, s5
	s_mul_i32 s4, s4, s2
	s_waitcnt lgkmcnt(0)
	s_ashr_i32 s9, s8, 31
	s_lshl_b64 s[4:5], s[4:5], 2
	s_add_u32 s14, s14, s4
	s_addc_u32 s15, s15, s5
	s_lshl_b64 s[4:5], s[8:9], 2
	s_add_u32 s8, s14, s4
	s_addc_u32 s9, s15, s5
.LBB122_3:
	s_load_dwordx2 s[4:5], s[0:1], 0x8
	s_load_dword s14, s[0:1], 0x38
	v_lshlrev_b32_e32 v14, 4, v240
	v_mov_b32_e32 v15, 0
	s_movk_i32 s15, 0x80
	s_waitcnt lgkmcnt(0)
	s_ashr_i32 s1, s4, 31
	s_mov_b32 s0, s4
	s_lshl_b64 s[0:1], s[0:1], 4
	s_add_u32 s0, s12, s0
	s_addc_u32 s1, s13, s1
	v_lshl_add_u64 v[0:1], s[0:1], 0, v[14:15]
	flat_load_dwordx4 v[2:5], v[0:1]
	s_mov_b32 s12, s5
	s_ashr_i32 s13, s5, 31
	v_accvgpr_write_b32 a0, v0
	v_accvgpr_write_b32 a1, v1
	v_lshl_add_u64 v[0:1], s[12:13], 4, v[0:1]
	s_add_i32 s4, s5, s5
	v_add_u32_e32 v6, s4, v240
	v_accvgpr_write_b32 a3, v1
	v_ashrrev_i32_e32 v7, 31, v6
	v_accvgpr_write_b32 a2, v0
	s_movk_i32 s4, 0x50
	s_movk_i32 s12, 0x60
	;; [unrolled: 1-line block ×50, first 2 shown]
	s_add_i32 s70, s4, 16
	s_add_i32 s69, s12, 16
	;; [unrolled: 1-line block ×19, first 2 shown]
	s_waitcnt vmcnt(0) lgkmcnt(0)
	scratch_store_dwordx4 off, v[2:5], off offset:16
	flat_load_dwordx4 v[2:5], v[0:1]
	v_lshl_add_u64 v[0:1], v[6:7], 4, s[0:1]
	v_add_u32_e32 v6, s5, v6
	v_accvgpr_write_b32 a5, v1
	v_ashrrev_i32_e32 v7, 31, v6
	v_accvgpr_write_b32 a4, v0
	s_add_i32 s51, s31, 16
	s_add_i32 s50, s33, 16
	s_add_i32 s49, s34, 16
	s_add_i32 s48, s35, 16
	s_add_i32 s47, s36, 16
	s_add_i32 s46, s37, 16
	s_add_i32 s45, s38, 16
	s_add_i32 s44, s39, 16
	s_add_i32 s43, s40, 16
	s_add_i32 s42, s41, 16
	s_add_i32 s41, s75, 16
	s_add_i32 s40, s76, 16
	s_add_i32 s39, s77, 16
	s_add_i32 s38, s78, 16
	s_add_i32 s37, s79, 16
	s_add_i32 s33, s80, 16
	s_add_i32 s31, s81, 16
	s_add_i32 s30, s82, 16
	s_add_i32 s29, s83, 16
	s_add_i32 s28, s84, 16
	s_add_i32 s27, s85, 16
	s_add_i32 s26, s86, 16
	s_add_i32 s25, s87, 16
	s_add_i32 s24, s88, 16
	s_add_i32 s23, s89, 16
	s_add_i32 s22, s90, 16
	s_add_i32 s21, s91, 16
	s_add_i32 s20, s92, 16
	s_add_i32 s19, s93, 16
	s_add_i32 s18, s94, 16
	s_add_i32 s17, s95, 16
	s_add_i32 s16, s96, 16
	s_mov_b32 s74, 32
	s_mov_b32 s73, 48
	;; [unrolled: 1-line block ×3, first 2 shown]
	s_movk_i32 s71, 0x50
	s_waitcnt vmcnt(0) lgkmcnt(0)
	scratch_store_dwordx4 off, v[2:5], off offset:32
	flat_load_dwordx4 v[2:5], v[0:1]
	v_lshl_add_u64 v[0:1], v[6:7], 4, s[0:1]
	v_add_u32_e32 v6, s5, v6
	v_accvgpr_write_b32 a7, v1
	v_ashrrev_i32_e32 v7, 31, v6
	v_accvgpr_write_b32 a6, v0
	s_waitcnt vmcnt(0) lgkmcnt(0)
	scratch_store_dwordx4 off, v[2:5], off offset:48
	flat_load_dwordx4 v[2:5], v[0:1]
	v_lshl_add_u64 v[0:1], v[6:7], 4, s[0:1]
	v_add_u32_e32 v6, s5, v6
	v_accvgpr_write_b32 a9, v1
	v_ashrrev_i32_e32 v7, 31, v6
	v_accvgpr_write_b32 a8, v0
	s_waitcnt vmcnt(0) lgkmcnt(0)
	scratch_store_dwordx4 off, v[2:5], off offset:64
	flat_load_dwordx4 v[2:5], v[0:1]
	v_lshl_add_u64 v[0:1], v[6:7], 4, s[0:1]
	v_add_u32_e32 v6, s5, v6
	v_accvgpr_write_b32 a11, v1
	v_ashrrev_i32_e32 v7, 31, v6
	v_accvgpr_write_b32 a10, v0
	s_waitcnt vmcnt(0) lgkmcnt(0)
	scratch_store_dwordx4 off, v[2:5], off offset:80
	flat_load_dwordx4 v[2:5], v[0:1]
	v_lshl_add_u64 v[0:1], v[6:7], 4, s[0:1]
	v_add_u32_e32 v6, s5, v6
	v_accvgpr_write_b32 a13, v1
	v_ashrrev_i32_e32 v7, 31, v6
	v_accvgpr_write_b32 a12, v0
	s_waitcnt vmcnt(0) lgkmcnt(0)
	scratch_store_dwordx4 off, v[2:5], off offset:96
	flat_load_dwordx4 v[2:5], v[0:1]
	v_lshl_add_u64 v[0:1], v[6:7], 4, s[0:1]
	v_add_u32_e32 v6, s5, v6
	v_accvgpr_write_b32 a15, v1
	v_ashrrev_i32_e32 v7, 31, v6
	v_accvgpr_write_b32 a14, v0
	s_waitcnt vmcnt(0) lgkmcnt(0)
	scratch_store_dwordx4 off, v[2:5], off offset:112
	flat_load_dwordx4 v[2:5], v[0:1]
	v_lshl_add_u64 v[0:1], v[6:7], 4, s[0:1]
	v_add_u32_e32 v6, s5, v6
	v_accvgpr_write_b32 a17, v1
	v_ashrrev_i32_e32 v7, 31, v6
	v_accvgpr_write_b32 a16, v0
	s_waitcnt vmcnt(0) lgkmcnt(0)
	scratch_store_dwordx4 off, v[2:5], off offset:128
	flat_load_dwordx4 v[2:5], v[0:1]
	v_lshl_add_u64 v[0:1], v[6:7], 4, s[0:1]
	v_add_u32_e32 v6, s5, v6
	v_accvgpr_write_b32 a19, v1
	v_ashrrev_i32_e32 v7, 31, v6
	v_accvgpr_write_b32 a18, v0
	s_waitcnt vmcnt(0) lgkmcnt(0)
	scratch_store_dwordx4 off, v[2:5], off offset:144
	flat_load_dwordx4 v[2:5], v[0:1]
	v_lshl_add_u64 v[0:1], v[6:7], 4, s[0:1]
	v_add_u32_e32 v6, s5, v6
	v_accvgpr_write_b32 a21, v1
	v_ashrrev_i32_e32 v7, 31, v6
	v_accvgpr_write_b32 a20, v0
	s_waitcnt vmcnt(0) lgkmcnt(0)
	scratch_store_dwordx4 off, v[2:5], off offset:160
	flat_load_dwordx4 v[2:5], v[0:1]
	v_lshl_add_u64 v[0:1], v[6:7], 4, s[0:1]
	v_add_u32_e32 v6, s5, v6
	v_accvgpr_write_b32 a23, v1
	v_ashrrev_i32_e32 v7, 31, v6
	v_accvgpr_write_b32 a22, v0
	s_waitcnt vmcnt(0) lgkmcnt(0)
	scratch_store_dwordx4 off, v[2:5], off offset:176
	flat_load_dwordx4 v[2:5], v[0:1]
	v_lshl_add_u64 v[0:1], v[6:7], 4, s[0:1]
	v_add_u32_e32 v6, s5, v6
	v_accvgpr_write_b32 a25, v1
	v_ashrrev_i32_e32 v7, 31, v6
	v_accvgpr_write_b32 a24, v0
	s_waitcnt vmcnt(0) lgkmcnt(0)
	scratch_store_dwordx4 off, v[2:5], off offset:192
	flat_load_dwordx4 v[2:5], v[0:1]
	v_lshl_add_u64 v[0:1], v[6:7], 4, s[0:1]
	v_add_u32_e32 v6, s5, v6
	v_accvgpr_write_b32 a27, v1
	v_ashrrev_i32_e32 v7, 31, v6
	v_accvgpr_write_b32 a26, v0
	s_waitcnt vmcnt(0) lgkmcnt(0)
	scratch_store_dwordx4 off, v[2:5], off offset:208
	flat_load_dwordx4 v[2:5], v[0:1]
	v_lshl_add_u64 v[0:1], v[6:7], 4, s[0:1]
	v_add_u32_e32 v6, s5, v6
	v_accvgpr_write_b32 a29, v1
	v_ashrrev_i32_e32 v7, 31, v6
	v_accvgpr_write_b32 a28, v0
	s_waitcnt vmcnt(0) lgkmcnt(0)
	scratch_store_dwordx4 off, v[2:5], off offset:224
	flat_load_dwordx4 v[2:5], v[0:1]
	v_lshl_add_u64 v[0:1], v[6:7], 4, s[0:1]
	v_add_u32_e32 v6, s5, v6
	v_accvgpr_write_b32 a31, v1
	v_ashrrev_i32_e32 v7, 31, v6
	v_accvgpr_write_b32 a30, v0
	s_waitcnt vmcnt(0) lgkmcnt(0)
	scratch_store_dwordx4 off, v[2:5], off offset:240
	flat_load_dwordx4 v[2:5], v[0:1]
	v_lshl_add_u64 v[0:1], v[6:7], 4, s[0:1]
	v_add_u32_e32 v6, s5, v6
	v_accvgpr_write_b32 a33, v1
	v_ashrrev_i32_e32 v7, 31, v6
	v_accvgpr_write_b32 a32, v0
	s_waitcnt vmcnt(0) lgkmcnt(0)
	scratch_store_dwordx4 off, v[2:5], off offset:256
	flat_load_dwordx4 v[2:5], v[0:1]
	v_lshl_add_u64 v[0:1], v[6:7], 4, s[0:1]
	v_add_u32_e32 v6, s5, v6
	v_accvgpr_write_b32 a35, v1
	v_ashrrev_i32_e32 v7, 31, v6
	v_accvgpr_write_b32 a34, v0
	s_waitcnt vmcnt(0) lgkmcnt(0)
	scratch_store_dwordx4 off, v[2:5], off offset:272
	flat_load_dwordx4 v[2:5], v[0:1]
	v_lshl_add_u64 v[0:1], v[6:7], 4, s[0:1]
	v_add_u32_e32 v6, s5, v6
	v_accvgpr_write_b32 a37, v1
	v_ashrrev_i32_e32 v7, 31, v6
	v_accvgpr_write_b32 a36, v0
	s_waitcnt vmcnt(0) lgkmcnt(0)
	scratch_store_dwordx4 off, v[2:5], off offset:288
	flat_load_dwordx4 v[2:5], v[0:1]
	v_lshl_add_u64 v[0:1], v[6:7], 4, s[0:1]
	v_add_u32_e32 v6, s5, v6
	v_accvgpr_write_b32 a39, v1
	v_ashrrev_i32_e32 v7, 31, v6
	v_accvgpr_write_b32 a38, v0
	s_waitcnt vmcnt(0) lgkmcnt(0)
	scratch_store_dwordx4 off, v[2:5], off offset:304
	flat_load_dwordx4 v[2:5], v[0:1]
	v_lshl_add_u64 v[0:1], v[6:7], 4, s[0:1]
	v_add_u32_e32 v6, s5, v6
	v_accvgpr_write_b32 a41, v1
	v_ashrrev_i32_e32 v7, 31, v6
	v_accvgpr_write_b32 a40, v0
	s_waitcnt vmcnt(0) lgkmcnt(0)
	scratch_store_dwordx4 off, v[2:5], off offset:320
	flat_load_dwordx4 v[2:5], v[0:1]
	v_lshl_add_u64 v[0:1], v[6:7], 4, s[0:1]
	v_add_u32_e32 v6, s5, v6
	v_accvgpr_write_b32 a43, v1
	v_ashrrev_i32_e32 v7, 31, v6
	v_accvgpr_write_b32 a42, v0
	s_waitcnt vmcnt(0) lgkmcnt(0)
	scratch_store_dwordx4 off, v[2:5], off offset:336
	flat_load_dwordx4 v[2:5], v[0:1]
	v_lshl_add_u64 v[0:1], v[6:7], 4, s[0:1]
	v_add_u32_e32 v6, s5, v6
	v_accvgpr_write_b32 a45, v1
	v_ashrrev_i32_e32 v7, 31, v6
	v_accvgpr_write_b32 a44, v0
	s_waitcnt vmcnt(0) lgkmcnt(0)
	scratch_store_dwordx4 off, v[2:5], off offset:352
	flat_load_dwordx4 v[2:5], v[0:1]
	v_lshl_add_u64 v[0:1], v[6:7], 4, s[0:1]
	v_add_u32_e32 v6, s5, v6
	v_accvgpr_write_b32 a47, v1
	v_ashrrev_i32_e32 v7, 31, v6
	v_accvgpr_write_b32 a46, v0
	s_waitcnt vmcnt(0) lgkmcnt(0)
	scratch_store_dwordx4 off, v[2:5], off offset:368
	flat_load_dwordx4 v[2:5], v[0:1]
	v_lshl_add_u64 v[0:1], v[6:7], 4, s[0:1]
	v_add_u32_e32 v6, s5, v6
	v_accvgpr_write_b32 a49, v1
	v_ashrrev_i32_e32 v7, 31, v6
	v_accvgpr_write_b32 a48, v0
	s_waitcnt vmcnt(0) lgkmcnt(0)
	scratch_store_dwordx4 off, v[2:5], off offset:384
	flat_load_dwordx4 v[2:5], v[0:1]
	v_lshl_add_u64 v[0:1], v[6:7], 4, s[0:1]
	v_add_u32_e32 v6, s5, v6
	v_accvgpr_write_b32 a51, v1
	v_ashrrev_i32_e32 v7, 31, v6
	v_accvgpr_write_b32 a50, v0
	s_waitcnt vmcnt(0) lgkmcnt(0)
	scratch_store_dwordx4 off, v[2:5], off offset:400
	flat_load_dwordx4 v[2:5], v[0:1]
	v_lshl_add_u64 v[0:1], v[6:7], 4, s[0:1]
	v_add_u32_e32 v6, s5, v6
	v_accvgpr_write_b32 a53, v1
	v_ashrrev_i32_e32 v7, 31, v6
	v_accvgpr_write_b32 a52, v0
	s_waitcnt vmcnt(0) lgkmcnt(0)
	scratch_store_dwordx4 off, v[2:5], off offset:416
	flat_load_dwordx4 v[2:5], v[0:1]
	v_lshl_add_u64 v[0:1], v[6:7], 4, s[0:1]
	v_add_u32_e32 v6, s5, v6
	v_accvgpr_write_b32 a55, v1
	v_ashrrev_i32_e32 v7, 31, v6
	v_accvgpr_write_b32 a54, v0
	s_waitcnt vmcnt(0) lgkmcnt(0)
	scratch_store_dwordx4 off, v[2:5], off offset:432
	flat_load_dwordx4 v[2:5], v[0:1]
	v_lshl_add_u64 v[0:1], v[6:7], 4, s[0:1]
	v_add_u32_e32 v6, s5, v6
	v_accvgpr_write_b32 a57, v1
	v_ashrrev_i32_e32 v7, 31, v6
	v_accvgpr_write_b32 a56, v0
	s_waitcnt vmcnt(0) lgkmcnt(0)
	scratch_store_dwordx4 off, v[2:5], off offset:448
	flat_load_dwordx4 v[2:5], v[0:1]
	v_lshl_add_u64 v[0:1], v[6:7], 4, s[0:1]
	v_add_u32_e32 v6, s5, v6
	v_accvgpr_write_b32 a59, v1
	v_ashrrev_i32_e32 v7, 31, v6
	v_accvgpr_write_b32 a58, v0
	s_waitcnt vmcnt(0) lgkmcnt(0)
	scratch_store_dwordx4 off, v[2:5], off offset:464
	flat_load_dwordx4 v[2:5], v[0:1]
	v_lshl_add_u64 v[0:1], v[6:7], 4, s[0:1]
	v_add_u32_e32 v6, s5, v6
	v_accvgpr_write_b32 a61, v1
	v_ashrrev_i32_e32 v7, 31, v6
	v_accvgpr_write_b32 a60, v0
	s_waitcnt vmcnt(0) lgkmcnt(0)
	scratch_store_dwordx4 off, v[2:5], off offset:480
	flat_load_dwordx4 v[2:5], v[0:1]
	v_lshl_add_u64 v[0:1], v[6:7], 4, s[0:1]
	v_add_u32_e32 v6, s5, v6
	v_accvgpr_write_b32 a63, v1
	v_ashrrev_i32_e32 v7, 31, v6
	v_accvgpr_write_b32 a62, v0
	s_waitcnt vmcnt(0) lgkmcnt(0)
	scratch_store_dwordx4 off, v[2:5], off offset:496
	flat_load_dwordx4 v[2:5], v[0:1]
	v_lshl_add_u64 v[0:1], v[6:7], 4, s[0:1]
	v_add_u32_e32 v6, s5, v6
	v_accvgpr_write_b32 a65, v1
	v_ashrrev_i32_e32 v7, 31, v6
	v_accvgpr_write_b32 a64, v0
	s_waitcnt vmcnt(0) lgkmcnt(0)
	scratch_store_dwordx4 off, v[2:5], off offset:512
	flat_load_dwordx4 v[2:5], v[0:1]
	v_lshl_add_u64 v[0:1], v[6:7], 4, s[0:1]
	v_add_u32_e32 v6, s5, v6
	v_accvgpr_write_b32 a67, v1
	v_ashrrev_i32_e32 v7, 31, v6
	v_accvgpr_write_b32 a66, v0
	s_waitcnt vmcnt(0) lgkmcnt(0)
	scratch_store_dwordx4 off, v[2:5], off offset:528
	flat_load_dwordx4 v[2:5], v[0:1]
	v_lshl_add_u64 v[0:1], v[6:7], 4, s[0:1]
	v_add_u32_e32 v6, s5, v6
	v_accvgpr_write_b32 a69, v1
	v_ashrrev_i32_e32 v7, 31, v6
	v_accvgpr_write_b32 a68, v0
	s_waitcnt vmcnt(0) lgkmcnt(0)
	scratch_store_dwordx4 off, v[2:5], off offset:544
	flat_load_dwordx4 v[2:5], v[0:1]
	v_lshl_add_u64 v[0:1], v[6:7], 4, s[0:1]
	v_add_u32_e32 v6, s5, v6
	v_accvgpr_write_b32 a71, v1
	v_ashrrev_i32_e32 v7, 31, v6
	v_accvgpr_write_b32 a70, v0
	s_waitcnt vmcnt(0) lgkmcnt(0)
	scratch_store_dwordx4 off, v[2:5], off offset:560
	flat_load_dwordx4 v[2:5], v[0:1]
	v_lshl_add_u64 v[0:1], v[6:7], 4, s[0:1]
	v_add_u32_e32 v6, s5, v6
	v_accvgpr_write_b32 a73, v1
	v_ashrrev_i32_e32 v7, 31, v6
	v_accvgpr_write_b32 a72, v0
	s_waitcnt vmcnt(0) lgkmcnt(0)
	scratch_store_dwordx4 off, v[2:5], off offset:576
	flat_load_dwordx4 v[2:5], v[0:1]
	v_lshl_add_u64 v[0:1], v[6:7], 4, s[0:1]
	v_add_u32_e32 v6, s5, v6
	v_accvgpr_write_b32 a75, v1
	v_ashrrev_i32_e32 v7, 31, v6
	v_accvgpr_write_b32 a74, v0
	s_waitcnt vmcnt(0) lgkmcnt(0)
	scratch_store_dwordx4 off, v[2:5], off offset:592
	flat_load_dwordx4 v[2:5], v[0:1]
	v_lshl_add_u64 v[0:1], v[6:7], 4, s[0:1]
	v_add_u32_e32 v6, s5, v6
	v_accvgpr_write_b32 a77, v1
	v_ashrrev_i32_e32 v7, 31, v6
	v_accvgpr_write_b32 a76, v0
	s_waitcnt vmcnt(0) lgkmcnt(0)
	scratch_store_dwordx4 off, v[2:5], off offset:608
	flat_load_dwordx4 v[2:5], v[0:1]
	v_lshl_add_u64 v[0:1], v[6:7], 4, s[0:1]
	v_add_u32_e32 v6, s5, v6
	v_accvgpr_write_b32 a79, v1
	v_ashrrev_i32_e32 v7, 31, v6
	v_accvgpr_write_b32 a78, v0
	s_waitcnt vmcnt(0) lgkmcnt(0)
	scratch_store_dwordx4 off, v[2:5], off offset:624
	flat_load_dwordx4 v[2:5], v[0:1]
	v_lshl_add_u64 v[0:1], v[6:7], 4, s[0:1]
	v_add_u32_e32 v6, s5, v6
	v_accvgpr_write_b32 a81, v1
	v_ashrrev_i32_e32 v7, 31, v6
	v_accvgpr_write_b32 a80, v0
	s_waitcnt vmcnt(0) lgkmcnt(0)
	scratch_store_dwordx4 off, v[2:5], off offset:640
	flat_load_dwordx4 v[2:5], v[0:1]
	v_lshl_add_u64 v[0:1], v[6:7], 4, s[0:1]
	v_add_u32_e32 v6, s5, v6
	v_accvgpr_write_b32 a83, v1
	v_ashrrev_i32_e32 v7, 31, v6
	v_accvgpr_write_b32 a82, v0
	s_waitcnt vmcnt(0) lgkmcnt(0)
	scratch_store_dwordx4 off, v[2:5], off offset:656
	flat_load_dwordx4 v[2:5], v[0:1]
	v_lshl_add_u64 v[0:1], v[6:7], 4, s[0:1]
	v_add_u32_e32 v6, s5, v6
	v_accvgpr_write_b32 a85, v1
	v_ashrrev_i32_e32 v7, 31, v6
	v_accvgpr_write_b32 a84, v0
	s_waitcnt vmcnt(0) lgkmcnt(0)
	scratch_store_dwordx4 off, v[2:5], off offset:672
	flat_load_dwordx4 v[2:5], v[0:1]
	v_lshl_add_u64 v[0:1], v[6:7], 4, s[0:1]
	v_add_u32_e32 v6, s5, v6
	v_accvgpr_write_b32 a87, v1
	v_ashrrev_i32_e32 v7, 31, v6
	v_accvgpr_write_b32 a86, v0
	s_waitcnt vmcnt(0) lgkmcnt(0)
	scratch_store_dwordx4 off, v[2:5], off offset:688
	flat_load_dwordx4 v[2:5], v[0:1]
	v_lshl_add_u64 v[0:1], v[6:7], 4, s[0:1]
	v_add_u32_e32 v6, s5, v6
	v_accvgpr_write_b32 a89, v1
	v_ashrrev_i32_e32 v7, 31, v6
	v_accvgpr_write_b32 a88, v0
	s_waitcnt vmcnt(0) lgkmcnt(0)
	scratch_store_dwordx4 off, v[2:5], off offset:704
	flat_load_dwordx4 v[2:5], v[0:1]
	v_lshl_add_u64 v[0:1], v[6:7], 4, s[0:1]
	v_add_u32_e32 v6, s5, v6
	v_accvgpr_write_b32 a91, v1
	v_ashrrev_i32_e32 v7, 31, v6
	v_accvgpr_write_b32 a90, v0
	s_waitcnt vmcnt(0) lgkmcnt(0)
	scratch_store_dwordx4 off, v[2:5], off offset:720
	flat_load_dwordx4 v[2:5], v[0:1]
	v_lshl_add_u64 v[0:1], v[6:7], 4, s[0:1]
	v_add_u32_e32 v6, s5, v6
	v_accvgpr_write_b32 a93, v1
	v_ashrrev_i32_e32 v7, 31, v6
	v_accvgpr_write_b32 a92, v0
	s_waitcnt vmcnt(0) lgkmcnt(0)
	scratch_store_dwordx4 off, v[2:5], off offset:736
	flat_load_dwordx4 v[2:5], v[0:1]
	v_lshl_add_u64 v[0:1], v[6:7], 4, s[0:1]
	v_add_u32_e32 v6, s5, v6
	v_accvgpr_write_b32 a95, v1
	v_ashrrev_i32_e32 v7, 31, v6
	v_accvgpr_write_b32 a94, v0
	s_waitcnt vmcnt(0) lgkmcnt(0)
	scratch_store_dwordx4 off, v[2:5], off offset:752
	flat_load_dwordx4 v[2:5], v[0:1]
	v_lshl_add_u64 v[0:1], v[6:7], 4, s[0:1]
	v_add_u32_e32 v6, s5, v6
	v_accvgpr_write_b32 a97, v1
	v_ashrrev_i32_e32 v7, 31, v6
	v_accvgpr_write_b32 a96, v0
	s_waitcnt vmcnt(0) lgkmcnt(0)
	scratch_store_dwordx4 off, v[2:5], off offset:768
	flat_load_dwordx4 v[2:5], v[0:1]
	v_lshl_add_u64 v[0:1], v[6:7], 4, s[0:1]
	v_add_u32_e32 v6, s5, v6
	v_accvgpr_write_b32 a99, v1
	v_ashrrev_i32_e32 v7, 31, v6
	v_accvgpr_write_b32 a98, v0
	s_waitcnt vmcnt(0) lgkmcnt(0)
	scratch_store_dwordx4 off, v[2:5], off offset:784
	flat_load_dwordx4 v[2:5], v[0:1]
	v_lshl_add_u64 v[0:1], v[6:7], 4, s[0:1]
	v_add_u32_e32 v6, s5, v6
	v_accvgpr_write_b32 a101, v1
	v_ashrrev_i32_e32 v7, 31, v6
	v_accvgpr_write_b32 a100, v0
	s_waitcnt vmcnt(0) lgkmcnt(0)
	scratch_store_dwordx4 off, v[2:5], off offset:800
	flat_load_dwordx4 v[2:5], v[0:1]
	v_lshl_add_u64 v[0:1], v[6:7], 4, s[0:1]
	v_add_u32_e32 v6, s5, v6
	v_accvgpr_write_b32 a103, v1
	v_ashrrev_i32_e32 v7, 31, v6
	v_accvgpr_write_b32 a102, v0
	s_waitcnt vmcnt(0) lgkmcnt(0)
	scratch_store_dwordx4 off, v[2:5], off offset:816
	flat_load_dwordx4 v[2:5], v[0:1]
	v_lshl_add_u64 v[0:1], v[6:7], 4, s[0:1]
	v_add_u32_e32 v6, s5, v6
	v_accvgpr_write_b32 a105, v1
	v_ashrrev_i32_e32 v7, 31, v6
	v_accvgpr_write_b32 a104, v0
	s_waitcnt vmcnt(0) lgkmcnt(0)
	scratch_store_dwordx4 off, v[2:5], off offset:832
	flat_load_dwordx4 v[2:5], v[0:1]
	v_lshl_add_u64 v[0:1], v[6:7], 4, s[0:1]
	v_add_u32_e32 v6, s5, v6
	v_accvgpr_write_b32 a107, v1
	v_ashrrev_i32_e32 v7, 31, v6
	v_accvgpr_write_b32 a106, v0
	s_waitcnt vmcnt(0) lgkmcnt(0)
	scratch_store_dwordx4 off, v[2:5], off offset:848
	flat_load_dwordx4 v[2:5], v[0:1]
	v_lshl_add_u64 v[0:1], v[6:7], 4, s[0:1]
	v_add_u32_e32 v6, s5, v6
	v_accvgpr_write_b32 a109, v1
	v_ashrrev_i32_e32 v7, 31, v6
	v_accvgpr_write_b32 a108, v0
	s_waitcnt vmcnt(0) lgkmcnt(0)
	scratch_store_dwordx4 off, v[2:5], off offset:864
	flat_load_dwordx4 v[2:5], v[0:1]
	v_lshl_add_u64 v[0:1], v[6:7], 4, s[0:1]
	v_add_u32_e32 v6, s5, v6
	v_accvgpr_write_b32 a111, v1
	v_ashrrev_i32_e32 v7, 31, v6
	v_accvgpr_write_b32 a110, v0
	s_waitcnt vmcnt(0) lgkmcnt(0)
	scratch_store_dwordx4 off, v[2:5], off offset:880
	flat_load_dwordx4 v[2:5], v[0:1]
	v_lshl_add_u64 v[0:1], v[6:7], 4, s[0:1]
	v_add_u32_e32 v6, s5, v6
	v_accvgpr_write_b32 a113, v1
	v_ashrrev_i32_e32 v7, 31, v6
	v_accvgpr_write_b32 a112, v0
	s_waitcnt vmcnt(0) lgkmcnt(0)
	scratch_store_dwordx4 off, v[2:5], off offset:896
	flat_load_dwordx4 v[2:5], v[0:1]
	v_lshl_add_u64 v[0:1], v[6:7], 4, s[0:1]
	v_add_u32_e32 v6, s5, v6
	v_accvgpr_write_b32 a115, v1
	v_ashrrev_i32_e32 v7, 31, v6
	v_accvgpr_write_b32 a114, v0
	s_movk_i32 s5, 0x290
	s_add_i32 s34, s5, 16
	s_mov_b64 s[4:5], -1
	s_waitcnt vmcnt(0) lgkmcnt(0)
	scratch_store_dwordx4 off, v[2:5], off offset:912
	flat_load_dwordx4 v[2:5], v[0:1]
	v_lshl_add_u64 v[0:1], v[6:7], 4, s[0:1]
	s_movk_i32 s0, 0x270
	s_movk_i32 s1, 0x280
	v_accvgpr_write_b32 a117, v1
	s_add_i32 s36, s0, 16
	s_add_i32 s35, s1, 16
	v_accvgpr_write_b32 a116, v0
	s_bitcmp0_b32 s14, 0
	s_waitcnt vmcnt(0) lgkmcnt(0)
	scratch_store_dwordx4 off, v[2:5], off offset:928
	flat_load_dwordx4 v[2:5], v[0:1]
	s_waitcnt vmcnt(0) lgkmcnt(0)
	scratch_store_dwordx4 off, v[2:5], off offset:944
	s_cbranch_scc1 .LBB122_248
; %bb.4:
	v_cmp_eq_u32_e64 s[0:1], 0, v240
	s_and_saveexec_b64 s[4:5], s[0:1]
; %bb.5:
	v_mov_b32_e32 v0, 0
	ds_write_b32 v0, v0 offset:1888
; %bb.6:
	s_or_b64 exec, exec, s[4:5]
	s_waitcnt lgkmcnt(0)
	; wave barrier
	scratch_load_dwordx4 v[2:5], v14, off offset:16
	s_waitcnt vmcnt(0)
	v_cmp_eq_f64_e32 vcc, 0, v[2:3]
	v_cmp_eq_f64_e64 s[4:5], 0, v[4:5]
	s_and_b64 s[4:5], vcc, s[4:5]
	s_and_saveexec_b64 s[12:13], s[4:5]
	s_cbranch_execz .LBB122_10
; %bb.7:
	v_mov_b32_e32 v1, 0
	ds_read_b32 v0, v1 offset:1888
	v_add_u32_e32 v2, 1, v240
	s_waitcnt lgkmcnt(0)
	v_readfirstlane_b32 s4, v0
	s_cmp_eq_u32 s4, 0
	s_cselect_b64 s[14:15], -1, 0
	v_cmp_gt_i32_e32 vcc, s4, v2
	s_or_b64 s[14:15], s[14:15], vcc
	s_and_b64 exec, exec, s[14:15]
	s_cbranch_execz .LBB122_10
; %bb.8:
	s_mov_b64 s[14:15], 0
	v_mov_b32_e32 v3, s4
.LBB122_9:                              ; =>This Inner Loop Header: Depth=1
	ds_cmpst_rtn_b32 v3, v1, v3, v2 offset:1888
	s_waitcnt lgkmcnt(0)
	v_cmp_ne_u32_e32 vcc, 0, v3
	v_cmp_le_i32_e64 s[4:5], v3, v2
	s_and_b64 s[4:5], vcc, s[4:5]
	s_and_b64 s[4:5], exec, s[4:5]
	s_or_b64 s[14:15], s[4:5], s[14:15]
	s_andn2_b64 exec, exec, s[14:15]
	s_cbranch_execnz .LBB122_9
.LBB122_10:
	s_or_b64 exec, exec, s[12:13]
	v_mov_b32_e32 v2, 0
	; wave barrier
	ds_read_b32 v1, v2 offset:1888
	s_and_saveexec_b64 s[4:5], s[0:1]
	s_cbranch_execz .LBB122_12
; %bb.11:
	s_lshl_b64 s[12:13], s[2:3], 2
	s_add_u32 s12, s6, s12
	s_addc_u32 s13, s7, s13
	s_waitcnt lgkmcnt(0)
	global_store_dword v2, v1, s[12:13]
.LBB122_12:
	s_or_b64 exec, exec, s[4:5]
	s_waitcnt lgkmcnt(0)
	v_cmp_ne_u32_e32 vcc, 0, v1
	s_mov_b64 s[4:5], 0
	s_cbranch_vccnz .LBB122_248
; %bb.13:
	v_add_u32_e32 v15, 16, v14
	scratch_load_dwordx4 v[2:5], v15, off
                                        ; implicit-def: $vgpr6_vgpr7
                                        ; implicit-def: $vgpr10_vgpr11
	s_waitcnt vmcnt(0)
	v_cmp_ngt_f64_e64 s[4:5], |v[2:3]|, |v[4:5]|
	s_and_saveexec_b64 s[12:13], s[4:5]
	s_xor_b64 s[4:5], exec, s[12:13]
	s_cbranch_execz .LBB122_15
; %bb.14:
	v_div_scale_f64 v[6:7], s[12:13], v[4:5], v[4:5], v[2:3]
	v_rcp_f64_e32 v[8:9], v[6:7]
	v_div_scale_f64 v[10:11], vcc, v[2:3], v[4:5], v[2:3]
	v_fma_f64 v[12:13], -v[6:7], v[8:9], 1.0
	v_fmac_f64_e32 v[8:9], v[8:9], v[12:13]
	v_fma_f64 v[12:13], -v[6:7], v[8:9], 1.0
	v_fmac_f64_e32 v[8:9], v[8:9], v[12:13]
	v_mul_f64 v[12:13], v[10:11], v[8:9]
	v_fma_f64 v[6:7], -v[6:7], v[12:13], v[10:11]
	v_div_fmas_f64 v[6:7], v[6:7], v[8:9], v[12:13]
	v_div_fixup_f64 v[6:7], v[6:7], v[4:5], v[2:3]
	v_fmac_f64_e32 v[4:5], v[2:3], v[6:7]
	v_div_scale_f64 v[2:3], s[12:13], v[4:5], v[4:5], 1.0
	v_rcp_f64_e32 v[8:9], v[2:3]
	s_nop 0
	v_fma_f64 v[10:11], -v[2:3], v[8:9], 1.0
	v_fmac_f64_e32 v[8:9], v[8:9], v[10:11]
	v_fma_f64 v[10:11], -v[2:3], v[8:9], 1.0
	v_fmac_f64_e32 v[8:9], v[8:9], v[10:11]
	v_div_scale_f64 v[10:11], vcc, 1.0, v[4:5], 1.0
	v_mul_f64 v[12:13], v[10:11], v[8:9]
	v_fma_f64 v[2:3], -v[2:3], v[12:13], v[10:11]
	s_nop 1
	v_div_fmas_f64 v[2:3], v[2:3], v[8:9], v[12:13]
	v_div_fixup_f64 v[8:9], v[2:3], v[4:5], 1.0
	v_mul_f64 v[6:7], v[6:7], v[8:9]
	v_xor_b32_e32 v9, 0x80000000, v9
	v_xor_b32_e32 v11, 0x80000000, v7
	v_mov_b32_e32 v10, v6
                                        ; implicit-def: $vgpr2_vgpr3
.LBB122_15:
	s_andn2_saveexec_b64 s[4:5], s[4:5]
	s_cbranch_execz .LBB122_17
; %bb.16:
	v_div_scale_f64 v[6:7], s[12:13], v[2:3], v[2:3], v[4:5]
	v_rcp_f64_e32 v[8:9], v[6:7]
	v_div_scale_f64 v[10:11], vcc, v[4:5], v[2:3], v[4:5]
	v_fma_f64 v[12:13], -v[6:7], v[8:9], 1.0
	v_fmac_f64_e32 v[8:9], v[8:9], v[12:13]
	v_fma_f64 v[12:13], -v[6:7], v[8:9], 1.0
	v_fmac_f64_e32 v[8:9], v[8:9], v[12:13]
	v_mul_f64 v[12:13], v[10:11], v[8:9]
	v_fma_f64 v[6:7], -v[6:7], v[12:13], v[10:11]
	v_div_fmas_f64 v[6:7], v[6:7], v[8:9], v[12:13]
	v_div_fixup_f64 v[8:9], v[6:7], v[2:3], v[4:5]
	v_fmac_f64_e32 v[2:3], v[4:5], v[8:9]
	v_div_scale_f64 v[4:5], s[12:13], v[2:3], v[2:3], 1.0
	v_rcp_f64_e32 v[6:7], v[4:5]
	s_nop 0
	v_fma_f64 v[10:11], -v[4:5], v[6:7], 1.0
	v_fmac_f64_e32 v[6:7], v[6:7], v[10:11]
	v_fma_f64 v[10:11], -v[4:5], v[6:7], 1.0
	v_fmac_f64_e32 v[6:7], v[6:7], v[10:11]
	v_div_scale_f64 v[10:11], vcc, 1.0, v[2:3], 1.0
	v_mul_f64 v[12:13], v[10:11], v[6:7]
	v_fma_f64 v[4:5], -v[4:5], v[12:13], v[10:11]
	s_nop 1
	v_div_fmas_f64 v[4:5], v[4:5], v[6:7], v[12:13]
	v_div_fixup_f64 v[6:7], v[4:5], v[2:3], 1.0
	v_xor_b32_e32 v11, 0x80000000, v7
	v_mov_b32_e32 v10, v6
	v_mul_f64 v[8:9], v[8:9], -v[6:7]
.LBB122_17:
	s_or_b64 exec, exec, s[4:5]
	scratch_store_dwordx4 v15, v[6:9], off
	scratch_load_dwordx4 v[2:5], off, s74
	v_xor_b32_e32 v13, 0x80000000, v9
	v_mov_b32_e32 v12, v8
	v_add_u32_e32 v1, 0x3b0, v14
	ds_write_b128 v14, v[10:13]
	s_waitcnt vmcnt(0)
	ds_write_b128 v14, v[2:5] offset:944
	s_waitcnt lgkmcnt(0)
	; wave barrier
	s_and_saveexec_b64 s[4:5], s[0:1]
	s_cbranch_execz .LBB122_19
; %bb.18:
	scratch_load_dwordx4 v[2:5], v15, off
	ds_read_b128 v[6:9], v1
	v_mov_b32_e32 v0, 0
	ds_read_b128 v[10:13], v0 offset:16
	s_waitcnt vmcnt(0) lgkmcnt(1)
	v_mul_f64 v[16:17], v[8:9], v[4:5]
	v_mul_f64 v[4:5], v[6:7], v[4:5]
	v_fma_f64 v[6:7], v[6:7], v[2:3], -v[16:17]
	v_fmac_f64_e32 v[4:5], v[8:9], v[2:3]
	v_add_f64 v[2:3], v[6:7], 0
	v_add_f64 v[6:7], v[4:5], 0
	s_waitcnt lgkmcnt(0)
	v_mul_f64 v[8:9], v[6:7], v[12:13]
	v_mul_f64 v[4:5], v[2:3], v[12:13]
	v_fma_f64 v[2:3], v[2:3], v[10:11], -v[8:9]
	v_fmac_f64_e32 v[4:5], v[6:7], v[10:11]
	scratch_store_dwordx4 off, v[2:5], off offset:32
.LBB122_19:
	s_or_b64 exec, exec, s[4:5]
	; wave barrier
	scratch_load_dwordx4 v[2:5], off, s73
	v_cmp_gt_u32_e32 vcc, 2, v240
	s_waitcnt vmcnt(0)
	ds_write_b128 v1, v[2:5]
	s_waitcnt lgkmcnt(0)
	; wave barrier
	s_and_saveexec_b64 s[4:5], vcc
	s_cbranch_execz .LBB122_23
; %bb.20:
	scratch_load_dwordx4 v[2:5], v15, off
	ds_read_b128 v[6:9], v1
	s_waitcnt vmcnt(0) lgkmcnt(0)
	v_mul_f64 v[10:11], v[8:9], v[4:5]
	v_mul_f64 v[12:13], v[6:7], v[4:5]
	v_fma_f64 v[4:5], v[6:7], v[2:3], -v[10:11]
	v_fmac_f64_e32 v[12:13], v[8:9], v[2:3]
	v_add_f64 v[4:5], v[4:5], 0
	v_add_f64 v[2:3], v[12:13], 0
	s_and_saveexec_b64 s[12:13], s[0:1]
	s_cbranch_execz .LBB122_22
; %bb.21:
	scratch_load_dwordx4 v[6:9], off, off offset:32
	v_mov_b32_e32 v0, 0
	ds_read_b128 v[10:13], v0 offset:960
	s_waitcnt vmcnt(0) lgkmcnt(0)
	v_mul_f64 v[16:17], v[10:11], v[8:9]
	v_mul_f64 v[8:9], v[12:13], v[8:9]
	v_fmac_f64_e32 v[16:17], v[12:13], v[6:7]
	v_fma_f64 v[6:7], v[10:11], v[6:7], -v[8:9]
	v_add_f64 v[2:3], v[2:3], v[16:17]
	v_add_f64 v[4:5], v[4:5], v[6:7]
.LBB122_22:
	s_or_b64 exec, exec, s[12:13]
	v_mov_b32_e32 v0, 0
	ds_read_b128 v[6:9], v0 offset:32
	s_waitcnt lgkmcnt(0)
	v_mul_f64 v[12:13], v[2:3], v[8:9]
	v_mul_f64 v[10:11], v[4:5], v[8:9]
	v_fma_f64 v[8:9], v[4:5], v[6:7], -v[12:13]
	v_fmac_f64_e32 v[10:11], v[2:3], v[6:7]
	scratch_store_dwordx4 off, v[8:11], off offset:48
.LBB122_23:
	s_or_b64 exec, exec, s[4:5]
	; wave barrier
	scratch_load_dwordx4 v[2:5], off, s72
	v_cmp_gt_u32_e32 vcc, 3, v240
	v_add_u32_e32 v6, -1, v240
	s_waitcnt vmcnt(0)
	ds_write_b128 v1, v[2:5]
	s_waitcnt lgkmcnt(0)
	; wave barrier
	s_and_saveexec_b64 s[0:1], vcc
	s_cbranch_execz .LBB122_27
; %bb.24:
	v_add_u32_e32 v7, -1, v240
	v_add_u32_e32 v8, 0x3b0, v14
	v_add_u32_e32 v9, 16, v14
	v_mov_b64_e32 v[2:3], 0
	s_mov_b64 s[4:5], 0
	v_mov_b64_e32 v[4:5], 0
.LBB122_25:                             ; =>This Inner Loop Header: Depth=1
	scratch_load_dwordx4 v[10:13], v9, off
	ds_read_b128 v[16:19], v8
	v_add_u32_e32 v7, 1, v7
	v_cmp_lt_u32_e32 vcc, 1, v7
	v_add_u32_e32 v8, 16, v8
	v_add_u32_e32 v9, 16, v9
	s_or_b64 s[4:5], vcc, s[4:5]
	s_waitcnt vmcnt(0) lgkmcnt(0)
	v_mul_f64 v[20:21], v[18:19], v[12:13]
	v_mul_f64 v[12:13], v[16:17], v[12:13]
	v_fma_f64 v[16:17], v[16:17], v[10:11], -v[20:21]
	v_fmac_f64_e32 v[12:13], v[18:19], v[10:11]
	v_add_f64 v[4:5], v[4:5], v[16:17]
	v_add_f64 v[2:3], v[2:3], v[12:13]
	s_andn2_b64 exec, exec, s[4:5]
	s_cbranch_execnz .LBB122_25
; %bb.26:
	s_or_b64 exec, exec, s[4:5]
	v_mov_b32_e32 v0, 0
	ds_read_b128 v[8:11], v0 offset:48
	s_waitcnt lgkmcnt(0)
	v_mul_f64 v[16:17], v[2:3], v[10:11]
	v_mul_f64 v[12:13], v[4:5], v[10:11]
	v_fma_f64 v[10:11], v[4:5], v[8:9], -v[16:17]
	v_fmac_f64_e32 v[12:13], v[2:3], v[8:9]
	scratch_store_dwordx4 off, v[10:13], off offset:64
.LBB122_27:
	s_or_b64 exec, exec, s[0:1]
	; wave barrier
	scratch_load_dwordx4 v[2:5], off, s71
	v_cmp_gt_u32_e32 vcc, 4, v240
	s_waitcnt vmcnt(0)
	ds_write_b128 v1, v[2:5]
	s_waitcnt lgkmcnt(0)
	; wave barrier
	s_and_saveexec_b64 s[0:1], vcc
	s_cbranch_execz .LBB122_31
; %bb.28:
	v_add_u32_e32 v7, -1, v240
	v_add_u32_e32 v8, 0x3b0, v14
	v_add_u32_e32 v9, 16, v14
	v_mov_b64_e32 v[2:3], 0
	s_mov_b64 s[4:5], 0
	v_mov_b64_e32 v[4:5], 0
.LBB122_29:                             ; =>This Inner Loop Header: Depth=1
	scratch_load_dwordx4 v[10:13], v9, off
	ds_read_b128 v[16:19], v8
	v_add_u32_e32 v7, 1, v7
	v_cmp_lt_u32_e32 vcc, 2, v7
	v_add_u32_e32 v8, 16, v8
	v_add_u32_e32 v9, 16, v9
	s_or_b64 s[4:5], vcc, s[4:5]
	s_waitcnt vmcnt(0) lgkmcnt(0)
	v_mul_f64 v[20:21], v[18:19], v[12:13]
	v_mul_f64 v[12:13], v[16:17], v[12:13]
	v_fma_f64 v[16:17], v[16:17], v[10:11], -v[20:21]
	v_fmac_f64_e32 v[12:13], v[18:19], v[10:11]
	v_add_f64 v[4:5], v[4:5], v[16:17]
	v_add_f64 v[2:3], v[2:3], v[12:13]
	s_andn2_b64 exec, exec, s[4:5]
	s_cbranch_execnz .LBB122_29
; %bb.30:
	s_or_b64 exec, exec, s[4:5]
	v_mov_b32_e32 v0, 0
	ds_read_b128 v[8:11], v0 offset:64
	s_waitcnt lgkmcnt(0)
	v_mul_f64 v[16:17], v[2:3], v[10:11]
	v_mul_f64 v[12:13], v[4:5], v[10:11]
	v_fma_f64 v[10:11], v[4:5], v[8:9], -v[16:17]
	v_fmac_f64_e32 v[12:13], v[2:3], v[8:9]
	scratch_store_dwordx4 off, v[10:13], off offset:80
.LBB122_31:
	s_or_b64 exec, exec, s[0:1]
	; wave barrier
	scratch_load_dwordx4 v[2:5], off, s70
	v_cmp_gt_u32_e32 vcc, 5, v240
	;; [unrolled: 45-line block ×19, first 2 shown]
	s_waitcnt vmcnt(0)
	ds_write_b128 v1, v[2:5]
	s_waitcnt lgkmcnt(0)
	; wave barrier
	s_and_saveexec_b64 s[0:1], vcc
	s_cbranch_execz .LBB122_103
; %bb.100:
	v_add_u32_e32 v7, -1, v240
	v_add_u32_e32 v8, 0x3b0, v14
	v_add_u32_e32 v9, 16, v14
	v_mov_b64_e32 v[2:3], 0
	s_mov_b64 s[4:5], 0
	v_mov_b64_e32 v[4:5], 0
.LBB122_101:                            ; =>This Inner Loop Header: Depth=1
	scratch_load_dwordx4 v[10:13], v9, off
	ds_read_b128 v[16:19], v8
	v_add_u32_e32 v7, 1, v7
	v_cmp_lt_u32_e32 vcc, 20, v7
	v_add_u32_e32 v8, 16, v8
	v_add_u32_e32 v9, 16, v9
	s_or_b64 s[4:5], vcc, s[4:5]
	s_waitcnt vmcnt(0) lgkmcnt(0)
	v_mul_f64 v[20:21], v[18:19], v[12:13]
	v_mul_f64 v[12:13], v[16:17], v[12:13]
	v_fma_f64 v[16:17], v[16:17], v[10:11], -v[20:21]
	v_fmac_f64_e32 v[12:13], v[18:19], v[10:11]
	v_add_f64 v[4:5], v[4:5], v[16:17]
	v_add_f64 v[2:3], v[2:3], v[12:13]
	s_andn2_b64 exec, exec, s[4:5]
	s_cbranch_execnz .LBB122_101
; %bb.102:
	s_or_b64 exec, exec, s[4:5]
	v_mov_b32_e32 v0, 0
	ds_read_b128 v[8:11], v0 offset:352
	s_waitcnt lgkmcnt(0)
	v_mul_f64 v[16:17], v[2:3], v[10:11]
	v_mul_f64 v[12:13], v[4:5], v[10:11]
	v_fma_f64 v[10:11], v[4:5], v[8:9], -v[16:17]
	v_fmac_f64_e32 v[12:13], v[2:3], v[8:9]
	scratch_store_dwordx4 off, v[10:13], off offset:368
.LBB122_103:
	s_or_b64 exec, exec, s[0:1]
	; wave barrier
	scratch_load_dwordx4 v[2:5], off, s52
	v_cmp_gt_u32_e32 vcc, 23, v240
	s_waitcnt vmcnt(0)
	ds_write_b128 v1, v[2:5]
	s_waitcnt lgkmcnt(0)
	; wave barrier
	s_and_saveexec_b64 s[0:1], vcc
	s_cbranch_execz .LBB122_107
; %bb.104:
	v_add_u32_e32 v7, -1, v240
	v_add_u32_e32 v8, 0x3b0, v14
	v_add_u32_e32 v9, 16, v14
	v_mov_b64_e32 v[2:3], 0
	s_mov_b64 s[4:5], 0
	v_mov_b64_e32 v[4:5], 0
.LBB122_105:                            ; =>This Inner Loop Header: Depth=1
	scratch_load_dwordx4 v[10:13], v9, off
	ds_read_b128 v[16:19], v8
	v_add_u32_e32 v7, 1, v7
	v_cmp_lt_u32_e32 vcc, 21, v7
	v_add_u32_e32 v8, 16, v8
	v_add_u32_e32 v9, 16, v9
	s_or_b64 s[4:5], vcc, s[4:5]
	s_waitcnt vmcnt(0) lgkmcnt(0)
	v_mul_f64 v[20:21], v[18:19], v[12:13]
	v_mul_f64 v[12:13], v[16:17], v[12:13]
	v_fma_f64 v[16:17], v[16:17], v[10:11], -v[20:21]
	v_fmac_f64_e32 v[12:13], v[18:19], v[10:11]
	v_add_f64 v[4:5], v[4:5], v[16:17]
	v_add_f64 v[2:3], v[2:3], v[12:13]
	s_andn2_b64 exec, exec, s[4:5]
	s_cbranch_execnz .LBB122_105
; %bb.106:
	s_or_b64 exec, exec, s[4:5]
	v_mov_b32_e32 v0, 0
	ds_read_b128 v[8:11], v0 offset:368
	s_waitcnt lgkmcnt(0)
	v_mul_f64 v[16:17], v[2:3], v[10:11]
	v_mul_f64 v[12:13], v[4:5], v[10:11]
	v_fma_f64 v[10:11], v[4:5], v[8:9], -v[16:17]
	v_fmac_f64_e32 v[12:13], v[2:3], v[8:9]
	scratch_store_dwordx4 off, v[10:13], off offset:384
.LBB122_107:
	s_or_b64 exec, exec, s[0:1]
	; wave barrier
	scratch_load_dwordx4 v[2:5], off, s51
	v_cmp_gt_u32_e32 vcc, 24, v240
	;; [unrolled: 45-line block ×35, first 2 shown]
	s_waitcnt vmcnt(0)
	ds_write_b128 v1, v[2:5]
	s_waitcnt lgkmcnt(0)
	; wave barrier
	s_and_saveexec_b64 s[0:1], vcc
	s_cbranch_execz .LBB122_243
; %bb.240:
	v_add_u32_e32 v7, -1, v240
	v_add_u32_e32 v8, 0x3b0, v14
	v_add_u32_e32 v9, 16, v14
	v_mov_b64_e32 v[2:3], 0
	s_mov_b64 s[4:5], 0
	v_mov_b64_e32 v[4:5], 0
.LBB122_241:                            ; =>This Inner Loop Header: Depth=1
	scratch_load_dwordx4 v[10:13], v9, off
	ds_read_b128 v[16:19], v8
	v_add_u32_e32 v7, 1, v7
	v_cmp_lt_u32_e32 vcc, 55, v7
	v_add_u32_e32 v8, 16, v8
	v_add_u32_e32 v9, 16, v9
	s_or_b64 s[4:5], vcc, s[4:5]
	s_waitcnt vmcnt(0) lgkmcnt(0)
	v_mul_f64 v[20:21], v[18:19], v[12:13]
	v_mul_f64 v[12:13], v[16:17], v[12:13]
	v_fma_f64 v[16:17], v[16:17], v[10:11], -v[20:21]
	v_fmac_f64_e32 v[12:13], v[18:19], v[10:11]
	v_add_f64 v[4:5], v[4:5], v[16:17]
	v_add_f64 v[2:3], v[2:3], v[12:13]
	s_andn2_b64 exec, exec, s[4:5]
	s_cbranch_execnz .LBB122_241
; %bb.242:
	s_or_b64 exec, exec, s[4:5]
	v_mov_b32_e32 v0, 0
	ds_read_b128 v[8:11], v0 offset:912
	s_waitcnt lgkmcnt(0)
	v_mul_f64 v[16:17], v[2:3], v[10:11]
	v_mul_f64 v[12:13], v[4:5], v[10:11]
	v_fma_f64 v[10:11], v[4:5], v[8:9], -v[16:17]
	v_fmac_f64_e32 v[12:13], v[2:3], v[8:9]
	scratch_store_dwordx4 off, v[10:13], off offset:928
.LBB122_243:
	s_or_b64 exec, exec, s[0:1]
	; wave barrier
	scratch_load_dwordx4 v[2:5], off, s16
	v_cmp_ne_u32_e32 vcc, 58, v240
	s_waitcnt vmcnt(0)
	ds_write_b128 v1, v[2:5]
	s_waitcnt lgkmcnt(0)
	; wave barrier
	s_and_saveexec_b64 s[0:1], vcc
	s_cbranch_execz .LBB122_247
; %bb.244:
	v_add_u32_e32 v1, 0x3b0, v14
	v_add_u32_e32 v7, 16, v14
	v_mov_b64_e32 v[2:3], 0
	s_mov_b64 s[4:5], 0
	v_mov_b64_e32 v[4:5], 0
.LBB122_245:                            ; =>This Inner Loop Header: Depth=1
	scratch_load_dwordx4 v[8:11], v7, off
	ds_read_b128 v[12:15], v1
	v_add_u32_e32 v6, 1, v6
	v_cmp_lt_u32_e32 vcc, 56, v6
	v_add_u32_e32 v1, 16, v1
	v_add_u32_e32 v7, 16, v7
	s_or_b64 s[4:5], vcc, s[4:5]
	s_waitcnt vmcnt(0) lgkmcnt(0)
	v_mul_f64 v[16:17], v[14:15], v[10:11]
	v_mul_f64 v[10:11], v[12:13], v[10:11]
	v_fma_f64 v[12:13], v[12:13], v[8:9], -v[16:17]
	v_fmac_f64_e32 v[10:11], v[14:15], v[8:9]
	v_add_f64 v[4:5], v[4:5], v[12:13]
	v_add_f64 v[2:3], v[2:3], v[10:11]
	s_andn2_b64 exec, exec, s[4:5]
	s_cbranch_execnz .LBB122_245
; %bb.246:
	s_or_b64 exec, exec, s[4:5]
	v_mov_b32_e32 v0, 0
	ds_read_b128 v[6:9], v0 offset:928
	s_waitcnt lgkmcnt(0)
	v_mul_f64 v[12:13], v[2:3], v[8:9]
	v_mul_f64 v[10:11], v[4:5], v[8:9]
	v_fma_f64 v[8:9], v[4:5], v[6:7], -v[12:13]
	v_fmac_f64_e32 v[10:11], v[2:3], v[6:7]
	scratch_store_dwordx4 off, v[8:11], off offset:944
.LBB122_247:
	s_or_b64 exec, exec, s[0:1]
	s_mov_b64 s[4:5], -1
	; wave barrier
.LBB122_248:
	s_and_b64 vcc, exec, s[4:5]
	s_cbranch_vccz .LBB122_250
; %bb.249:
	s_lshl_b64 s[0:1], s[2:3], 2
	s_add_u32 s0, s6, s0
	s_addc_u32 s1, s7, s1
	v_mov_b32_e32 v0, 0
	global_load_dword v0, v0, s[0:1]
	s_waitcnt vmcnt(0)
	v_cmp_ne_u32_e32 vcc, 0, v0
	s_cbranch_vccz .LBB122_251
.LBB122_250:
	s_endpgm
.LBB122_251:
	v_mov_b32_e32 v0, 0x3b0
	v_lshl_add_u32 v0, v240, 4, v0
	v_accvgpr_write_b32 a119, v0
	v_cmp_eq_u32_e32 vcc, 58, v240
	s_and_saveexec_b64 s[0:1], vcc
	s_cbranch_execz .LBB122_253
; %bb.252:
	scratch_load_dwordx4 v[2:5], off, s17
	v_mov_b32_e32 v6, 0
	v_mov_b32_e32 v7, v6
	;; [unrolled: 1-line block ×4, first 2 shown]
	v_accvgpr_read_b32 v0, a119
	scratch_store_dwordx4 off, v[6:9], off offset:928
	s_waitcnt vmcnt(1)
	ds_write_b128 v0, v[2:5]
.LBB122_253:
	s_or_b64 exec, exec, s[0:1]
	s_waitcnt lgkmcnt(0)
	; wave barrier
	scratch_load_dwordx4 v[4:7], off, off offset:944
	scratch_load_dwordx4 v[8:11], off, off offset:928
	v_mov_b32_e32 v2, 0
	ds_read_b128 v[12:15], v2 offset:1872
	v_cmp_lt_u32_e32 vcc, 56, v240
	s_waitcnt vmcnt(1) lgkmcnt(0)
	v_mul_f64 v[16:17], v[12:13], v[6:7]
	v_mul_f64 v[6:7], v[14:15], v[6:7]
	v_fmac_f64_e32 v[16:17], v[14:15], v[4:5]
	v_fma_f64 v[4:5], v[12:13], v[4:5], -v[6:7]
	v_add_f64 v[6:7], v[16:17], 0
	v_add_f64 v[4:5], v[4:5], 0
	s_waitcnt vmcnt(0)
	v_add_f64 v[4:5], v[8:9], -v[4:5]
	v_add_f64 v[6:7], v[10:11], -v[6:7]
	scratch_store_dwordx4 off, v[4:7], off offset:928
	s_and_saveexec_b64 s[0:1], vcc
	s_cbranch_execz .LBB122_255
; %bb.254:
	scratch_load_dwordx4 v[6:9], off, s18
	v_mov_b32_e32 v3, v2
	v_mov_b32_e32 v4, v2
	v_mov_b32_e32 v5, v2
	v_accvgpr_read_b32 v0, a119
	scratch_store_dwordx4 off, v[2:5], off offset:912
	s_waitcnt vmcnt(1)
	ds_write_b128 v0, v[6:9]
.LBB122_255:
	s_or_b64 exec, exec, s[0:1]
	s_waitcnt lgkmcnt(0)
	; wave barrier
	scratch_load_dwordx4 v[4:7], off, off offset:928
	scratch_load_dwordx4 v[8:11], off, off offset:944
	;; [unrolled: 1-line block ×3, first 2 shown]
	ds_read_b128 v[16:19], v2 offset:1856
	ds_read_b128 v[20:23], v2 offset:1872
	v_cmp_lt_u32_e32 vcc, 55, v240
	s_waitcnt vmcnt(2) lgkmcnt(1)
	v_mul_f64 v[2:3], v[16:17], v[6:7]
	v_mul_f64 v[6:7], v[18:19], v[6:7]
	s_waitcnt vmcnt(1) lgkmcnt(0)
	v_mul_f64 v[24:25], v[20:21], v[10:11]
	v_mul_f64 v[10:11], v[22:23], v[10:11]
	v_fmac_f64_e32 v[2:3], v[18:19], v[4:5]
	v_fma_f64 v[4:5], v[16:17], v[4:5], -v[6:7]
	v_fmac_f64_e32 v[24:25], v[22:23], v[8:9]
	v_fma_f64 v[6:7], v[20:21], v[8:9], -v[10:11]
	v_add_f64 v[2:3], v[2:3], 0
	v_add_f64 v[4:5], v[4:5], 0
	;; [unrolled: 1-line block ×4, first 2 shown]
	s_waitcnt vmcnt(0)
	v_add_f64 v[2:3], v[12:13], -v[2:3]
	v_add_f64 v[4:5], v[14:15], -v[8:9]
	scratch_store_dwordx4 off, v[2:5], off offset:912
	s_and_saveexec_b64 s[0:1], vcc
	s_cbranch_execz .LBB122_257
; %bb.256:
	scratch_load_dwordx4 v[2:5], off, s19
	v_mov_b32_e32 v6, 0
	v_mov_b32_e32 v7, v6
	;; [unrolled: 1-line block ×4, first 2 shown]
	v_accvgpr_read_b32 v0, a119
	scratch_store_dwordx4 off, v[6:9], off offset:896
	s_waitcnt vmcnt(1)
	ds_write_b128 v0, v[2:5]
.LBB122_257:
	s_or_b64 exec, exec, s[0:1]
	s_waitcnt lgkmcnt(0)
	; wave barrier
	scratch_load_dwordx4 v[4:7], off, off offset:912
	scratch_load_dwordx4 v[8:11], off, off offset:928
	;; [unrolled: 1-line block ×4, first 2 shown]
	v_mov_b32_e32 v2, 0
	ds_read_b128 v[20:23], v2 offset:1840
	ds_read_b128 v[24:27], v2 offset:1856
	;; [unrolled: 1-line block ×3, first 2 shown]
	v_cmp_lt_u32_e32 vcc, 54, v240
	s_waitcnt vmcnt(3) lgkmcnt(2)
	v_mul_f64 v[32:33], v[20:21], v[6:7]
	v_mul_f64 v[6:7], v[22:23], v[6:7]
	s_waitcnt vmcnt(2) lgkmcnt(1)
	v_mul_f64 v[34:35], v[24:25], v[10:11]
	v_mul_f64 v[10:11], v[26:27], v[10:11]
	v_fmac_f64_e32 v[32:33], v[22:23], v[4:5]
	v_fma_f64 v[4:5], v[20:21], v[4:5], -v[6:7]
	s_waitcnt vmcnt(1) lgkmcnt(0)
	v_mul_f64 v[36:37], v[28:29], v[14:15]
	v_mul_f64 v[14:15], v[30:31], v[14:15]
	v_fmac_f64_e32 v[34:35], v[26:27], v[8:9]
	v_fma_f64 v[6:7], v[24:25], v[8:9], -v[10:11]
	v_add_f64 v[10:11], v[32:33], 0
	v_add_f64 v[4:5], v[4:5], 0
	v_fmac_f64_e32 v[36:37], v[30:31], v[12:13]
	v_fma_f64 v[8:9], v[28:29], v[12:13], -v[14:15]
	v_add_f64 v[10:11], v[10:11], v[34:35]
	v_add_f64 v[4:5], v[4:5], v[6:7]
	;; [unrolled: 1-line block ×4, first 2 shown]
	s_waitcnt vmcnt(0)
	v_add_f64 v[4:5], v[16:17], -v[4:5]
	v_add_f64 v[6:7], v[18:19], -v[6:7]
	scratch_store_dwordx4 off, v[4:7], off offset:896
	s_and_saveexec_b64 s[0:1], vcc
	s_cbranch_execz .LBB122_259
; %bb.258:
	scratch_load_dwordx4 v[6:9], off, s20
	v_mov_b32_e32 v3, v2
	v_mov_b32_e32 v4, v2
	;; [unrolled: 1-line block ×3, first 2 shown]
	v_accvgpr_read_b32 v0, a119
	scratch_store_dwordx4 off, v[2:5], off offset:880
	s_waitcnt vmcnt(1)
	ds_write_b128 v0, v[6:9]
.LBB122_259:
	s_or_b64 exec, exec, s[0:1]
	s_waitcnt lgkmcnt(0)
	; wave barrier
	scratch_load_dwordx4 v[4:7], off, off offset:896
	scratch_load_dwordx4 v[8:11], off, off offset:912
	;; [unrolled: 1-line block ×5, first 2 shown]
	ds_read_b128 v[24:27], v2 offset:1824
	ds_read_b128 v[28:31], v2 offset:1840
	ds_read_b128 v[32:35], v2 offset:1856
	ds_read_b128 v[36:39], v2 offset:1872
	v_cmp_lt_u32_e32 vcc, 53, v240
	s_waitcnt vmcnt(4) lgkmcnt(3)
	v_mul_f64 v[2:3], v[24:25], v[6:7]
	v_mul_f64 v[6:7], v[26:27], v[6:7]
	s_waitcnt vmcnt(3) lgkmcnt(2)
	v_mul_f64 v[40:41], v[28:29], v[10:11]
	v_mul_f64 v[10:11], v[30:31], v[10:11]
	v_fmac_f64_e32 v[2:3], v[26:27], v[4:5]
	v_fma_f64 v[4:5], v[24:25], v[4:5], -v[6:7]
	s_waitcnt vmcnt(2) lgkmcnt(1)
	v_mul_f64 v[42:43], v[32:33], v[14:15]
	v_mul_f64 v[14:15], v[34:35], v[14:15]
	v_fmac_f64_e32 v[40:41], v[30:31], v[8:9]
	v_fma_f64 v[6:7], v[28:29], v[8:9], -v[10:11]
	v_add_f64 v[2:3], v[2:3], 0
	v_add_f64 v[4:5], v[4:5], 0
	s_waitcnt vmcnt(1) lgkmcnt(0)
	v_mul_f64 v[44:45], v[36:37], v[18:19]
	v_mul_f64 v[18:19], v[38:39], v[18:19]
	v_fmac_f64_e32 v[42:43], v[34:35], v[12:13]
	v_fma_f64 v[8:9], v[32:33], v[12:13], -v[14:15]
	v_add_f64 v[2:3], v[2:3], v[40:41]
	v_add_f64 v[4:5], v[4:5], v[6:7]
	v_fmac_f64_e32 v[44:45], v[38:39], v[16:17]
	v_fma_f64 v[10:11], v[36:37], v[16:17], -v[18:19]
	v_add_f64 v[2:3], v[2:3], v[42:43]
	v_add_f64 v[4:5], v[4:5], v[8:9]
	;; [unrolled: 1-line block ×4, first 2 shown]
	s_waitcnt vmcnt(0)
	v_add_f64 v[2:3], v[20:21], -v[2:3]
	v_add_f64 v[4:5], v[22:23], -v[6:7]
	scratch_store_dwordx4 off, v[2:5], off offset:880
	s_and_saveexec_b64 s[0:1], vcc
	s_cbranch_execz .LBB122_261
; %bb.260:
	scratch_load_dwordx4 v[2:5], off, s21
	v_mov_b32_e32 v6, 0
	v_mov_b32_e32 v7, v6
	;; [unrolled: 1-line block ×4, first 2 shown]
	v_accvgpr_read_b32 v0, a119
	scratch_store_dwordx4 off, v[6:9], off offset:864
	s_waitcnt vmcnt(1)
	ds_write_b128 v0, v[2:5]
.LBB122_261:
	s_or_b64 exec, exec, s[0:1]
	v_mov_b32_e32 v2, 0
	s_waitcnt lgkmcnt(0)
	; wave barrier
	ds_read_b128 v[4:7], v2 offset:1808
	ds_read_b128 v[8:11], v2 offset:1824
	;; [unrolled: 1-line block ×4, first 2 shown]
	scratch_load_dwordx4 v[20:23], off, off offset:880
	scratch_load_dwordx4 v[40:43], off, off offset:944
	v_cmp_lt_u32_e32 vcc, 52, v240
	s_waitcnt vmcnt(1) lgkmcnt(3)
	v_mul_f64 v[24:25], v[4:5], v[22:23]
	v_fmac_f64_e32 v[24:25], v[6:7], v[20:21]
	v_add_f64 v[28:29], v[24:25], 0
	scratch_load_dwordx4 v[24:27], off, off offset:896
	v_mul_f64 v[6:7], v[6:7], v[22:23]
	v_fma_f64 v[4:5], v[4:5], v[20:21], -v[6:7]
	v_add_f64 v[4:5], v[4:5], 0
	s_waitcnt vmcnt(0) lgkmcnt(2)
	v_mul_f64 v[30:31], v[8:9], v[26:27]
	v_fmac_f64_e32 v[30:31], v[10:11], v[24:25]
	v_add_f64 v[32:33], v[28:29], v[30:31]
	scratch_load_dwordx4 v[28:31], off, off offset:912
	v_mul_f64 v[6:7], v[10:11], v[26:27]
	v_fma_f64 v[6:7], v[8:9], v[24:25], -v[6:7]
	v_add_f64 v[4:5], v[4:5], v[6:7]
	;; [unrolled: 8-line block ×3, first 2 shown]
	s_waitcnt vmcnt(0) lgkmcnt(0)
	v_mul_f64 v[38:39], v[16:17], v[34:35]
	v_fmac_f64_e32 v[38:39], v[18:19], v[32:33]
	v_add_f64 v[44:45], v[36:37], v[38:39]
	ds_read_b128 v[36:39], v2 offset:1872
	v_mul_f64 v[6:7], v[18:19], v[34:35]
	v_fma_f64 v[6:7], v[16:17], v[32:33], -v[6:7]
	v_add_f64 v[4:5], v[4:5], v[6:7]
	s_waitcnt lgkmcnt(0)
	v_mul_f64 v[6:7], v[38:39], v[42:43]
	v_fma_f64 v[6:7], v[36:37], v[40:41], -v[6:7]
	v_add_f64 v[8:9], v[4:5], v[6:7]
	scratch_load_dwordx4 v[4:7], off, off offset:864
	v_mul_f64 v[46:47], v[36:37], v[42:43]
	v_fmac_f64_e32 v[46:47], v[38:39], v[40:41]
	v_add_f64 v[44:45], v[44:45], v[46:47]
	s_waitcnt vmcnt(0)
	v_add_f64 v[4:5], v[4:5], -v[8:9]
	v_add_f64 v[6:7], v[6:7], -v[44:45]
	scratch_store_dwordx4 off, v[4:7], off offset:864
	s_and_saveexec_b64 s[0:1], vcc
	s_cbranch_execz .LBB122_263
; %bb.262:
	scratch_load_dwordx4 v[6:9], off, s22
	v_mov_b32_e32 v3, v2
	v_mov_b32_e32 v4, v2
	;; [unrolled: 1-line block ×3, first 2 shown]
	v_accvgpr_read_b32 v0, a119
	scratch_store_dwordx4 off, v[2:5], off offset:848
	s_waitcnt vmcnt(1)
	ds_write_b128 v0, v[6:9]
.LBB122_263:
	s_or_b64 exec, exec, s[0:1]
	s_waitcnt lgkmcnt(0)
	; wave barrier
	scratch_load_dwordx4 v[4:7], off, off offset:864
	scratch_load_dwordx4 v[8:11], off, off offset:880
	;; [unrolled: 1-line block ×7, first 2 shown]
	ds_read_b128 v[32:35], v2 offset:1792
	ds_read_b128 v[36:39], v2 offset:1808
	;; [unrolled: 1-line block ×6, first 2 shown]
	v_cmp_lt_u32_e32 vcc, 51, v240
	s_waitcnt vmcnt(6) lgkmcnt(5)
	v_mul_f64 v[2:3], v[32:33], v[6:7]
	v_mul_f64 v[6:7], v[34:35], v[6:7]
	s_waitcnt vmcnt(5) lgkmcnt(4)
	v_mul_f64 v[56:57], v[36:37], v[10:11]
	v_mul_f64 v[10:11], v[38:39], v[10:11]
	v_fmac_f64_e32 v[2:3], v[34:35], v[4:5]
	v_fma_f64 v[4:5], v[32:33], v[4:5], -v[6:7]
	s_waitcnt vmcnt(4) lgkmcnt(3)
	v_mul_f64 v[58:59], v[40:41], v[14:15]
	v_mul_f64 v[14:15], v[42:43], v[14:15]
	v_fmac_f64_e32 v[56:57], v[38:39], v[8:9]
	v_fma_f64 v[6:7], v[36:37], v[8:9], -v[10:11]
	v_add_f64 v[2:3], v[2:3], 0
	v_add_f64 v[4:5], v[4:5], 0
	s_waitcnt vmcnt(3) lgkmcnt(2)
	v_mul_f64 v[60:61], v[44:45], v[18:19]
	v_mul_f64 v[18:19], v[46:47], v[18:19]
	v_fmac_f64_e32 v[58:59], v[42:43], v[12:13]
	v_fma_f64 v[8:9], v[40:41], v[12:13], -v[14:15]
	v_add_f64 v[2:3], v[2:3], v[56:57]
	v_add_f64 v[4:5], v[4:5], v[6:7]
	;; [unrolled: 7-line block ×4, first 2 shown]
	v_fmac_f64_e32 v[64:65], v[54:55], v[24:25]
	v_fma_f64 v[14:15], v[52:53], v[24:25], -v[26:27]
	v_add_f64 v[2:3], v[2:3], v[62:63]
	v_add_f64 v[4:5], v[4:5], v[12:13]
	;; [unrolled: 1-line block ×4, first 2 shown]
	s_waitcnt vmcnt(0)
	v_add_f64 v[2:3], v[28:29], -v[2:3]
	v_add_f64 v[4:5], v[30:31], -v[6:7]
	scratch_store_dwordx4 off, v[2:5], off offset:848
	s_and_saveexec_b64 s[0:1], vcc
	s_cbranch_execz .LBB122_265
; %bb.264:
	scratch_load_dwordx4 v[2:5], off, s23
	v_mov_b32_e32 v6, 0
	v_mov_b32_e32 v7, v6
	;; [unrolled: 1-line block ×4, first 2 shown]
	v_accvgpr_read_b32 v0, a119
	scratch_store_dwordx4 off, v[6:9], off offset:832
	s_waitcnt vmcnt(1)
	ds_write_b128 v0, v[2:5]
.LBB122_265:
	s_or_b64 exec, exec, s[0:1]
	s_waitcnt lgkmcnt(0)
	; wave barrier
	scratch_load_dwordx4 v[4:7], off, off offset:848
	scratch_load_dwordx4 v[8:11], off, off offset:864
	;; [unrolled: 1-line block ×8, first 2 shown]
	v_mov_b32_e32 v2, 0
	ds_read_b128 v[36:39], v2 offset:1776
	ds_read_b128 v[40:43], v2 offset:1792
	;; [unrolled: 1-line block ×7, first 2 shown]
	v_cmp_lt_u32_e32 vcc, 50, v240
	s_waitcnt vmcnt(7) lgkmcnt(6)
	v_mul_f64 v[64:65], v[36:37], v[6:7]
	v_mul_f64 v[6:7], v[38:39], v[6:7]
	s_waitcnt vmcnt(6) lgkmcnt(5)
	v_mul_f64 v[66:67], v[40:41], v[10:11]
	s_waitcnt vmcnt(4) lgkmcnt(3)
	v_mul_f64 v[70:71], v[48:49], v[18:19]
	v_mul_f64 v[10:11], v[42:43], v[10:11]
	;; [unrolled: 1-line block ×3, first 2 shown]
	v_fmac_f64_e32 v[64:65], v[38:39], v[4:5]
	v_fma_f64 v[4:5], v[36:37], v[4:5], -v[6:7]
	v_mul_f64 v[68:69], v[44:45], v[14:15]
	v_mul_f64 v[14:15], v[46:47], v[14:15]
	v_fmac_f64_e32 v[66:67], v[42:43], v[8:9]
	v_fma_f64 v[6:7], v[40:41], v[8:9], -v[10:11]
	v_fma_f64 v[10:11], v[48:49], v[16:17], -v[18:19]
	v_add_f64 v[18:19], v[64:65], 0
	v_add_f64 v[4:5], v[4:5], 0
	v_fmac_f64_e32 v[68:69], v[46:47], v[12:13]
	v_fma_f64 v[8:9], v[44:45], v[12:13], -v[14:15]
	v_add_f64 v[18:19], v[18:19], v[66:67]
	v_add_f64 v[4:5], v[4:5], v[6:7]
	s_waitcnt vmcnt(3) lgkmcnt(2)
	v_mul_f64 v[72:73], v[52:53], v[22:23]
	v_mul_f64 v[22:23], v[54:55], v[22:23]
	v_fmac_f64_e32 v[70:71], v[50:51], v[16:17]
	v_add_f64 v[6:7], v[18:19], v[68:69]
	v_add_f64 v[4:5], v[4:5], v[8:9]
	s_waitcnt vmcnt(2) lgkmcnt(1)
	v_mul_f64 v[74:75], v[56:57], v[26:27]
	v_mul_f64 v[26:27], v[58:59], v[26:27]
	v_fmac_f64_e32 v[72:73], v[54:55], v[20:21]
	v_fma_f64 v[12:13], v[52:53], v[20:21], -v[22:23]
	v_add_f64 v[6:7], v[6:7], v[70:71]
	v_add_f64 v[4:5], v[4:5], v[10:11]
	s_waitcnt vmcnt(1) lgkmcnt(0)
	v_mul_f64 v[76:77], v[60:61], v[30:31]
	v_mul_f64 v[30:31], v[62:63], v[30:31]
	v_fmac_f64_e32 v[74:75], v[58:59], v[24:25]
	v_fma_f64 v[14:15], v[56:57], v[24:25], -v[26:27]
	v_add_f64 v[6:7], v[6:7], v[72:73]
	v_add_f64 v[4:5], v[4:5], v[12:13]
	v_fmac_f64_e32 v[76:77], v[62:63], v[28:29]
	v_fma_f64 v[16:17], v[60:61], v[28:29], -v[30:31]
	v_add_f64 v[6:7], v[6:7], v[74:75]
	v_add_f64 v[4:5], v[4:5], v[14:15]
	;; [unrolled: 1-line block ×4, first 2 shown]
	s_waitcnt vmcnt(0)
	v_add_f64 v[4:5], v[32:33], -v[4:5]
	v_add_f64 v[6:7], v[34:35], -v[6:7]
	scratch_store_dwordx4 off, v[4:7], off offset:832
	s_and_saveexec_b64 s[0:1], vcc
	s_cbranch_execz .LBB122_267
; %bb.266:
	scratch_load_dwordx4 v[6:9], off, s24
	v_mov_b32_e32 v3, v2
	v_mov_b32_e32 v4, v2
	;; [unrolled: 1-line block ×3, first 2 shown]
	v_accvgpr_read_b32 v0, a119
	scratch_store_dwordx4 off, v[2:5], off offset:816
	s_waitcnt vmcnt(1)
	ds_write_b128 v0, v[6:9]
.LBB122_267:
	s_or_b64 exec, exec, s[0:1]
	s_waitcnt lgkmcnt(0)
	; wave barrier
	scratch_load_dwordx4 v[4:7], off, off offset:832
	scratch_load_dwordx4 v[8:11], off, off offset:848
	;; [unrolled: 1-line block ×9, first 2 shown]
	ds_read_b128 v[40:43], v2 offset:1760
	ds_read_b128 v[44:47], v2 offset:1776
	;; [unrolled: 1-line block ×8, first 2 shown]
	v_cmp_lt_u32_e32 vcc, 49, v240
	s_waitcnt vmcnt(8) lgkmcnt(7)
	v_mul_f64 v[2:3], v[40:41], v[6:7]
	v_mul_f64 v[6:7], v[42:43], v[6:7]
	s_waitcnt vmcnt(7) lgkmcnt(6)
	v_mul_f64 v[72:73], v[44:45], v[10:11]
	v_mul_f64 v[10:11], v[46:47], v[10:11]
	v_fmac_f64_e32 v[2:3], v[42:43], v[4:5]
	v_fma_f64 v[4:5], v[40:41], v[4:5], -v[6:7]
	s_waitcnt vmcnt(6) lgkmcnt(5)
	v_mul_f64 v[74:75], v[48:49], v[14:15]
	v_mul_f64 v[14:15], v[50:51], v[14:15]
	v_fmac_f64_e32 v[72:73], v[46:47], v[8:9]
	v_fma_f64 v[6:7], v[44:45], v[8:9], -v[10:11]
	v_add_f64 v[2:3], v[2:3], 0
	v_add_f64 v[4:5], v[4:5], 0
	s_waitcnt vmcnt(5) lgkmcnt(4)
	v_mul_f64 v[76:77], v[52:53], v[18:19]
	v_mul_f64 v[18:19], v[54:55], v[18:19]
	v_fmac_f64_e32 v[74:75], v[50:51], v[12:13]
	v_fma_f64 v[8:9], v[48:49], v[12:13], -v[14:15]
	v_add_f64 v[2:3], v[2:3], v[72:73]
	v_add_f64 v[4:5], v[4:5], v[6:7]
	;; [unrolled: 7-line block ×6, first 2 shown]
	v_fmac_f64_e32 v[84:85], v[70:71], v[32:33]
	v_fma_f64 v[18:19], v[68:69], v[32:33], -v[34:35]
	v_add_f64 v[2:3], v[2:3], v[82:83]
	v_add_f64 v[4:5], v[4:5], v[16:17]
	;; [unrolled: 1-line block ×4, first 2 shown]
	s_waitcnt vmcnt(0)
	v_add_f64 v[2:3], v[36:37], -v[2:3]
	v_add_f64 v[4:5], v[38:39], -v[6:7]
	scratch_store_dwordx4 off, v[2:5], off offset:816
	s_and_saveexec_b64 s[0:1], vcc
	s_cbranch_execz .LBB122_269
; %bb.268:
	scratch_load_dwordx4 v[2:5], off, s25
	v_mov_b32_e32 v6, 0
	v_mov_b32_e32 v7, v6
	;; [unrolled: 1-line block ×4, first 2 shown]
	v_accvgpr_read_b32 v0, a119
	scratch_store_dwordx4 off, v[6:9], off offset:800
	s_waitcnt vmcnt(1)
	ds_write_b128 v0, v[2:5]
.LBB122_269:
	s_or_b64 exec, exec, s[0:1]
	s_waitcnt lgkmcnt(0)
	; wave barrier
	scratch_load_dwordx4 v[4:7], off, off offset:816
	scratch_load_dwordx4 v[8:11], off, off offset:832
	;; [unrolled: 1-line block ×10, first 2 shown]
	v_mov_b32_e32 v2, 0
	ds_read_b128 v[44:47], v2 offset:1744
	ds_read_b128 v[48:51], v2 offset:1760
	ds_read_b128 v[52:55], v2 offset:1776
	ds_read_b128 v[56:59], v2 offset:1792
	ds_read_b128 v[60:63], v2 offset:1808
	ds_read_b128 v[64:67], v2 offset:1824
	ds_read_b128 v[68:71], v2 offset:1840
	ds_read_b128 v[72:75], v2 offset:1856
	ds_read_b128 v[76:79], v2 offset:1872
	v_cmp_lt_u32_e32 vcc, 48, v240
	s_waitcnt vmcnt(9) lgkmcnt(8)
	v_mul_f64 v[80:81], v[44:45], v[6:7]
	v_mul_f64 v[6:7], v[46:47], v[6:7]
	s_waitcnt vmcnt(8) lgkmcnt(7)
	v_mul_f64 v[82:83], v[48:49], v[10:11]
	s_waitcnt vmcnt(7) lgkmcnt(6)
	;; [unrolled: 2-line block ×3, first 2 shown]
	v_mul_f64 v[88:89], v[60:61], v[22:23]
	v_mul_f64 v[10:11], v[50:51], v[10:11]
	;; [unrolled: 1-line block ×4, first 2 shown]
	v_fmac_f64_e32 v[80:81], v[46:47], v[4:5]
	v_fma_f64 v[4:5], v[44:45], v[4:5], -v[6:7]
	v_fmac_f64_e32 v[82:83], v[50:51], v[8:9]
	v_fmac_f64_e32 v[84:85], v[54:55], v[12:13]
	v_fma_f64 v[6:7], v[48:49], v[8:9], -v[10:11]
	v_fma_f64 v[8:9], v[52:53], v[12:13], -v[14:15]
	;; [unrolled: 1-line block ×3, first 2 shown]
	v_add_f64 v[22:23], v[80:81], 0
	v_add_f64 v[4:5], v[4:5], 0
	v_mul_f64 v[86:87], v[56:57], v[18:19]
	v_mul_f64 v[18:19], v[58:59], v[18:19]
	v_add_f64 v[22:23], v[22:23], v[82:83]
	v_add_f64 v[4:5], v[4:5], v[6:7]
	v_fmac_f64_e32 v[86:87], v[58:59], v[16:17]
	v_fma_f64 v[10:11], v[56:57], v[16:17], -v[18:19]
	v_add_f64 v[6:7], v[22:23], v[84:85]
	v_add_f64 v[4:5], v[4:5], v[8:9]
	s_waitcnt vmcnt(4) lgkmcnt(3)
	v_mul_f64 v[90:91], v[64:65], v[26:27]
	v_mul_f64 v[26:27], v[66:67], v[26:27]
	v_fmac_f64_e32 v[88:89], v[62:63], v[20:21]
	v_add_f64 v[6:7], v[6:7], v[86:87]
	v_add_f64 v[4:5], v[4:5], v[10:11]
	s_waitcnt vmcnt(3) lgkmcnt(2)
	v_mul_f64 v[92:93], v[68:69], v[30:31]
	v_mul_f64 v[30:31], v[70:71], v[30:31]
	v_fmac_f64_e32 v[90:91], v[66:67], v[24:25]
	v_fma_f64 v[14:15], v[64:65], v[24:25], -v[26:27]
	v_add_f64 v[6:7], v[6:7], v[88:89]
	v_add_f64 v[4:5], v[4:5], v[12:13]
	s_waitcnt vmcnt(2) lgkmcnt(1)
	v_mul_f64 v[94:95], v[72:73], v[34:35]
	v_mul_f64 v[34:35], v[74:75], v[34:35]
	v_fmac_f64_e32 v[92:93], v[70:71], v[28:29]
	v_fma_f64 v[16:17], v[68:69], v[28:29], -v[30:31]
	;; [unrolled: 7-line block ×3, first 2 shown]
	v_add_f64 v[6:7], v[6:7], v[92:93]
	v_add_f64 v[4:5], v[4:5], v[16:17]
	v_fmac_f64_e32 v[96:97], v[78:79], v[36:37]
	v_fma_f64 v[20:21], v[76:77], v[36:37], -v[38:39]
	v_add_f64 v[6:7], v[6:7], v[94:95]
	v_add_f64 v[4:5], v[4:5], v[18:19]
	;; [unrolled: 1-line block ×4, first 2 shown]
	s_waitcnt vmcnt(0)
	v_add_f64 v[4:5], v[40:41], -v[4:5]
	v_add_f64 v[6:7], v[42:43], -v[6:7]
	scratch_store_dwordx4 off, v[4:7], off offset:800
	s_and_saveexec_b64 s[0:1], vcc
	s_cbranch_execz .LBB122_271
; %bb.270:
	scratch_load_dwordx4 v[6:9], off, s26
	v_mov_b32_e32 v3, v2
	v_mov_b32_e32 v4, v2
	;; [unrolled: 1-line block ×3, first 2 shown]
	v_accvgpr_read_b32 v0, a119
	scratch_store_dwordx4 off, v[2:5], off offset:784
	s_waitcnt vmcnt(1)
	ds_write_b128 v0, v[6:9]
.LBB122_271:
	s_or_b64 exec, exec, s[0:1]
	s_waitcnt lgkmcnt(0)
	; wave barrier
	scratch_load_dwordx4 v[4:7], off, off offset:800
	scratch_load_dwordx4 v[8:11], off, off offset:816
	;; [unrolled: 1-line block ×11, first 2 shown]
	ds_read_b128 v[48:51], v2 offset:1728
	ds_read_b128 v[52:55], v2 offset:1744
	;; [unrolled: 1-line block ×10, first 2 shown]
	v_cmp_lt_u32_e32 vcc, 47, v240
	s_waitcnt vmcnt(10) lgkmcnt(9)
	v_mul_f64 v[2:3], v[48:49], v[6:7]
	v_mul_f64 v[6:7], v[50:51], v[6:7]
	s_waitcnt vmcnt(9) lgkmcnt(8)
	v_mul_f64 v[88:89], v[52:53], v[10:11]
	v_mul_f64 v[10:11], v[54:55], v[10:11]
	v_fmac_f64_e32 v[2:3], v[50:51], v[4:5]
	v_fma_f64 v[4:5], v[48:49], v[4:5], -v[6:7]
	s_waitcnt vmcnt(8) lgkmcnt(7)
	v_mul_f64 v[90:91], v[56:57], v[14:15]
	v_mul_f64 v[14:15], v[58:59], v[14:15]
	v_fmac_f64_e32 v[88:89], v[54:55], v[8:9]
	v_fma_f64 v[6:7], v[52:53], v[8:9], -v[10:11]
	v_add_f64 v[2:3], v[2:3], 0
	v_add_f64 v[4:5], v[4:5], 0
	s_waitcnt vmcnt(7) lgkmcnt(6)
	v_mul_f64 v[92:93], v[60:61], v[18:19]
	v_mul_f64 v[18:19], v[62:63], v[18:19]
	v_fmac_f64_e32 v[90:91], v[58:59], v[12:13]
	v_fma_f64 v[8:9], v[56:57], v[12:13], -v[14:15]
	v_add_f64 v[2:3], v[2:3], v[88:89]
	v_add_f64 v[4:5], v[4:5], v[6:7]
	;; [unrolled: 7-line block ×8, first 2 shown]
	v_fmac_f64_e32 v[104:105], v[86:87], v[40:41]
	v_fma_f64 v[22:23], v[84:85], v[40:41], -v[42:43]
	v_add_f64 v[2:3], v[2:3], v[102:103]
	v_add_f64 v[4:5], v[4:5], v[20:21]
	;; [unrolled: 1-line block ×4, first 2 shown]
	s_waitcnt vmcnt(0)
	v_add_f64 v[2:3], v[44:45], -v[2:3]
	v_add_f64 v[4:5], v[46:47], -v[6:7]
	scratch_store_dwordx4 off, v[2:5], off offset:784
	s_and_saveexec_b64 s[0:1], vcc
	s_cbranch_execz .LBB122_273
; %bb.272:
	scratch_load_dwordx4 v[2:5], off, s27
	v_mov_b32_e32 v6, 0
	v_mov_b32_e32 v7, v6
	;; [unrolled: 1-line block ×4, first 2 shown]
	v_accvgpr_read_b32 v0, a119
	scratch_store_dwordx4 off, v[6:9], off offset:768
	s_waitcnt vmcnt(1)
	ds_write_b128 v0, v[2:5]
.LBB122_273:
	s_or_b64 exec, exec, s[0:1]
	s_waitcnt lgkmcnt(0)
	; wave barrier
	scratch_load_dwordx4 v[4:7], off, off offset:784
	scratch_load_dwordx4 v[8:11], off, off offset:800
	;; [unrolled: 1-line block ×12, first 2 shown]
	v_mov_b32_e32 v2, 0
	ds_read_b128 v[52:55], v2 offset:1712
	ds_read_b128 v[56:59], v2 offset:1728
	;; [unrolled: 1-line block ×11, first 2 shown]
	v_cmp_lt_u32_e32 vcc, 46, v240
	s_waitcnt vmcnt(11) lgkmcnt(10)
	v_mul_f64 v[96:97], v[52:53], v[6:7]
	v_mul_f64 v[6:7], v[54:55], v[6:7]
	s_waitcnt vmcnt(10) lgkmcnt(9)
	v_mul_f64 v[98:99], v[56:57], v[10:11]
	s_waitcnt vmcnt(9) lgkmcnt(8)
	v_mul_f64 v[100:101], v[60:61], v[14:15]
	v_mul_f64 v[10:11], v[58:59], v[10:11]
	s_waitcnt vmcnt(6) lgkmcnt(5)
	v_mul_f64 v[106:107], v[72:73], v[26:27]
	v_mul_f64 v[14:15], v[62:63], v[14:15]
	;; [unrolled: 1-line block ×3, first 2 shown]
	v_fmac_f64_e32 v[96:97], v[54:55], v[4:5]
	v_fma_f64 v[4:5], v[52:53], v[4:5], -v[6:7]
	v_fmac_f64_e32 v[98:99], v[58:59], v[8:9]
	v_fma_f64 v[6:7], v[56:57], v[8:9], -v[10:11]
	v_fma_f64 v[8:9], v[60:61], v[12:13], -v[14:15]
	;; [unrolled: 1-line block ×3, first 2 shown]
	v_add_f64 v[26:27], v[96:97], 0
	v_add_f64 v[4:5], v[4:5], 0
	v_mul_f64 v[102:103], v[64:65], v[18:19]
	v_mul_f64 v[18:19], v[66:67], v[18:19]
	v_fmac_f64_e32 v[100:101], v[62:63], v[12:13]
	v_add_f64 v[26:27], v[26:27], v[98:99]
	v_add_f64 v[4:5], v[4:5], v[6:7]
	v_mul_f64 v[104:105], v[68:69], v[22:23]
	v_mul_f64 v[22:23], v[70:71], v[22:23]
	v_fmac_f64_e32 v[102:103], v[66:67], v[16:17]
	v_fma_f64 v[10:11], v[64:65], v[16:17], -v[18:19]
	v_add_f64 v[6:7], v[26:27], v[100:101]
	v_add_f64 v[4:5], v[4:5], v[8:9]
	v_fmac_f64_e32 v[104:105], v[70:71], v[20:21]
	v_fma_f64 v[12:13], v[68:69], v[20:21], -v[22:23]
	v_add_f64 v[6:7], v[6:7], v[102:103]
	v_add_f64 v[4:5], v[4:5], v[10:11]
	s_waitcnt vmcnt(5) lgkmcnt(4)
	v_mul_f64 v[108:109], v[76:77], v[30:31]
	v_mul_f64 v[30:31], v[78:79], v[30:31]
	v_fmac_f64_e32 v[106:107], v[74:75], v[24:25]
	v_add_f64 v[6:7], v[6:7], v[104:105]
	v_add_f64 v[4:5], v[4:5], v[12:13]
	s_waitcnt vmcnt(4) lgkmcnt(3)
	v_mul_f64 v[110:111], v[80:81], v[34:35]
	v_mul_f64 v[34:35], v[82:83], v[34:35]
	v_fmac_f64_e32 v[108:109], v[78:79], v[28:29]
	v_fma_f64 v[16:17], v[76:77], v[28:29], -v[30:31]
	v_add_f64 v[6:7], v[6:7], v[106:107]
	v_add_f64 v[4:5], v[4:5], v[14:15]
	s_waitcnt vmcnt(3) lgkmcnt(2)
	v_mul_f64 v[112:113], v[84:85], v[38:39]
	v_mul_f64 v[38:39], v[86:87], v[38:39]
	v_fmac_f64_e32 v[110:111], v[82:83], v[32:33]
	v_fma_f64 v[18:19], v[80:81], v[32:33], -v[34:35]
	v_add_f64 v[6:7], v[6:7], v[108:109]
	v_add_f64 v[4:5], v[4:5], v[16:17]
	s_waitcnt vmcnt(2) lgkmcnt(1)
	v_mul_f64 v[114:115], v[88:89], v[42:43]
	v_mul_f64 v[42:43], v[90:91], v[42:43]
	v_fmac_f64_e32 v[112:113], v[86:87], v[36:37]
	v_fma_f64 v[20:21], v[84:85], v[36:37], -v[38:39]
	v_add_f64 v[6:7], v[6:7], v[110:111]
	v_add_f64 v[4:5], v[4:5], v[18:19]
	s_waitcnt vmcnt(1) lgkmcnt(0)
	v_mul_f64 v[116:117], v[92:93], v[46:47]
	v_mul_f64 v[46:47], v[94:95], v[46:47]
	v_fmac_f64_e32 v[114:115], v[90:91], v[40:41]
	v_fma_f64 v[22:23], v[88:89], v[40:41], -v[42:43]
	v_add_f64 v[6:7], v[6:7], v[112:113]
	v_add_f64 v[4:5], v[4:5], v[20:21]
	v_fmac_f64_e32 v[116:117], v[94:95], v[44:45]
	v_fma_f64 v[24:25], v[92:93], v[44:45], -v[46:47]
	v_add_f64 v[6:7], v[6:7], v[114:115]
	v_add_f64 v[4:5], v[4:5], v[22:23]
	;; [unrolled: 1-line block ×4, first 2 shown]
	s_waitcnt vmcnt(0)
	v_add_f64 v[4:5], v[48:49], -v[4:5]
	v_add_f64 v[6:7], v[50:51], -v[6:7]
	scratch_store_dwordx4 off, v[4:7], off offset:768
	s_and_saveexec_b64 s[0:1], vcc
	s_cbranch_execz .LBB122_275
; %bb.274:
	scratch_load_dwordx4 v[6:9], off, s28
	v_mov_b32_e32 v3, v2
	v_mov_b32_e32 v4, v2
	;; [unrolled: 1-line block ×3, first 2 shown]
	v_accvgpr_read_b32 v0, a119
	scratch_store_dwordx4 off, v[2:5], off offset:752
	s_waitcnt vmcnt(1)
	ds_write_b128 v0, v[6:9]
.LBB122_275:
	s_or_b64 exec, exec, s[0:1]
	s_waitcnt lgkmcnt(0)
	; wave barrier
	scratch_load_dwordx4 v[4:7], off, off offset:768
	scratch_load_dwordx4 v[8:11], off, off offset:784
	;; [unrolled: 1-line block ×12, first 2 shown]
	ds_read_b128 v[52:55], v2 offset:1696
	ds_read_b128 v[56:59], v2 offset:1712
	;; [unrolled: 1-line block ×4, first 2 shown]
	scratch_load_dwordx4 v[68:71], off, off offset:752
	ds_read_b128 v[72:75], v2 offset:1760
	ds_read_b128 v[76:79], v2 offset:1776
	;; [unrolled: 1-line block ×8, first 2 shown]
	v_cmp_lt_u32_e32 vcc, 45, v240
	s_waitcnt vmcnt(12) lgkmcnt(11)
	v_mul_f64 v[2:3], v[52:53], v[6:7]
	s_waitcnt vmcnt(11) lgkmcnt(10)
	v_mul_f64 v[104:105], v[56:57], v[10:11]
	v_fmac_f64_e32 v[2:3], v[54:55], v[4:5]
	s_waitcnt vmcnt(10) lgkmcnt(9)
	v_mul_f64 v[106:107], v[60:61], v[14:15]
	v_mul_f64 v[6:7], v[54:55], v[6:7]
	v_fmac_f64_e32 v[104:105], v[58:59], v[8:9]
	v_add_f64 v[2:3], v[2:3], 0
	s_waitcnt vmcnt(9) lgkmcnt(8)
	v_mul_f64 v[108:109], v[64:65], v[18:19]
	v_mul_f64 v[10:11], v[58:59], v[10:11]
	v_fmac_f64_e32 v[106:107], v[62:63], v[12:13]
	v_fma_f64 v[4:5], v[52:53], v[4:5], -v[6:7]
	v_add_f64 v[2:3], v[2:3], v[104:105]
	s_waitcnt vmcnt(8) lgkmcnt(7)
	v_mul_f64 v[110:111], v[72:73], v[22:23]
	v_mul_f64 v[14:15], v[62:63], v[14:15]
	v_fmac_f64_e32 v[108:109], v[66:67], v[16:17]
	v_fma_f64 v[6:7], v[56:57], v[8:9], -v[10:11]
	v_add_f64 v[4:5], v[4:5], 0
	v_add_f64 v[2:3], v[2:3], v[106:107]
	s_waitcnt vmcnt(7) lgkmcnt(6)
	v_mul_f64 v[112:113], v[76:77], v[26:27]
	v_mul_f64 v[18:19], v[66:67], v[18:19]
	v_fmac_f64_e32 v[110:111], v[74:75], v[20:21]
	v_fma_f64 v[8:9], v[60:61], v[12:13], -v[14:15]
	v_add_f64 v[4:5], v[4:5], v[6:7]
	;; [unrolled: 7-line block ×8, first 2 shown]
	v_add_f64 v[2:3], v[2:3], v[120:121]
	v_mul_f64 v[46:47], v[98:99], v[46:47]
	v_fmac_f64_e32 v[124:125], v[102:103], v[48:49]
	v_fma_f64 v[22:23], v[92:93], v[40:41], -v[42:43]
	v_add_f64 v[4:5], v[4:5], v[20:21]
	v_add_f64 v[2:3], v[2:3], v[122:123]
	;; [unrolled: 1-line block ×4, first 2 shown]
	v_fma_f64 v[2:3], v[96:97], v[44:45], -v[46:47]
	v_add_f64 v[2:3], v[4:5], v[2:3]
	v_mul_f64 v[4:5], v[102:103], v[50:51]
	v_fma_f64 v[4:5], v[100:101], v[48:49], -v[4:5]
	v_add_f64 v[2:3], v[2:3], v[4:5]
	s_waitcnt vmcnt(0)
	v_add_f64 v[2:3], v[68:69], -v[2:3]
	v_add_f64 v[4:5], v[70:71], -v[6:7]
	scratch_store_dwordx4 off, v[2:5], off offset:752
	s_and_saveexec_b64 s[0:1], vcc
	s_cbranch_execz .LBB122_277
; %bb.276:
	scratch_load_dwordx4 v[2:5], off, s29
	v_mov_b32_e32 v6, 0
	v_mov_b32_e32 v7, v6
	;; [unrolled: 1-line block ×4, first 2 shown]
	v_accvgpr_read_b32 v0, a119
	scratch_store_dwordx4 off, v[6:9], off offset:736
	s_waitcnt vmcnt(1)
	ds_write_b128 v0, v[2:5]
.LBB122_277:
	s_or_b64 exec, exec, s[0:1]
	v_mov_b32_e32 v2, 0
	s_waitcnt lgkmcnt(0)
	; wave barrier
	ds_read_b128 v[16:19], v2 offset:1680
	ds_read_b128 v[12:15], v2 offset:1696
	;; [unrolled: 1-line block ×4, first 2 shown]
	scratch_load_dwordx4 v[20:23], off, off offset:752
	scratch_load_dwordx4 v[42:45], off, off offset:816
	;; [unrolled: 1-line block ×7, first 2 shown]
	v_cmp_lt_u32_e32 vcc, 44, v240
	scratch_load_dwordx4 v[50:53], off, off offset:832
	scratch_load_dwordx4 v[58:61], off, off offset:848
	;; [unrolled: 1-line block ×3, first 2 shown]
	s_waitcnt vmcnt(9) lgkmcnt(3)
	v_mul_f64 v[24:25], v[16:17], v[22:23]
	v_fmac_f64_e32 v[24:25], v[18:19], v[20:21]
	v_add_f64 v[28:29], v[24:25], 0
	scratch_load_dwordx4 v[24:27], off, off offset:768
	v_mul_f64 v[18:19], v[18:19], v[22:23]
	v_fma_f64 v[16:17], v[16:17], v[20:21], -v[18:19]
	v_add_f64 v[16:17], v[16:17], 0
	s_waitcnt vmcnt(0) lgkmcnt(2)
	v_mul_f64 v[30:31], v[12:13], v[26:27]
	v_fmac_f64_e32 v[30:31], v[14:15], v[24:25]
	v_add_f64 v[32:33], v[28:29], v[30:31]
	scratch_load_dwordx4 v[28:31], off, off offset:784
	v_mul_f64 v[14:15], v[14:15], v[26:27]
	v_fma_f64 v[12:13], v[12:13], v[24:25], -v[14:15]
	v_add_f64 v[12:13], v[16:17], v[12:13]
	;; [unrolled: 8-line block ×3, first 2 shown]
	s_waitcnt vmcnt(0) lgkmcnt(0)
	v_mul_f64 v[38:39], v[4:5], v[36:37]
	v_fmac_f64_e32 v[38:39], v[6:7], v[34:35]
	v_add_f64 v[32:33], v[32:33], v[38:39]
	ds_read_b128 v[38:41], v2 offset:1744
	v_mul_f64 v[6:7], v[6:7], v[36:37]
	v_fma_f64 v[4:5], v[4:5], v[34:35], -v[6:7]
	v_add_f64 v[4:5], v[8:9], v[4:5]
	s_waitcnt lgkmcnt(0)
	v_mul_f64 v[46:47], v[38:39], v[44:45]
	v_fmac_f64_e32 v[46:47], v[40:41], v[42:43]
	v_add_f64 v[32:33], v[32:33], v[46:47]
	ds_read_b128 v[46:49], v2 offset:1760
	v_mul_f64 v[6:7], v[40:41], v[44:45]
	v_fma_f64 v[6:7], v[38:39], v[42:43], -v[6:7]
	v_add_f64 v[4:5], v[4:5], v[6:7]
	s_waitcnt lgkmcnt(0)
	;; [unrolled: 8-line block ×9, first 2 shown]
	v_mul_f64 v[6:7], v[104:105], v[108:109]
	v_fma_f64 v[6:7], v[102:103], v[106:107], -v[6:7]
	v_add_f64 v[8:9], v[4:5], v[6:7]
	scratch_load_dwordx4 v[4:7], off, off offset:736
	v_mul_f64 v[110:111], v[102:103], v[108:109]
	v_fmac_f64_e32 v[110:111], v[104:105], v[106:107]
	v_add_f64 v[32:33], v[32:33], v[110:111]
	s_waitcnt vmcnt(0)
	v_add_f64 v[4:5], v[4:5], -v[8:9]
	v_add_f64 v[6:7], v[6:7], -v[32:33]
	scratch_store_dwordx4 off, v[4:7], off offset:736
	s_and_saveexec_b64 s[0:1], vcc
	s_cbranch_execz .LBB122_279
; %bb.278:
	scratch_load_dwordx4 v[6:9], off, s30
	v_mov_b32_e32 v3, v2
	v_mov_b32_e32 v4, v2
	v_mov_b32_e32 v5, v2
	v_accvgpr_read_b32 v0, a119
	scratch_store_dwordx4 off, v[2:5], off offset:720
	s_waitcnt vmcnt(1)
	ds_write_b128 v0, v[6:9]
.LBB122_279:
	s_or_b64 exec, exec, s[0:1]
	s_waitcnt lgkmcnt(0)
	; wave barrier
	ds_read_b128 v[16:19], v2 offset:1664
	ds_read_b128 v[12:15], v2 offset:1680
	;; [unrolled: 1-line block ×4, first 2 shown]
	scratch_load_dwordx4 v[20:23], off, off offset:736
	scratch_load_dwordx4 v[42:45], off, off offset:800
	;; [unrolled: 1-line block ×8, first 2 shown]
	v_cmp_lt_u32_e32 vcc, 43, v240
	scratch_load_dwordx4 v[50:53], off, off offset:816
	scratch_load_dwordx4 v[58:61], off, off offset:832
	;; [unrolled: 1-line block ×3, first 2 shown]
	s_waitcnt vmcnt(10) lgkmcnt(3)
	v_mul_f64 v[24:25], v[16:17], v[22:23]
	v_fmac_f64_e32 v[24:25], v[18:19], v[20:21]
	v_add_f64 v[28:29], v[24:25], 0
	scratch_load_dwordx4 v[24:27], off, off offset:752
	s_waitcnt vmcnt(0) lgkmcnt(2)
	v_mul_f64 v[30:31], v[12:13], v[26:27]
	v_fmac_f64_e32 v[30:31], v[14:15], v[24:25]
	v_add_f64 v[32:33], v[28:29], v[30:31]
	scratch_load_dwordx4 v[28:31], off, off offset:768
	v_mul_f64 v[14:15], v[14:15], v[26:27]
	v_fma_f64 v[12:13], v[12:13], v[24:25], -v[14:15]
	s_waitcnt vmcnt(0) lgkmcnt(1)
	v_mul_f64 v[34:35], v[8:9], v[30:31]
	v_fmac_f64_e32 v[34:35], v[10:11], v[28:29]
	v_add_f64 v[36:37], v[32:33], v[34:35]
	scratch_load_dwordx4 v[32:35], off, off offset:784
	v_mul_f64 v[10:11], v[10:11], v[30:31]
	v_fma_f64 v[8:9], v[8:9], v[28:29], -v[10:11]
	s_waitcnt vmcnt(0) lgkmcnt(0)
	v_mul_f64 v[38:39], v[4:5], v[34:35]
	v_fmac_f64_e32 v[38:39], v[6:7], v[32:33]
	v_add_f64 v[40:41], v[36:37], v[38:39]
	ds_read_b128 v[36:39], v2 offset:1728
	v_mul_f64 v[6:7], v[6:7], v[34:35]
	v_fma_f64 v[4:5], v[4:5], v[32:33], -v[6:7]
	s_waitcnt lgkmcnt(0)
	v_mul_f64 v[46:47], v[36:37], v[44:45]
	v_fmac_f64_e32 v[46:47], v[38:39], v[42:43]
	v_add_f64 v[40:41], v[40:41], v[46:47]
	ds_read_b128 v[46:49], v2 offset:1744
	s_waitcnt lgkmcnt(0)
	v_mul_f64 v[54:55], v[46:47], v[52:53]
	v_fmac_f64_e32 v[54:55], v[48:49], v[50:51]
	v_add_f64 v[40:41], v[40:41], v[54:55]
	ds_read_b128 v[54:57], v2 offset:1760
	;; [unrolled: 5-line block ×9, first 2 shown]
	s_waitcnt lgkmcnt(0)
	v_mul_f64 v[2:3], v[110:111], v[116:117]
	v_fmac_f64_e32 v[2:3], v[112:113], v[114:115]
	v_add_f64 v[40:41], v[40:41], v[2:3]
	v_mul_f64 v[2:3], v[18:19], v[22:23]
	v_fma_f64 v[2:3], v[16:17], v[20:21], -v[2:3]
	v_add_f64 v[2:3], v[2:3], 0
	v_add_f64 v[2:3], v[2:3], v[12:13]
	;; [unrolled: 1-line block ×4, first 2 shown]
	v_mul_f64 v[4:5], v[38:39], v[44:45]
	v_fma_f64 v[4:5], v[36:37], v[42:43], -v[4:5]
	v_add_f64 v[2:3], v[2:3], v[4:5]
	v_mul_f64 v[4:5], v[48:49], v[52:53]
	v_fma_f64 v[4:5], v[46:47], v[50:51], -v[4:5]
	v_add_f64 v[2:3], v[2:3], v[4:5]
	;; [unrolled: 3-line block ×10, first 2 shown]
	scratch_load_dwordx4 v[2:5], off, off offset:720
	s_waitcnt vmcnt(0)
	v_add_f64 v[2:3], v[2:3], -v[6:7]
	v_add_f64 v[4:5], v[4:5], -v[40:41]
	scratch_store_dwordx4 off, v[2:5], off offset:720
	s_and_saveexec_b64 s[0:1], vcc
	s_cbranch_execz .LBB122_281
; %bb.280:
	scratch_load_dwordx4 v[2:5], off, s31
	v_mov_b32_e32 v6, 0
	v_mov_b32_e32 v7, v6
	v_mov_b32_e32 v8, v6
	v_mov_b32_e32 v9, v6
	v_accvgpr_read_b32 v0, a119
	scratch_store_dwordx4 off, v[6:9], off offset:704
	s_waitcnt vmcnt(1)
	ds_write_b128 v0, v[2:5]
.LBB122_281:
	s_or_b64 exec, exec, s[0:1]
	v_mov_b32_e32 v2, 0
	s_waitcnt lgkmcnt(0)
	; wave barrier
	ds_read_b128 v[16:19], v2 offset:1648
	ds_read_b128 v[12:15], v2 offset:1664
	ds_read_b128 v[8:11], v2 offset:1680
	ds_read_b128 v[4:7], v2 offset:1696
	scratch_load_dwordx4 v[20:23], off, off offset:720
	scratch_load_dwordx4 v[40:43], off, off offset:784
	;; [unrolled: 1-line block ×9, first 2 shown]
	v_cmp_lt_u32_e32 vcc, 42, v240
	scratch_load_dwordx4 v[50:53], off, off offset:800
	scratch_load_dwordx4 v[58:61], off, off offset:816
	;; [unrolled: 1-line block ×3, first 2 shown]
	s_waitcnt vmcnt(11) lgkmcnt(3)
	v_mul_f64 v[24:25], v[16:17], v[22:23]
	v_fmac_f64_e32 v[24:25], v[18:19], v[20:21]
	v_add_f64 v[28:29], v[24:25], 0
	scratch_load_dwordx4 v[24:27], off, off offset:736
	v_mul_f64 v[18:19], v[18:19], v[22:23]
	v_fma_f64 v[16:17], v[16:17], v[20:21], -v[18:19]
	v_add_f64 v[16:17], v[16:17], 0
	s_waitcnt vmcnt(0) lgkmcnt(2)
	v_mul_f64 v[30:31], v[12:13], v[26:27]
	v_fmac_f64_e32 v[30:31], v[14:15], v[24:25]
	v_add_f64 v[32:33], v[28:29], v[30:31]
	scratch_load_dwordx4 v[28:31], off, off offset:752
	v_mul_f64 v[14:15], v[14:15], v[26:27]
	v_fma_f64 v[12:13], v[12:13], v[24:25], -v[14:15]
	v_add_f64 v[12:13], v[16:17], v[12:13]
	;; [unrolled: 8-line block ×3, first 2 shown]
	s_waitcnt vmcnt(0) lgkmcnt(0)
	v_mul_f64 v[38:39], v[4:5], v[34:35]
	v_fmac_f64_e32 v[38:39], v[6:7], v[32:33]
	v_add_f64 v[44:45], v[36:37], v[38:39]
	ds_read_b128 v[36:39], v2 offset:1712
	v_mul_f64 v[6:7], v[6:7], v[34:35]
	v_fma_f64 v[4:5], v[4:5], v[32:33], -v[6:7]
	v_add_f64 v[4:5], v[8:9], v[4:5]
	s_waitcnt lgkmcnt(0)
	v_mul_f64 v[46:47], v[36:37], v[42:43]
	v_fmac_f64_e32 v[46:47], v[38:39], v[40:41]
	v_add_f64 v[48:49], v[44:45], v[46:47]
	ds_read_b128 v[44:47], v2 offset:1728
	v_mul_f64 v[6:7], v[38:39], v[42:43]
	v_fma_f64 v[6:7], v[36:37], v[40:41], -v[6:7]
	v_add_f64 v[4:5], v[4:5], v[6:7]
	s_waitcnt lgkmcnt(0)
	;; [unrolled: 8-line block ×11, first 2 shown]
	v_mul_f64 v[6:7], v[120:121], v[124:125]
	v_fma_f64 v[6:7], v[118:119], v[122:123], -v[6:7]
	v_add_f64 v[8:9], v[4:5], v[6:7]
	scratch_load_dwordx4 v[4:7], off, off offset:704
	v_mul_f64 v[126:127], v[118:119], v[124:125]
	v_fmac_f64_e32 v[126:127], v[120:121], v[122:123]
	v_add_f64 v[48:49], v[48:49], v[126:127]
	s_waitcnt vmcnt(0)
	v_add_f64 v[4:5], v[4:5], -v[8:9]
	v_add_f64 v[6:7], v[6:7], -v[48:49]
	scratch_store_dwordx4 off, v[4:7], off offset:704
	s_and_saveexec_b64 s[0:1], vcc
	s_cbranch_execz .LBB122_283
; %bb.282:
	scratch_load_dwordx4 v[6:9], off, s33
	v_mov_b32_e32 v3, v2
	v_mov_b32_e32 v4, v2
	;; [unrolled: 1-line block ×3, first 2 shown]
	v_accvgpr_read_b32 v0, a119
	scratch_store_dwordx4 off, v[2:5], off offset:688
	s_waitcnt vmcnt(1)
	ds_write_b128 v0, v[6:9]
.LBB122_283:
	s_or_b64 exec, exec, s[0:1]
	s_waitcnt lgkmcnt(0)
	; wave barrier
	ds_read_b128 v[16:19], v2 offset:1632
	ds_read_b128 v[12:15], v2 offset:1648
	ds_read_b128 v[8:11], v2 offset:1664
	ds_read_b128 v[4:7], v2 offset:1680
	scratch_load_dwordx4 v[20:23], off, off offset:704
	scratch_load_dwordx4 v[40:43], off, off offset:768
	;; [unrolled: 1-line block ×10, first 2 shown]
	v_cmp_lt_u32_e32 vcc, 41, v240
	scratch_load_dwordx4 v[48:51], off, off offset:784
	scratch_load_dwordx4 v[56:59], off, off offset:800
	;; [unrolled: 1-line block ×3, first 2 shown]
	s_waitcnt vmcnt(12) lgkmcnt(3)
	v_mul_f64 v[24:25], v[16:17], v[22:23]
	v_fmac_f64_e32 v[24:25], v[18:19], v[20:21]
	v_add_f64 v[28:29], v[24:25], 0
	scratch_load_dwordx4 v[24:27], off, off offset:720
	s_waitcnt vmcnt(0) lgkmcnt(2)
	v_mul_f64 v[30:31], v[12:13], v[26:27]
	v_fmac_f64_e32 v[30:31], v[14:15], v[24:25]
	v_add_f64 v[32:33], v[28:29], v[30:31]
	scratch_load_dwordx4 v[28:31], off, off offset:736
	v_mul_f64 v[14:15], v[14:15], v[26:27]
	v_fma_f64 v[12:13], v[12:13], v[24:25], -v[14:15]
	s_waitcnt vmcnt(0) lgkmcnt(1)
	v_mul_f64 v[34:35], v[8:9], v[30:31]
	v_fmac_f64_e32 v[34:35], v[10:11], v[28:29]
	v_add_f64 v[36:37], v[32:33], v[34:35]
	scratch_load_dwordx4 v[32:35], off, off offset:752
	v_mul_f64 v[10:11], v[10:11], v[30:31]
	v_fma_f64 v[8:9], v[8:9], v[28:29], -v[10:11]
	s_waitcnt vmcnt(0) lgkmcnt(0)
	v_mul_f64 v[38:39], v[4:5], v[34:35]
	v_fmac_f64_e32 v[38:39], v[6:7], v[32:33]
	v_add_f64 v[44:45], v[36:37], v[38:39]
	ds_read_b128 v[36:39], v2 offset:1696
	v_mul_f64 v[6:7], v[6:7], v[34:35]
	v_fma_f64 v[4:5], v[4:5], v[32:33], -v[6:7]
	s_waitcnt lgkmcnt(0)
	v_mul_f64 v[46:47], v[36:37], v[42:43]
	v_fmac_f64_e32 v[46:47], v[38:39], v[40:41]
	v_add_f64 v[52:53], v[44:45], v[46:47]
	ds_read_b128 v[44:47], v2 offset:1712
	s_waitcnt lgkmcnt(0)
	v_mul_f64 v[54:55], v[44:45], v[50:51]
	v_fmac_f64_e32 v[54:55], v[46:47], v[48:49]
	v_add_f64 v[60:61], v[52:53], v[54:55]
	ds_read_b128 v[52:55], v2 offset:1728
	;; [unrolled: 5-line block ×11, first 2 shown]
	s_waitcnt lgkmcnt(0)
	v_mul_f64 v[2:3], v[126:127], v[132:133]
	v_fmac_f64_e32 v[2:3], v[128:129], v[130:131]
	v_add_f64 v[64:65], v[64:65], v[2:3]
	v_mul_f64 v[2:3], v[18:19], v[22:23]
	v_fma_f64 v[2:3], v[16:17], v[20:21], -v[2:3]
	v_add_f64 v[2:3], v[2:3], 0
	v_add_f64 v[2:3], v[2:3], v[12:13]
	v_add_f64 v[2:3], v[2:3], v[8:9]
	v_add_f64 v[2:3], v[2:3], v[4:5]
	v_mul_f64 v[4:5], v[38:39], v[42:43]
	v_fma_f64 v[4:5], v[36:37], v[40:41], -v[4:5]
	v_add_f64 v[2:3], v[2:3], v[4:5]
	v_mul_f64 v[4:5], v[46:47], v[50:51]
	v_fma_f64 v[4:5], v[44:45], v[48:49], -v[4:5]
	v_add_f64 v[2:3], v[2:3], v[4:5]
	;; [unrolled: 3-line block ×12, first 2 shown]
	scratch_load_dwordx4 v[2:5], off, off offset:688
	s_waitcnt vmcnt(0)
	v_add_f64 v[2:3], v[2:3], -v[6:7]
	v_add_f64 v[4:5], v[4:5], -v[64:65]
	scratch_store_dwordx4 off, v[2:5], off offset:688
	s_and_saveexec_b64 s[0:1], vcc
	s_cbranch_execz .LBB122_285
; %bb.284:
	scratch_load_dwordx4 v[2:5], off, s34
	v_mov_b32_e32 v6, 0
	v_mov_b32_e32 v7, v6
	;; [unrolled: 1-line block ×4, first 2 shown]
	v_accvgpr_read_b32 v0, a119
	scratch_store_dwordx4 off, v[6:9], off offset:672
	s_waitcnt vmcnt(1)
	ds_write_b128 v0, v[2:5]
.LBB122_285:
	s_or_b64 exec, exec, s[0:1]
	v_mov_b32_e32 v2, 0
	s_waitcnt lgkmcnt(0)
	; wave barrier
	ds_read_b128 v[16:19], v2 offset:1616
	ds_read_b128 v[12:15], v2 offset:1632
	;; [unrolled: 1-line block ×4, first 2 shown]
	scratch_load_dwordx4 v[20:23], off, off offset:688
	scratch_load_dwordx4 v[40:43], off, off offset:752
	;; [unrolled: 1-line block ×11, first 2 shown]
	v_cmp_lt_u32_e32 vcc, 40, v240
	scratch_load_dwordx4 v[48:51], off, off offset:768
	scratch_load_dwordx4 v[56:59], off, off offset:784
	;; [unrolled: 1-line block ×3, first 2 shown]
	s_waitcnt vmcnt(13) lgkmcnt(3)
	v_mul_f64 v[24:25], v[16:17], v[22:23]
	v_fmac_f64_e32 v[24:25], v[18:19], v[20:21]
	v_add_f64 v[28:29], v[24:25], 0
	scratch_load_dwordx4 v[24:27], off, off offset:704
	v_mul_f64 v[18:19], v[18:19], v[22:23]
	v_fma_f64 v[16:17], v[16:17], v[20:21], -v[18:19]
	v_add_f64 v[16:17], v[16:17], 0
	s_waitcnt vmcnt(0) lgkmcnt(2)
	v_mul_f64 v[30:31], v[12:13], v[26:27]
	v_fmac_f64_e32 v[30:31], v[14:15], v[24:25]
	v_add_f64 v[32:33], v[28:29], v[30:31]
	scratch_load_dwordx4 v[28:31], off, off offset:720
	v_mul_f64 v[14:15], v[14:15], v[26:27]
	v_fma_f64 v[12:13], v[12:13], v[24:25], -v[14:15]
	v_add_f64 v[12:13], v[16:17], v[12:13]
	;; [unrolled: 8-line block ×3, first 2 shown]
	s_waitcnt vmcnt(0) lgkmcnt(0)
	v_mul_f64 v[38:39], v[4:5], v[34:35]
	v_fmac_f64_e32 v[38:39], v[6:7], v[32:33]
	v_add_f64 v[44:45], v[36:37], v[38:39]
	ds_read_b128 v[36:39], v2 offset:1680
	v_mul_f64 v[6:7], v[6:7], v[34:35]
	v_fma_f64 v[4:5], v[4:5], v[32:33], -v[6:7]
	v_add_f64 v[4:5], v[8:9], v[4:5]
	s_waitcnt lgkmcnt(0)
	v_mul_f64 v[46:47], v[36:37], v[42:43]
	v_fmac_f64_e32 v[46:47], v[38:39], v[40:41]
	v_add_f64 v[52:53], v[44:45], v[46:47]
	ds_read_b128 v[44:47], v2 offset:1696
	v_mul_f64 v[6:7], v[38:39], v[42:43]
	v_fma_f64 v[6:7], v[36:37], v[40:41], -v[6:7]
	v_add_f64 v[4:5], v[4:5], v[6:7]
	s_waitcnt lgkmcnt(0)
	;; [unrolled: 8-line block ×13, first 2 shown]
	v_mul_f64 v[6:7], v[136:137], v[140:141]
	v_fma_f64 v[6:7], v[134:135], v[138:139], -v[6:7]
	v_add_f64 v[8:9], v[4:5], v[6:7]
	scratch_load_dwordx4 v[4:7], off, off offset:672
	v_mul_f64 v[142:143], v[134:135], v[140:141]
	v_fmac_f64_e32 v[142:143], v[136:137], v[138:139]
	v_add_f64 v[72:73], v[72:73], v[142:143]
	s_waitcnt vmcnt(0)
	v_add_f64 v[4:5], v[4:5], -v[8:9]
	v_add_f64 v[6:7], v[6:7], -v[72:73]
	scratch_store_dwordx4 off, v[4:7], off offset:672
	s_and_saveexec_b64 s[0:1], vcc
	s_cbranch_execz .LBB122_287
; %bb.286:
	scratch_load_dwordx4 v[6:9], off, s35
	v_mov_b32_e32 v3, v2
	v_mov_b32_e32 v4, v2
	;; [unrolled: 1-line block ×3, first 2 shown]
	v_accvgpr_read_b32 v0, a119
	scratch_store_dwordx4 off, v[2:5], off offset:656
	s_waitcnt vmcnt(1)
	ds_write_b128 v0, v[6:9]
.LBB122_287:
	s_or_b64 exec, exec, s[0:1]
	s_waitcnt lgkmcnt(0)
	; wave barrier
	ds_read_b128 v[16:19], v2 offset:1600
	ds_read_b128 v[12:15], v2 offset:1616
	;; [unrolled: 1-line block ×4, first 2 shown]
	scratch_load_dwordx4 v[20:23], off, off offset:672
	scratch_load_dwordx4 v[40:43], off, off offset:736
	;; [unrolled: 1-line block ×12, first 2 shown]
	v_cmp_lt_u32_e32 vcc, 39, v240
	scratch_load_dwordx4 v[48:51], off, off offset:752
	scratch_load_dwordx4 v[56:59], off, off offset:768
	;; [unrolled: 1-line block ×3, first 2 shown]
	s_waitcnt vmcnt(14) lgkmcnt(3)
	v_mul_f64 v[24:25], v[16:17], v[22:23]
	v_fmac_f64_e32 v[24:25], v[18:19], v[20:21]
	v_add_f64 v[28:29], v[24:25], 0
	scratch_load_dwordx4 v[24:27], off, off offset:688
	s_waitcnt vmcnt(0) lgkmcnt(2)
	v_mul_f64 v[30:31], v[12:13], v[26:27]
	v_fmac_f64_e32 v[30:31], v[14:15], v[24:25]
	v_add_f64 v[32:33], v[28:29], v[30:31]
	scratch_load_dwordx4 v[28:31], off, off offset:704
	v_mul_f64 v[14:15], v[14:15], v[26:27]
	v_fma_f64 v[12:13], v[12:13], v[24:25], -v[14:15]
	s_waitcnt vmcnt(0) lgkmcnt(1)
	v_mul_f64 v[34:35], v[8:9], v[30:31]
	v_fmac_f64_e32 v[34:35], v[10:11], v[28:29]
	v_add_f64 v[36:37], v[32:33], v[34:35]
	scratch_load_dwordx4 v[32:35], off, off offset:720
	v_mul_f64 v[10:11], v[10:11], v[30:31]
	v_fma_f64 v[8:9], v[8:9], v[28:29], -v[10:11]
	s_waitcnt vmcnt(0) lgkmcnt(0)
	v_mul_f64 v[38:39], v[4:5], v[34:35]
	v_fmac_f64_e32 v[38:39], v[6:7], v[32:33]
	v_add_f64 v[44:45], v[36:37], v[38:39]
	ds_read_b128 v[36:39], v2 offset:1664
	v_mul_f64 v[6:7], v[6:7], v[34:35]
	v_fma_f64 v[4:5], v[4:5], v[32:33], -v[6:7]
	s_waitcnt lgkmcnt(0)
	v_mul_f64 v[46:47], v[36:37], v[42:43]
	v_fmac_f64_e32 v[46:47], v[38:39], v[40:41]
	v_add_f64 v[52:53], v[44:45], v[46:47]
	ds_read_b128 v[44:47], v2 offset:1680
	s_waitcnt lgkmcnt(0)
	v_mul_f64 v[54:55], v[44:45], v[50:51]
	v_fmac_f64_e32 v[54:55], v[46:47], v[48:49]
	v_add_f64 v[60:61], v[52:53], v[54:55]
	ds_read_b128 v[52:55], v2 offset:1696
	;; [unrolled: 5-line block ×13, first 2 shown]
	s_waitcnt lgkmcnt(0)
	v_mul_f64 v[2:3], v[142:143], v[148:149]
	v_fmac_f64_e32 v[2:3], v[144:145], v[146:147]
	v_add_f64 v[80:81], v[80:81], v[2:3]
	v_mul_f64 v[2:3], v[18:19], v[22:23]
	v_fma_f64 v[2:3], v[16:17], v[20:21], -v[2:3]
	v_add_f64 v[2:3], v[2:3], 0
	v_add_f64 v[2:3], v[2:3], v[12:13]
	;; [unrolled: 1-line block ×4, first 2 shown]
	v_mul_f64 v[4:5], v[38:39], v[42:43]
	v_fma_f64 v[4:5], v[36:37], v[40:41], -v[4:5]
	v_add_f64 v[2:3], v[2:3], v[4:5]
	v_mul_f64 v[4:5], v[46:47], v[50:51]
	v_fma_f64 v[4:5], v[44:45], v[48:49], -v[4:5]
	v_add_f64 v[2:3], v[2:3], v[4:5]
	;; [unrolled: 3-line block ×14, first 2 shown]
	scratch_load_dwordx4 v[2:5], off, off offset:656
	s_waitcnt vmcnt(0)
	v_add_f64 v[2:3], v[2:3], -v[6:7]
	v_add_f64 v[4:5], v[4:5], -v[80:81]
	scratch_store_dwordx4 off, v[2:5], off offset:656
	s_and_saveexec_b64 s[0:1], vcc
	s_cbranch_execz .LBB122_289
; %bb.288:
	scratch_load_dwordx4 v[2:5], off, s36
	v_mov_b32_e32 v6, 0
	v_mov_b32_e32 v7, v6
	;; [unrolled: 1-line block ×4, first 2 shown]
	v_accvgpr_read_b32 v0, a119
	scratch_store_dwordx4 off, v[6:9], off offset:640
	s_waitcnt vmcnt(1)
	ds_write_b128 v0, v[2:5]
.LBB122_289:
	s_or_b64 exec, exec, s[0:1]
	v_mov_b32_e32 v2, 0
	s_waitcnt lgkmcnt(0)
	; wave barrier
	ds_read_b128 v[16:19], v2 offset:1584
	ds_read_b128 v[12:15], v2 offset:1600
	ds_read_b128 v[8:11], v2 offset:1616
	ds_read_b128 v[4:7], v2 offset:1632
	scratch_load_dwordx4 v[20:23], off, off offset:656
	scratch_load_dwordx4 v[40:43], off, off offset:720
	;; [unrolled: 1-line block ×13, first 2 shown]
	v_cmp_lt_u32_e32 vcc, 38, v240
	scratch_load_dwordx4 v[48:51], off, off offset:736
	scratch_load_dwordx4 v[56:59], off, off offset:752
	;; [unrolled: 1-line block ×3, first 2 shown]
	s_waitcnt vmcnt(15) lgkmcnt(3)
	v_mul_f64 v[24:25], v[16:17], v[22:23]
	v_fmac_f64_e32 v[24:25], v[18:19], v[20:21]
	v_add_f64 v[28:29], v[24:25], 0
	scratch_load_dwordx4 v[24:27], off, off offset:672
	v_mul_f64 v[18:19], v[18:19], v[22:23]
	v_fma_f64 v[16:17], v[16:17], v[20:21], -v[18:19]
	v_add_f64 v[16:17], v[16:17], 0
	s_waitcnt vmcnt(0) lgkmcnt(2)
	v_mul_f64 v[30:31], v[12:13], v[26:27]
	v_fmac_f64_e32 v[30:31], v[14:15], v[24:25]
	v_add_f64 v[32:33], v[28:29], v[30:31]
	scratch_load_dwordx4 v[28:31], off, off offset:688
	v_mul_f64 v[14:15], v[14:15], v[26:27]
	v_fma_f64 v[12:13], v[12:13], v[24:25], -v[14:15]
	v_add_f64 v[12:13], v[16:17], v[12:13]
	;; [unrolled: 8-line block ×3, first 2 shown]
	s_waitcnt vmcnt(0) lgkmcnt(0)
	v_mul_f64 v[38:39], v[4:5], v[34:35]
	v_fmac_f64_e32 v[38:39], v[6:7], v[32:33]
	v_add_f64 v[44:45], v[36:37], v[38:39]
	ds_read_b128 v[36:39], v2 offset:1648
	v_mul_f64 v[6:7], v[6:7], v[34:35]
	v_fma_f64 v[4:5], v[4:5], v[32:33], -v[6:7]
	v_add_f64 v[4:5], v[8:9], v[4:5]
	s_waitcnt lgkmcnt(0)
	v_mul_f64 v[46:47], v[36:37], v[42:43]
	v_fmac_f64_e32 v[46:47], v[38:39], v[40:41]
	v_add_f64 v[52:53], v[44:45], v[46:47]
	ds_read_b128 v[44:47], v2 offset:1664
	v_mul_f64 v[6:7], v[38:39], v[42:43]
	v_fma_f64 v[6:7], v[36:37], v[40:41], -v[6:7]
	v_add_f64 v[4:5], v[4:5], v[6:7]
	s_waitcnt lgkmcnt(0)
	;; [unrolled: 8-line block ×15, first 2 shown]
	v_mul_f64 v[6:7], v[152:153], v[156:157]
	v_fma_f64 v[6:7], v[150:151], v[154:155], -v[6:7]
	v_add_f64 v[8:9], v[4:5], v[6:7]
	scratch_load_dwordx4 v[4:7], off, off offset:640
	v_mul_f64 v[158:159], v[150:151], v[156:157]
	v_fmac_f64_e32 v[158:159], v[152:153], v[154:155]
	v_add_f64 v[88:89], v[88:89], v[158:159]
	s_waitcnt vmcnt(0)
	v_add_f64 v[4:5], v[4:5], -v[8:9]
	v_add_f64 v[6:7], v[6:7], -v[88:89]
	scratch_store_dwordx4 off, v[4:7], off offset:640
	s_and_saveexec_b64 s[0:1], vcc
	s_cbranch_execz .LBB122_291
; %bb.290:
	scratch_load_dwordx4 v[6:9], off, s37
	v_mov_b32_e32 v3, v2
	v_mov_b32_e32 v4, v2
	;; [unrolled: 1-line block ×3, first 2 shown]
	v_accvgpr_read_b32 v0, a119
	scratch_store_dwordx4 off, v[2:5], off offset:624
	s_waitcnt vmcnt(1)
	ds_write_b128 v0, v[6:9]
.LBB122_291:
	s_or_b64 exec, exec, s[0:1]
	s_waitcnt lgkmcnt(0)
	; wave barrier
	ds_read_b128 v[16:19], v2 offset:1568
	ds_read_b128 v[12:15], v2 offset:1584
	;; [unrolled: 1-line block ×4, first 2 shown]
	scratch_load_dwordx4 v[20:23], off, off offset:640
	scratch_load_dwordx4 v[40:43], off, off offset:704
	;; [unrolled: 1-line block ×14, first 2 shown]
	v_cmp_lt_u32_e32 vcc, 37, v240
	scratch_load_dwordx4 v[48:51], off, off offset:720
	scratch_load_dwordx4 v[56:59], off, off offset:736
	;; [unrolled: 1-line block ×3, first 2 shown]
	s_waitcnt vmcnt(16) lgkmcnt(3)
	v_mul_f64 v[24:25], v[16:17], v[22:23]
	v_fmac_f64_e32 v[24:25], v[18:19], v[20:21]
	v_add_f64 v[28:29], v[24:25], 0
	scratch_load_dwordx4 v[24:27], off, off offset:656
	s_waitcnt vmcnt(0) lgkmcnt(2)
	v_mul_f64 v[30:31], v[12:13], v[26:27]
	v_fmac_f64_e32 v[30:31], v[14:15], v[24:25]
	v_add_f64 v[32:33], v[28:29], v[30:31]
	scratch_load_dwordx4 v[28:31], off, off offset:672
	v_mul_f64 v[14:15], v[14:15], v[26:27]
	v_fma_f64 v[12:13], v[12:13], v[24:25], -v[14:15]
	s_waitcnt vmcnt(0) lgkmcnt(1)
	v_mul_f64 v[34:35], v[8:9], v[30:31]
	v_fmac_f64_e32 v[34:35], v[10:11], v[28:29]
	v_add_f64 v[36:37], v[32:33], v[34:35]
	scratch_load_dwordx4 v[32:35], off, off offset:688
	v_mul_f64 v[10:11], v[10:11], v[30:31]
	v_fma_f64 v[8:9], v[8:9], v[28:29], -v[10:11]
	s_waitcnt vmcnt(0) lgkmcnt(0)
	v_mul_f64 v[38:39], v[4:5], v[34:35]
	v_fmac_f64_e32 v[38:39], v[6:7], v[32:33]
	v_add_f64 v[44:45], v[36:37], v[38:39]
	ds_read_b128 v[36:39], v2 offset:1632
	v_mul_f64 v[6:7], v[6:7], v[34:35]
	v_fma_f64 v[4:5], v[4:5], v[32:33], -v[6:7]
	s_waitcnt lgkmcnt(0)
	v_mul_f64 v[46:47], v[36:37], v[42:43]
	v_fmac_f64_e32 v[46:47], v[38:39], v[40:41]
	v_add_f64 v[52:53], v[44:45], v[46:47]
	ds_read_b128 v[44:47], v2 offset:1648
	s_waitcnt lgkmcnt(0)
	v_mul_f64 v[54:55], v[44:45], v[50:51]
	v_fmac_f64_e32 v[54:55], v[46:47], v[48:49]
	v_add_f64 v[60:61], v[52:53], v[54:55]
	ds_read_b128 v[52:55], v2 offset:1664
	;; [unrolled: 5-line block ×15, first 2 shown]
	s_waitcnt lgkmcnt(0)
	v_mul_f64 v[2:3], v[158:159], v[164:165]
	v_fmac_f64_e32 v[2:3], v[160:161], v[162:163]
	v_add_f64 v[96:97], v[96:97], v[2:3]
	v_mul_f64 v[2:3], v[18:19], v[22:23]
	v_fma_f64 v[2:3], v[16:17], v[20:21], -v[2:3]
	v_add_f64 v[2:3], v[2:3], 0
	v_add_f64 v[2:3], v[2:3], v[12:13]
	;; [unrolled: 1-line block ×4, first 2 shown]
	v_mul_f64 v[4:5], v[38:39], v[42:43]
	v_fma_f64 v[4:5], v[36:37], v[40:41], -v[4:5]
	v_add_f64 v[2:3], v[2:3], v[4:5]
	v_mul_f64 v[4:5], v[46:47], v[50:51]
	v_fma_f64 v[4:5], v[44:45], v[48:49], -v[4:5]
	v_add_f64 v[2:3], v[2:3], v[4:5]
	;; [unrolled: 3-line block ×16, first 2 shown]
	scratch_load_dwordx4 v[2:5], off, off offset:624
	s_waitcnt vmcnt(0)
	v_add_f64 v[2:3], v[2:3], -v[6:7]
	v_add_f64 v[4:5], v[4:5], -v[96:97]
	scratch_store_dwordx4 off, v[2:5], off offset:624
	s_and_saveexec_b64 s[0:1], vcc
	s_cbranch_execz .LBB122_293
; %bb.292:
	scratch_load_dwordx4 v[2:5], off, s38
	v_mov_b32_e32 v6, 0
	v_mov_b32_e32 v7, v6
	v_mov_b32_e32 v8, v6
	v_mov_b32_e32 v9, v6
	v_accvgpr_read_b32 v0, a119
	scratch_store_dwordx4 off, v[6:9], off offset:608
	s_waitcnt vmcnt(1)
	ds_write_b128 v0, v[2:5]
.LBB122_293:
	s_or_b64 exec, exec, s[0:1]
	v_mov_b32_e32 v2, 0
	s_waitcnt lgkmcnt(0)
	; wave barrier
	ds_read_b128 v[16:19], v2 offset:1552
	ds_read_b128 v[12:15], v2 offset:1568
	;; [unrolled: 1-line block ×4, first 2 shown]
	scratch_load_dwordx4 v[20:23], off, off offset:624
	scratch_load_dwordx4 v[40:43], off, off offset:688
	;; [unrolled: 1-line block ×15, first 2 shown]
	v_cmp_lt_u32_e32 vcc, 36, v240
	scratch_load_dwordx4 v[48:51], off, off offset:704
	scratch_load_dwordx4 v[56:59], off, off offset:720
	;; [unrolled: 1-line block ×3, first 2 shown]
	s_waitcnt vmcnt(17) lgkmcnt(3)
	v_mul_f64 v[24:25], v[16:17], v[22:23]
	v_fmac_f64_e32 v[24:25], v[18:19], v[20:21]
	v_add_f64 v[28:29], v[24:25], 0
	scratch_load_dwordx4 v[24:27], off, off offset:640
	v_mul_f64 v[18:19], v[18:19], v[22:23]
	v_fma_f64 v[16:17], v[16:17], v[20:21], -v[18:19]
	v_add_f64 v[16:17], v[16:17], 0
	s_waitcnt vmcnt(0) lgkmcnt(2)
	v_mul_f64 v[30:31], v[12:13], v[26:27]
	v_fmac_f64_e32 v[30:31], v[14:15], v[24:25]
	v_add_f64 v[32:33], v[28:29], v[30:31]
	scratch_load_dwordx4 v[28:31], off, off offset:656
	v_mul_f64 v[14:15], v[14:15], v[26:27]
	v_fma_f64 v[12:13], v[12:13], v[24:25], -v[14:15]
	v_add_f64 v[12:13], v[16:17], v[12:13]
	;; [unrolled: 8-line block ×3, first 2 shown]
	s_waitcnt vmcnt(0) lgkmcnt(0)
	v_mul_f64 v[38:39], v[4:5], v[34:35]
	v_fmac_f64_e32 v[38:39], v[6:7], v[32:33]
	v_add_f64 v[44:45], v[36:37], v[38:39]
	ds_read_b128 v[36:39], v2 offset:1616
	v_mul_f64 v[6:7], v[6:7], v[34:35]
	v_fma_f64 v[4:5], v[4:5], v[32:33], -v[6:7]
	v_add_f64 v[4:5], v[8:9], v[4:5]
	s_waitcnt lgkmcnt(0)
	v_mul_f64 v[46:47], v[36:37], v[42:43]
	v_fmac_f64_e32 v[46:47], v[38:39], v[40:41]
	v_add_f64 v[52:53], v[44:45], v[46:47]
	ds_read_b128 v[44:47], v2 offset:1632
	v_mul_f64 v[6:7], v[38:39], v[42:43]
	v_fma_f64 v[6:7], v[36:37], v[40:41], -v[6:7]
	v_add_f64 v[4:5], v[4:5], v[6:7]
	s_waitcnt lgkmcnt(0)
	;; [unrolled: 8-line block ×17, first 2 shown]
	v_mul_f64 v[6:7], v[168:169], v[172:173]
	v_fma_f64 v[6:7], v[166:167], v[170:171], -v[6:7]
	v_add_f64 v[8:9], v[4:5], v[6:7]
	scratch_load_dwordx4 v[4:7], off, off offset:608
	v_mul_f64 v[174:175], v[166:167], v[172:173]
	v_fmac_f64_e32 v[174:175], v[168:169], v[170:171]
	v_add_f64 v[104:105], v[104:105], v[174:175]
	s_waitcnt vmcnt(0)
	v_add_f64 v[4:5], v[4:5], -v[8:9]
	v_add_f64 v[6:7], v[6:7], -v[104:105]
	scratch_store_dwordx4 off, v[4:7], off offset:608
	s_and_saveexec_b64 s[0:1], vcc
	s_cbranch_execz .LBB122_295
; %bb.294:
	scratch_load_dwordx4 v[6:9], off, s39
	v_mov_b32_e32 v3, v2
	v_mov_b32_e32 v4, v2
	;; [unrolled: 1-line block ×3, first 2 shown]
	v_accvgpr_read_b32 v0, a119
	scratch_store_dwordx4 off, v[2:5], off offset:592
	s_waitcnt vmcnt(1)
	ds_write_b128 v0, v[6:9]
.LBB122_295:
	s_or_b64 exec, exec, s[0:1]
	s_waitcnt lgkmcnt(0)
	; wave barrier
	ds_read_b128 v[16:19], v2 offset:1536
	ds_read_b128 v[12:15], v2 offset:1552
	;; [unrolled: 1-line block ×4, first 2 shown]
	scratch_load_dwordx4 v[20:23], off, off offset:608
	scratch_load_dwordx4 v[40:43], off, off offset:672
	scratch_load_dwordx4 v[72:75], off, off offset:736
	scratch_load_dwordx4 v[80:83], off, off offset:752
	scratch_load_dwordx4 v[88:91], off, off offset:768
	scratch_load_dwordx4 v[96:99], off, off offset:784
	scratch_load_dwordx4 v[104:107], off, off offset:800
	scratch_load_dwordx4 v[112:115], off, off offset:816
	scratch_load_dwordx4 v[122:125], off, off offset:832
	scratch_load_dwordx4 v[130:133], off, off offset:848
	scratch_load_dwordx4 v[138:141], off, off offset:864
	scratch_load_dwordx4 v[146:149], off, off offset:880
	scratch_load_dwordx4 v[154:157], off, off offset:896
	scratch_load_dwordx4 v[162:165], off, off offset:912
	scratch_load_dwordx4 v[170:173], off, off offset:928
	scratch_load_dwordx4 v[178:181], off, off offset:944
	v_cmp_lt_u32_e32 vcc, 35, v240
	scratch_load_dwordx4 v[48:51], off, off offset:688
	scratch_load_dwordx4 v[56:59], off, off offset:704
	;; [unrolled: 1-line block ×3, first 2 shown]
	s_waitcnt vmcnt(18) lgkmcnt(3)
	v_mul_f64 v[24:25], v[16:17], v[22:23]
	v_fmac_f64_e32 v[24:25], v[18:19], v[20:21]
	v_add_f64 v[28:29], v[24:25], 0
	scratch_load_dwordx4 v[24:27], off, off offset:624
	s_waitcnt vmcnt(0) lgkmcnt(2)
	v_mul_f64 v[30:31], v[12:13], v[26:27]
	v_fmac_f64_e32 v[30:31], v[14:15], v[24:25]
	v_add_f64 v[32:33], v[28:29], v[30:31]
	scratch_load_dwordx4 v[28:31], off, off offset:640
	v_mul_f64 v[14:15], v[14:15], v[26:27]
	v_fma_f64 v[12:13], v[12:13], v[24:25], -v[14:15]
	s_waitcnt vmcnt(0) lgkmcnt(1)
	v_mul_f64 v[34:35], v[8:9], v[30:31]
	v_fmac_f64_e32 v[34:35], v[10:11], v[28:29]
	v_add_f64 v[36:37], v[32:33], v[34:35]
	scratch_load_dwordx4 v[32:35], off, off offset:656
	v_mul_f64 v[10:11], v[10:11], v[30:31]
	v_fma_f64 v[8:9], v[8:9], v[28:29], -v[10:11]
	s_waitcnt vmcnt(0) lgkmcnt(0)
	v_mul_f64 v[38:39], v[4:5], v[34:35]
	v_fmac_f64_e32 v[38:39], v[6:7], v[32:33]
	v_add_f64 v[44:45], v[36:37], v[38:39]
	ds_read_b128 v[36:39], v2 offset:1600
	v_mul_f64 v[6:7], v[6:7], v[34:35]
	v_fma_f64 v[4:5], v[4:5], v[32:33], -v[6:7]
	s_waitcnt lgkmcnt(0)
	v_mul_f64 v[46:47], v[36:37], v[42:43]
	v_fmac_f64_e32 v[46:47], v[38:39], v[40:41]
	v_add_f64 v[52:53], v[44:45], v[46:47]
	ds_read_b128 v[44:47], v2 offset:1616
	s_waitcnt lgkmcnt(0)
	v_mul_f64 v[54:55], v[44:45], v[50:51]
	v_fmac_f64_e32 v[54:55], v[46:47], v[48:49]
	v_add_f64 v[60:61], v[52:53], v[54:55]
	ds_read_b128 v[52:55], v2 offset:1632
	;; [unrolled: 5-line block ×17, first 2 shown]
	s_waitcnt lgkmcnt(0)
	v_mul_f64 v[2:3], v[174:175], v[180:181]
	v_fmac_f64_e32 v[2:3], v[176:177], v[178:179]
	v_add_f64 v[120:121], v[120:121], v[2:3]
	v_mul_f64 v[2:3], v[18:19], v[22:23]
	v_fma_f64 v[2:3], v[16:17], v[20:21], -v[2:3]
	v_add_f64 v[2:3], v[2:3], 0
	v_add_f64 v[2:3], v[2:3], v[12:13]
	;; [unrolled: 1-line block ×4, first 2 shown]
	v_mul_f64 v[4:5], v[38:39], v[42:43]
	v_fma_f64 v[4:5], v[36:37], v[40:41], -v[4:5]
	v_add_f64 v[2:3], v[2:3], v[4:5]
	v_mul_f64 v[4:5], v[46:47], v[50:51]
	v_fma_f64 v[4:5], v[44:45], v[48:49], -v[4:5]
	v_add_f64 v[2:3], v[2:3], v[4:5]
	;; [unrolled: 3-line block ×18, first 2 shown]
	scratch_load_dwordx4 v[2:5], off, off offset:592
	s_waitcnt vmcnt(0)
	v_add_f64 v[2:3], v[2:3], -v[6:7]
	v_add_f64 v[4:5], v[4:5], -v[120:121]
	scratch_store_dwordx4 off, v[2:5], off offset:592
	s_and_saveexec_b64 s[0:1], vcc
	s_cbranch_execz .LBB122_297
; %bb.296:
	scratch_load_dwordx4 v[2:5], off, s40
	v_mov_b32_e32 v6, 0
	v_mov_b32_e32 v7, v6
	;; [unrolled: 1-line block ×4, first 2 shown]
	v_accvgpr_read_b32 v0, a119
	scratch_store_dwordx4 off, v[6:9], off offset:576
	s_waitcnt vmcnt(1)
	ds_write_b128 v0, v[2:5]
.LBB122_297:
	s_or_b64 exec, exec, s[0:1]
	v_mov_b32_e32 v2, 0
	s_waitcnt lgkmcnt(0)
	; wave barrier
	ds_read_b128 v[16:19], v2 offset:1520
	ds_read_b128 v[12:15], v2 offset:1536
	;; [unrolled: 1-line block ×4, first 2 shown]
	scratch_load_dwordx4 v[20:23], off, off offset:592
	scratch_load_dwordx4 v[40:43], off, off offset:656
	;; [unrolled: 1-line block ×17, first 2 shown]
	v_cmp_lt_u32_e32 vcc, 34, v240
	scratch_load_dwordx4 v[48:51], off, off offset:672
	scratch_load_dwordx4 v[56:59], off, off offset:688
	;; [unrolled: 1-line block ×3, first 2 shown]
	s_waitcnt vmcnt(19) lgkmcnt(3)
	v_mul_f64 v[24:25], v[16:17], v[22:23]
	v_fmac_f64_e32 v[24:25], v[18:19], v[20:21]
	v_add_f64 v[28:29], v[24:25], 0
	scratch_load_dwordx4 v[24:27], off, off offset:608
	v_mul_f64 v[18:19], v[18:19], v[22:23]
	v_fma_f64 v[16:17], v[16:17], v[20:21], -v[18:19]
	v_add_f64 v[16:17], v[16:17], 0
	s_waitcnt vmcnt(0) lgkmcnt(2)
	v_mul_f64 v[30:31], v[12:13], v[26:27]
	v_fmac_f64_e32 v[30:31], v[14:15], v[24:25]
	v_add_f64 v[32:33], v[28:29], v[30:31]
	scratch_load_dwordx4 v[28:31], off, off offset:624
	v_mul_f64 v[14:15], v[14:15], v[26:27]
	v_fma_f64 v[12:13], v[12:13], v[24:25], -v[14:15]
	v_add_f64 v[12:13], v[16:17], v[12:13]
	s_waitcnt vmcnt(0) lgkmcnt(1)
	v_mul_f64 v[34:35], v[8:9], v[30:31]
	v_fmac_f64_e32 v[34:35], v[10:11], v[28:29]
	v_add_f64 v[36:37], v[32:33], v[34:35]
	scratch_load_dwordx4 v[32:35], off, off offset:640
	v_mul_f64 v[10:11], v[10:11], v[30:31]
	v_fma_f64 v[8:9], v[8:9], v[28:29], -v[10:11]
	v_add_f64 v[8:9], v[12:13], v[8:9]
	s_waitcnt vmcnt(0) lgkmcnt(0)
	v_mul_f64 v[38:39], v[4:5], v[34:35]
	v_fmac_f64_e32 v[38:39], v[6:7], v[32:33]
	v_add_f64 v[44:45], v[36:37], v[38:39]
	ds_read_b128 v[36:39], v2 offset:1584
	v_mul_f64 v[6:7], v[6:7], v[34:35]
	v_fma_f64 v[4:5], v[4:5], v[32:33], -v[6:7]
	v_add_f64 v[4:5], v[8:9], v[4:5]
	s_waitcnt lgkmcnt(0)
	v_mul_f64 v[46:47], v[36:37], v[42:43]
	v_fmac_f64_e32 v[46:47], v[38:39], v[40:41]
	v_add_f64 v[52:53], v[44:45], v[46:47]
	ds_read_b128 v[44:47], v2 offset:1600
	v_mul_f64 v[6:7], v[38:39], v[42:43]
	v_fma_f64 v[6:7], v[36:37], v[40:41], -v[6:7]
	v_add_f64 v[4:5], v[4:5], v[6:7]
	s_waitcnt lgkmcnt(0)
	;; [unrolled: 8-line block ×19, first 2 shown]
	v_mul_f64 v[6:7], v[184:185], v[188:189]
	v_fma_f64 v[6:7], v[182:183], v[186:187], -v[6:7]
	v_add_f64 v[8:9], v[4:5], v[6:7]
	scratch_load_dwordx4 v[4:7], off, off offset:576
	v_mul_f64 v[190:191], v[182:183], v[188:189]
	v_fmac_f64_e32 v[190:191], v[184:185], v[186:187]
	v_add_f64 v[128:129], v[128:129], v[190:191]
	s_waitcnt vmcnt(0)
	v_add_f64 v[4:5], v[4:5], -v[8:9]
	v_add_f64 v[6:7], v[6:7], -v[128:129]
	scratch_store_dwordx4 off, v[4:7], off offset:576
	s_and_saveexec_b64 s[0:1], vcc
	s_cbranch_execz .LBB122_299
; %bb.298:
	scratch_load_dwordx4 v[6:9], off, s41
	v_mov_b32_e32 v3, v2
	v_mov_b32_e32 v4, v2
	;; [unrolled: 1-line block ×3, first 2 shown]
	v_accvgpr_read_b32 v0, a119
	scratch_store_dwordx4 off, v[2:5], off offset:560
	s_waitcnt vmcnt(1)
	ds_write_b128 v0, v[6:9]
.LBB122_299:
	s_or_b64 exec, exec, s[0:1]
	s_waitcnt lgkmcnt(0)
	; wave barrier
	ds_read_b128 v[16:19], v2 offset:1504
	ds_read_b128 v[12:15], v2 offset:1520
	;; [unrolled: 1-line block ×4, first 2 shown]
	scratch_load_dwordx4 v[20:23], off, off offset:576
	scratch_load_dwordx4 v[40:43], off, off offset:640
	;; [unrolled: 1-line block ×18, first 2 shown]
	v_cmp_lt_u32_e32 vcc, 33, v240
	scratch_load_dwordx4 v[48:51], off, off offset:656
	scratch_load_dwordx4 v[56:59], off, off offset:672
	;; [unrolled: 1-line block ×3, first 2 shown]
	s_waitcnt vmcnt(20) lgkmcnt(3)
	v_mul_f64 v[24:25], v[16:17], v[22:23]
	v_fmac_f64_e32 v[24:25], v[18:19], v[20:21]
	v_add_f64 v[28:29], v[24:25], 0
	scratch_load_dwordx4 v[24:27], off, off offset:592
	s_waitcnt vmcnt(0) lgkmcnt(2)
	v_mul_f64 v[30:31], v[12:13], v[26:27]
	v_fmac_f64_e32 v[30:31], v[14:15], v[24:25]
	v_add_f64 v[32:33], v[28:29], v[30:31]
	scratch_load_dwordx4 v[28:31], off, off offset:608
	v_mul_f64 v[14:15], v[14:15], v[26:27]
	v_fma_f64 v[12:13], v[12:13], v[24:25], -v[14:15]
	s_waitcnt vmcnt(0) lgkmcnt(1)
	v_mul_f64 v[34:35], v[8:9], v[30:31]
	v_fmac_f64_e32 v[34:35], v[10:11], v[28:29]
	v_add_f64 v[36:37], v[32:33], v[34:35]
	scratch_load_dwordx4 v[32:35], off, off offset:624
	v_mul_f64 v[10:11], v[10:11], v[30:31]
	v_fma_f64 v[8:9], v[8:9], v[28:29], -v[10:11]
	s_waitcnt vmcnt(0) lgkmcnt(0)
	v_mul_f64 v[38:39], v[4:5], v[34:35]
	v_fmac_f64_e32 v[38:39], v[6:7], v[32:33]
	v_add_f64 v[44:45], v[36:37], v[38:39]
	ds_read_b128 v[36:39], v2 offset:1568
	v_mul_f64 v[6:7], v[6:7], v[34:35]
	v_fma_f64 v[4:5], v[4:5], v[32:33], -v[6:7]
	s_waitcnt lgkmcnt(0)
	v_mul_f64 v[46:47], v[36:37], v[42:43]
	v_fmac_f64_e32 v[46:47], v[38:39], v[40:41]
	v_add_f64 v[52:53], v[44:45], v[46:47]
	ds_read_b128 v[44:47], v2 offset:1584
	s_waitcnt lgkmcnt(0)
	v_mul_f64 v[54:55], v[44:45], v[50:51]
	v_fmac_f64_e32 v[54:55], v[46:47], v[48:49]
	v_add_f64 v[60:61], v[52:53], v[54:55]
	ds_read_b128 v[52:55], v2 offset:1600
	;; [unrolled: 5-line block ×19, first 2 shown]
	s_waitcnt lgkmcnt(0)
	v_mul_f64 v[2:3], v[190:191], v[196:197]
	v_fmac_f64_e32 v[2:3], v[192:193], v[194:195]
	v_add_f64 v[148:149], v[148:149], v[2:3]
	v_mul_f64 v[2:3], v[18:19], v[22:23]
	v_fma_f64 v[2:3], v[16:17], v[20:21], -v[2:3]
	v_add_f64 v[2:3], v[2:3], 0
	v_add_f64 v[2:3], v[2:3], v[12:13]
	;; [unrolled: 1-line block ×4, first 2 shown]
	v_mul_f64 v[4:5], v[38:39], v[42:43]
	v_fma_f64 v[4:5], v[36:37], v[40:41], -v[4:5]
	v_add_f64 v[2:3], v[2:3], v[4:5]
	v_mul_f64 v[4:5], v[46:47], v[50:51]
	v_fma_f64 v[4:5], v[44:45], v[48:49], -v[4:5]
	v_add_f64 v[2:3], v[2:3], v[4:5]
	;; [unrolled: 3-line block ×20, first 2 shown]
	scratch_load_dwordx4 v[2:5], off, off offset:560
	s_waitcnt vmcnt(0)
	v_add_f64 v[2:3], v[2:3], -v[6:7]
	v_add_f64 v[4:5], v[4:5], -v[148:149]
	scratch_store_dwordx4 off, v[2:5], off offset:560
	s_and_saveexec_b64 s[0:1], vcc
	s_cbranch_execz .LBB122_301
; %bb.300:
	scratch_load_dwordx4 v[2:5], off, s42
	v_mov_b32_e32 v6, 0
	v_mov_b32_e32 v7, v6
	;; [unrolled: 1-line block ×4, first 2 shown]
	v_accvgpr_read_b32 v0, a119
	scratch_store_dwordx4 off, v[6:9], off offset:544
	s_waitcnt vmcnt(1)
	ds_write_b128 v0, v[2:5]
.LBB122_301:
	s_or_b64 exec, exec, s[0:1]
	v_mov_b32_e32 v2, 0
	s_waitcnt lgkmcnt(0)
	; wave barrier
	ds_read_b128 v[16:19], v2 offset:1488
	ds_read_b128 v[12:15], v2 offset:1504
	ds_read_b128 v[8:11], v2 offset:1520
	ds_read_b128 v[4:7], v2 offset:1536
	scratch_load_dwordx4 v[20:23], off, off offset:560
	scratch_load_dwordx4 v[40:43], off, off offset:624
	scratch_load_dwordx4 v[72:75], off, off offset:688
	scratch_load_dwordx4 v[80:83], off, off offset:704
	scratch_load_dwordx4 v[88:91], off, off offset:720
	scratch_load_dwordx4 v[96:99], off, off offset:736
	scratch_load_dwordx4 v[104:107], off, off offset:752
	scratch_load_dwordx4 v[112:115], off, off offset:768
	scratch_load_dwordx4 v[120:123], off, off offset:784
	scratch_load_dwordx4 v[128:131], off, off offset:800
	scratch_load_dwordx4 v[136:139], off, off offset:816
	scratch_load_dwordx4 v[146:149], off, off offset:832
	scratch_load_dwordx4 v[154:157], off, off offset:848
	scratch_load_dwordx4 v[162:165], off, off offset:864
	scratch_load_dwordx4 v[170:173], off, off offset:880
	scratch_load_dwordx4 v[178:181], off, off offset:896
	scratch_load_dwordx4 v[186:189], off, off offset:912
	scratch_load_dwordx4 v[194:197], off, off offset:928
	scratch_load_dwordx4 v[202:205], off, off offset:944
	v_cmp_lt_u32_e32 vcc, 32, v240
	scratch_load_dwordx4 v[48:51], off, off offset:640
	scratch_load_dwordx4 v[56:59], off, off offset:656
	;; [unrolled: 1-line block ×3, first 2 shown]
	s_waitcnt vmcnt(21) lgkmcnt(3)
	v_mul_f64 v[24:25], v[16:17], v[22:23]
	v_fmac_f64_e32 v[24:25], v[18:19], v[20:21]
	v_add_f64 v[28:29], v[24:25], 0
	scratch_load_dwordx4 v[24:27], off, off offset:576
	v_mul_f64 v[18:19], v[18:19], v[22:23]
	v_fma_f64 v[16:17], v[16:17], v[20:21], -v[18:19]
	v_add_f64 v[16:17], v[16:17], 0
	s_waitcnt vmcnt(0) lgkmcnt(2)
	v_mul_f64 v[30:31], v[12:13], v[26:27]
	v_fmac_f64_e32 v[30:31], v[14:15], v[24:25]
	v_add_f64 v[32:33], v[28:29], v[30:31]
	scratch_load_dwordx4 v[28:31], off, off offset:592
	v_mul_f64 v[14:15], v[14:15], v[26:27]
	v_fma_f64 v[12:13], v[12:13], v[24:25], -v[14:15]
	v_add_f64 v[12:13], v[16:17], v[12:13]
	;; [unrolled: 8-line block ×3, first 2 shown]
	s_waitcnt vmcnt(0) lgkmcnt(0)
	v_mul_f64 v[38:39], v[4:5], v[34:35]
	v_fmac_f64_e32 v[38:39], v[6:7], v[32:33]
	v_add_f64 v[44:45], v[36:37], v[38:39]
	ds_read_b128 v[36:39], v2 offset:1552
	v_mul_f64 v[6:7], v[6:7], v[34:35]
	v_fma_f64 v[4:5], v[4:5], v[32:33], -v[6:7]
	v_add_f64 v[4:5], v[8:9], v[4:5]
	s_waitcnt lgkmcnt(0)
	v_mul_f64 v[46:47], v[36:37], v[42:43]
	v_fmac_f64_e32 v[46:47], v[38:39], v[40:41]
	v_add_f64 v[52:53], v[44:45], v[46:47]
	ds_read_b128 v[44:47], v2 offset:1568
	v_mul_f64 v[6:7], v[38:39], v[42:43]
	v_fma_f64 v[6:7], v[36:37], v[40:41], -v[6:7]
	v_add_f64 v[4:5], v[4:5], v[6:7]
	s_waitcnt lgkmcnt(0)
	;; [unrolled: 8-line block ×21, first 2 shown]
	v_mul_f64 v[6:7], v[200:201], v[204:205]
	v_fma_f64 v[6:7], v[198:199], v[202:203], -v[6:7]
	v_add_f64 v[8:9], v[4:5], v[6:7]
	scratch_load_dwordx4 v[4:7], off, off offset:544
	v_mul_f64 v[206:207], v[198:199], v[204:205]
	v_fmac_f64_e32 v[206:207], v[200:201], v[202:203]
	v_add_f64 v[144:145], v[144:145], v[206:207]
	s_waitcnt vmcnt(0)
	v_add_f64 v[4:5], v[4:5], -v[8:9]
	v_add_f64 v[6:7], v[6:7], -v[144:145]
	scratch_store_dwordx4 off, v[4:7], off offset:544
	s_and_saveexec_b64 s[0:1], vcc
	s_cbranch_execz .LBB122_303
; %bb.302:
	scratch_load_dwordx4 v[6:9], off, s43
	v_mov_b32_e32 v3, v2
	v_mov_b32_e32 v4, v2
	;; [unrolled: 1-line block ×3, first 2 shown]
	v_accvgpr_read_b32 v0, a119
	scratch_store_dwordx4 off, v[2:5], off offset:528
	s_waitcnt vmcnt(1)
	ds_write_b128 v0, v[6:9]
.LBB122_303:
	s_or_b64 exec, exec, s[0:1]
	s_waitcnt lgkmcnt(0)
	; wave barrier
	ds_read_b128 v[16:19], v2 offset:1472
	ds_read_b128 v[12:15], v2 offset:1488
	;; [unrolled: 1-line block ×4, first 2 shown]
	scratch_load_dwordx4 v[20:23], off, off offset:544
	scratch_load_dwordx4 v[40:43], off, off offset:608
	;; [unrolled: 1-line block ×20, first 2 shown]
	v_cmp_lt_u32_e32 vcc, 31, v240
	scratch_load_dwordx4 v[48:51], off, off offset:624
	scratch_load_dwordx4 v[56:59], off, off offset:640
	;; [unrolled: 1-line block ×3, first 2 shown]
	s_waitcnt vmcnt(22) lgkmcnt(3)
	v_mul_f64 v[24:25], v[16:17], v[22:23]
	v_fmac_f64_e32 v[24:25], v[18:19], v[20:21]
	v_add_f64 v[28:29], v[24:25], 0
	scratch_load_dwordx4 v[24:27], off, off offset:560
	s_waitcnt vmcnt(0) lgkmcnt(2)
	v_mul_f64 v[30:31], v[12:13], v[26:27]
	v_fmac_f64_e32 v[30:31], v[14:15], v[24:25]
	v_add_f64 v[32:33], v[28:29], v[30:31]
	scratch_load_dwordx4 v[28:31], off, off offset:576
	v_mul_f64 v[14:15], v[14:15], v[26:27]
	v_fma_f64 v[12:13], v[12:13], v[24:25], -v[14:15]
	s_waitcnt vmcnt(0) lgkmcnt(1)
	v_mul_f64 v[34:35], v[8:9], v[30:31]
	v_fmac_f64_e32 v[34:35], v[10:11], v[28:29]
	v_add_f64 v[36:37], v[32:33], v[34:35]
	scratch_load_dwordx4 v[32:35], off, off offset:592
	v_mul_f64 v[10:11], v[10:11], v[30:31]
	v_fma_f64 v[8:9], v[8:9], v[28:29], -v[10:11]
	s_waitcnt vmcnt(0) lgkmcnt(0)
	v_mul_f64 v[38:39], v[4:5], v[34:35]
	v_fmac_f64_e32 v[38:39], v[6:7], v[32:33]
	v_add_f64 v[44:45], v[36:37], v[38:39]
	ds_read_b128 v[36:39], v2 offset:1536
	v_mul_f64 v[6:7], v[6:7], v[34:35]
	v_fma_f64 v[4:5], v[4:5], v[32:33], -v[6:7]
	s_waitcnt lgkmcnt(0)
	v_mul_f64 v[46:47], v[36:37], v[42:43]
	v_fmac_f64_e32 v[46:47], v[38:39], v[40:41]
	v_add_f64 v[52:53], v[44:45], v[46:47]
	ds_read_b128 v[44:47], v2 offset:1552
	s_waitcnt lgkmcnt(0)
	v_mul_f64 v[54:55], v[44:45], v[50:51]
	v_fmac_f64_e32 v[54:55], v[46:47], v[48:49]
	v_add_f64 v[60:61], v[52:53], v[54:55]
	ds_read_b128 v[52:55], v2 offset:1568
	;; [unrolled: 5-line block ×21, first 2 shown]
	s_waitcnt lgkmcnt(0)
	v_mul_f64 v[2:3], v[206:207], v[212:213]
	v_fmac_f64_e32 v[2:3], v[208:209], v[210:211]
	v_add_f64 v[168:169], v[168:169], v[2:3]
	v_mul_f64 v[2:3], v[18:19], v[22:23]
	v_fma_f64 v[2:3], v[16:17], v[20:21], -v[2:3]
	v_add_f64 v[2:3], v[2:3], 0
	v_add_f64 v[2:3], v[2:3], v[12:13]
	v_add_f64 v[2:3], v[2:3], v[8:9]
	v_add_f64 v[2:3], v[2:3], v[4:5]
	v_mul_f64 v[4:5], v[38:39], v[42:43]
	v_fma_f64 v[4:5], v[36:37], v[40:41], -v[4:5]
	v_add_f64 v[2:3], v[2:3], v[4:5]
	v_mul_f64 v[4:5], v[46:47], v[50:51]
	v_fma_f64 v[4:5], v[44:45], v[48:49], -v[4:5]
	v_add_f64 v[2:3], v[2:3], v[4:5]
	v_mul_f64 v[4:5], v[54:55], v[58:59]
	v_fma_f64 v[4:5], v[52:53], v[56:57], -v[4:5]
	v_add_f64 v[2:3], v[2:3], v[4:5]
	v_mul_f64 v[4:5], v[62:63], v[66:67]
	v_fma_f64 v[4:5], v[60:61], v[64:65], -v[4:5]
	v_add_f64 v[2:3], v[2:3], v[4:5]
	v_mul_f64 v[4:5], v[70:71], v[74:75]
	v_fma_f64 v[4:5], v[68:69], v[72:73], -v[4:5]
	v_add_f64 v[2:3], v[2:3], v[4:5]
	v_mul_f64 v[4:5], v[78:79], v[82:83]
	v_fma_f64 v[4:5], v[76:77], v[80:81], -v[4:5]
	v_add_f64 v[2:3], v[2:3], v[4:5]
	v_mul_f64 v[4:5], v[86:87], v[90:91]
	v_fma_f64 v[4:5], v[84:85], v[88:89], -v[4:5]
	v_add_f64 v[2:3], v[2:3], v[4:5]
	v_mul_f64 v[4:5], v[94:95], v[98:99]
	v_fma_f64 v[4:5], v[92:93], v[96:97], -v[4:5]
	v_add_f64 v[2:3], v[2:3], v[4:5]
	v_mul_f64 v[4:5], v[102:103], v[106:107]
	v_fma_f64 v[4:5], v[100:101], v[104:105], -v[4:5]
	v_add_f64 v[2:3], v[2:3], v[4:5]
	v_mul_f64 v[4:5], v[110:111], v[114:115]
	v_fma_f64 v[4:5], v[108:109], v[112:113], -v[4:5]
	v_add_f64 v[2:3], v[2:3], v[4:5]
	v_mul_f64 v[4:5], v[118:119], v[122:123]
	v_fma_f64 v[4:5], v[116:117], v[120:121], -v[4:5]
	v_add_f64 v[2:3], v[2:3], v[4:5]
	v_mul_f64 v[4:5], v[126:127], v[130:131]
	v_fma_f64 v[4:5], v[124:125], v[128:129], -v[4:5]
	v_add_f64 v[2:3], v[2:3], v[4:5]
	v_mul_f64 v[4:5], v[134:135], v[138:139]
	v_fma_f64 v[4:5], v[132:133], v[136:137], -v[4:5]
	v_add_f64 v[2:3], v[2:3], v[4:5]
	v_mul_f64 v[4:5], v[142:143], v[146:147]
	v_fma_f64 v[4:5], v[140:141], v[144:145], -v[4:5]
	v_add_f64 v[2:3], v[2:3], v[4:5]
	v_mul_f64 v[4:5], v[150:151], v[154:155]
	v_fma_f64 v[4:5], v[148:149], v[152:153], -v[4:5]
	v_add_f64 v[2:3], v[2:3], v[4:5]
	v_mul_f64 v[4:5], v[158:159], v[162:163]
	v_fma_f64 v[4:5], v[156:157], v[160:161], -v[4:5]
	v_add_f64 v[2:3], v[2:3], v[4:5]
	v_mul_f64 v[4:5], v[166:167], v[172:173]
	v_fma_f64 v[4:5], v[164:165], v[170:171], -v[4:5]
	v_add_f64 v[2:3], v[2:3], v[4:5]
	v_mul_f64 v[4:5], v[176:177], v[180:181]
	v_fma_f64 v[4:5], v[174:175], v[178:179], -v[4:5]
	v_add_f64 v[2:3], v[2:3], v[4:5]
	v_mul_f64 v[4:5], v[184:185], v[188:189]
	v_fma_f64 v[4:5], v[182:183], v[186:187], -v[4:5]
	v_add_f64 v[2:3], v[2:3], v[4:5]
	v_mul_f64 v[4:5], v[192:193], v[196:197]
	v_fma_f64 v[4:5], v[190:191], v[194:195], -v[4:5]
	v_add_f64 v[2:3], v[2:3], v[4:5]
	v_mul_f64 v[4:5], v[200:201], v[204:205]
	v_fma_f64 v[4:5], v[198:199], v[202:203], -v[4:5]
	v_add_f64 v[2:3], v[2:3], v[4:5]
	v_mul_f64 v[4:5], v[208:209], v[212:213]
	v_fma_f64 v[4:5], v[206:207], v[210:211], -v[4:5]
	v_add_f64 v[6:7], v[2:3], v[4:5]
	scratch_load_dwordx4 v[2:5], off, off offset:528
	s_waitcnt vmcnt(0)
	v_add_f64 v[2:3], v[2:3], -v[6:7]
	v_add_f64 v[4:5], v[4:5], -v[168:169]
	scratch_store_dwordx4 off, v[2:5], off offset:528
	s_and_saveexec_b64 s[0:1], vcc
	s_cbranch_execz .LBB122_305
; %bb.304:
	scratch_load_dwordx4 v[2:5], off, s44
	v_mov_b32_e32 v6, 0
	v_mov_b32_e32 v7, v6
	v_mov_b32_e32 v8, v6
	v_mov_b32_e32 v9, v6
	v_accvgpr_read_b32 v0, a119
	scratch_store_dwordx4 off, v[6:9], off offset:512
	s_waitcnt vmcnt(1)
	ds_write_b128 v0, v[2:5]
.LBB122_305:
	s_or_b64 exec, exec, s[0:1]
	v_mov_b32_e32 v2, 0
	s_waitcnt lgkmcnt(0)
	; wave barrier
	ds_read_b128 v[16:19], v2 offset:1456
	ds_read_b128 v[12:15], v2 offset:1472
	;; [unrolled: 1-line block ×4, first 2 shown]
	scratch_load_dwordx4 v[20:23], off, off offset:528
	scratch_load_dwordx4 v[40:43], off, off offset:592
	;; [unrolled: 1-line block ×21, first 2 shown]
	v_cmp_lt_u32_e32 vcc, 30, v240
	scratch_load_dwordx4 v[48:51], off, off offset:608
	scratch_load_dwordx4 v[56:59], off, off offset:624
	;; [unrolled: 1-line block ×3, first 2 shown]
	s_waitcnt vmcnt(23) lgkmcnt(3)
	v_mul_f64 v[24:25], v[16:17], v[22:23]
	v_fmac_f64_e32 v[24:25], v[18:19], v[20:21]
	v_add_f64 v[28:29], v[24:25], 0
	scratch_load_dwordx4 v[24:27], off, off offset:544
	v_mul_f64 v[18:19], v[18:19], v[22:23]
	v_fma_f64 v[16:17], v[16:17], v[20:21], -v[18:19]
	v_add_f64 v[16:17], v[16:17], 0
	s_waitcnt vmcnt(0) lgkmcnt(2)
	v_mul_f64 v[30:31], v[12:13], v[26:27]
	v_fmac_f64_e32 v[30:31], v[14:15], v[24:25]
	v_add_f64 v[32:33], v[28:29], v[30:31]
	scratch_load_dwordx4 v[28:31], off, off offset:560
	v_mul_f64 v[14:15], v[14:15], v[26:27]
	v_fma_f64 v[12:13], v[12:13], v[24:25], -v[14:15]
	v_add_f64 v[12:13], v[16:17], v[12:13]
	;; [unrolled: 8-line block ×3, first 2 shown]
	s_waitcnt vmcnt(0) lgkmcnt(0)
	v_mul_f64 v[38:39], v[4:5], v[34:35]
	v_fmac_f64_e32 v[38:39], v[6:7], v[32:33]
	v_add_f64 v[44:45], v[36:37], v[38:39]
	ds_read_b128 v[36:39], v2 offset:1520
	v_mul_f64 v[6:7], v[6:7], v[34:35]
	v_fma_f64 v[4:5], v[4:5], v[32:33], -v[6:7]
	v_add_f64 v[4:5], v[8:9], v[4:5]
	s_waitcnt lgkmcnt(0)
	v_mul_f64 v[46:47], v[36:37], v[42:43]
	v_fmac_f64_e32 v[46:47], v[38:39], v[40:41]
	v_add_f64 v[52:53], v[44:45], v[46:47]
	ds_read_b128 v[44:47], v2 offset:1536
	v_mul_f64 v[6:7], v[38:39], v[42:43]
	v_fma_f64 v[6:7], v[36:37], v[40:41], -v[6:7]
	v_add_f64 v[4:5], v[4:5], v[6:7]
	s_waitcnt lgkmcnt(0)
	;; [unrolled: 8-line block ×23, first 2 shown]
	v_mul_f64 v[6:7], v[216:217], v[220:221]
	v_fma_f64 v[6:7], v[214:215], v[218:219], -v[6:7]
	v_add_f64 v[8:9], v[4:5], v[6:7]
	scratch_load_dwordx4 v[4:7], off, off offset:512
	v_mul_f64 v[222:223], v[214:215], v[220:221]
	v_fmac_f64_e32 v[222:223], v[216:217], v[218:219]
	v_add_f64 v[160:161], v[160:161], v[222:223]
	s_waitcnt vmcnt(0)
	v_add_f64 v[4:5], v[4:5], -v[8:9]
	v_add_f64 v[6:7], v[6:7], -v[160:161]
	scratch_store_dwordx4 off, v[4:7], off offset:512
	s_and_saveexec_b64 s[0:1], vcc
	s_cbranch_execz .LBB122_307
; %bb.306:
	scratch_load_dwordx4 v[6:9], off, s45
	v_mov_b32_e32 v3, v2
	v_mov_b32_e32 v4, v2
	v_mov_b32_e32 v5, v2
	v_accvgpr_read_b32 v0, a119
	scratch_store_dwordx4 off, v[2:5], off offset:496
	s_waitcnt vmcnt(1)
	ds_write_b128 v0, v[6:9]
.LBB122_307:
	s_or_b64 exec, exec, s[0:1]
	s_waitcnt lgkmcnt(0)
	; wave barrier
	ds_read_b128 v[16:19], v2 offset:1440
	ds_read_b128 v[12:15], v2 offset:1456
	;; [unrolled: 1-line block ×4, first 2 shown]
	scratch_load_dwordx4 v[20:23], off, off offset:512
	scratch_load_dwordx4 v[40:43], off, off offset:576
	;; [unrolled: 1-line block ×22, first 2 shown]
	v_cmp_lt_u32_e32 vcc, 29, v240
	scratch_load_dwordx4 v[48:51], off, off offset:592
	scratch_load_dwordx4 v[56:59], off, off offset:608
	;; [unrolled: 1-line block ×3, first 2 shown]
	s_waitcnt vmcnt(24) lgkmcnt(3)
	v_mul_f64 v[24:25], v[16:17], v[22:23]
	v_fmac_f64_e32 v[24:25], v[18:19], v[20:21]
	v_add_f64 v[28:29], v[24:25], 0
	scratch_load_dwordx4 v[24:27], off, off offset:528
	s_waitcnt vmcnt(0) lgkmcnt(2)
	v_mul_f64 v[30:31], v[12:13], v[26:27]
	v_fmac_f64_e32 v[30:31], v[14:15], v[24:25]
	v_add_f64 v[32:33], v[28:29], v[30:31]
	scratch_load_dwordx4 v[28:31], off, off offset:544
	v_mul_f64 v[14:15], v[14:15], v[26:27]
	v_fma_f64 v[12:13], v[12:13], v[24:25], -v[14:15]
	s_waitcnt vmcnt(0) lgkmcnt(1)
	v_mul_f64 v[34:35], v[8:9], v[30:31]
	v_fmac_f64_e32 v[34:35], v[10:11], v[28:29]
	v_add_f64 v[36:37], v[32:33], v[34:35]
	scratch_load_dwordx4 v[32:35], off, off offset:560
	v_mul_f64 v[10:11], v[10:11], v[30:31]
	v_fma_f64 v[8:9], v[8:9], v[28:29], -v[10:11]
	s_waitcnt vmcnt(0) lgkmcnt(0)
	v_mul_f64 v[38:39], v[4:5], v[34:35]
	v_fmac_f64_e32 v[38:39], v[6:7], v[32:33]
	v_add_f64 v[44:45], v[36:37], v[38:39]
	ds_read_b128 v[36:39], v2 offset:1504
	v_mul_f64 v[6:7], v[6:7], v[34:35]
	v_fma_f64 v[4:5], v[4:5], v[32:33], -v[6:7]
	s_waitcnt lgkmcnt(0)
	v_mul_f64 v[46:47], v[36:37], v[42:43]
	v_fmac_f64_e32 v[46:47], v[38:39], v[40:41]
	v_add_f64 v[52:53], v[44:45], v[46:47]
	ds_read_b128 v[44:47], v2 offset:1520
	s_waitcnt lgkmcnt(0)
	v_mul_f64 v[54:55], v[44:45], v[50:51]
	v_fmac_f64_e32 v[54:55], v[46:47], v[48:49]
	v_add_f64 v[60:61], v[52:53], v[54:55]
	ds_read_b128 v[52:55], v2 offset:1536
	;; [unrolled: 5-line block ×23, first 2 shown]
	s_waitcnt lgkmcnt(0)
	v_mul_f64 v[2:3], v[222:223], v[228:229]
	v_fmac_f64_e32 v[2:3], v[224:225], v[226:227]
	v_add_f64 v[176:177], v[176:177], v[2:3]
	v_mul_f64 v[2:3], v[18:19], v[22:23]
	v_fma_f64 v[2:3], v[16:17], v[20:21], -v[2:3]
	v_add_f64 v[2:3], v[2:3], 0
	v_add_f64 v[2:3], v[2:3], v[12:13]
	;; [unrolled: 1-line block ×4, first 2 shown]
	v_mul_f64 v[4:5], v[38:39], v[42:43]
	v_fma_f64 v[4:5], v[36:37], v[40:41], -v[4:5]
	v_add_f64 v[2:3], v[2:3], v[4:5]
	v_mul_f64 v[4:5], v[46:47], v[50:51]
	v_fma_f64 v[4:5], v[44:45], v[48:49], -v[4:5]
	v_add_f64 v[2:3], v[2:3], v[4:5]
	;; [unrolled: 3-line block ×24, first 2 shown]
	scratch_load_dwordx4 v[2:5], off, off offset:496
	s_waitcnt vmcnt(0)
	v_add_f64 v[2:3], v[2:3], -v[6:7]
	v_add_f64 v[4:5], v[4:5], -v[176:177]
	scratch_store_dwordx4 off, v[2:5], off offset:496
	s_and_saveexec_b64 s[0:1], vcc
	s_cbranch_execz .LBB122_309
; %bb.308:
	scratch_load_dwordx4 v[2:5], off, s46
	v_mov_b32_e32 v6, 0
	v_mov_b32_e32 v7, v6
	;; [unrolled: 1-line block ×4, first 2 shown]
	v_accvgpr_read_b32 v0, a119
	scratch_store_dwordx4 off, v[6:9], off offset:480
	s_waitcnt vmcnt(1)
	ds_write_b128 v0, v[2:5]
.LBB122_309:
	s_or_b64 exec, exec, s[0:1]
	v_mov_b32_e32 v2, 0
	s_waitcnt lgkmcnt(0)
	; wave barrier
	ds_read_b128 v[16:19], v2 offset:1424
	ds_read_b128 v[12:15], v2 offset:1440
	;; [unrolled: 1-line block ×4, first 2 shown]
	scratch_load_dwordx4 v[20:23], off, off offset:496
	scratch_load_dwordx4 v[40:43], off, off offset:560
	;; [unrolled: 1-line block ×23, first 2 shown]
	v_cmp_lt_u32_e32 vcc, 28, v240
	scratch_load_dwordx4 v[48:51], off, off offset:576
	scratch_load_dwordx4 v[56:59], off, off offset:592
	;; [unrolled: 1-line block ×3, first 2 shown]
	s_waitcnt vmcnt(25) lgkmcnt(3)
	v_mul_f64 v[24:25], v[16:17], v[22:23]
	v_fmac_f64_e32 v[24:25], v[18:19], v[20:21]
	v_add_f64 v[28:29], v[24:25], 0
	scratch_load_dwordx4 v[24:27], off, off offset:512
	v_mul_f64 v[18:19], v[18:19], v[22:23]
	v_fma_f64 v[16:17], v[16:17], v[20:21], -v[18:19]
	v_add_f64 v[16:17], v[16:17], 0
	s_waitcnt vmcnt(0) lgkmcnt(2)
	v_mul_f64 v[30:31], v[12:13], v[26:27]
	v_fmac_f64_e32 v[30:31], v[14:15], v[24:25]
	v_add_f64 v[32:33], v[28:29], v[30:31]
	scratch_load_dwordx4 v[28:31], off, off offset:528
	v_mul_f64 v[14:15], v[14:15], v[26:27]
	v_fma_f64 v[12:13], v[12:13], v[24:25], -v[14:15]
	v_add_f64 v[12:13], v[16:17], v[12:13]
	;; [unrolled: 8-line block ×3, first 2 shown]
	s_waitcnt vmcnt(0) lgkmcnt(0)
	v_mul_f64 v[38:39], v[4:5], v[34:35]
	v_fmac_f64_e32 v[38:39], v[6:7], v[32:33]
	v_add_f64 v[44:45], v[36:37], v[38:39]
	ds_read_b128 v[36:39], v2 offset:1488
	v_mul_f64 v[6:7], v[6:7], v[34:35]
	v_fma_f64 v[4:5], v[4:5], v[32:33], -v[6:7]
	v_add_f64 v[4:5], v[8:9], v[4:5]
	s_waitcnt lgkmcnt(0)
	v_mul_f64 v[46:47], v[36:37], v[42:43]
	v_fmac_f64_e32 v[46:47], v[38:39], v[40:41]
	v_add_f64 v[52:53], v[44:45], v[46:47]
	ds_read_b128 v[44:47], v2 offset:1504
	v_mul_f64 v[6:7], v[38:39], v[42:43]
	v_fma_f64 v[6:7], v[36:37], v[40:41], -v[6:7]
	v_add_f64 v[4:5], v[4:5], v[6:7]
	s_waitcnt lgkmcnt(0)
	;; [unrolled: 8-line block ×25, first 2 shown]
	v_mul_f64 v[6:7], v[232:233], v[236:237]
	v_fma_f64 v[6:7], v[230:231], v[234:235], -v[6:7]
	v_add_f64 v[8:9], v[4:5], v[6:7]
	scratch_load_dwordx4 v[4:7], off, off offset:480
	v_mul_f64 v[238:239], v[230:231], v[236:237]
	v_fmac_f64_e32 v[238:239], v[232:233], v[234:235]
	v_add_f64 v[176:177], v[176:177], v[238:239]
	s_waitcnt vmcnt(0)
	v_add_f64 v[4:5], v[4:5], -v[8:9]
	v_add_f64 v[6:7], v[6:7], -v[176:177]
	scratch_store_dwordx4 off, v[4:7], off offset:480
	s_and_saveexec_b64 s[0:1], vcc
	s_cbranch_execz .LBB122_311
; %bb.310:
	scratch_load_dwordx4 v[6:9], off, s47
	v_mov_b32_e32 v3, v2
	v_mov_b32_e32 v4, v2
	;; [unrolled: 1-line block ×3, first 2 shown]
	v_accvgpr_read_b32 v0, a119
	scratch_store_dwordx4 off, v[2:5], off offset:464
	s_waitcnt vmcnt(1)
	ds_write_b128 v0, v[6:9]
.LBB122_311:
	s_or_b64 exec, exec, s[0:1]
	s_waitcnt lgkmcnt(0)
	; wave barrier
	ds_read_b128 v[16:19], v2 offset:1408
	ds_read_b128 v[12:15], v2 offset:1424
	;; [unrolled: 1-line block ×4, first 2 shown]
	scratch_load_dwordx4 v[20:23], off, off offset:480
	scratch_load_dwordx4 v[40:43], off, off offset:544
	;; [unrolled: 1-line block ×24, first 2 shown]
	v_cmp_lt_u32_e32 vcc, 27, v240
	scratch_load_dwordx4 v[48:51], off, off offset:560
	scratch_load_dwordx4 v[56:59], off, off offset:576
	;; [unrolled: 1-line block ×3, first 2 shown]
	ds_read_b128 v[246:249], v2 offset:1872
	s_waitcnt vmcnt(26) lgkmcnt(4)
	v_mul_f64 v[24:25], v[16:17], v[22:23]
	v_fmac_f64_e32 v[24:25], v[18:19], v[20:21]
	v_add_f64 v[28:29], v[24:25], 0
	scratch_load_dwordx4 v[24:27], off, off offset:496
	s_waitcnt vmcnt(0) lgkmcnt(3)
	v_mul_f64 v[30:31], v[12:13], v[26:27]
	v_fmac_f64_e32 v[30:31], v[14:15], v[24:25]
	v_add_f64 v[32:33], v[28:29], v[30:31]
	scratch_load_dwordx4 v[28:31], off, off offset:512
	v_mul_f64 v[14:15], v[14:15], v[26:27]
	v_fma_f64 v[12:13], v[12:13], v[24:25], -v[14:15]
	s_waitcnt vmcnt(0) lgkmcnt(2)
	v_mul_f64 v[34:35], v[8:9], v[30:31]
	v_fmac_f64_e32 v[34:35], v[10:11], v[28:29]
	v_add_f64 v[36:37], v[32:33], v[34:35]
	scratch_load_dwordx4 v[32:35], off, off offset:528
	v_mul_f64 v[10:11], v[10:11], v[30:31]
	v_fma_f64 v[8:9], v[8:9], v[28:29], -v[10:11]
	s_waitcnt vmcnt(0) lgkmcnt(1)
	v_mul_f64 v[38:39], v[4:5], v[34:35]
	v_fmac_f64_e32 v[38:39], v[6:7], v[32:33]
	v_add_f64 v[44:45], v[36:37], v[38:39]
	ds_read_b128 v[36:39], v2 offset:1472
	v_mul_f64 v[6:7], v[6:7], v[34:35]
	v_fma_f64 v[4:5], v[4:5], v[32:33], -v[6:7]
	s_waitcnt lgkmcnt(0)
	v_mul_f64 v[46:47], v[36:37], v[42:43]
	v_fmac_f64_e32 v[46:47], v[38:39], v[40:41]
	v_add_f64 v[52:53], v[44:45], v[46:47]
	ds_read_b128 v[44:47], v2 offset:1488
	s_waitcnt lgkmcnt(0)
	v_mul_f64 v[54:55], v[44:45], v[50:51]
	v_fmac_f64_e32 v[54:55], v[46:47], v[48:49]
	v_add_f64 v[60:61], v[52:53], v[54:55]
	ds_read_b128 v[52:55], v2 offset:1504
	;; [unrolled: 5-line block ×24, first 2 shown]
	v_mul_f64 v[2:3], v[246:247], v[252:253]
	v_fmac_f64_e32 v[2:3], v[248:249], v[250:251]
	s_waitcnt lgkmcnt(0)
	v_mul_f64 v[238:239], v[230:231], v[236:237]
	v_fmac_f64_e32 v[238:239], v[232:233], v[234:235]
	v_add_f64 v[184:185], v[184:185], v[238:239]
	v_add_f64 v[184:185], v[184:185], v[2:3]
	v_mul_f64 v[2:3], v[18:19], v[22:23]
	v_fma_f64 v[2:3], v[16:17], v[20:21], -v[2:3]
	v_add_f64 v[2:3], v[2:3], 0
	v_add_f64 v[2:3], v[2:3], v[12:13]
	v_add_f64 v[2:3], v[2:3], v[8:9]
	v_add_f64 v[2:3], v[2:3], v[4:5]
	v_mul_f64 v[4:5], v[38:39], v[42:43]
	v_fma_f64 v[4:5], v[36:37], v[40:41], -v[4:5]
	v_add_f64 v[2:3], v[2:3], v[4:5]
	v_mul_f64 v[4:5], v[46:47], v[50:51]
	v_fma_f64 v[4:5], v[44:45], v[48:49], -v[4:5]
	v_add_f64 v[2:3], v[2:3], v[4:5]
	;; [unrolled: 3-line block ×26, first 2 shown]
	scratch_load_dwordx4 v[2:5], off, off offset:464
	s_waitcnt vmcnt(0)
	v_add_f64 v[2:3], v[2:3], -v[6:7]
	v_add_f64 v[4:5], v[4:5], -v[184:185]
	scratch_store_dwordx4 off, v[2:5], off offset:464
	s_and_saveexec_b64 s[0:1], vcc
	s_cbranch_execz .LBB122_313
; %bb.312:
	scratch_load_dwordx4 v[2:5], off, s48
	v_mov_b32_e32 v6, 0
	v_mov_b32_e32 v7, v6
	;; [unrolled: 1-line block ×4, first 2 shown]
	v_accvgpr_read_b32 v0, a119
	scratch_store_dwordx4 off, v[6:9], off offset:448
	s_waitcnt vmcnt(1)
	ds_write_b128 v0, v[2:5]
.LBB122_313:
	s_or_b64 exec, exec, s[0:1]
	s_waitcnt lgkmcnt(0)
	; wave barrier
	scratch_load_dwordx4 v[16:19], off, off offset:464
	scratch_load_dwordx4 v[12:15], off, off offset:480
	scratch_load_dwordx4 v[8:11], off, off offset:496
	scratch_load_dwordx4 v[4:7], off, off offset:512
	scratch_load_dwordx4 v[20:23], off, off offset:528
	scratch_load_dwordx4 v[24:27], off, off offset:544
	scratch_load_dwordx4 v[28:31], off, off offset:560
	scratch_load_dwordx4 v[32:35], off, off offset:576
	scratch_load_dwordx4 v[36:39], off, off offset:592
	scratch_load_dwordx4 v[40:43], off, off offset:608
	scratch_load_dwordx4 v[44:47], off, off offset:624
	scratch_load_dwordx4 v[48:51], off, off offset:640
	scratch_load_dwordx4 v[52:55], off, off offset:656
	scratch_load_dwordx4 v[56:59], off, off offset:672
	scratch_load_dwordx4 v[60:63], off, off offset:688
	scratch_load_dwordx4 v[64:67], off, off offset:704
	scratch_load_dwordx4 v[68:71], off, off offset:720
	scratch_load_dwordx4 v[72:75], off, off offset:736
	scratch_load_dwordx4 v[76:79], off, off offset:752
	scratch_load_dwordx4 v[80:83], off, off offset:768
	scratch_load_dwordx4 v[84:87], off, off offset:784
	scratch_load_dwordx4 v[88:91], off, off offset:800
	scratch_load_dwordx4 v[92:95], off, off offset:816
	scratch_load_dwordx4 v[96:99], off, off offset:832
	scratch_load_dwordx4 v[100:103], off, off offset:848
	scratch_load_dwordx4 v[104:107], off, off offset:864
	scratch_load_dwordx4 v[108:111], off, off offset:880
	scratch_load_dwordx4 v[112:115], off, off offset:896
	scratch_load_dwordx4 v[116:119], off, off offset:912
	scratch_load_dwordx4 v[120:123], off, off offset:928
	scratch_load_dwordx4 v[124:127], off, off offset:944
	scratch_load_dwordx4 v[128:131], off, off offset:448
	v_mov_b32_e32 v2, 0
	ds_read_b128 v[132:135], v2 offset:1392
	ds_read_b128 v[136:139], v2 offset:1408
	;; [unrolled: 1-line block ×17, first 2 shown]
	v_cmp_lt_u32_e32 vcc, 26, v240
	s_waitcnt vmcnt(31) lgkmcnt(14)
	v_mul_f64 v[200:201], v[132:133], v[18:19]
	s_waitcnt vmcnt(30)
	v_mul_f64 v[202:203], v[136:137], v[14:15]
	v_fmac_f64_e32 v[200:201], v[134:135], v[16:17]
	s_waitcnt vmcnt(29)
	v_mul_f64 v[204:205], v[140:141], v[10:11]
	v_fmac_f64_e32 v[202:203], v[138:139], v[12:13]
	v_add_f64 v[200:201], v[200:201], 0
	s_waitcnt vmcnt(28) lgkmcnt(13)
	v_mul_f64 v[206:207], v[144:145], v[6:7]
	v_fmac_f64_e32 v[204:205], v[142:143], v[8:9]
	v_add_f64 v[200:201], v[200:201], v[202:203]
	s_waitcnt vmcnt(27) lgkmcnt(12)
	;; [unrolled: 4-line block ×12, first 2 shown]
	v_mul_f64 v[228:229], v[188:189], v[62:63]
	v_fmac_f64_e32 v[226:227], v[186:187], v[56:57]
	v_add_f64 v[200:201], v[200:201], v[224:225]
	v_fmac_f64_e32 v[228:229], v[190:191], v[60:61]
	v_add_f64 v[200:201], v[200:201], v[226:227]
	s_waitcnt vmcnt(16) lgkmcnt(1)
	v_mul_f64 v[202:203], v[192:193], v[66:67]
	v_add_f64 v[200:201], v[200:201], v[228:229]
	v_fmac_f64_e32 v[202:203], v[194:195], v[64:65]
	s_waitcnt vmcnt(15) lgkmcnt(0)
	v_mul_f64 v[206:207], v[196:197], v[70:71]
	v_add_f64 v[204:205], v[200:201], v[202:203]
	ds_read_b128 v[200:203], v2 offset:1664
	v_fmac_f64_e32 v[206:207], v[198:199], v[68:69]
	v_add_f64 v[208:209], v[204:205], v[206:207]
	ds_read_b128 v[204:207], v2 offset:1680
	v_mul_f64 v[18:19], v[134:135], v[18:19]
	s_waitcnt vmcnt(14) lgkmcnt(1)
	v_mul_f64 v[210:211], v[200:201], v[74:75]
	v_fmac_f64_e32 v[210:211], v[202:203], v[72:73]
	v_add_f64 v[212:213], v[208:209], v[210:211]
	s_waitcnt vmcnt(13) lgkmcnt(0)
	v_mul_f64 v[214:215], v[204:205], v[78:79]
	ds_read_b128 v[208:211], v2 offset:1696
	v_fmac_f64_e32 v[214:215], v[206:207], v[76:77]
	v_add_f64 v[216:217], v[212:213], v[214:215]
	ds_read_b128 v[212:215], v2 offset:1712
	v_fma_f64 v[244:245], v[132:133], v[16:17], -v[18:19]
	s_waitcnt vmcnt(12) lgkmcnt(1)
	v_mul_f64 v[218:219], v[208:209], v[82:83]
	v_fmac_f64_e32 v[218:219], v[210:211], v[80:81]
	v_add_f64 v[220:221], v[216:217], v[218:219]
	s_waitcnt vmcnt(11) lgkmcnt(0)
	v_mul_f64 v[222:223], v[212:213], v[86:87]
	ds_read_b128 v[216:219], v2 offset:1728
	v_fmac_f64_e32 v[222:223], v[214:215], v[84:85]
	v_add_f64 v[224:225], v[220:221], v[222:223]
	ds_read_b128 v[220:223], v2 offset:1744
	ds_read_b128 v[16:19], v2 offset:1824
	s_waitcnt vmcnt(10) lgkmcnt(2)
	v_mul_f64 v[226:227], v[216:217], v[90:91]
	v_fmac_f64_e32 v[226:227], v[218:219], v[88:89]
	v_add_f64 v[228:229], v[224:225], v[226:227]
	s_waitcnt vmcnt(9) lgkmcnt(1)
	v_mul_f64 v[230:231], v[220:221], v[94:95]
	ds_read_b128 v[224:227], v2 offset:1760
	v_fmac_f64_e32 v[230:231], v[222:223], v[92:93]
	v_add_f64 v[232:233], v[228:229], v[230:231]
	ds_read_b128 v[228:231], v2 offset:1776
	v_mul_f64 v[14:15], v[138:139], v[14:15]
	s_waitcnt vmcnt(8) lgkmcnt(1)
	v_mul_f64 v[234:235], v[224:225], v[98:99]
	v_fmac_f64_e32 v[234:235], v[226:227], v[96:97]
	v_add_f64 v[236:237], v[232:233], v[234:235]
	s_waitcnt vmcnt(7) lgkmcnt(0)
	v_mul_f64 v[238:239], v[228:229], v[102:103]
	ds_read_b128 v[232:235], v2 offset:1792
	v_fmac_f64_e32 v[238:239], v[230:231], v[100:101]
	v_add_f64 v[242:243], v[236:237], v[238:239]
	ds_read_b128 v[236:239], v2 offset:1808
	v_fma_f64 v[136:137], v[136:137], v[12:13], -v[14:15]
	s_waitcnt vmcnt(6) lgkmcnt(1)
	v_mul_f64 v[132:133], v[232:233], v[106:107]
	v_fmac_f64_e32 v[132:133], v[234:235], v[104:105]
	v_add_f64 v[132:133], v[242:243], v[132:133]
	s_waitcnt vmcnt(5) lgkmcnt(0)
	v_mul_f64 v[134:135], v[236:237], v[110:111]
	v_fmac_f64_e32 v[134:135], v[238:239], v[108:109]
	v_add_f64 v[132:133], v[132:133], v[134:135]
	ds_read_b128 v[12:15], v2 offset:1840
	s_waitcnt vmcnt(4)
	v_mul_f64 v[134:135], v[16:17], v[114:115]
	v_fmac_f64_e32 v[134:135], v[18:19], v[112:113]
	v_add_f64 v[138:139], v[132:133], v[134:135]
	ds_read_b128 v[132:135], v2 offset:1856
	v_mul_f64 v[10:11], v[142:143], v[10:11]
	v_fma_f64 v[140:141], v[140:141], v[8:9], -v[10:11]
	ds_read_b128 v[8:11], v2 offset:1872
	s_waitcnt vmcnt(3) lgkmcnt(2)
	v_mul_f64 v[142:143], v[12:13], v[118:119]
	v_fmac_f64_e32 v[142:143], v[14:15], v[116:117]
	v_add_f64 v[138:139], v[138:139], v[142:143]
	s_waitcnt vmcnt(2) lgkmcnt(1)
	v_mul_f64 v[142:143], v[132:133], v[122:123]
	v_fmac_f64_e32 v[142:143], v[134:135], v[120:121]
	v_add_f64 v[138:139], v[138:139], v[142:143]
	s_waitcnt vmcnt(1) lgkmcnt(0)
	v_mul_f64 v[142:143], v[8:9], v[126:127]
	v_fmac_f64_e32 v[142:143], v[10:11], v[124:125]
	v_add_f64 v[138:139], v[138:139], v[142:143]
	v_add_f64 v[142:143], v[244:245], 0
	v_add_f64 v[136:137], v[142:143], v[136:137]
	v_mul_f64 v[6:7], v[146:147], v[6:7]
	v_add_f64 v[136:137], v[136:137], v[140:141]
	v_fma_f64 v[4:5], v[144:145], v[4:5], -v[6:7]
	v_mul_f64 v[6:7], v[150:151], v[22:23]
	v_add_f64 v[4:5], v[136:137], v[4:5]
	v_fma_f64 v[6:7], v[148:149], v[20:21], -v[6:7]
	v_add_f64 v[4:5], v[4:5], v[6:7]
	v_mul_f64 v[6:7], v[154:155], v[26:27]
	v_fma_f64 v[6:7], v[152:153], v[24:25], -v[6:7]
	v_add_f64 v[4:5], v[4:5], v[6:7]
	v_mul_f64 v[6:7], v[158:159], v[30:31]
	;; [unrolled: 3-line block ×26, first 2 shown]
	v_fma_f64 v[6:7], v[8:9], v[124:125], -v[6:7]
	v_add_f64 v[4:5], v[4:5], v[6:7]
	s_waitcnt vmcnt(0)
	v_add_f64 v[4:5], v[128:129], -v[4:5]
	v_add_f64 v[6:7], v[130:131], -v[138:139]
	scratch_store_dwordx4 off, v[4:7], off offset:448
	s_and_saveexec_b64 s[0:1], vcc
	s_cbranch_execz .LBB122_315
; %bb.314:
	scratch_load_dwordx4 v[6:9], off, s49
	v_mov_b32_e32 v3, v2
	v_mov_b32_e32 v4, v2
	;; [unrolled: 1-line block ×3, first 2 shown]
	v_accvgpr_read_b32 v0, a119
	scratch_store_dwordx4 off, v[2:5], off offset:432
	s_waitcnt vmcnt(1)
	ds_write_b128 v0, v[6:9]
.LBB122_315:
	s_or_b64 exec, exec, s[0:1]
	s_waitcnt lgkmcnt(0)
	; wave barrier
	scratch_load_dwordx4 v[140:143], off, off offset:448
	scratch_load_dwordx4 v[148:151], off, off offset:464
	;; [unrolled: 1-line block ×16, first 2 shown]
	ds_read_b128 v[188:191], v2 offset:1376
	ds_read_b128 v[184:187], v2 offset:1392
	scratch_load_dwordx4 v[56:59], off, off offset:704
	ds_read_b128 v[192:195], v2 offset:1408
	ds_read_b128 v[68:71], v2 offset:1424
	scratch_load_dwordx4 v[60:63], off, off offset:720
	ds_read_b128 v[88:91], v2 offset:1440
	ds_read_b128 v[84:87], v2 offset:1456
	;; [unrolled: 1-line block ×4, first 2 shown]
	scratch_load_dwordx4 v[64:67], off, off offset:736
	ds_read_b128 v[100:103], v2 offset:1504
	ds_read_b128 v[96:99], v2 offset:1520
	scratch_load_dwordx4 v[72:75], off, off offset:752
	ds_read_b128 v[116:119], v2 offset:1536
	ds_read_b128 v[112:115], v2 offset:1552
	;; [unrolled: 1-line block ×4, first 2 shown]
	scratch_load_dwordx4 v[92:95], off, off offset:768
	ds_read_b128 v[132:135], v2 offset:1600
	ds_read_b128 v[128:131], v2 offset:1616
	;; [unrolled: 1-line block ×3, first 2 shown]
	scratch_load_dwordx4 v[120:123], off, off offset:784
	scratch_load_dwordx4 v[136:139], off, off offset:800
	;; [unrolled: 1-line block ×11, first 2 shown]
	v_cmp_lt_u32_e32 vcc, 25, v240
	s_waitcnt vmcnt(31) lgkmcnt(14)
	v_mul_f64 v[200:201], v[188:189], v[142:143]
	s_waitcnt vmcnt(30)
	v_mul_f64 v[202:203], v[184:185], v[150:151]
	v_fmac_f64_e32 v[200:201], v[190:191], v[140:141]
	s_waitcnt vmcnt(29)
	v_mul_f64 v[204:205], v[192:193], v[154:155]
	v_fmac_f64_e32 v[202:203], v[186:187], v[148:149]
	v_add_f64 v[200:201], v[200:201], 0
	s_waitcnt vmcnt(28) lgkmcnt(13)
	v_mul_f64 v[206:207], v[68:69], v[6:7]
	v_fmac_f64_e32 v[204:205], v[194:195], v[152:153]
	v_add_f64 v[200:201], v[200:201], v[202:203]
	s_waitcnt vmcnt(27) lgkmcnt(12)
	;; [unrolled: 4-line block ×13, first 2 shown]
	v_mul_f64 v[230:231], v[128:129], v[54:55]
	v_fmac_f64_e32 v[228:229], v[134:135], v[48:49]
	v_add_f64 v[200:201], v[200:201], v[226:227]
	v_add_f64 v[200:201], v[200:201], v[228:229]
	v_fmac_f64_e32 v[230:231], v[130:131], v[52:53]
	s_waitcnt vmcnt(15) lgkmcnt(0)
	v_mul_f64 v[206:207], v[124:125], v[58:59]
	v_add_f64 v[204:205], v[200:201], v[230:231]
	ds_read_b128 v[200:203], v2 offset:1648
	v_fmac_f64_e32 v[206:207], v[126:127], v[56:57]
	v_add_f64 v[208:209], v[204:205], v[206:207]
	ds_read_b128 v[204:207], v2 offset:1664
	v_mul_f64 v[142:143], v[190:191], v[142:143]
	s_waitcnt vmcnt(14) lgkmcnt(1)
	v_mul_f64 v[210:211], v[200:201], v[62:63]
	v_fmac_f64_e32 v[210:211], v[202:203], v[60:61]
	v_add_f64 v[212:213], v[208:209], v[210:211]
	s_waitcnt vmcnt(13) lgkmcnt(0)
	v_mul_f64 v[214:215], v[204:205], v[66:67]
	ds_read_b128 v[208:211], v2 offset:1680
	v_fmac_f64_e32 v[214:215], v[206:207], v[64:65]
	v_add_f64 v[216:217], v[212:213], v[214:215]
	ds_read_b128 v[212:215], v2 offset:1696
	v_fma_f64 v[246:247], v[188:189], v[140:141], -v[142:143]
	s_waitcnt vmcnt(12) lgkmcnt(1)
	v_mul_f64 v[218:219], v[208:209], v[74:75]
	v_fmac_f64_e32 v[218:219], v[210:211], v[72:73]
	v_add_f64 v[220:221], v[216:217], v[218:219]
	s_waitcnt vmcnt(11) lgkmcnt(0)
	v_mul_f64 v[222:223], v[212:213], v[94:95]
	ds_read_b128 v[216:219], v2 offset:1712
	v_fmac_f64_e32 v[222:223], v[214:215], v[92:93]
	v_add_f64 v[224:225], v[220:221], v[222:223]
	ds_read_b128 v[220:223], v2 offset:1728
	ds_read_b128 v[140:143], v2 offset:1808
	s_waitcnt vmcnt(10) lgkmcnt(2)
	v_mul_f64 v[226:227], v[216:217], v[122:123]
	v_fmac_f64_e32 v[226:227], v[218:219], v[120:121]
	v_add_f64 v[228:229], v[224:225], v[226:227]
	s_waitcnt vmcnt(9) lgkmcnt(1)
	v_mul_f64 v[230:231], v[220:221], v[138:139]
	ds_read_b128 v[224:227], v2 offset:1744
	v_fmac_f64_e32 v[230:231], v[222:223], v[136:137]
	v_add_f64 v[232:233], v[228:229], v[230:231]
	ds_read_b128 v[228:231], v2 offset:1760
	v_mul_f64 v[150:151], v[186:187], v[150:151]
	s_waitcnt vmcnt(8) lgkmcnt(1)
	v_mul_f64 v[234:235], v[224:225], v[146:147]
	v_fmac_f64_e32 v[234:235], v[226:227], v[144:145]
	v_add_f64 v[236:237], v[232:233], v[234:235]
	s_waitcnt vmcnt(7) lgkmcnt(0)
	v_mul_f64 v[238:239], v[228:229], v[158:159]
	ds_read_b128 v[232:235], v2 offset:1776
	v_fmac_f64_e32 v[238:239], v[230:231], v[156:157]
	v_add_f64 v[242:243], v[236:237], v[238:239]
	ds_read_b128 v[236:239], v2 offset:1792
	v_fma_f64 v[248:249], v[184:185], v[148:149], -v[150:151]
	s_waitcnt vmcnt(6) lgkmcnt(1)
	v_mul_f64 v[244:245], v[232:233], v[162:163]
	v_fmac_f64_e32 v[244:245], v[234:235], v[160:161]
	ds_read_b128 v[148:151], v2 offset:1824
	s_waitcnt vmcnt(5) lgkmcnt(1)
	v_mul_f64 v[188:189], v[236:237], v[166:167]
	v_add_f64 v[242:243], v[242:243], v[244:245]
	v_fmac_f64_e32 v[188:189], v[238:239], v[164:165]
	s_waitcnt vmcnt(4)
	v_mul_f64 v[184:185], v[140:141], v[170:171]
	v_add_f64 v[188:189], v[242:243], v[188:189]
	v_fmac_f64_e32 v[184:185], v[142:143], v[168:169]
	v_add_f64 v[188:189], v[188:189], v[184:185]
	ds_read_b128 v[184:187], v2 offset:1840
	v_mul_f64 v[154:155], v[194:195], v[154:155]
	s_waitcnt vmcnt(3) lgkmcnt(1)
	v_mul_f64 v[190:191], v[148:149], v[174:175]
	v_fma_f64 v[244:245], v[192:193], v[152:153], -v[154:155]
	ds_read_b128 v[152:155], v2 offset:1856
	v_fmac_f64_e32 v[190:191], v[150:151], v[172:173]
	v_add_f64 v[242:243], v[188:189], v[190:191]
	ds_read_b128 v[188:191], v2 offset:1872
	s_waitcnt vmcnt(2) lgkmcnt(2)
	v_mul_f64 v[192:193], v[184:185], v[178:179]
	v_fmac_f64_e32 v[192:193], v[186:187], v[176:177]
	v_add_f64 v[2:3], v[242:243], v[192:193]
	s_waitcnt vmcnt(1) lgkmcnt(1)
	v_mul_f64 v[192:193], v[152:153], v[182:183]
	v_fmac_f64_e32 v[192:193], v[154:155], v[180:181]
	v_add_f64 v[2:3], v[2:3], v[192:193]
	s_waitcnt vmcnt(0) lgkmcnt(0)
	v_mul_f64 v[192:193], v[188:189], v[198:199]
	v_fmac_f64_e32 v[192:193], v[190:191], v[196:197]
	v_add_f64 v[2:3], v[2:3], v[192:193]
	scratch_load_dwordx4 v[192:195], off, off offset:432
	v_add_f64 v[242:243], v[246:247], 0
	v_add_f64 v[242:243], v[242:243], v[248:249]
	v_mul_f64 v[6:7], v[70:71], v[6:7]
	v_add_f64 v[242:243], v[242:243], v[244:245]
	v_fma_f64 v[4:5], v[68:69], v[4:5], -v[6:7]
	v_mul_f64 v[6:7], v[90:91], v[10:11]
	v_add_f64 v[4:5], v[242:243], v[4:5]
	v_fma_f64 v[6:7], v[88:89], v[8:9], -v[6:7]
	v_add_f64 v[4:5], v[4:5], v[6:7]
	v_mul_f64 v[6:7], v[86:87], v[14:15]
	v_fma_f64 v[6:7], v[84:85], v[12:13], -v[6:7]
	v_add_f64 v[4:5], v[4:5], v[6:7]
	v_mul_f64 v[6:7], v[82:83], v[18:19]
	;; [unrolled: 3-line block ×27, first 2 shown]
	v_fma_f64 v[6:7], v[188:189], v[196:197], -v[6:7]
	v_add_f64 v[4:5], v[4:5], v[6:7]
	s_waitcnt vmcnt(0)
	v_add_f64 v[4:5], v[192:193], -v[4:5]
	v_add_f64 v[6:7], v[194:195], -v[2:3]
	scratch_store_dwordx4 off, v[4:7], off offset:432
	s_and_saveexec_b64 s[0:1], vcc
	s_cbranch_execz .LBB122_317
; %bb.316:
	scratch_load_dwordx4 v[2:5], off, s50
	v_mov_b32_e32 v6, 0
	v_mov_b32_e32 v7, v6
	;; [unrolled: 1-line block ×4, first 2 shown]
	v_accvgpr_read_b32 v0, a119
	scratch_store_dwordx4 off, v[6:9], off offset:416
	s_waitcnt vmcnt(1)
	ds_write_b128 v0, v[2:5]
.LBB122_317:
	s_or_b64 exec, exec, s[0:1]
	s_waitcnt lgkmcnt(0)
	; wave barrier
	scratch_load_dwordx4 v[108:111], off, off offset:432
	scratch_load_dwordx4 v[116:119], off, off offset:448
	;; [unrolled: 1-line block ×33, first 2 shown]
	v_mov_b32_e32 v2, 0
	ds_read_b128 v[220:223], v2 offset:1360
	ds_read_b128 v[224:227], v2 offset:1376
	;; [unrolled: 1-line block ×16, first 2 shown]
	v_cmp_lt_u32_e32 vcc, 24, v240
	s_waitcnt vmcnt(32) lgkmcnt(14)
	v_mul_f64 v[180:181], v[220:221], v[110:111]
	s_waitcnt vmcnt(31)
	v_mul_f64 v[182:183], v[224:225], v[118:119]
	v_fmac_f64_e32 v[180:181], v[222:223], v[108:109]
	s_waitcnt vmcnt(30) lgkmcnt(13)
	v_mul_f64 v[184:185], v[234:235], v[122:123]
	v_fmac_f64_e32 v[182:183], v[226:227], v[116:117]
	v_add_f64 v[180:181], v[180:181], 0
	s_waitcnt vmcnt(29) lgkmcnt(12)
	v_mul_f64 v[186:187], v[246:247], v[126:127]
	v_fmac_f64_e32 v[184:185], v[236:237], v[120:121]
	v_add_f64 v[180:181], v[180:181], v[182:183]
	;; [unrolled: 4-line block ×13, first 2 shown]
	v_fmac_f64_e32 v[208:209], v[142:143], v[40:41]
	v_add_f64 v[180:181], v[180:181], v[206:207]
	v_add_f64 v[184:185], v[180:181], v[208:209]
	ds_read_b128 v[180:183], v2 offset:1616
	s_waitcnt vmcnt(17) lgkmcnt(1)
	v_mul_f64 v[186:187], v[136:137], v[46:47]
	v_fmac_f64_e32 v[186:187], v[138:139], v[44:45]
	v_add_f64 v[188:189], v[184:185], v[186:187]
	ds_read_b128 v[184:187], v2 offset:1632
	s_waitcnt vmcnt(16) lgkmcnt(1)
	v_mul_f64 v[190:191], v[180:181], v[50:51]
	v_fmac_f64_e32 v[190:191], v[182:183], v[48:49]
	;; [unrolled: 5-line block ×7, first 2 shown]
	v_mul_f64 v[126:127], v[248:249], v[126:127]
	v_add_f64 v[212:213], v[208:209], v[210:211]
	ds_read_b128 v[208:211], v2 offset:1728
	s_waitcnt vmcnt(10) lgkmcnt(1)
	v_mul_f64 v[214:215], v[204:205], v[74:75]
	v_mul_f64 v[122:123], v[236:237], v[122:123]
	v_fma_f64 v[236:237], v[246:247], v[124:125], -v[126:127]
	scratch_load_dwordx4 v[246:249], off, off offset:416
	v_fmac_f64_e32 v[214:215], v[206:207], v[72:73]
	v_add_f64 v[216:217], v[212:213], v[214:215]
	ds_read_b128 v[212:215], v2 offset:1744
	s_waitcnt vmcnt(10) lgkmcnt(1)
	v_mul_f64 v[218:219], v[208:209], v[78:79]
	v_fmac_f64_e32 v[218:219], v[210:211], v[76:77]
	v_add_f64 v[228:229], v[216:217], v[218:219]
	ds_read_b128 v[216:219], v2 offset:1760
	s_waitcnt vmcnt(9) lgkmcnt(1)
	v_mul_f64 v[230:231], v[212:213], v[82:83]
	v_fmac_f64_e32 v[230:231], v[214:215], v[80:81]
	v_mul_f64 v[110:111], v[222:223], v[110:111]
	v_add_f64 v[228:229], v[228:229], v[230:231]
	v_fma_f64 v[230:231], v[220:221], v[108:109], -v[110:111]
	ds_read_b128 v[108:111], v2 offset:1776
	s_waitcnt vmcnt(8) lgkmcnt(1)
	v_mul_f64 v[220:221], v[216:217], v[86:87]
	v_mul_f64 v[118:119], v[226:227], v[118:119]
	v_fmac_f64_e32 v[220:221], v[218:219], v[84:85]
	v_fma_f64 v[232:233], v[224:225], v[116:117], -v[118:119]
	ds_read_b128 v[116:119], v2 offset:1792
	s_waitcnt vmcnt(7) lgkmcnt(1)
	v_mul_f64 v[222:223], v[108:109], v[90:91]
	v_add_f64 v[220:221], v[228:229], v[220:221]
	v_fmac_f64_e32 v[222:223], v[110:111], v[88:89]
	v_add_f64 v[224:225], v[220:221], v[222:223]
	ds_read_b128 v[220:223], v2 offset:1808
	v_fma_f64 v[234:235], v[234:235], v[120:121], -v[122:123]
	ds_read_b128 v[120:123], v2 offset:1824
	s_waitcnt vmcnt(6) lgkmcnt(2)
	v_mul_f64 v[226:227], v[116:117], v[94:95]
	v_fmac_f64_e32 v[226:227], v[118:119], v[92:93]
	v_add_f64 v[224:225], v[224:225], v[226:227]
	s_waitcnt vmcnt(5) lgkmcnt(1)
	v_mul_f64 v[226:227], v[220:221], v[98:99]
	v_add_f64 v[230:231], v[230:231], 0
	v_fmac_f64_e32 v[226:227], v[222:223], v[96:97]
	s_waitcnt vmcnt(4) lgkmcnt(0)
	v_mul_f64 v[238:239], v[120:121], v[102:103]
	v_add_f64 v[230:231], v[230:231], v[232:233]
	v_add_f64 v[228:229], v[224:225], v[226:227]
	v_fmac_f64_e32 v[238:239], v[122:123], v[100:101]
	v_mul_f64 v[130:131], v[252:253], v[130:131]
	v_add_f64 v[230:231], v[230:231], v[234:235]
	v_add_f64 v[228:229], v[228:229], v[238:239]
	v_fma_f64 v[238:239], v[250:251], v[128:129], -v[130:131]
	v_add_f64 v[230:231], v[230:231], v[236:237]
	v_mul_f64 v[6:7], v[178:179], v[6:7]
	v_add_f64 v[230:231], v[230:231], v[238:239]
	v_fma_f64 v[4:5], v[176:177], v[4:5], -v[6:7]
	v_mul_f64 v[6:7], v[174:175], v[10:11]
	v_add_f64 v[4:5], v[230:231], v[4:5]
	v_fma_f64 v[6:7], v[172:173], v[8:9], -v[6:7]
	v_add_f64 v[4:5], v[4:5], v[6:7]
	v_mul_f64 v[6:7], v[170:171], v[14:15]
	v_fma_f64 v[6:7], v[168:169], v[12:13], -v[6:7]
	v_add_f64 v[4:5], v[4:5], v[6:7]
	v_mul_f64 v[6:7], v[166:167], v[18:19]
	;; [unrolled: 3-line block ×21, first 2 shown]
	ds_read_b128 v[124:127], v2 offset:1840
	ds_read_b128 v[224:227], v2 offset:1856
	v_fma_f64 v[6:7], v[116:117], v[92:93], -v[6:7]
	v_add_f64 v[4:5], v[4:5], v[6:7]
	v_mul_f64 v[6:7], v[222:223], v[98:99]
	v_fma_f64 v[6:7], v[220:221], v[96:97], -v[6:7]
	v_add_f64 v[4:5], v[4:5], v[6:7]
	v_mul_f64 v[6:7], v[122:123], v[102:103]
	ds_read_b128 v[128:131], v2 offset:1872
	v_fma_f64 v[6:7], v[120:121], v[100:101], -v[6:7]
	s_waitcnt vmcnt(3) lgkmcnt(2)
	v_mul_f64 v[242:243], v[124:125], v[106:107]
	v_add_f64 v[4:5], v[4:5], v[6:7]
	v_mul_f64 v[6:7], v[126:127], v[106:107]
	v_fmac_f64_e32 v[242:243], v[126:127], v[104:105]
	v_fma_f64 v[6:7], v[124:125], v[104:105], -v[6:7]
	v_add_f64 v[228:229], v[228:229], v[242:243]
	s_waitcnt vmcnt(2) lgkmcnt(1)
	v_mul_f64 v[242:243], v[224:225], v[114:115]
	v_add_f64 v[4:5], v[4:5], v[6:7]
	v_mul_f64 v[6:7], v[226:227], v[114:115]
	v_fmac_f64_e32 v[242:243], v[226:227], v[112:113]
	v_fma_f64 v[6:7], v[224:225], v[112:113], -v[6:7]
	v_add_f64 v[228:229], v[228:229], v[242:243]
	;; [unrolled: 7-line block ×3, first 2 shown]
	v_add_f64 v[4:5], v[4:5], v[6:7]
	s_waitcnt vmcnt(0)
	v_add_f64 v[4:5], v[246:247], -v[4:5]
	v_add_f64 v[6:7], v[248:249], -v[228:229]
	scratch_store_dwordx4 off, v[4:7], off offset:416
	s_and_saveexec_b64 s[0:1], vcc
	s_cbranch_execz .LBB122_319
; %bb.318:
	scratch_load_dwordx4 v[6:9], off, s51
	v_mov_b32_e32 v3, v2
	v_mov_b32_e32 v4, v2
	;; [unrolled: 1-line block ×3, first 2 shown]
	v_accvgpr_read_b32 v0, a119
	scratch_store_dwordx4 off, v[2:5], off offset:400
	s_waitcnt vmcnt(1)
	ds_write_b128 v0, v[6:9]
.LBB122_319:
	s_or_b64 exec, exec, s[0:1]
	s_waitcnt lgkmcnt(0)
	; wave barrier
	scratch_load_dwordx4 v[144:147], off, off offset:416
	scratch_load_dwordx4 v[152:155], off, off offset:432
	;; [unrolled: 1-line block ×16, first 2 shown]
	ds_read_b128 v[196:199], v2 offset:1344
	ds_read_b128 v[188:191], v2 offset:1360
	ds_read_b128 v[180:183], v2 offset:1376
	scratch_load_dwordx4 v[48:51], off, off offset:672
	ds_read_b128 v[192:195], v2 offset:1392
	ds_read_b128 v[184:187], v2 offset:1408
	ds_read_b128 v[64:67], v2 offset:1424
	scratch_load_dwordx4 v[52:55], off, off offset:688
	;; [unrolled: 4-line block ×5, first 2 shown]
	ds_read_b128 v[116:119], v2 offset:1584
	ds_read_b128 v[112:115], v2 offset:1600
	scratch_load_dwordx4 v[108:111], off, off offset:752
	scratch_load_dwordx4 v[120:123], off, off offset:768
	;; [unrolled: 1-line block ×12, first 2 shown]
	v_cmp_lt_u32_e32 vcc, 23, v240
	s_waitcnt vmcnt(32) lgkmcnt(14)
	v_mul_f64 v[204:205], v[196:197], v[146:147]
	s_waitcnt vmcnt(31)
	v_mul_f64 v[206:207], v[188:189], v[154:155]
	v_fmac_f64_e32 v[204:205], v[198:199], v[144:145]
	s_waitcnt vmcnt(30)
	v_mul_f64 v[208:209], v[180:181], v[158:159]
	v_fmac_f64_e32 v[206:207], v[190:191], v[152:153]
	v_add_f64 v[204:205], v[204:205], 0
	s_waitcnt vmcnt(29) lgkmcnt(13)
	v_mul_f64 v[210:211], v[192:193], v[162:163]
	v_fmac_f64_e32 v[208:209], v[182:183], v[156:157]
	v_add_f64 v[204:205], v[204:205], v[206:207]
	s_waitcnt vmcnt(28) lgkmcnt(12)
	;; [unrolled: 4-line block ×12, first 2 shown]
	v_mul_f64 v[232:233], v[96:97], v[42:43]
	v_fmac_f64_e32 v[230:231], v[102:103], v[36:37]
	v_add_f64 v[204:205], v[204:205], v[228:229]
	v_fmac_f64_e32 v[232:233], v[98:99], v[40:41]
	v_add_f64 v[204:205], v[204:205], v[230:231]
	s_waitcnt vmcnt(17) lgkmcnt(1)
	v_mul_f64 v[206:207], v[116:117], v[46:47]
	v_add_f64 v[204:205], v[204:205], v[232:233]
	v_fmac_f64_e32 v[206:207], v[118:119], v[44:45]
	s_waitcnt vmcnt(16) lgkmcnt(0)
	v_mul_f64 v[210:211], v[112:113], v[50:51]
	v_add_f64 v[208:209], v[204:205], v[206:207]
	ds_read_b128 v[204:207], v2 offset:1616
	v_fmac_f64_e32 v[210:211], v[114:115], v[48:49]
	v_add_f64 v[212:213], v[208:209], v[210:211]
	ds_read_b128 v[208:211], v2 offset:1632
	v_mul_f64 v[146:147], v[198:199], v[146:147]
	s_waitcnt vmcnt(15) lgkmcnt(1)
	v_mul_f64 v[214:215], v[204:205], v[54:55]
	v_fmac_f64_e32 v[214:215], v[206:207], v[52:53]
	v_add_f64 v[216:217], v[212:213], v[214:215]
	s_waitcnt vmcnt(14) lgkmcnt(0)
	v_mul_f64 v[218:219], v[208:209], v[58:59]
	ds_read_b128 v[212:215], v2 offset:1648
	v_fmac_f64_e32 v[218:219], v[210:211], v[56:57]
	v_add_f64 v[220:221], v[216:217], v[218:219]
	ds_read_b128 v[216:219], v2 offset:1664
	v_mul_f64 v[154:155], v[190:191], v[154:155]
	s_waitcnt vmcnt(13) lgkmcnt(1)
	v_mul_f64 v[222:223], v[212:213], v[62:63]
	v_fmac_f64_e32 v[222:223], v[214:215], v[60:61]
	v_add_f64 v[224:225], v[220:221], v[222:223]
	s_waitcnt vmcnt(12) lgkmcnt(0)
	v_mul_f64 v[226:227], v[216:217], v[94:95]
	ds_read_b128 v[220:223], v2 offset:1680
	v_fmac_f64_e32 v[226:227], v[218:219], v[92:93]
	v_add_f64 v[228:229], v[224:225], v[226:227]
	ds_read_b128 v[224:227], v2 offset:1696
	v_fma_f64 v[246:247], v[188:189], v[152:153], -v[154:155]
	s_waitcnt vmcnt(11) lgkmcnt(1)
	v_mul_f64 v[230:231], v[220:221], v[110:111]
	v_fmac_f64_e32 v[230:231], v[222:223], v[108:109]
	v_add_f64 v[232:233], v[228:229], v[230:231]
	s_waitcnt vmcnt(10) lgkmcnt(0)
	v_mul_f64 v[234:235], v[224:225], v[122:123]
	ds_read_b128 v[228:231], v2 offset:1712
	v_fmac_f64_e32 v[234:235], v[226:227], v[120:121]
	v_add_f64 v[236:237], v[232:233], v[234:235]
	ds_read_b128 v[232:235], v2 offset:1728
	ds_read_b128 v[152:155], v2 offset:1776
	s_waitcnt vmcnt(9) lgkmcnt(2)
	v_mul_f64 v[238:239], v[228:229], v[126:127]
	v_fmac_f64_e32 v[238:239], v[230:231], v[124:125]
	v_add_f64 v[242:243], v[236:237], v[238:239]
	s_waitcnt vmcnt(8) lgkmcnt(1)
	v_mul_f64 v[244:245], v[232:233], v[130:131]
	ds_read_b128 v[236:239], v2 offset:1744
	v_fmac_f64_e32 v[244:245], v[234:235], v[128:129]
	v_add_f64 v[242:243], v[242:243], v[244:245]
	v_fma_f64 v[244:245], v[196:197], v[144:145], -v[146:147]
	ds_read_b128 v[144:147], v2 offset:1760
	s_waitcnt vmcnt(7) lgkmcnt(1)
	v_mul_f64 v[196:197], v[236:237], v[134:135]
	v_fmac_f64_e32 v[196:197], v[238:239], v[132:133]
	v_add_f64 v[188:189], v[242:243], v[196:197]
	v_mul_f64 v[158:159], v[182:183], v[158:159]
	s_waitcnt vmcnt(6) lgkmcnt(0)
	v_mul_f64 v[190:191], v[144:145], v[138:139]
	v_fmac_f64_e32 v[190:191], v[146:147], v[136:137]
	v_add_f64 v[196:197], v[188:189], v[190:191]
	ds_read_b128 v[188:191], v2 offset:1792
	v_fma_f64 v[242:243], v[180:181], v[156:157], -v[158:159]
	ds_read_b128 v[156:159], v2 offset:1808
	s_waitcnt vmcnt(5)
	v_mul_f64 v[198:199], v[152:153], v[142:143]
	v_fmac_f64_e32 v[198:199], v[154:155], v[140:141]
	s_waitcnt vmcnt(4) lgkmcnt(1)
	v_mul_f64 v[180:181], v[188:189], v[150:151]
	v_add_f64 v[196:197], v[196:197], v[198:199]
	v_fmac_f64_e32 v[180:181], v[190:191], v[148:149]
	v_mul_f64 v[162:163], v[194:195], v[162:163]
	v_add_f64 v[198:199], v[196:197], v[180:181]
	v_fma_f64 v[196:197], v[192:193], v[160:161], -v[162:163]
	ds_read_b128 v[160:163], v2 offset:1824
	s_waitcnt vmcnt(3) lgkmcnt(1)
	v_mul_f64 v[192:193], v[156:157], v[166:167]
	ds_read_b128 v[180:183], v2 offset:1840
	v_fmac_f64_e32 v[192:193], v[158:159], v[164:165]
	v_mul_f64 v[170:171], v[186:187], v[170:171]
	v_add_f64 v[192:193], v[198:199], v[192:193]
	v_fma_f64 v[198:199], v[184:185], v[168:169], -v[170:171]
	ds_read_b128 v[168:171], v2 offset:1856
	s_waitcnt vmcnt(2) lgkmcnt(2)
	v_mul_f64 v[184:185], v[160:161], v[174:175]
	v_fmac_f64_e32 v[184:185], v[162:163], v[172:173]
	s_waitcnt vmcnt(1) lgkmcnt(1)
	v_mul_f64 v[186:187], v[180:181], v[178:179]
	v_add_f64 v[184:185], v[192:193], v[184:185]
	v_fmac_f64_e32 v[186:187], v[182:183], v[176:177]
	v_add_f64 v[184:185], v[184:185], v[186:187]
	s_waitcnt vmcnt(0) lgkmcnt(0)
	v_mul_f64 v[186:187], v[168:169], v[202:203]
	v_fmac_f64_e32 v[186:187], v[170:171], v[200:201]
	v_add_f64 v[248:249], v[184:185], v[186:187]
	scratch_load_dwordx4 v[184:187], off, off offset:944
	ds_read_b128 v[192:195], v2 offset:1872
	v_add_f64 v[244:245], v[244:245], 0
	v_add_f64 v[244:245], v[244:245], v[246:247]
	;; [unrolled: 1-line block ×4, first 2 shown]
	v_mul_f64 v[6:7], v[66:67], v[6:7]
	v_add_f64 v[196:197], v[196:197], v[198:199]
	v_fma_f64 v[4:5], v[64:65], v[4:5], -v[6:7]
	v_mul_f64 v[6:7], v[78:79], v[10:11]
	v_add_f64 v[4:5], v[196:197], v[4:5]
	v_fma_f64 v[6:7], v[76:77], v[8:9], -v[6:7]
	v_add_f64 v[4:5], v[4:5], v[6:7]
	v_mul_f64 v[6:7], v[74:75], v[14:15]
	v_fma_f64 v[6:7], v[72:73], v[12:13], -v[6:7]
	v_add_f64 v[4:5], v[4:5], v[6:7]
	v_mul_f64 v[6:7], v[70:71], v[18:19]
	;; [unrolled: 3-line block ×23, first 2 shown]
	s_waitcnt vmcnt(0) lgkmcnt(0)
	v_mul_f64 v[2:3], v[192:193], v[186:187]
	v_fmac_f64_e32 v[2:3], v[194:195], v[184:185]
	v_add_f64 v[2:3], v[248:249], v[2:3]
	scratch_load_dwordx4 v[248:251], off, off offset:400
	v_fma_f64 v[6:7], v[156:157], v[164:165], -v[6:7]
	v_add_f64 v[4:5], v[4:5], v[6:7]
	v_mul_f64 v[6:7], v[162:163], v[174:175]
	v_fma_f64 v[6:7], v[160:161], v[172:173], -v[6:7]
	v_add_f64 v[4:5], v[4:5], v[6:7]
	v_mul_f64 v[6:7], v[182:183], v[178:179]
	;; [unrolled: 3-line block ×4, first 2 shown]
	v_fma_f64 v[6:7], v[192:193], v[184:185], -v[6:7]
	v_add_f64 v[4:5], v[4:5], v[6:7]
	s_waitcnt vmcnt(0)
	v_add_f64 v[4:5], v[248:249], -v[4:5]
	v_add_f64 v[6:7], v[250:251], -v[2:3]
	scratch_store_dwordx4 off, v[4:7], off offset:400
	s_and_saveexec_b64 s[0:1], vcc
	s_cbranch_execz .LBB122_321
; %bb.320:
	scratch_load_dwordx4 v[2:5], off, s52
	v_mov_b32_e32 v6, 0
	v_mov_b32_e32 v7, v6
	;; [unrolled: 1-line block ×4, first 2 shown]
	v_accvgpr_read_b32 v0, a119
	scratch_store_dwordx4 off, v[6:9], off offset:384
	s_waitcnt vmcnt(1)
	ds_write_b128 v0, v[2:5]
.LBB122_321:
	s_or_b64 exec, exec, s[0:1]
	s_waitcnt lgkmcnt(0)
	; wave barrier
	scratch_load_dwordx4 v[184:187], off, off offset:400
	scratch_load_dwordx4 v[188:191], off, off offset:416
	;; [unrolled: 1-line block ×32, first 2 shown]
	v_mov_b32_e32 v2, 0
	ds_read_b128 v[192:195], v2 offset:1328
	ds_read_b128 v[204:207], v2 offset:1344
	ds_read_b128 v[216:219], v2 offset:1360
	ds_read_b128 v[224:227], v2 offset:1376
	ds_read_b128 v[228:231], v2 offset:1392
	ds_read_b128 v[246:249], v2 offset:1408
	ds_read_b128 v[250:253], v2 offset:1424
	ds_read_b128 v[148:151], v2 offset:1440
	ds_read_b128 v[144:147], v2 offset:1456
	ds_read_b128 v[140:143], v2 offset:1472
	ds_read_b128 v[136:139], v2 offset:1488
	ds_read_b128 v[132:135], v2 offset:1504
	ds_read_b128 v[124:127], v2 offset:1520
	ds_read_b128 v[120:123], v2 offset:1536
	ds_read_b128 v[116:119], v2 offset:1552
	ds_read_b128 v[108:111], v2 offset:1568
	v_cmp_lt_u32_e32 vcc, 22, v240
	s_waitcnt vmcnt(31) lgkmcnt(14)
	v_mul_f64 v[104:105], v[192:193], v[186:187]
	s_waitcnt vmcnt(30)
	v_mul_f64 v[106:107], v[204:205], v[190:191]
	v_fmac_f64_e32 v[104:105], v[194:195], v[184:185]
	s_waitcnt vmcnt(29) lgkmcnt(13)
	v_mul_f64 v[112:113], v[216:217], v[198:199]
	v_fmac_f64_e32 v[106:107], v[206:207], v[188:189]
	v_add_f64 v[104:105], v[104:105], 0
	s_waitcnt vmcnt(28) lgkmcnt(12)
	v_mul_f64 v[114:115], v[224:225], v[202:203]
	v_fmac_f64_e32 v[112:113], v[218:219], v[196:197]
	v_add_f64 v[104:105], v[104:105], v[106:107]
	;; [unrolled: 4-line block ×10, first 2 shown]
	ds_read_b128 v[152:155], v2 offset:1584
	ds_read_b128 v[156:159], v2 offset:1600
	s_waitcnt vmcnt(19) lgkmcnt(5)
	v_mul_f64 v[164:165], v[124:125], v[26:27]
	v_fmac_f64_e32 v[162:163], v[134:135], v[20:21]
	v_add_f64 v[104:105], v[104:105], v[160:161]
	s_waitcnt vmcnt(18) lgkmcnt(4)
	v_mul_f64 v[166:167], v[120:121], v[30:31]
	v_fmac_f64_e32 v[164:165], v[126:127], v[24:25]
	v_add_f64 v[104:105], v[104:105], v[162:163]
	;; [unrolled: 4-line block ×4, first 2 shown]
	v_add_f64 v[112:113], v[104:105], v[168:169]
	v_fmac_f64_e32 v[170:171], v[110:111], v[36:37]
	scratch_load_dwordx4 v[104:107], off, off offset:912
	s_waitcnt vmcnt(16) lgkmcnt(1)
	v_mul_f64 v[114:115], v[152:153], v[42:43]
	v_add_f64 v[112:113], v[112:113], v[170:171]
	v_fmac_f64_e32 v[114:115], v[154:155], v[40:41]
	v_add_f64 v[128:129], v[112:113], v[114:115]
	scratch_load_dwordx4 v[112:115], off, off offset:928
	s_waitcnt vmcnt(16) lgkmcnt(0)
	v_mul_f64 v[130:131], v[156:157], v[46:47]
	v_fmac_f64_e32 v[130:131], v[158:159], v[44:45]
	v_add_f64 v[168:169], v[128:129], v[130:131]
	scratch_load_dwordx4 v[128:131], off, off offset:944
	ds_read_b128 v[160:163], v2 offset:1616
	ds_read_b128 v[164:167], v2 offset:1632
	v_mul_f64 v[186:187], v[194:195], v[186:187]
	v_fma_f64 v[242:243], v[192:193], v[184:185], -v[186:187]
	ds_read_b128 v[184:187], v2 offset:1712
	s_waitcnt vmcnt(16) lgkmcnt(2)
	v_mul_f64 v[170:171], v[160:161], v[50:51]
	v_fmac_f64_e32 v[170:171], v[162:163], v[48:49]
	s_waitcnt vmcnt(15) lgkmcnt(1)
	v_mul_f64 v[174:175], v[164:165], v[54:55]
	v_add_f64 v[172:173], v[168:169], v[170:171]
	ds_read_b128 v[168:171], v2 offset:1648
	v_fmac_f64_e32 v[174:175], v[166:167], v[52:53]
	v_add_f64 v[176:177], v[172:173], v[174:175]
	ds_read_b128 v[172:175], v2 offset:1664
	v_mul_f64 v[190:191], v[206:207], v[190:191]
	s_waitcnt vmcnt(14) lgkmcnt(1)
	v_mul_f64 v[178:179], v[168:169], v[58:59]
	v_fmac_f64_e32 v[178:179], v[170:171], v[56:57]
	v_add_f64 v[180:181], v[176:177], v[178:179]
	s_waitcnt vmcnt(13) lgkmcnt(0)
	v_mul_f64 v[182:183], v[172:173], v[62:63]
	ds_read_b128 v[176:179], v2 offset:1680
	v_fmac_f64_e32 v[182:183], v[174:175], v[60:61]
	v_add_f64 v[232:233], v[180:181], v[182:183]
	ds_read_b128 v[180:183], v2 offset:1696
	v_fma_f64 v[244:245], v[204:205], v[188:189], -v[190:191]
	s_waitcnt vmcnt(12) lgkmcnt(1)
	v_mul_f64 v[234:235], v[176:177], v[66:67]
	v_fmac_f64_e32 v[234:235], v[178:179], v[64:65]
	v_add_f64 v[232:233], v[232:233], v[234:235]
	s_waitcnt vmcnt(11) lgkmcnt(0)
	v_mul_f64 v[192:193], v[180:181], v[70:71]
	v_fmac_f64_e32 v[192:193], v[182:183], v[68:69]
	ds_read_b128 v[188:191], v2 offset:1728
	s_waitcnt vmcnt(10)
	v_mul_f64 v[194:195], v[184:185], v[74:75]
	v_add_f64 v[192:193], v[232:233], v[192:193]
	v_fmac_f64_e32 v[194:195], v[186:187], v[72:73]
	v_add_f64 v[204:205], v[192:193], v[194:195]
	ds_read_b128 v[192:195], v2 offset:1744
	v_mul_f64 v[198:199], v[218:219], v[198:199]
	v_fma_f64 v[254:255], v[216:217], v[196:197], -v[198:199]
	ds_read_b128 v[196:199], v2 offset:1760
	s_waitcnt vmcnt(9) lgkmcnt(2)
	v_mul_f64 v[206:207], v[188:189], v[78:79]
	v_fmac_f64_e32 v[206:207], v[190:191], v[76:77]
	v_add_f64 v[204:205], v[204:205], v[206:207]
	s_waitcnt vmcnt(8) lgkmcnt(1)
	v_mul_f64 v[206:207], v[192:193], v[82:83]
	v_fmac_f64_e32 v[206:207], v[194:195], v[80:81]
	v_mul_f64 v[202:203], v[226:227], v[202:203]
	v_add_f64 v[204:205], v[204:205], v[206:207]
	v_fma_f64 v[234:235], v[224:225], v[200:201], -v[202:203]
	ds_read_b128 v[200:203], v2 offset:1776
	s_waitcnt vmcnt(7) lgkmcnt(1)
	v_mul_f64 v[206:207], v[196:197], v[86:87]
	v_fmac_f64_e32 v[206:207], v[198:199], v[84:85]
	v_add_f64 v[216:217], v[204:205], v[206:207]
	ds_read_b128 v[204:207], v2 offset:1792
	v_mul_f64 v[210:211], v[230:231], v[210:211]
	v_fma_f64 v[236:237], v[228:229], v[208:209], -v[210:211]
	ds_read_b128 v[208:211], v2 offset:1808
	s_waitcnt vmcnt(6) lgkmcnt(2)
	v_mul_f64 v[218:219], v[200:201], v[90:91]
	v_fmac_f64_e32 v[218:219], v[202:203], v[88:89]
	v_add_f64 v[216:217], v[216:217], v[218:219]
	s_waitcnt vmcnt(5) lgkmcnt(1)
	v_mul_f64 v[218:219], v[204:205], v[94:95]
	v_fmac_f64_e32 v[218:219], v[206:207], v[92:93]
	v_mul_f64 v[214:215], v[248:249], v[214:215]
	v_fma_f64 v[238:239], v[246:247], v[212:213], -v[214:215]
	ds_read_b128 v[212:215], v2 offset:1824
	v_add_f64 v[216:217], v[216:217], v[218:219]
	s_waitcnt vmcnt(4) lgkmcnt(1)
	v_mul_f64 v[218:219], v[208:209], v[102:103]
	v_fmac_f64_e32 v[218:219], v[210:211], v[100:101]
	v_add_f64 v[224:225], v[216:217], v[218:219]
	ds_read_b128 v[216:219], v2 offset:1840
	v_mul_f64 v[222:223], v[252:253], v[222:223]
	v_fma_f64 v[246:247], v[250:251], v[220:221], -v[222:223]
	ds_read_b128 v[220:223], v2 offset:1856
	s_waitcnt vmcnt(3) lgkmcnt(2)
	v_mul_f64 v[226:227], v[212:213], v[98:99]
	v_fmac_f64_e32 v[226:227], v[214:215], v[96:97]
	v_add_f64 v[224:225], v[224:225], v[226:227]
	s_waitcnt vmcnt(2) lgkmcnt(1)
	v_mul_f64 v[226:227], v[216:217], v[106:107]
	v_fmac_f64_e32 v[226:227], v[218:219], v[104:105]
	v_add_f64 v[224:225], v[224:225], v[226:227]
	;; [unrolled: 4-line block ×3, first 2 shown]
	ds_read_b128 v[224:227], v2 offset:1872
	v_mul_f64 v[6:7], v[150:151], v[6:7]
	v_fma_f64 v[4:5], v[148:149], v[4:5], -v[6:7]
	v_mul_f64 v[6:7], v[146:147], v[10:11]
	v_fma_f64 v[6:7], v[144:145], v[8:9], -v[6:7]
	s_waitcnt vmcnt(0) lgkmcnt(0)
	v_mul_f64 v[230:231], v[224:225], v[130:131]
	v_fmac_f64_e32 v[230:231], v[226:227], v[128:129]
	v_add_f64 v[232:233], v[228:229], v[230:231]
	v_add_f64 v[228:229], v[242:243], 0
	;; [unrolled: 1-line block ×4, first 2 shown]
	scratch_load_dwordx4 v[228:231], off, off offset:384
	v_add_f64 v[234:235], v[248:249], v[234:235]
	v_add_f64 v[234:235], v[234:235], v[236:237]
	;; [unrolled: 1-line block ×6, first 2 shown]
	v_mul_f64 v[6:7], v[142:143], v[14:15]
	v_fma_f64 v[6:7], v[140:141], v[12:13], -v[6:7]
	v_add_f64 v[4:5], v[4:5], v[6:7]
	v_mul_f64 v[6:7], v[138:139], v[18:19]
	v_fma_f64 v[6:7], v[136:137], v[16:17], -v[6:7]
	v_add_f64 v[4:5], v[4:5], v[6:7]
	;; [unrolled: 3-line block ×26, first 2 shown]
	s_waitcnt vmcnt(0)
	v_add_f64 v[4:5], v[228:229], -v[4:5]
	v_add_f64 v[6:7], v[230:231], -v[232:233]
	scratch_store_dwordx4 off, v[4:7], off offset:384
	s_and_saveexec_b64 s[0:1], vcc
	s_cbranch_execz .LBB122_323
; %bb.322:
	scratch_load_dwordx4 v[6:9], off, s53
	v_mov_b32_e32 v3, v2
	v_mov_b32_e32 v4, v2
	;; [unrolled: 1-line block ×3, first 2 shown]
	v_accvgpr_read_b32 v0, a119
	scratch_store_dwordx4 off, v[2:5], off offset:368
	s_waitcnt vmcnt(1)
	ds_write_b128 v0, v[6:9]
.LBB122_323:
	s_or_b64 exec, exec, s[0:1]
	s_waitcnt lgkmcnt(0)
	; wave barrier
	scratch_load_dwordx4 v[140:143], off, off offset:384
	scratch_load_dwordx4 v[144:147], off, off offset:400
	;; [unrolled: 1-line block ×16, first 2 shown]
	ds_read_b128 v[208:211], v2 offset:1312
	ds_read_b128 v[200:203], v2 offset:1328
	;; [unrolled: 1-line block ×3, first 2 shown]
	scratch_load_dwordx4 v[40:43], off, off offset:640
	ds_read_b128 v[204:207], v2 offset:1360
	ds_read_b128 v[192:195], v2 offset:1376
	;; [unrolled: 1-line block ×3, first 2 shown]
	scratch_load_dwordx4 v[44:47], off, off offset:656
	ds_read_b128 v[196:199], v2 offset:1408
	ds_read_b128 v[64:67], v2 offset:1424
	;; [unrolled: 1-line block ×4, first 2 shown]
	scratch_load_dwordx4 v[48:51], off, off offset:672
	ds_read_b128 v[72:75], v2 offset:1472
	ds_read_b128 v[68:71], v2 offset:1488
	scratch_load_dwordx4 v[56:59], off, off offset:688
	ds_read_b128 v[92:95], v2 offset:1504
	ds_read_b128 v[88:91], v2 offset:1520
	;; [unrolled: 1-line block ×4, first 2 shown]
	scratch_load_dwordx4 v[76:79], off, off offset:704
	scratch_load_dwordx4 v[96:99], off, off offset:720
	;; [unrolled: 1-line block ×12, first 2 shown]
	ds_read_b128 v[168:171], v2 offset:1568
	v_accvgpr_write_b32 a118, v240
	v_cmp_lt_u32_e32 vcc, 21, v240
	s_waitcnt vmcnt(31) lgkmcnt(14)
	v_mul_f64 v[172:173], v[208:209], v[142:143]
	s_waitcnt vmcnt(30)
	v_mul_f64 v[174:175], v[200:201], v[146:147]
	v_fmac_f64_e32 v[172:173], v[210:211], v[140:141]
	s_waitcnt vmcnt(29)
	v_mul_f64 v[176:177], v[188:189], v[150:151]
	v_fmac_f64_e32 v[174:175], v[202:203], v[144:145]
	v_add_f64 v[172:173], v[172:173], 0
	s_waitcnt vmcnt(28) lgkmcnt(13)
	v_mul_f64 v[178:179], v[204:205], v[154:155]
	v_fmac_f64_e32 v[176:177], v[190:191], v[148:149]
	v_add_f64 v[172:173], v[172:173], v[174:175]
	s_waitcnt vmcnt(27) lgkmcnt(12)
	;; [unrolled: 4-line block ×10, first 2 shown]
	v_mul_f64 v[224:225], v[92:93], v[26:27]
	v_fmac_f64_e32 v[222:223], v[70:71], v[20:21]
	v_add_f64 v[172:173], v[172:173], v[220:221]
	ds_read_b128 v[212:215], v2 offset:1584
	s_waitcnt vmcnt(18) lgkmcnt(4)
	v_mul_f64 v[226:227], v[88:89], v[30:31]
	v_fmac_f64_e32 v[224:225], v[94:95], v[24:25]
	v_add_f64 v[172:173], v[172:173], v[222:223]
	ds_read_b128 v[216:219], v2 offset:1600
	ds_read_b128 v[220:223], v2 offset:1616
	s_waitcnt vmcnt(17) lgkmcnt(5)
	v_mul_f64 v[228:229], v[84:85], v[34:35]
	v_fmac_f64_e32 v[226:227], v[90:91], v[28:29]
	v_add_f64 v[172:173], v[172:173], v[224:225]
	s_waitcnt vmcnt(16) lgkmcnt(4)
	v_mul_f64 v[230:231], v[80:81], v[38:39]
	v_fmac_f64_e32 v[228:229], v[86:87], v[32:33]
	v_add_f64 v[172:173], v[172:173], v[226:227]
	v_add_f64 v[176:177], v[172:173], v[228:229]
	v_fmac_f64_e32 v[230:231], v[82:83], v[36:37]
	s_waitcnt vmcnt(15) lgkmcnt(3)
	v_mul_f64 v[178:179], v[168:169], v[42:43]
	v_add_f64 v[176:177], v[176:177], v[230:231]
	v_fmac_f64_e32 v[178:179], v[170:171], v[40:41]
	s_waitcnt vmcnt(14) lgkmcnt(2)
	v_mul_f64 v[182:183], v[212:213], v[46:47]
	v_add_f64 v[180:181], v[176:177], v[178:179]
	v_fmac_f64_e32 v[182:183], v[214:215], v[44:45]
	s_waitcnt vmcnt(13) lgkmcnt(1)
	v_mul_f64 v[226:227], v[216:217], v[50:51]
	v_add_f64 v[224:225], v[180:181], v[182:183]
	v_fmac_f64_e32 v[226:227], v[218:219], v[48:49]
	v_add_f64 v[228:229], v[224:225], v[226:227]
	ds_read_b128 v[224:227], v2 offset:1632
	s_waitcnt vmcnt(12) lgkmcnt(1)
	v_mul_f64 v[230:231], v[220:221], v[58:59]
	v_fmac_f64_e32 v[230:231], v[222:223], v[56:57]
	v_add_f64 v[232:233], v[228:229], v[230:231]
	ds_read_b128 v[228:231], v2 offset:1648
	s_waitcnt vmcnt(11) lgkmcnt(1)
	v_mul_f64 v[234:235], v[224:225], v[78:79]
	;; [unrolled: 5-line block ×4, first 2 shown]
	v_fmac_f64_e32 v[244:245], v[234:235], v[100:101]
	v_mul_f64 v[142:143], v[210:211], v[142:143]
	v_add_f64 v[242:243], v[242:243], v[244:245]
	v_fma_f64 v[244:245], v[208:209], v[140:141], -v[142:143]
	ds_read_b128 v[140:143], v2 offset:1696
	s_waitcnt vmcnt(8) lgkmcnt(1)
	v_mul_f64 v[208:209], v[236:237], v[106:107]
	v_fmac_f64_e32 v[208:209], v[238:239], v[104:105]
	v_mul_f64 v[146:147], v[202:203], v[146:147]
	v_add_f64 v[208:209], v[242:243], v[208:209]
	v_fma_f64 v[242:243], v[200:201], v[144:145], -v[146:147]
	ds_read_b128 v[144:147], v2 offset:1712
	s_waitcnt vmcnt(7) lgkmcnt(1)
	v_mul_f64 v[200:201], v[140:141], v[110:111]
	scratch_load_dwordx4 v[172:175], off, off offset:896
	v_fmac_f64_e32 v[200:201], v[142:143], v[108:109]
	v_add_f64 v[208:209], v[208:209], v[200:201]
	ds_read_b128 v[200:203], v2 offset:1728
	v_mul_f64 v[150:151], v[190:191], v[150:151]
	scratch_load_dwordx4 v[176:179], off, off offset:912
	scratch_load_dwordx4 v[180:183], off, off offset:928
	v_fma_f64 v[246:247], v[188:189], v[148:149], -v[150:151]
	ds_read_b128 v[148:151], v2 offset:1744
	s_waitcnt vmcnt(9) lgkmcnt(2)
	v_mul_f64 v[210:211], v[144:145], v[114:115]
	v_fmac_f64_e32 v[210:211], v[146:147], v[112:113]
	s_waitcnt vmcnt(8) lgkmcnt(1)
	v_mul_f64 v[188:189], v[200:201], v[118:119]
	v_add_f64 v[208:209], v[208:209], v[210:211]
	v_fmac_f64_e32 v[188:189], v[202:203], v[116:117]
	v_mul_f64 v[154:155], v[206:207], v[154:155]
	s_waitcnt vmcnt(7) lgkmcnt(0)
	v_mul_f64 v[190:191], v[148:149], v[122:123]
	v_add_f64 v[188:189], v[208:209], v[188:189]
	v_fma_f64 v[248:249], v[204:205], v[152:153], -v[154:155]
	ds_read_b128 v[152:155], v2 offset:1760
	v_fmac_f64_e32 v[190:191], v[150:151], v[120:121]
	v_add_f64 v[204:205], v[188:189], v[190:191]
	ds_read_b128 v[188:191], v2 offset:1776
	v_mul_f64 v[158:159], v[194:195], v[158:159]
	s_waitcnt vmcnt(6) lgkmcnt(1)
	v_mul_f64 v[206:207], v[152:153], v[126:127]
	v_fmac_f64_e32 v[206:207], v[154:155], v[124:125]
	v_fma_f64 v[250:251], v[192:193], v[156:157], -v[158:159]
	s_waitcnt vmcnt(5) lgkmcnt(0)
	v_mul_f64 v[192:193], v[188:189], v[130:131]
	v_add_f64 v[204:205], v[204:205], v[206:207]
	v_fmac_f64_e32 v[192:193], v[190:191], v[128:129]
	v_mul_f64 v[162:163], v[186:187], v[162:163]
	v_add_f64 v[244:245], v[244:245], 0
	v_fma_f64 v[208:209], v[184:185], v[160:161], -v[162:163]
	v_add_f64 v[184:185], v[204:205], v[192:193]
	scratch_load_dwordx4 v[204:207], off, off offset:944
	v_add_f64 v[242:243], v[244:245], v[242:243]
	v_add_f64 v[242:243], v[242:243], v[246:247]
	;; [unrolled: 1-line block ×4, first 2 shown]
	scratch_load_dwordx4 v[248:251], off, off offset:368
	v_mul_f64 v[166:167], v[198:199], v[166:167]
	v_fma_f64 v[210:211], v[196:197], v[164:165], -v[166:167]
	v_add_f64 v[208:209], v[246:247], v[208:209]
	v_mul_f64 v[6:7], v[66:67], v[6:7]
	v_add_f64 v[208:209], v[208:209], v[210:211]
	v_fma_f64 v[4:5], v[64:65], v[4:5], -v[6:7]
	v_mul_f64 v[6:7], v[62:63], v[10:11]
	v_add_f64 v[4:5], v[208:209], v[4:5]
	v_fma_f64 v[6:7], v[60:61], v[8:9], -v[6:7]
	v_add_f64 v[4:5], v[4:5], v[6:7]
	v_mul_f64 v[6:7], v[54:55], v[14:15]
	v_fma_f64 v[6:7], v[52:53], v[12:13], -v[6:7]
	v_add_f64 v[4:5], v[4:5], v[6:7]
	v_mul_f64 v[6:7], v[74:75], v[18:19]
	;; [unrolled: 3-line block ×12, first 2 shown]
	v_fma_f64 v[6:7], v[224:225], v[76:77], -v[6:7]
	ds_read_b128 v[156:159], v2 offset:1792
	ds_read_b128 v[160:163], v2 offset:1808
	v_add_f64 v[4:5], v[4:5], v[6:7]
	v_mul_f64 v[6:7], v[230:231], v[98:99]
	v_fma_f64 v[6:7], v[228:229], v[96:97], -v[6:7]
	v_add_f64 v[4:5], v[4:5], v[6:7]
	v_mul_f64 v[6:7], v[234:235], v[102:103]
	v_fma_f64 v[6:7], v[232:233], v[100:101], -v[6:7]
	v_add_f64 v[4:5], v[4:5], v[6:7]
	v_mul_f64 v[6:7], v[238:239], v[106:107]
	s_waitcnt vmcnt(6) lgkmcnt(1)
	v_mul_f64 v[186:187], v[156:157], v[138:139]
	v_fma_f64 v[6:7], v[236:237], v[104:105], -v[6:7]
	v_fmac_f64_e32 v[186:187], v[158:159], v[136:137]
	v_add_f64 v[4:5], v[4:5], v[6:7]
	v_mul_f64 v[6:7], v[142:143], v[110:111]
	v_add_f64 v[192:193], v[184:185], v[186:187]
	ds_read_b128 v[184:187], v2 offset:1824
	ds_read_b128 v[164:167], v2 offset:1840
	v_fma_f64 v[6:7], v[140:141], v[108:109], -v[6:7]
	v_add_f64 v[4:5], v[4:5], v[6:7]
	v_mul_f64 v[6:7], v[146:147], v[114:115]
	v_fma_f64 v[6:7], v[144:145], v[112:113], -v[6:7]
	s_waitcnt vmcnt(5) lgkmcnt(2)
	v_mul_f64 v[194:195], v[160:161], v[134:135]
	v_add_f64 v[4:5], v[4:5], v[6:7]
	v_mul_f64 v[6:7], v[202:203], v[118:119]
	v_fmac_f64_e32 v[194:195], v[162:163], v[132:133]
	v_fma_f64 v[6:7], v[200:201], v[116:117], -v[6:7]
	v_add_f64 v[192:193], v[192:193], v[194:195]
	s_waitcnt vmcnt(4) lgkmcnt(1)
	v_mul_f64 v[194:195], v[184:185], v[174:175]
	v_add_f64 v[4:5], v[4:5], v[6:7]
	v_mul_f64 v[6:7], v[150:151], v[122:123]
	v_fmac_f64_e32 v[194:195], v[186:187], v[172:173]
	v_fma_f64 v[6:7], v[148:149], v[120:121], -v[6:7]
	v_add_f64 v[192:193], v[192:193], v[194:195]
	;; [unrolled: 7-line block ×3, first 2 shown]
	ds_read_b128 v[192:195], v2 offset:1856
	v_add_f64 v[4:5], v[4:5], v[6:7]
	v_mul_f64 v[6:7], v[190:191], v[130:131]
	v_fma_f64 v[6:7], v[188:189], v[128:129], -v[6:7]
	v_add_f64 v[4:5], v[4:5], v[6:7]
	v_mul_f64 v[6:7], v[158:159], v[138:139]
	v_fma_f64 v[6:7], v[156:157], v[136:137], -v[6:7]
	v_add_f64 v[4:5], v[4:5], v[6:7]
	v_mul_f64 v[6:7], v[162:163], v[134:135]
	s_waitcnt vmcnt(2) lgkmcnt(0)
	v_mul_f64 v[198:199], v[192:193], v[182:183]
	v_fma_f64 v[6:7], v[160:161], v[132:133], -v[6:7]
	v_fmac_f64_e32 v[198:199], v[194:195], v[180:181]
	v_add_f64 v[4:5], v[4:5], v[6:7]
	v_mul_f64 v[6:7], v[186:187], v[174:175]
	v_add_f64 v[252:253], v[196:197], v[198:199]
	ds_read_b128 v[196:199], v2 offset:1872
	v_fma_f64 v[6:7], v[184:185], v[172:173], -v[6:7]
	v_add_f64 v[4:5], v[4:5], v[6:7]
	v_mul_f64 v[6:7], v[166:167], v[178:179]
	v_fma_f64 v[6:7], v[164:165], v[176:177], -v[6:7]
	v_add_f64 v[4:5], v[4:5], v[6:7]
	v_mul_f64 v[6:7], v[194:195], v[182:183]
	v_fma_f64 v[6:7], v[192:193], v[180:181], -v[6:7]
	s_waitcnt vmcnt(1) lgkmcnt(0)
	v_mul_f64 v[2:3], v[196:197], v[206:207]
	v_add_f64 v[4:5], v[4:5], v[6:7]
	v_mul_f64 v[6:7], v[198:199], v[206:207]
	v_fmac_f64_e32 v[2:3], v[198:199], v[204:205]
	v_fma_f64 v[6:7], v[196:197], v[204:205], -v[6:7]
	v_add_f64 v[2:3], v[252:253], v[2:3]
	v_add_f64 v[4:5], v[4:5], v[6:7]
	s_waitcnt vmcnt(0)
	v_add_f64 v[4:5], v[248:249], -v[4:5]
	v_add_f64 v[6:7], v[250:251], -v[2:3]
	scratch_store_dwordx4 off, v[4:7], off offset:368
	s_and_saveexec_b64 s[0:1], vcc
	s_cbranch_execz .LBB122_325
; %bb.324:
	scratch_load_dwordx4 v[2:5], off, s54
	v_mov_b32_e32 v6, 0
	v_mov_b32_e32 v7, v6
	v_mov_b32_e32 v8, v6
	v_mov_b32_e32 v9, v6
	v_accvgpr_read_b32 v0, a119
	scratch_store_dwordx4 off, v[6:9], off offset:352
	s_waitcnt vmcnt(1)
	ds_write_b128 v0, v[2:5]
.LBB122_325:
	s_or_b64 exec, exec, s[0:1]
	s_waitcnt lgkmcnt(0)
	; wave barrier
	scratch_load_dwordx4 v[168:171], off, off offset:368
	scratch_load_dwordx4 v[172:175], off, off offset:384
	;; [unrolled: 1-line block ×32, first 2 shown]
	v_mov_b32_e32 v2, 0
	ds_read_b128 v[176:179], v2 offset:1296
	ds_read_b128 v[188:191], v2 offset:1312
	;; [unrolled: 1-line block ×17, first 2 shown]
	v_accvgpr_read_b32 v0, a118
	v_cmp_lt_u32_e32 vcc, 20, v0
	s_waitcnt vmcnt(31) lgkmcnt(14)
	v_mul_f64 v[104:105], v[176:177], v[170:171]
	s_waitcnt vmcnt(30)
	v_mul_f64 v[106:107], v[188:189], v[174:175]
	v_fmac_f64_e32 v[104:105], v[178:179], v[168:169]
	s_waitcnt vmcnt(29)
	v_mul_f64 v[108:109], v[200:201], v[182:183]
	v_fmac_f64_e32 v[106:107], v[190:191], v[172:173]
	v_add_f64 v[104:105], v[104:105], 0
	s_waitcnt vmcnt(28) lgkmcnt(13)
	v_mul_f64 v[110:111], v[212:213], v[186:187]
	v_fmac_f64_e32 v[108:109], v[202:203], v[180:181]
	v_add_f64 v[104:105], v[104:105], v[106:107]
	s_waitcnt vmcnt(27) lgkmcnt(12)
	;; [unrolled: 4-line block ×12, first 2 shown]
	v_mul_f64 v[156:157], v[112:113], v[26:27]
	v_fmac_f64_e32 v[154:155], v[118:119], v[20:21]
	v_add_f64 v[104:105], v[104:105], v[152:153]
	v_fmac_f64_e32 v[156:157], v[114:115], v[24:25]
	v_add_f64 v[104:105], v[104:105], v[154:155]
	s_waitcnt vmcnt(16) lgkmcnt(1)
	v_mul_f64 v[106:107], v[100:101], v[30:31]
	v_add_f64 v[104:105], v[104:105], v[156:157]
	v_fmac_f64_e32 v[106:107], v[102:103], v[28:29]
	v_add_f64 v[108:109], v[104:105], v[106:107]
	ds_read_b128 v[144:147], v2 offset:1568
	ds_read_b128 v[148:151], v2 offset:1584
	scratch_load_dwordx4 v[104:107], off, off offset:880
	s_waitcnt vmcnt(16) lgkmcnt(2)
	v_mul_f64 v[110:111], v[96:97], v[34:35]
	v_fmac_f64_e32 v[110:111], v[98:99], v[32:33]
	v_add_f64 v[120:121], v[108:109], v[110:111]
	scratch_load_dwordx4 v[108:111], off, off offset:896
	s_waitcnt vmcnt(16) lgkmcnt(1)
	v_mul_f64 v[122:123], v[144:145], v[38:39]
	v_fmac_f64_e32 v[122:123], v[146:147], v[36:37]
	v_add_f64 v[132:133], v[120:121], v[122:123]
	s_waitcnt vmcnt(15) lgkmcnt(0)
	v_mul_f64 v[134:135], v[148:149], v[42:43]
	scratch_load_dwordx4 v[120:123], off, off offset:912
	v_fmac_f64_e32 v[134:135], v[150:151], v[40:41]
	v_add_f64 v[160:161], v[132:133], v[134:135]
	scratch_load_dwordx4 v[132:135], off, off offset:928
	ds_read_b128 v[152:155], v2 offset:1600
	ds_read_b128 v[156:159], v2 offset:1616
	v_mul_f64 v[170:171], v[178:179], v[170:171]
	v_fma_f64 v[242:243], v[176:177], v[168:169], -v[170:171]
	ds_read_b128 v[168:171], v2 offset:1664
	s_waitcnt vmcnt(16) lgkmcnt(2)
	v_mul_f64 v[162:163], v[152:153], v[46:47]
	v_fmac_f64_e32 v[162:163], v[154:155], v[44:45]
	s_waitcnt vmcnt(15) lgkmcnt(1)
	v_mul_f64 v[166:167], v[156:157], v[50:51]
	v_add_f64 v[164:165], v[160:161], v[162:163]
	ds_read_b128 v[160:163], v2 offset:1632
	v_fmac_f64_e32 v[166:167], v[158:159], v[48:49]
	v_add_f64 v[232:233], v[164:165], v[166:167]
	ds_read_b128 v[164:167], v2 offset:1648
	v_mul_f64 v[174:175], v[190:191], v[174:175]
	s_waitcnt vmcnt(14) lgkmcnt(1)
	v_mul_f64 v[234:235], v[160:161], v[54:55]
	v_fmac_f64_e32 v[234:235], v[162:163], v[52:53]
	v_add_f64 v[232:233], v[232:233], v[234:235]
	s_waitcnt vmcnt(13) lgkmcnt(0)
	v_mul_f64 v[176:177], v[164:165], v[58:59]
	v_fmac_f64_e32 v[176:177], v[166:167], v[56:57]
	v_fma_f64 v[244:245], v[188:189], v[172:173], -v[174:175]
	ds_read_b128 v[172:175], v2 offset:1680
	s_waitcnt vmcnt(12)
	v_mul_f64 v[178:179], v[168:169], v[62:63]
	v_add_f64 v[176:177], v[232:233], v[176:177]
	v_fmac_f64_e32 v[178:179], v[170:171], v[60:61]
	v_add_f64 v[188:189], v[176:177], v[178:179]
	ds_read_b128 v[176:179], v2 offset:1696
	v_mul_f64 v[182:183], v[202:203], v[182:183]
	v_fma_f64 v[254:255], v[200:201], v[180:181], -v[182:183]
	ds_read_b128 v[180:183], v2 offset:1712
	s_waitcnt vmcnt(11) lgkmcnt(2)
	v_mul_f64 v[190:191], v[172:173], v[66:67]
	v_fmac_f64_e32 v[190:191], v[174:175], v[64:65]
	v_add_f64 v[188:189], v[188:189], v[190:191]
	s_waitcnt vmcnt(10) lgkmcnt(1)
	v_mul_f64 v[190:191], v[176:177], v[70:71]
	v_fmac_f64_e32 v[190:191], v[178:179], v[68:69]
	v_mul_f64 v[186:187], v[214:215], v[186:187]
	v_fma_f64 v[240:241], v[212:213], v[184:185], -v[186:187]
	ds_read_b128 v[184:187], v2 offset:1728
	v_add_f64 v[188:189], v[188:189], v[190:191]
	s_waitcnt vmcnt(9) lgkmcnt(1)
	v_mul_f64 v[190:191], v[180:181], v[74:75]
	v_fmac_f64_e32 v[190:191], v[182:183], v[72:73]
	v_add_f64 v[200:201], v[188:189], v[190:191]
	ds_read_b128 v[188:191], v2 offset:1744
	v_mul_f64 v[194:195], v[222:223], v[194:195]
	v_fma_f64 v[232:233], v[220:221], v[192:193], -v[194:195]
	ds_read_b128 v[192:195], v2 offset:1760
	s_waitcnt vmcnt(8) lgkmcnt(2)
	v_mul_f64 v[202:203], v[184:185], v[78:79]
	v_fmac_f64_e32 v[202:203], v[186:187], v[76:77]
	v_add_f64 v[200:201], v[200:201], v[202:203]
	s_waitcnt vmcnt(7) lgkmcnt(1)
	v_mul_f64 v[202:203], v[188:189], v[82:83]
	v_fmac_f64_e32 v[202:203], v[190:191], v[80:81]
	v_mul_f64 v[198:199], v[226:227], v[198:199]
	v_add_f64 v[200:201], v[200:201], v[202:203]
	v_fma_f64 v[234:235], v[224:225], v[196:197], -v[198:199]
	ds_read_b128 v[196:199], v2 offset:1776
	s_waitcnt vmcnt(6) lgkmcnt(1)
	v_mul_f64 v[202:203], v[192:193], v[86:87]
	v_fmac_f64_e32 v[202:203], v[194:195], v[84:85]
	v_add_f64 v[212:213], v[200:201], v[202:203]
	ds_read_b128 v[200:203], v2 offset:1792
	v_mul_f64 v[206:207], v[230:231], v[206:207]
	v_fma_f64 v[236:237], v[228:229], v[204:205], -v[206:207]
	ds_read_b128 v[204:207], v2 offset:1808
	s_waitcnt vmcnt(5) lgkmcnt(2)
	v_mul_f64 v[214:215], v[196:197], v[94:95]
	v_fmac_f64_e32 v[214:215], v[198:199], v[92:93]
	v_add_f64 v[212:213], v[212:213], v[214:215]
	s_waitcnt vmcnt(4) lgkmcnt(1)
	v_mul_f64 v[214:215], v[200:201], v[90:91]
	v_fmac_f64_e32 v[214:215], v[202:203], v[88:89]
	v_mul_f64 v[210:211], v[248:249], v[210:211]
	v_fma_f64 v[238:239], v[246:247], v[208:209], -v[210:211]
	ds_read_b128 v[208:211], v2 offset:1824
	v_add_f64 v[212:213], v[212:213], v[214:215]
	s_waitcnt vmcnt(3) lgkmcnt(1)
	v_mul_f64 v[214:215], v[204:205], v[106:107]
	v_fmac_f64_e32 v[214:215], v[206:207], v[104:105]
	v_add_f64 v[220:221], v[212:213], v[214:215]
	ds_read_b128 v[212:215], v2 offset:1840
	v_mul_f64 v[218:219], v[252:253], v[218:219]
	v_fma_f64 v[246:247], v[250:251], v[216:217], -v[218:219]
	ds_read_b128 v[216:219], v2 offset:1856
	ds_read_b128 v[224:227], v2 offset:1872
	s_waitcnt vmcnt(2) lgkmcnt(3)
	v_mul_f64 v[222:223], v[208:209], v[110:111]
	v_fmac_f64_e32 v[222:223], v[210:211], v[108:109]
	v_add_f64 v[220:221], v[220:221], v[222:223]
	s_waitcnt vmcnt(1) lgkmcnt(2)
	v_mul_f64 v[222:223], v[212:213], v[122:123]
	v_fmac_f64_e32 v[222:223], v[214:215], v[120:121]
	v_add_f64 v[220:221], v[220:221], v[222:223]
	;; [unrolled: 4-line block ×3, first 2 shown]
	scratch_load_dwordx4 v[220:223], off, off offset:944
	v_mul_f64 v[6:7], v[142:143], v[6:7]
	v_fma_f64 v[4:5], v[140:141], v[4:5], -v[6:7]
	v_mul_f64 v[6:7], v[138:139], v[10:11]
	v_fma_f64 v[6:7], v[136:137], v[8:9], -v[6:7]
	s_waitcnt vmcnt(0) lgkmcnt(0)
	v_mul_f64 v[230:231], v[224:225], v[222:223]
	v_fmac_f64_e32 v[230:231], v[226:227], v[220:221]
	v_add_f64 v[250:251], v[228:229], v[230:231]
	v_add_f64 v[228:229], v[242:243], 0
	;; [unrolled: 1-line block ×6, first 2 shown]
	scratch_load_dwordx4 v[228:231], off, off offset:352
	v_add_f64 v[232:233], v[248:249], v[234:235]
	v_add_f64 v[232:233], v[232:233], v[236:237]
	;; [unrolled: 1-line block ×6, first 2 shown]
	v_mul_f64 v[6:7], v[130:131], v[14:15]
	v_fma_f64 v[6:7], v[128:129], v[12:13], -v[6:7]
	v_add_f64 v[4:5], v[4:5], v[6:7]
	v_mul_f64 v[6:7], v[126:127], v[18:19]
	v_fma_f64 v[6:7], v[124:125], v[16:17], -v[6:7]
	v_add_f64 v[4:5], v[4:5], v[6:7]
	;; [unrolled: 3-line block ×26, first 2 shown]
	s_waitcnt vmcnt(0)
	v_add_f64 v[4:5], v[228:229], -v[4:5]
	v_add_f64 v[6:7], v[230:231], -v[250:251]
	scratch_store_dwordx4 off, v[4:7], off offset:352
	s_and_saveexec_b64 s[0:1], vcc
	s_cbranch_execz .LBB122_327
; %bb.326:
	scratch_load_dwordx4 v[6:9], off, s55
	v_mov_b32_e32 v3, v2
	v_mov_b32_e32 v4, v2
	;; [unrolled: 1-line block ×3, first 2 shown]
	v_accvgpr_read_b32 v0, a119
	scratch_store_dwordx4 off, v[2:5], off offset:336
	s_waitcnt vmcnt(1)
	ds_write_b128 v0, v[6:9]
.LBB122_327:
	s_or_b64 exec, exec, s[0:1]
	s_waitcnt lgkmcnt(0)
	; wave barrier
	scratch_load_dwordx4 v[168:171], off, off offset:352
	scratch_load_dwordx4 v[172:175], off, off offset:368
	;; [unrolled: 1-line block ×16, first 2 shown]
	ds_read_b128 v[232:235], v2 offset:1280
	ds_read_b128 v[176:179], v2 offset:1296
	scratch_load_dwordx4 v[32:35], off, off offset:608
	ds_read_b128 v[236:239], v2 offset:1312
	ds_read_b128 v[188:191], v2 offset:1328
	;; [unrolled: 1-line block ×5, first 2 shown]
	scratch_load_dwordx4 v[36:39], off, off offset:624
	ds_read_b128 v[224:227], v2 offset:1392
	ds_read_b128 v[220:223], v2 offset:1408
	;; [unrolled: 1-line block ×3, first 2 shown]
	scratch_load_dwordx4 v[40:43], off, off offset:640
	ds_read_b128 v[64:67], v2 offset:1440
	ds_read_b128 v[60:63], v2 offset:1456
	;; [unrolled: 1-line block ×4, first 2 shown]
	scratch_load_dwordx4 v[48:51], off, off offset:656
	ds_read_b128 v[80:83], v2 offset:1504
	ds_read_b128 v[72:75], v2 offset:1520
	;; [unrolled: 1-line block ×3, first 2 shown]
	scratch_load_dwordx4 v[76:79], off, off offset:672
	scratch_load_dwordx4 v[84:87], off, off offset:688
	;; [unrolled: 1-line block ×12, first 2 shown]
	v_accvgpr_read_b32 v0, a118
	v_cmp_lt_u32_e32 vcc, 19, v0
	s_waitcnt vmcnt(31) lgkmcnt(14)
	v_mul_f64 v[128:129], v[232:233], v[170:171]
	s_waitcnt vmcnt(30)
	v_mul_f64 v[130:131], v[176:177], v[174:175]
	v_fmac_f64_e32 v[128:129], v[234:235], v[168:169]
	s_waitcnt vmcnt(29)
	v_mul_f64 v[132:133], v[236:237], v[182:183]
	v_fmac_f64_e32 v[130:131], v[178:179], v[172:173]
	v_add_f64 v[128:129], v[128:129], 0
	s_waitcnt vmcnt(28) lgkmcnt(13)
	v_mul_f64 v[134:135], v[188:189], v[186:187]
	v_fmac_f64_e32 v[132:133], v[238:239], v[180:181]
	v_add_f64 v[128:129], v[128:129], v[130:131]
	s_waitcnt vmcnt(27) lgkmcnt(12)
	;; [unrolled: 4-line block ×13, first 2 shown]
	v_mul_f64 v[158:159], v[72:73], v[30:31]
	v_fmac_f64_e32 v[156:157], v[82:83], v[24:25]
	v_add_f64 v[128:129], v[128:129], v[154:155]
	v_add_f64 v[128:129], v[128:129], v[156:157]
	v_fmac_f64_e32 v[158:159], v[74:75], v[28:29]
	v_add_f64 v[132:133], v[128:129], v[158:159]
	ds_read_b128 v[144:147], v2 offset:1552
	ds_read_b128 v[148:151], v2 offset:1568
	scratch_load_dwordx4 v[128:131], off, off offset:864
	s_waitcnt vmcnt(16) lgkmcnt(2)
	v_mul_f64 v[134:135], v[68:69], v[34:35]
	v_fmac_f64_e32 v[134:135], v[70:71], v[32:33]
	s_waitcnt vmcnt(15) lgkmcnt(1)
	v_mul_f64 v[138:139], v[144:145], v[38:39]
	v_add_f64 v[136:137], v[132:133], v[134:135]
	scratch_load_dwordx4 v[132:135], off, off offset:880
	v_fmac_f64_e32 v[138:139], v[146:147], v[36:37]
	v_add_f64 v[140:141], v[136:137], v[138:139]
	s_waitcnt vmcnt(15) lgkmcnt(0)
	v_mul_f64 v[142:143], v[148:149], v[42:43]
	scratch_load_dwordx4 v[136:139], off, off offset:896
	v_fmac_f64_e32 v[142:143], v[150:151], v[40:41]
	v_add_f64 v[160:161], v[140:141], v[142:143]
	scratch_load_dwordx4 v[140:143], off, off offset:912
	ds_read_b128 v[152:155], v2 offset:1584
	ds_read_b128 v[156:159], v2 offset:1600
	v_mul_f64 v[170:171], v[234:235], v[170:171]
	v_mul_f64 v[174:175], v[178:179], v[174:175]
	;; [unrolled: 1-line block ×3, first 2 shown]
	s_waitcnt vmcnt(16) lgkmcnt(1)
	v_mul_f64 v[162:163], v[152:153], v[50:51]
	v_fmac_f64_e32 v[162:163], v[154:155], v[48:49]
	v_add_f64 v[164:165], v[160:161], v[162:163]
	ds_read_b128 v[160:163], v2 offset:1616
	s_waitcnt vmcnt(15) lgkmcnt(1)
	v_mul_f64 v[166:167], v[156:157], v[78:79]
	v_fmac_f64_e32 v[166:167], v[158:159], v[76:77]
	v_add_f64 v[240:241], v[164:165], v[166:167]
	ds_read_b128 v[164:167], v2 offset:1632
	s_waitcnt vmcnt(14) lgkmcnt(1)
	v_mul_f64 v[242:243], v[160:161], v[86:87]
	v_fmac_f64_e32 v[242:243], v[162:163], v[84:85]
	v_add_f64 v[240:241], v[240:241], v[242:243]
	v_fma_f64 v[242:243], v[232:233], v[168:169], -v[170:171]
	ds_read_b128 v[168:171], v2 offset:1648
	s_waitcnt vmcnt(13) lgkmcnt(1)
	v_mul_f64 v[232:233], v[164:165], v[90:91]
	v_fmac_f64_e32 v[232:233], v[166:167], v[88:89]
	v_add_f64 v[232:233], v[240:241], v[232:233]
	v_fma_f64 v[240:241], v[176:177], v[172:173], -v[174:175]
	ds_read_b128 v[172:175], v2 offset:1664
	s_waitcnt vmcnt(12) lgkmcnt(1)
	v_mul_f64 v[176:177], v[168:169], v[94:95]
	v_fmac_f64_e32 v[176:177], v[170:171], v[92:93]
	v_add_f64 v[232:233], v[232:233], v[176:177]
	ds_read_b128 v[176:179], v2 offset:1680
	v_fma_f64 v[236:237], v[236:237], v[180:181], -v[182:183]
	ds_read_b128 v[180:183], v2 offset:1696
	s_waitcnt vmcnt(11) lgkmcnt(2)
	v_mul_f64 v[234:235], v[172:173], v[98:99]
	v_fmac_f64_e32 v[234:235], v[174:175], v[96:97]
	v_add_f64 v[232:233], v[232:233], v[234:235]
	s_waitcnt vmcnt(10) lgkmcnt(1)
	v_mul_f64 v[234:235], v[176:177], v[102:103]
	v_fmac_f64_e32 v[234:235], v[178:179], v[100:101]
	v_mul_f64 v[186:187], v[190:191], v[186:187]
	s_waitcnt vmcnt(9) lgkmcnt(0)
	v_mul_f64 v[190:191], v[180:181], v[106:107]
	v_fma_f64 v[238:239], v[188:189], v[184:185], -v[186:187]
	ds_read_b128 v[184:187], v2 offset:1712
	v_add_f64 v[188:189], v[232:233], v[234:235]
	v_fmac_f64_e32 v[190:191], v[182:183], v[104:105]
	v_add_f64 v[232:233], v[188:189], v[190:191]
	ds_read_b128 v[188:191], v2 offset:1728
	v_mul_f64 v[194:195], v[230:231], v[194:195]
	v_fma_f64 v[244:245], v[228:229], v[192:193], -v[194:195]
	ds_read_b128 v[192:195], v2 offset:1744
	s_waitcnt vmcnt(8) lgkmcnt(2)
	v_mul_f64 v[234:235], v[184:185], v[110:111]
	v_fmac_f64_e32 v[234:235], v[186:187], v[108:109]
	s_waitcnt vmcnt(7) lgkmcnt(1)
	v_mul_f64 v[228:229], v[188:189], v[114:115]
	v_mul_f64 v[198:199], v[202:203], v[198:199]
	v_add_f64 v[232:233], v[232:233], v[234:235]
	v_fmac_f64_e32 v[228:229], v[190:191], v[112:113]
	v_fma_f64 v[250:251], v[200:201], v[196:197], -v[198:199]
	ds_read_b128 v[196:199], v2 offset:1760
	s_waitcnt vmcnt(6) lgkmcnt(1)
	v_mul_f64 v[200:201], v[192:193], v[118:119]
	v_add_f64 v[228:229], v[232:233], v[228:229]
	v_fmac_f64_e32 v[200:201], v[194:195], v[116:117]
	v_add_f64 v[228:229], v[228:229], v[200:201]
	ds_read_b128 v[200:203], v2 offset:1776
	v_mul_f64 v[206:207], v[214:215], v[206:207]
	v_add_f64 v[242:243], v[242:243], 0
	v_fma_f64 v[252:253], v[212:213], v[204:205], -v[206:207]
	ds_read_b128 v[204:207], v2 offset:1792
	v_add_f64 v[240:241], v[242:243], v[240:241]
	v_add_f64 v[236:237], v[240:241], v[236:237]
	;; [unrolled: 1-line block ×3, first 2 shown]
	s_waitcnt vmcnt(5) lgkmcnt(2)
	v_mul_f64 v[230:231], v[196:197], v[126:127]
	v_add_f64 v[236:237], v[236:237], v[244:245]
	v_fmac_f64_e32 v[230:231], v[198:199], v[124:125]
	s_waitcnt vmcnt(4) lgkmcnt(1)
	v_mul_f64 v[212:213], v[200:201], v[122:123]
	v_add_f64 v[236:237], v[236:237], v[250:251]
	v_add_f64 v[228:229], v[228:229], v[230:231]
	v_fmac_f64_e32 v[212:213], v[202:203], v[120:121]
	v_mul_f64 v[210:211], v[226:227], v[210:211]
	v_add_f64 v[250:251], v[236:237], v[252:253]
	scratch_load_dwordx4 v[236:239], off, off offset:336
	s_waitcnt vmcnt(4) lgkmcnt(0)
	v_mul_f64 v[214:215], v[204:205], v[130:131]
	v_fma_f64 v[246:247], v[224:225], v[208:209], -v[210:211]
	ds_read_b128 v[208:211], v2 offset:1808
	v_add_f64 v[212:213], v[228:229], v[212:213]
	v_fmac_f64_e32 v[214:215], v[206:207], v[128:129]
	v_add_f64 v[224:225], v[212:213], v[214:215]
	ds_read_b128 v[212:215], v2 offset:1824
	v_mul_f64 v[218:219], v[222:223], v[218:219]
	v_fma_f64 v[248:249], v[220:221], v[216:217], -v[218:219]
	ds_read_b128 v[216:219], v2 offset:1840
	s_waitcnt vmcnt(3) lgkmcnt(2)
	v_mul_f64 v[220:221], v[208:209], v[134:135]
	v_fmac_f64_e32 v[220:221], v[210:211], v[132:133]
	s_waitcnt vmcnt(2) lgkmcnt(1)
	v_mul_f64 v[222:223], v[212:213], v[138:139]
	v_add_f64 v[220:221], v[224:225], v[220:221]
	v_fmac_f64_e32 v[222:223], v[214:215], v[136:137]
	v_add_f64 v[220:221], v[220:221], v[222:223]
	ds_read_b128 v[224:227], v2 offset:1856
	scratch_load_dwordx4 v[232:235], off, off offset:944
	s_waitcnt vmcnt(2) lgkmcnt(1)
	v_mul_f64 v[222:223], v[216:217], v[142:143]
	v_fmac_f64_e32 v[222:223], v[218:219], v[140:141]
	v_add_f64 v[228:229], v[220:221], v[222:223]
	scratch_load_dwordx4 v[220:223], off, off offset:928
	v_add_f64 v[240:241], v[250:251], v[246:247]
	v_mul_f64 v[6:7], v[46:47], v[6:7]
	v_add_f64 v[240:241], v[240:241], v[248:249]
	v_fma_f64 v[4:5], v[44:45], v[4:5], -v[6:7]
	v_mul_f64 v[6:7], v[66:67], v[10:11]
	v_add_f64 v[4:5], v[240:241], v[4:5]
	v_fma_f64 v[6:7], v[64:65], v[8:9], -v[6:7]
	v_add_f64 v[4:5], v[4:5], v[6:7]
	v_mul_f64 v[6:7], v[62:63], v[14:15]
	v_fma_f64 v[6:7], v[60:61], v[12:13], -v[6:7]
	v_add_f64 v[4:5], v[4:5], v[6:7]
	v_mul_f64 v[6:7], v[58:59], v[18:19]
	;; [unrolled: 3-line block ×24, first 2 shown]
	v_fma_f64 v[6:7], v[212:213], v[136:137], -v[6:7]
	s_waitcnt vmcnt(0) lgkmcnt(0)
	v_mul_f64 v[230:231], v[224:225], v[222:223]
	v_fmac_f64_e32 v[230:231], v[226:227], v[220:221]
	v_add_f64 v[254:255], v[228:229], v[230:231]
	ds_read_b128 v[228:231], v2 offset:1872
	v_add_f64 v[4:5], v[4:5], v[6:7]
	v_mul_f64 v[6:7], v[218:219], v[142:143]
	v_fma_f64 v[6:7], v[216:217], v[140:141], -v[6:7]
	v_add_f64 v[4:5], v[4:5], v[6:7]
	v_mul_f64 v[6:7], v[226:227], v[222:223]
	v_fma_f64 v[6:7], v[224:225], v[220:221], -v[6:7]
	s_waitcnt lgkmcnt(0)
	v_mul_f64 v[2:3], v[228:229], v[234:235]
	v_add_f64 v[4:5], v[4:5], v[6:7]
	v_mul_f64 v[6:7], v[230:231], v[234:235]
	v_fmac_f64_e32 v[2:3], v[230:231], v[232:233]
	v_fma_f64 v[6:7], v[228:229], v[232:233], -v[6:7]
	v_add_f64 v[2:3], v[254:255], v[2:3]
	v_add_f64 v[4:5], v[4:5], v[6:7]
	v_add_f64 v[4:5], v[236:237], -v[4:5]
	v_add_f64 v[6:7], v[238:239], -v[2:3]
	scratch_store_dwordx4 off, v[4:7], off offset:336
	s_and_saveexec_b64 s[0:1], vcc
	s_cbranch_execz .LBB122_329
; %bb.328:
	scratch_load_dwordx4 v[2:5], off, s56
	v_mov_b32_e32 v6, 0
	v_mov_b32_e32 v7, v6
	;; [unrolled: 1-line block ×4, first 2 shown]
	v_accvgpr_read_b32 v0, a119
	scratch_store_dwordx4 off, v[6:9], off offset:320
	s_waitcnt vmcnt(1)
	ds_write_b128 v0, v[2:5]
.LBB122_329:
	s_or_b64 exec, exec, s[0:1]
	s_waitcnt lgkmcnt(0)
	; wave barrier
	scratch_load_dwordx4 v[80:83], off, off offset:336
	scratch_load_dwordx4 v[84:87], off, off offset:352
	;; [unrolled: 1-line block ×31, first 2 shown]
	v_mov_b32_e32 v2, 0
	ds_read_b128 v[196:199], v2 offset:1264
	ds_read_b128 v[200:203], v2 offset:1280
	;; [unrolled: 1-line block ×20, first 2 shown]
	s_waitcnt vmcnt(30) lgkmcnt(14)
	v_mul_f64 v[140:141], v[196:197], v[82:83]
	s_waitcnt vmcnt(29)
	v_mul_f64 v[142:143], v[200:201], v[86:87]
	v_fmac_f64_e32 v[140:141], v[198:199], v[80:81]
	s_waitcnt vmcnt(28)
	v_mul_f64 v[152:153], v[204:205], v[90:91]
	v_fmac_f64_e32 v[142:143], v[202:203], v[84:85]
	v_add_f64 v[140:141], v[140:141], 0
	s_waitcnt vmcnt(27)
	v_mul_f64 v[154:155], v[208:209], v[94:95]
	v_fmac_f64_e32 v[152:153], v[206:207], v[88:89]
	v_add_f64 v[140:141], v[140:141], v[142:143]
	;; [unrolled: 4-line block ×4, first 2 shown]
	s_waitcnt vmcnt(24) lgkmcnt(13)
	v_mul_f64 v[164:165], v[220:221], v[106:107]
	v_fmac_f64_e32 v[162:163], v[218:219], v[100:101]
	v_add_f64 v[140:141], v[140:141], v[160:161]
	s_waitcnt vmcnt(23) lgkmcnt(12)
	v_mul_f64 v[166:167], v[224:225], v[110:111]
	v_fmac_f64_e32 v[164:165], v[222:223], v[104:105]
	v_add_f64 v[140:141], v[140:141], v[162:163]
	;; [unrolled: 4-line block ×8, first 2 shown]
	v_fmac_f64_e32 v[178:179], v[146:147], v[12:13]
	v_add_f64 v[140:141], v[140:141], v[176:177]
	v_add_f64 v[140:141], v[140:141], v[178:179]
	ds_read_b128 v[176:179], v2 offset:1536
	s_waitcnt vmcnt(16) lgkmcnt(6)
	v_mul_f64 v[180:181], v[136:137], v[18:19]
	s_waitcnt vmcnt(15) lgkmcnt(5)
	v_mul_f64 v[182:183], v[132:133], v[22:23]
	v_fmac_f64_e32 v[180:181], v[138:139], v[16:17]
	v_add_f64 v[152:153], v[140:141], v[180:181]
	v_fmac_f64_e32 v[182:183], v[134:135], v[20:21]
	scratch_load_dwordx4 v[140:143], off, off offset:832
	s_waitcnt vmcnt(15) lgkmcnt(4)
	v_mul_f64 v[154:155], v[128:129], v[26:27]
	v_add_f64 v[152:153], v[152:153], v[182:183]
	v_fmac_f64_e32 v[154:155], v[130:131], v[24:25]
	v_add_f64 v[160:161], v[152:153], v[154:155]
	ds_read_b128 v[180:183], v2 offset:1552
	s_waitcnt vmcnt(14) lgkmcnt(1)
	v_mul_f64 v[162:163], v[176:177], v[30:31]
	scratch_load_dwordx4 v[152:155], off, off offset:848
	v_fmac_f64_e32 v[162:163], v[178:179], v[28:29]
	v_add_f64 v[164:165], v[160:161], v[162:163]
	scratch_load_dwordx4 v[160:163], off, off offset:864
	s_waitcnt vmcnt(15) lgkmcnt(0)
	v_mul_f64 v[166:167], v[180:181], v[34:35]
	v_fmac_f64_e32 v[166:167], v[182:183], v[32:33]
	v_add_f64 v[168:169], v[164:165], v[166:167]
	s_waitcnt vmcnt(14)
	v_mul_f64 v[170:171], v[184:185], v[38:39]
	scratch_load_dwordx4 v[164:167], off, off offset:880
	v_fmac_f64_e32 v[170:171], v[186:187], v[36:37]
	v_add_f64 v[168:169], v[168:169], v[170:171]
	s_waitcnt vmcnt(14)
	v_mul_f64 v[170:171], v[188:189], v[42:43]
	scratch_load_dwordx4 v[172:175], off, off offset:896
	v_fmac_f64_e32 v[170:171], v[190:191], v[40:41]
	v_add_f64 v[232:233], v[168:169], v[170:171]
	scratch_load_dwordx4 v[168:171], off, off offset:912
	v_mul_f64 v[82:83], v[198:199], v[82:83]
	v_fma_f64 v[240:241], v[196:197], v[80:81], -v[82:83]
	ds_read_b128 v[196:199], v2 offset:1616
	s_waitcnt vmcnt(15)
	v_mul_f64 v[80:81], v[192:193], v[46:47]
	v_fmac_f64_e32 v[80:81], v[194:195], v[44:45]
	v_add_f64 v[232:233], v[232:233], v[80:81]
	v_mul_f64 v[80:81], v[202:203], v[86:87]
	v_fma_f64 v[242:243], v[200:201], v[84:85], -v[80:81]
	scratch_load_dwordx4 v[80:83], off, off offset:928
	ds_read_b128 v[84:87], v2 offset:1632
	v_mul_f64 v[90:91], v[206:207], v[90:91]
	v_fma_f64 v[244:245], v[204:205], v[88:89], -v[90:91]
	ds_read_b128 v[88:91], v2 offset:1648
	s_waitcnt vmcnt(15) lgkmcnt(2)
	v_mul_f64 v[200:201], v[196:197], v[50:51]
	v_fmac_f64_e32 v[200:201], v[198:199], v[48:49]
	s_waitcnt vmcnt(14) lgkmcnt(1)
	v_mul_f64 v[202:203], v[84:85], v[54:55]
	v_add_f64 v[200:201], v[232:233], v[200:201]
	v_fmac_f64_e32 v[202:203], v[86:87], v[52:53]
	v_mul_f64 v[94:95], v[210:211], v[94:95]
	v_fma_f64 v[254:255], v[208:209], v[92:93], -v[94:95]
	ds_read_b128 v[92:95], v2 offset:1664
	v_add_f64 v[200:201], v[200:201], v[202:203]
	s_waitcnt vmcnt(13) lgkmcnt(1)
	v_mul_f64 v[202:203], v[88:89], v[58:59]
	v_fmac_f64_e32 v[202:203], v[90:91], v[56:57]
	v_add_f64 v[204:205], v[200:201], v[202:203]
	ds_read_b128 v[200:203], v2 offset:1680
	v_mul_f64 v[98:99], v[214:215], v[98:99]
	v_fma_f64 v[232:233], v[212:213], v[96:97], -v[98:99]
	ds_read_b128 v[96:99], v2 offset:1696
	s_waitcnt vmcnt(12) lgkmcnt(2)
	v_mul_f64 v[206:207], v[92:93], v[62:63]
	v_fmac_f64_e32 v[206:207], v[94:95], v[60:61]
	v_add_f64 v[204:205], v[204:205], v[206:207]
	s_waitcnt vmcnt(11) lgkmcnt(1)
	v_mul_f64 v[206:207], v[200:201], v[66:67]
	v_fmac_f64_e32 v[206:207], v[202:203], v[64:65]
	v_mul_f64 v[102:103], v[218:219], v[102:103]
	v_add_f64 v[204:205], v[204:205], v[206:207]
	v_fma_f64 v[4:5], v[216:217], v[100:101], -v[102:103]
	ds_read_b128 v[100:103], v2 offset:1712
	s_waitcnt vmcnt(10) lgkmcnt(1)
	v_mul_f64 v[206:207], v[96:97], v[70:71]
	v_fmac_f64_e32 v[206:207], v[98:99], v[68:69]
	v_add_f64 v[208:209], v[204:205], v[206:207]
	ds_read_b128 v[204:207], v2 offset:1728
	v_mul_f64 v[106:107], v[222:223], v[106:107]
	v_fma_f64 v[0:1], v[220:221], v[104:105], -v[106:107]
	ds_read_b128 v[104:107], v2 offset:1744
	s_waitcnt vmcnt(9) lgkmcnt(2)
	v_mul_f64 v[210:211], v[100:101], v[74:75]
	v_fmac_f64_e32 v[210:211], v[102:103], v[72:73]
	v_add_f64 v[208:209], v[208:209], v[210:211]
	s_waitcnt vmcnt(8) lgkmcnt(1)
	v_mul_f64 v[210:211], v[204:205], v[78:79]
	v_fmac_f64_e32 v[210:211], v[206:207], v[76:77]
	v_mul_f64 v[6:7], v[226:227], v[110:111]
	v_fma_f64 v[6:7], v[224:225], v[108:109], -v[6:7]
	ds_read_b128 v[108:111], v2 offset:1760
	v_add_f64 v[208:209], v[208:209], v[210:211]
	s_waitcnt vmcnt(7) lgkmcnt(1)
	v_mul_f64 v[210:211], v[104:105], v[126:127]
	v_fmac_f64_e32 v[210:211], v[106:107], v[124:125]
	v_mul_f64 v[114:115], v[230:231], v[114:115]
	v_add_f64 v[212:213], v[208:209], v[210:211]
	ds_read_b128 v[208:211], v2 offset:1776
	v_fma_f64 v[112:113], v[228:229], v[112:113], -v[114:115]
	v_accvgpr_write_b32 a121, v113
	v_accvgpr_write_b32 a120, v112
	ds_read_b128 v[112:115], v2 offset:1792
	s_waitcnt vmcnt(6) lgkmcnt(2)
	v_mul_f64 v[214:215], v[108:109], v[142:143]
	v_fmac_f64_e32 v[214:215], v[110:111], v[140:141]
	v_add_f64 v[212:213], v[212:213], v[214:215]
	s_waitcnt vmcnt(5) lgkmcnt(1)
	v_mul_f64 v[214:215], v[208:209], v[154:155]
	v_fmac_f64_e32 v[214:215], v[210:211], v[152:153]
	v_mul_f64 v[118:119], v[248:249], v[118:119]
	v_add_f64 v[212:213], v[212:213], v[214:215]
	v_fma_f64 v[238:239], v[246:247], v[116:117], -v[118:119]
	ds_read_b128 v[116:119], v2 offset:1808
	s_waitcnt vmcnt(4) lgkmcnt(1)
	v_mul_f64 v[214:215], v[112:113], v[162:163]
	v_fmac_f64_e32 v[214:215], v[114:115], v[160:161]
	v_add_f64 v[216:217], v[212:213], v[214:215]
	ds_read_b128 v[212:215], v2 offset:1824
	v_mul_f64 v[122:123], v[252:253], v[122:123]
	v_fma_f64 v[246:247], v[250:251], v[120:121], -v[122:123]
	ds_read_b128 v[120:123], v2 offset:1840
	s_waitcnt vmcnt(3) lgkmcnt(2)
	v_mul_f64 v[218:219], v[116:117], v[166:167]
	v_fmac_f64_e32 v[218:219], v[118:119], v[164:165]
	v_add_f64 v[216:217], v[216:217], v[218:219]
	s_waitcnt vmcnt(2) lgkmcnt(1)
	v_mul_f64 v[218:219], v[212:213], v[174:175]
	v_fmac_f64_e32 v[218:219], v[214:215], v[172:173]
	v_add_f64 v[216:217], v[216:217], v[218:219]
	;; [unrolled: 4-line block ×3, first 2 shown]
	ds_read_b128 v[216:219], v2 offset:1856
	ds_read_b128 v[224:227], v2 offset:1872
	s_waitcnt vmcnt(0) lgkmcnt(1)
	v_mul_f64 v[222:223], v[216:217], v[82:83]
	v_fmac_f64_e32 v[222:223], v[218:219], v[80:81]
	v_add_f64 v[228:229], v[220:221], v[222:223]
	scratch_load_dwordx4 v[220:223], off, off offset:944
	s_waitcnt vmcnt(0) lgkmcnt(0)
	v_mul_f64 v[230:231], v[224:225], v[222:223]
	v_fmac_f64_e32 v[230:231], v[226:227], v[220:221]
	v_add_f64 v[250:251], v[228:229], v[230:231]
	v_add_f64 v[228:229], v[240:241], 0
	;; [unrolled: 1-line block ×7, first 2 shown]
	scratch_load_dwordx4 v[228:231], off, off offset:320
	v_add_f64 v[248:249], v[4:5], v[0:1]
	v_accvgpr_read_b32 v4, a120
	v_add_f64 v[0:1], v[248:249], v[6:7]
	v_accvgpr_read_b32 v5, a121
	v_add_f64 v[0:1], v[0:1], v[4:5]
	v_add_f64 v[0:1], v[0:1], v[238:239]
	v_mul_f64 v[4:5], v[158:159], v[236:237]
	v_add_f64 v[0:1], v[0:1], v[246:247]
	v_fma_f64 v[4:5], v[156:157], v[234:235], -v[4:5]
	v_add_f64 v[0:1], v[0:1], v[4:5]
	v_mul_f64 v[4:5], v[150:151], v[10:11]
	v_fma_f64 v[4:5], v[148:149], v[8:9], -v[4:5]
	v_add_f64 v[0:1], v[0:1], v[4:5]
	v_mul_f64 v[4:5], v[146:147], v[14:15]
	;; [unrolled: 3-line block ×27, first 2 shown]
	v_fma_f64 v[4:5], v[224:225], v[220:221], -v[4:5]
	v_add_f64 v[0:1], v[0:1], v[4:5]
	s_waitcnt vmcnt(0)
	v_add_f64 v[4:5], v[228:229], -v[0:1]
	v_accvgpr_read_b32 v0, a118
	v_add_f64 v[6:7], v[230:231], -v[250:251]
	v_cmp_lt_u32_e32 vcc, 18, v0
	scratch_store_dwordx4 off, v[4:7], off offset:320
	s_and_saveexec_b64 s[0:1], vcc
	s_cbranch_execz .LBB122_331
; %bb.330:
	scratch_load_dwordx4 v[6:9], off, s57
	v_mov_b32_e32 v3, v2
	v_mov_b32_e32 v4, v2
	;; [unrolled: 1-line block ×3, first 2 shown]
	v_accvgpr_read_b32 v0, a119
	scratch_store_dwordx4 off, v[2:5], off offset:304
	s_waitcnt vmcnt(1)
	ds_write_b128 v0, v[6:9]
.LBB122_331:
	s_or_b64 exec, exec, s[0:1]
	s_waitcnt lgkmcnt(0)
	; wave barrier
	scratch_load_dwordx4 v[132:135], off, off offset:320
	scratch_load_dwordx4 v[160:163], off, off offset:336
	;; [unrolled: 1-line block ×16, first 2 shown]
	ds_read_b128 v[156:159], v2 offset:1248
	ds_read_b128 v[172:175], v2 offset:1264
	scratch_load_dwordx4 v[24:27], off, off offset:576
	ds_read_b128 v[232:235], v2 offset:1280
	ds_read_b128 v[228:231], v2 offset:1296
	scratch_load_dwordx4 v[28:31], off, off offset:592
	ds_read_b128 v[236:239], v2 offset:1312
	ds_read_b128 v[184:187], v2 offset:1328
	;; [unrolled: 1-line block ×5, first 2 shown]
	scratch_load_dwordx4 v[32:35], off, off offset:608
	ds_read_b128 v[220:223], v2 offset:1392
	ds_read_b128 v[216:219], v2 offset:1408
	;; [unrolled: 1-line block ×3, first 2 shown]
	scratch_load_dwordx4 v[36:39], off, off offset:624
	ds_read_b128 v[64:67], v2 offset:1440
	ds_read_b128 v[60:63], v2 offset:1456
	;; [unrolled: 1-line block ×5, first 2 shown]
	scratch_load_dwordx4 v[52:55], off, off offset:640
	scratch_load_dwordx4 v[68:71], off, off offset:656
	;; [unrolled: 1-line block ×11, first 2 shown]
	ds_read_b128 v[144:147], v2 offset:1552
	ds_read_b128 v[148:151], v2 offset:1568
	ds_read_b128 v[152:155], v2 offset:1584
	s_waitcnt vmcnt(30) lgkmcnt(14)
	v_mul_f64 v[0:1], v[156:157], v[134:135]
	s_waitcnt vmcnt(29)
	v_mul_f64 v[108:109], v[172:173], v[162:163]
	v_fmac_f64_e32 v[0:1], v[158:159], v[132:133]
	s_waitcnt vmcnt(28)
	v_mul_f64 v[110:111], v[232:233], v[166:167]
	v_fmac_f64_e32 v[108:109], v[174:175], v[160:161]
	v_add_f64 v[0:1], v[0:1], 0
	s_waitcnt vmcnt(27)
	v_mul_f64 v[112:113], v[228:229], v[170:171]
	v_fmac_f64_e32 v[110:111], v[234:235], v[164:165]
	v_add_f64 v[0:1], v[0:1], v[108:109]
	;; [unrolled: 4-line block ×4, first 2 shown]
	s_waitcnt vmcnt(24) lgkmcnt(13)
	v_mul_f64 v[118:119], v[224:225], v[190:191]
	v_fmac_f64_e32 v[116:117], v[186:187], v[180:181]
	v_add_f64 v[0:1], v[0:1], v[114:115]
	s_waitcnt vmcnt(23) lgkmcnt(12)
	v_mul_f64 v[120:121], v[196:197], v[194:195]
	v_fmac_f64_e32 v[118:119], v[226:227], v[188:189]
	v_add_f64 v[0:1], v[0:1], v[116:117]
	;; [unrolled: 4-line block ×9, first 2 shown]
	v_fmac_f64_e32 v[138:139], v[58:59], v[16:17]
	v_add_f64 v[0:1], v[0:1], v[136:137]
	v_add_f64 v[0:1], v[0:1], v[138:139]
	ds_read_b128 v[136:139], v2 offset:1520
	s_waitcnt vmcnt(15) lgkmcnt(5)
	v_mul_f64 v[140:141], v[48:49], v[22:23]
	v_fmac_f64_e32 v[140:141], v[50:51], v[20:21]
	s_waitcnt vmcnt(14) lgkmcnt(4)
	v_mul_f64 v[112:113], v[44:45], v[26:27]
	scratch_load_dwordx4 v[108:111], off, off offset:816
	v_add_f64 v[0:1], v[0:1], v[140:141]
	v_fmac_f64_e32 v[112:113], v[46:47], v[24:25]
	v_add_f64 v[0:1], v[0:1], v[112:113]
	scratch_load_dwordx4 v[112:115], off, off offset:832
	ds_read_b128 v[140:143], v2 offset:1536
	s_waitcnt vmcnt(15) lgkmcnt(1)
	v_mul_f64 v[116:117], v[136:137], v[30:31]
	v_fmac_f64_e32 v[116:117], v[138:139], v[28:29]
	v_add_f64 v[0:1], v[0:1], v[116:117]
	scratch_load_dwordx4 v[116:119], off, off offset:848
	s_waitcnt vmcnt(15) lgkmcnt(0)
	v_mul_f64 v[120:121], v[140:141], v[34:35]
	v_fmac_f64_e32 v[120:121], v[142:143], v[32:33]
	s_waitcnt vmcnt(14)
	v_mul_f64 v[124:125], v[144:145], v[38:39]
	v_add_f64 v[0:1], v[0:1], v[120:121]
	scratch_load_dwordx4 v[120:123], off, off offset:864
	v_fmac_f64_e32 v[124:125], v[146:147], v[36:37]
	v_add_f64 v[0:1], v[0:1], v[124:125]
	s_waitcnt vmcnt(14)
	v_mul_f64 v[124:125], v[148:149], v[54:55]
	scratch_load_dwordx4 v[128:131], off, off offset:880
	v_fmac_f64_e32 v[124:125], v[150:151], v[52:53]
	v_add_f64 v[0:1], v[0:1], v[124:125]
	scratch_load_dwordx4 v[124:127], off, off offset:896
	v_mul_f64 v[134:135], v[158:159], v[134:135]
	v_fma_f64 v[240:241], v[156:157], v[132:133], -v[134:135]
	ds_read_b128 v[156:159], v2 offset:1600
	s_waitcnt vmcnt(15)
	v_mul_f64 v[132:133], v[152:153], v[70:71]
	v_fmac_f64_e32 v[132:133], v[154:155], v[68:69]
	v_add_f64 v[0:1], v[0:1], v[132:133]
	v_mul_f64 v[132:133], v[174:175], v[162:163]
	v_fma_f64 v[242:243], v[172:173], v[160:161], -v[132:133]
	scratch_load_dwordx4 v[132:135], off, off offset:912
	ds_read_b128 v[160:163], v2 offset:1616
	v_mul_f64 v[166:167], v[234:235], v[166:167]
	v_fma_f64 v[244:245], v[232:233], v[164:165], -v[166:167]
	ds_read_b128 v[164:167], v2 offset:1632
	s_waitcnt vmcnt(15) lgkmcnt(2)
	v_mul_f64 v[172:173], v[156:157], v[74:75]
	v_fmac_f64_e32 v[172:173], v[158:159], v[72:73]
	v_add_f64 v[0:1], v[0:1], v[172:173]
	s_waitcnt vmcnt(14) lgkmcnt(1)
	v_mul_f64 v[172:173], v[160:161], v[78:79]
	v_fmac_f64_e32 v[172:173], v[162:163], v[76:77]
	v_mul_f64 v[170:171], v[230:231], v[170:171]
	v_fma_f64 v[250:251], v[228:229], v[168:169], -v[170:171]
	ds_read_b128 v[168:171], v2 offset:1648
	v_add_f64 v[0:1], v[0:1], v[172:173]
	s_waitcnt vmcnt(13) lgkmcnt(1)
	v_mul_f64 v[172:173], v[164:165], v[82:83]
	v_fmac_f64_e32 v[172:173], v[166:167], v[80:81]
	v_add_f64 v[0:1], v[0:1], v[172:173]
	ds_read_b128 v[172:175], v2 offset:1664
	v_mul_f64 v[178:179], v[238:239], v[178:179]
	v_fma_f64 v[236:237], v[236:237], v[176:177], -v[178:179]
	ds_read_b128 v[176:179], v2 offset:1680
	s_waitcnt vmcnt(12) lgkmcnt(2)
	v_mul_f64 v[228:229], v[168:169], v[86:87]
	v_fmac_f64_e32 v[228:229], v[170:171], v[84:85]
	v_add_f64 v[0:1], v[0:1], v[228:229]
	s_waitcnt vmcnt(11) lgkmcnt(1)
	v_mul_f64 v[228:229], v[172:173], v[90:91]
	v_mul_f64 v[182:183], v[186:187], v[182:183]
	v_fmac_f64_e32 v[228:229], v[174:175], v[88:89]
	v_fma_f64 v[238:239], v[184:185], v[180:181], -v[182:183]
	ds_read_b128 v[180:183], v2 offset:1696
	s_waitcnt vmcnt(10) lgkmcnt(1)
	v_mul_f64 v[184:185], v[176:177], v[94:95]
	v_add_f64 v[0:1], v[0:1], v[228:229]
	v_fmac_f64_e32 v[184:185], v[178:179], v[92:93]
	v_add_f64 v[0:1], v[0:1], v[184:185]
	ds_read_b128 v[184:187], v2 offset:1712
	v_mul_f64 v[190:191], v[226:227], v[190:191]
	v_fma_f64 v[252:253], v[224:225], v[188:189], -v[190:191]
	ds_read_b128 v[188:191], v2 offset:1728
	s_waitcnt vmcnt(9) lgkmcnt(2)
	v_mul_f64 v[228:229], v[180:181], v[98:99]
	v_fmac_f64_e32 v[228:229], v[182:183], v[96:97]
	s_waitcnt vmcnt(8) lgkmcnt(1)
	v_mul_f64 v[224:225], v[184:185], v[102:103]
	v_mul_f64 v[194:195], v[198:199], v[194:195]
	v_add_f64 v[0:1], v[0:1], v[228:229]
	v_fmac_f64_e32 v[224:225], v[186:187], v[100:101]
	v_fma_f64 v[254:255], v[196:197], v[192:193], -v[194:195]
	s_waitcnt vmcnt(7) lgkmcnt(0)
	v_mul_f64 v[196:197], v[188:189], v[106:107]
	ds_read_b128 v[192:195], v2 offset:1744
	v_add_f64 v[0:1], v[0:1], v[224:225]
	v_fmac_f64_e32 v[196:197], v[190:191], v[104:105]
	v_add_f64 v[0:1], v[0:1], v[196:197]
	ds_read_b128 v[196:199], v2 offset:1760
	v_mul_f64 v[202:203], v[210:211], v[202:203]
	v_fma_f64 v[246:247], v[208:209], v[200:201], -v[202:203]
	ds_read_b128 v[200:203], v2 offset:1776
	s_waitcnt vmcnt(6) lgkmcnt(2)
	v_mul_f64 v[224:225], v[192:193], v[110:111]
	v_fmac_f64_e32 v[224:225], v[194:195], v[108:109]
	s_waitcnt vmcnt(5) lgkmcnt(1)
	v_mul_f64 v[208:209], v[196:197], v[114:115]
	v_add_f64 v[0:1], v[0:1], v[224:225]
	v_fmac_f64_e32 v[208:209], v[198:199], v[112:113]
	v_add_f64 v[208:209], v[0:1], v[208:209]
	v_mul_f64 v[0:1], v[222:223], v[206:207]
	v_fma_f64 v[0:1], v[220:221], v[204:205], -v[0:1]
	ds_read_b128 v[204:207], v2 offset:1792
	s_waitcnt vmcnt(4) lgkmcnt(1)
	v_mul_f64 v[210:211], v[200:201], v[118:119]
	v_fmac_f64_e32 v[210:211], v[202:203], v[116:117]
	v_add_f64 v[220:221], v[208:209], v[210:211]
	ds_read_b128 v[208:211], v2 offset:1808
	v_mul_f64 v[214:215], v[218:219], v[214:215]
	v_fma_f64 v[248:249], v[216:217], v[212:213], -v[214:215]
	ds_read_b128 v[212:215], v2 offset:1824
	s_waitcnt vmcnt(3) lgkmcnt(2)
	v_mul_f64 v[216:217], v[204:205], v[122:123]
	v_fmac_f64_e32 v[216:217], v[206:207], v[120:121]
	s_waitcnt vmcnt(2) lgkmcnt(1)
	v_mul_f64 v[218:219], v[208:209], v[130:131]
	v_add_f64 v[216:217], v[220:221], v[216:217]
	v_fmac_f64_e32 v[218:219], v[210:211], v[128:129]
	v_add_f64 v[216:217], v[216:217], v[218:219]
	s_waitcnt vmcnt(1) lgkmcnt(0)
	v_mul_f64 v[218:219], v[212:213], v[126:127]
	v_fmac_f64_e32 v[218:219], v[214:215], v[124:125]
	v_add_f64 v[220:221], v[216:217], v[218:219]
	ds_read_b128 v[216:219], v2 offset:1840
	ds_read_b128 v[224:227], v2 offset:1856
	scratch_load_dwordx4 v[232:235], off, off offset:944
	v_accvgpr_write_b32 a121, v1
	v_accvgpr_write_b32 a120, v0
	s_waitcnt vmcnt(1) lgkmcnt(1)
	v_mul_f64 v[222:223], v[216:217], v[134:135]
	v_fmac_f64_e32 v[222:223], v[218:219], v[132:133]
	v_add_f64 v[228:229], v[220:221], v[222:223]
	scratch_load_dwordx4 v[220:223], off, off offset:928
	v_mul_f64 v[6:7], v[42:43], v[6:7]
	v_fma_f64 v[4:5], v[40:41], v[4:5], -v[6:7]
	s_waitcnt vmcnt(0) lgkmcnt(0)
	v_mul_f64 v[230:231], v[224:225], v[222:223]
	v_fmac_f64_e32 v[230:231], v[226:227], v[220:221]
	v_add_f64 v[0:1], v[228:229], v[230:231]
	ds_read_b128 v[228:231], v2 offset:1872
	s_waitcnt lgkmcnt(0)
	v_mul_f64 v[2:3], v[228:229], v[234:235]
	v_fmac_f64_e32 v[2:3], v[230:231], v[232:233]
	v_add_f64 v[2:3], v[0:1], v[2:3]
	v_add_f64 v[0:1], v[240:241], 0
	;; [unrolled: 1-line block ×7, first 2 shown]
	scratch_load_dwordx4 v[236:239], off, off offset:304
	v_add_f64 v[0:1], v[0:1], v[252:253]
	v_add_f64 v[0:1], v[0:1], v[254:255]
	;; [unrolled: 1-line block ×3, first 2 shown]
	v_accvgpr_read_b32 v0, a120
	v_accvgpr_read_b32 v1, a121
	v_add_f64 v[0:1], v[250:251], v[0:1]
	v_add_f64 v[0:1], v[0:1], v[248:249]
	;; [unrolled: 1-line block ×3, first 2 shown]
	v_mul_f64 v[4:5], v[66:67], v[10:11]
	v_fma_f64 v[4:5], v[64:65], v[8:9], -v[4:5]
	v_add_f64 v[0:1], v[0:1], v[4:5]
	v_mul_f64 v[4:5], v[62:63], v[14:15]
	v_fma_f64 v[4:5], v[60:61], v[12:13], -v[4:5]
	v_add_f64 v[0:1], v[0:1], v[4:5]
	;; [unrolled: 3-line block ×28, first 2 shown]
	s_waitcnt vmcnt(0)
	v_add_f64 v[4:5], v[236:237], -v[0:1]
	v_accvgpr_read_b32 v0, a118
	v_add_f64 v[6:7], v[238:239], -v[2:3]
	v_cmp_lt_u32_e32 vcc, 17, v0
	scratch_store_dwordx4 off, v[4:7], off offset:304
	s_and_saveexec_b64 s[0:1], vcc
	s_cbranch_execz .LBB122_333
; %bb.332:
	scratch_load_dwordx4 v[2:5], off, s58
	v_mov_b32_e32 v6, 0
	v_mov_b32_e32 v7, v6
	;; [unrolled: 1-line block ×4, first 2 shown]
	v_accvgpr_read_b32 v0, a119
	scratch_store_dwordx4 off, v[6:9], off offset:288
	s_waitcnt vmcnt(1)
	ds_write_b128 v0, v[2:5]
.LBB122_333:
	s_or_b64 exec, exec, s[0:1]
	s_waitcnt lgkmcnt(0)
	; wave barrier
	scratch_load_dwordx4 v[112:115], off, off offset:304
	scratch_load_dwordx4 v[116:119], off, off offset:320
	;; [unrolled: 1-line block ×30, first 2 shown]
	v_mov_b32_e32 v2, 0
	ds_read_b128 v[144:147], v2 offset:1232
	ds_read_b128 v[156:159], v2 offset:1248
	;; [unrolled: 1-line block ×20, first 2 shown]
	s_waitcnt vmcnt(29) lgkmcnt(14)
	v_mul_f64 v[0:1], v[144:145], v[114:115]
	s_waitcnt vmcnt(28)
	v_mul_f64 v[88:89], v[156:157], v[118:119]
	v_fmac_f64_e32 v[0:1], v[146:147], v[112:113]
	s_waitcnt vmcnt(27)
	v_mul_f64 v[90:91], v[168:169], v[122:123]
	v_fmac_f64_e32 v[88:89], v[158:159], v[116:117]
	v_add_f64 v[0:1], v[0:1], 0
	s_waitcnt vmcnt(26)
	v_mul_f64 v[92:93], v[180:181], v[154:155]
	v_fmac_f64_e32 v[90:91], v[170:171], v[120:121]
	v_add_f64 v[0:1], v[0:1], v[88:89]
	;; [unrolled: 4-line block ×4, first 2 shown]
	s_waitcnt vmcnt(23) lgkmcnt(13)
	v_mul_f64 v[98:99], v[212:213], v[174:175]
	v_fmac_f64_e32 v[96:97], v[206:207], v[164:165]
	v_add_f64 v[0:1], v[0:1], v[94:95]
	s_waitcnt vmcnt(22) lgkmcnt(12)
	v_mul_f64 v[100:101], v[216:217], v[178:179]
	v_fmac_f64_e32 v[98:99], v[214:215], v[172:173]
	v_add_f64 v[0:1], v[0:1], v[96:97]
	;; [unrolled: 4-line block ×9, first 2 shown]
	v_fmac_f64_e32 v[126:127], v[82:83], v[8:9]
	v_add_f64 v[0:1], v[0:1], v[124:125]
	scratch_load_dwordx4 v[88:91], off, off offset:784
	s_waitcnt vmcnt(15) lgkmcnt(4)
	v_mul_f64 v[128:129], v[76:77], v[236:237]
	v_add_f64 v[0:1], v[0:1], v[126:127]
	ds_read_b128 v[124:127], v2 offset:1504
	v_fmac_f64_e32 v[128:129], v[78:79], v[234:235]
	v_add_f64 v[0:1], v[0:1], v[128:129]
	ds_read_b128 v[128:131], v2 offset:1520
	s_waitcnt vmcnt(14) lgkmcnt(5)
	v_mul_f64 v[92:93], v[72:73], v[18:19]
	v_fmac_f64_e32 v[92:93], v[74:75], v[16:17]
	v_add_f64 v[0:1], v[0:1], v[92:93]
	s_waitcnt vmcnt(13) lgkmcnt(1)
	v_mul_f64 v[96:97], v[124:125], v[22:23]
	scratch_load_dwordx4 v[92:95], off, off offset:800
	v_fmac_f64_e32 v[96:97], v[126:127], v[20:21]
	v_add_f64 v[0:1], v[0:1], v[96:97]
	s_waitcnt vmcnt(13) lgkmcnt(0)
	v_mul_f64 v[100:101], v[128:129], v[26:27]
	scratch_load_dwordx4 v[96:99], off, off offset:816
	v_fmac_f64_e32 v[100:101], v[130:131], v[24:25]
	v_add_f64 v[0:1], v[0:1], v[100:101]
	scratch_load_dwordx4 v[100:103], off, off offset:832
	s_waitcnt vmcnt(14)
	v_mul_f64 v[104:105], v[132:133], v[30:31]
	v_fmac_f64_e32 v[104:105], v[134:135], v[28:29]
	v_add_f64 v[0:1], v[0:1], v[104:105]
	s_waitcnt vmcnt(13)
	v_mul_f64 v[104:105], v[136:137], v[34:35]
	v_fmac_f64_e32 v[104:105], v[138:139], v[32:33]
	v_add_f64 v[0:1], v[0:1], v[104:105]
	scratch_load_dwordx4 v[104:107], off, off offset:848
	s_waitcnt vmcnt(13)
	v_mul_f64 v[108:109], v[140:141], v[38:39]
	v_fmac_f64_e32 v[108:109], v[142:143], v[36:37]
	v_add_f64 v[0:1], v[0:1], v[108:109]
	scratch_load_dwordx4 v[108:111], off, off offset:864
	v_mul_f64 v[114:115], v[146:147], v[114:115]
	v_fma_f64 v[240:241], v[144:145], v[112:113], -v[114:115]
	v_mul_f64 v[112:113], v[158:159], v[118:119]
	ds_read_b128 v[148:151], v2 offset:1584
	ds_read_b128 v[144:147], v2 offset:1600
	v_fma_f64 v[242:243], v[156:157], v[116:117], -v[112:113]
	scratch_load_dwordx4 v[116:119], off, off offset:880
	scratch_load_dwordx4 v[112:115], off, off offset:896
	v_mul_f64 v[122:123], v[170:171], v[122:123]
	v_fma_f64 v[244:245], v[168:169], v[120:121], -v[122:123]
	scratch_load_dwordx4 v[120:123], off, off offset:912
	s_waitcnt vmcnt(16) lgkmcnt(1)
	v_mul_f64 v[156:157], v[148:149], v[42:43]
	v_fmac_f64_e32 v[156:157], v[150:151], v[40:41]
	v_mul_f64 v[154:155], v[182:183], v[154:155]
	v_add_f64 v[0:1], v[0:1], v[156:157]
	v_fma_f64 v[254:255], v[180:181], v[152:153], -v[154:155]
	ds_read_b128 v[152:155], v2 offset:1616
	s_waitcnt vmcnt(15) lgkmcnt(1)
	v_mul_f64 v[156:157], v[144:145], v[46:47]
	v_fmac_f64_e32 v[156:157], v[146:147], v[44:45]
	v_add_f64 v[0:1], v[0:1], v[156:157]
	ds_read_b128 v[156:159], v2 offset:1632
	v_mul_f64 v[162:163], v[194:195], v[162:163]
	v_fma_f64 v[232:233], v[192:193], v[160:161], -v[162:163]
	ds_read_b128 v[160:163], v2 offset:1648
	s_waitcnt vmcnt(14) lgkmcnt(2)
	v_mul_f64 v[168:169], v[152:153], v[50:51]
	v_fmac_f64_e32 v[168:169], v[154:155], v[48:49]
	v_mul_f64 v[166:167], v[206:207], v[166:167]
	v_add_f64 v[0:1], v[0:1], v[168:169]
	s_waitcnt vmcnt(13) lgkmcnt(1)
	v_mul_f64 v[168:169], v[156:157], v[54:55]
	v_fma_f64 v[12:13], v[204:205], v[164:165], -v[166:167]
	ds_read_b128 v[164:167], v2 offset:1664
	v_accvgpr_write_b32 a123, v7
	v_fmac_f64_e32 v[168:169], v[158:159], v[52:53]
	v_accvgpr_write_b32 a122, v6
	v_accvgpr_write_b32 a121, v5
	;; [unrolled: 1-line block ×3, first 2 shown]
	v_add_f64 v[0:1], v[0:1], v[168:169]
	s_waitcnt vmcnt(12) lgkmcnt(1)
	v_mul_f64 v[6:7], v[160:161], v[58:59]
	ds_read_b128 v[168:171], v2 offset:1680
	v_fmac_f64_e32 v[6:7], v[162:163], v[56:57]
	v_accvgpr_write_b32 a127, v11
	v_add_f64 v[0:1], v[0:1], v[6:7]
	v_mul_f64 v[6:7], v[214:215], v[174:175]
	v_accvgpr_write_b32 a126, v10
	v_accvgpr_write_b32 a125, v9
	;; [unrolled: 1-line block ×3, first 2 shown]
	v_fma_f64 v[8:9], v[212:213], v[172:173], -v[6:7]
	s_waitcnt vmcnt(11) lgkmcnt(1)
	v_mul_f64 v[6:7], v[164:165], v[62:63]
	v_fmac_f64_e32 v[6:7], v[166:167], v[60:61]
	ds_read_b128 v[172:175], v2 offset:1696
	v_add_f64 v[0:1], v[0:1], v[6:7]
	s_waitcnt vmcnt(10) lgkmcnt(1)
	v_mul_f64 v[6:7], v[168:169], v[66:67]
	v_fmac_f64_e32 v[6:7], v[170:171], v[64:65]
	v_add_f64 v[0:1], v[0:1], v[6:7]
	v_mul_f64 v[6:7], v[218:219], v[178:179]
	v_fma_f64 v[10:11], v[216:217], v[176:177], -v[6:7]
	ds_read_b128 v[176:179], v2 offset:1712
	ds_read_b128 v[180:183], v2 offset:1728
	s_waitcnt vmcnt(9) lgkmcnt(2)
	v_mul_f64 v[6:7], v[172:173], v[70:71]
	v_fmac_f64_e32 v[6:7], v[174:175], v[68:69]
	v_add_f64 v[0:1], v[0:1], v[6:7]
	s_waitcnt vmcnt(8) lgkmcnt(1)
	v_mul_f64 v[6:7], v[176:177], v[90:91]
	v_fmac_f64_e32 v[6:7], v[178:179], v[88:89]
	v_add_f64 v[0:1], v[0:1], v[6:7]
	v_mul_f64 v[6:7], v[222:223], v[186:187]
	v_fma_f64 v[4:5], v[220:221], v[184:185], -v[6:7]
	ds_read_b128 v[184:187], v2 offset:1744
	v_mul_f64 v[6:7], v[226:227], v[190:191]
	v_fma_f64 v[6:7], v[224:225], v[188:189], -v[6:7]
	ds_read_b128 v[188:191], v2 offset:1760
	s_waitcnt vmcnt(7) lgkmcnt(2)
	v_mul_f64 v[14:15], v[180:181], v[94:95]
	v_fmac_f64_e32 v[14:15], v[182:183], v[92:93]
	v_add_f64 v[0:1], v[0:1], v[14:15]
	s_waitcnt vmcnt(6) lgkmcnt(1)
	v_mul_f64 v[14:15], v[184:185], v[98:99]
	v_fmac_f64_e32 v[14:15], v[186:187], v[96:97]
	v_add_f64 v[0:1], v[0:1], v[14:15]
	s_waitcnt vmcnt(5) lgkmcnt(0)
	v_mul_f64 v[14:15], v[188:189], v[102:103]
	ds_read_b128 v[192:195], v2 offset:1776
	v_fmac_f64_e32 v[14:15], v[190:191], v[100:101]
	v_add_f64 v[14:15], v[0:1], v[14:15]
	v_mul_f64 v[0:1], v[230:231], v[198:199]
	v_fma_f64 v[0:1], v[228:229], v[196:197], -v[0:1]
	ds_read_b128 v[196:199], v2 offset:1792
	v_mul_f64 v[202:203], v[248:249], v[202:203]
	s_waitcnt vmcnt(4) lgkmcnt(1)
	v_mul_f64 v[204:205], v[192:193], v[106:107]
	v_fma_f64 v[238:239], v[246:247], v[200:201], -v[202:203]
	ds_read_b128 v[200:203], v2 offset:1808
	v_fmac_f64_e32 v[204:205], v[194:195], v[104:105]
	v_add_f64 v[14:15], v[14:15], v[204:205]
	ds_read_b128 v[204:207], v2 offset:1824
	s_waitcnt vmcnt(3) lgkmcnt(2)
	v_mul_f64 v[212:213], v[196:197], v[110:111]
	v_mul_f64 v[210:211], v[252:253], v[210:211]
	v_fmac_f64_e32 v[212:213], v[198:199], v[108:109]
	v_fma_f64 v[246:247], v[250:251], v[208:209], -v[210:211]
	ds_read_b128 v[208:211], v2 offset:1840
	ds_read_b128 v[216:219], v2 offset:1856
	v_add_f64 v[14:15], v[14:15], v[212:213]
	s_waitcnt vmcnt(2) lgkmcnt(3)
	v_mul_f64 v[212:213], v[200:201], v[118:119]
	v_fmac_f64_e32 v[212:213], v[202:203], v[116:117]
	v_add_f64 v[14:15], v[14:15], v[212:213]
	s_waitcnt vmcnt(1) lgkmcnt(2)
	v_mul_f64 v[212:213], v[204:205], v[114:115]
	v_fmac_f64_e32 v[212:213], v[206:207], v[112:113]
	;; [unrolled: 4-line block ×3, first 2 shown]
	v_add_f64 v[14:15], v[14:15], v[212:213]
	scratch_load_dwordx4 v[212:215], off, off offset:928
	ds_read_b128 v[224:227], v2 offset:1872
	s_waitcnt vmcnt(0) lgkmcnt(1)
	v_mul_f64 v[220:221], v[216:217], v[214:215]
	v_fmac_f64_e32 v[220:221], v[218:219], v[212:213]
	v_add_f64 v[14:15], v[14:15], v[220:221]
	scratch_load_dwordx4 v[220:223], off, off offset:944
	s_waitcnt vmcnt(0) lgkmcnt(0)
	v_mul_f64 v[228:229], v[224:225], v[222:223]
	v_fmac_f64_e32 v[228:229], v[226:227], v[220:221]
	v_add_f64 v[250:251], v[14:15], v[228:229]
	scratch_load_dwordx4 v[228:231], off, off offset:288
	v_add_f64 v[14:15], v[240:241], 0
	v_add_f64 v[14:15], v[14:15], v[242:243]
	;; [unrolled: 1-line block ×10, first 2 shown]
	v_accvgpr_read_b32 v6, a120
	v_accvgpr_read_b32 v8, a122
	;; [unrolled: 1-line block ×3, first 2 shown]
	v_add_f64 v[0:1], v[4:5], v[0:1]
	v_accvgpr_read_b32 v7, a121
	v_mul_f64 v[4:5], v[86:87], v[8:9]
	v_add_f64 v[0:1], v[0:1], v[238:239]
	v_fma_f64 v[4:5], v[84:85], v[6:7], -v[4:5]
	v_accvgpr_read_b32 v6, a124
	v_add_f64 v[0:1], v[0:1], v[246:247]
	v_accvgpr_read_b32 v8, a126
	v_accvgpr_read_b32 v9, a127
	v_add_f64 v[0:1], v[0:1], v[4:5]
	v_accvgpr_read_b32 v7, a125
	v_mul_f64 v[4:5], v[82:83], v[8:9]
	v_fma_f64 v[4:5], v[80:81], v[6:7], -v[4:5]
	v_add_f64 v[0:1], v[0:1], v[4:5]
	v_mul_f64 v[4:5], v[78:79], v[236:237]
	v_fma_f64 v[4:5], v[76:77], v[234:235], -v[4:5]
	v_add_f64 v[0:1], v[0:1], v[4:5]
	v_mul_f64 v[4:5], v[74:75], v[18:19]
	v_fma_f64 v[4:5], v[72:73], v[16:17], -v[4:5]
	v_add_f64 v[0:1], v[0:1], v[4:5]
	v_mul_f64 v[4:5], v[126:127], v[22:23]
	v_fma_f64 v[4:5], v[124:125], v[20:21], -v[4:5]
	v_add_f64 v[0:1], v[0:1], v[4:5]
	v_mul_f64 v[4:5], v[130:131], v[26:27]
	v_fma_f64 v[4:5], v[128:129], v[24:25], -v[4:5]
	v_add_f64 v[0:1], v[0:1], v[4:5]
	v_mul_f64 v[4:5], v[134:135], v[30:31]
	v_fma_f64 v[4:5], v[132:133], v[28:29], -v[4:5]
	v_add_f64 v[0:1], v[0:1], v[4:5]
	v_mul_f64 v[4:5], v[138:139], v[34:35]
	v_fma_f64 v[4:5], v[136:137], v[32:33], -v[4:5]
	v_add_f64 v[0:1], v[0:1], v[4:5]
	v_mul_f64 v[4:5], v[142:143], v[38:39]
	v_fma_f64 v[4:5], v[140:141], v[36:37], -v[4:5]
	v_add_f64 v[0:1], v[0:1], v[4:5]
	v_mul_f64 v[4:5], v[150:151], v[42:43]
	v_fma_f64 v[4:5], v[148:149], v[40:41], -v[4:5]
	v_add_f64 v[0:1], v[0:1], v[4:5]
	v_mul_f64 v[4:5], v[146:147], v[46:47]
	v_fma_f64 v[4:5], v[144:145], v[44:45], -v[4:5]
	v_add_f64 v[0:1], v[0:1], v[4:5]
	v_mul_f64 v[4:5], v[154:155], v[50:51]
	v_fma_f64 v[4:5], v[152:153], v[48:49], -v[4:5]
	v_add_f64 v[0:1], v[0:1], v[4:5]
	v_mul_f64 v[4:5], v[158:159], v[54:55]
	v_fma_f64 v[4:5], v[156:157], v[52:53], -v[4:5]
	v_add_f64 v[0:1], v[0:1], v[4:5]
	v_mul_f64 v[4:5], v[162:163], v[58:59]
	v_fma_f64 v[4:5], v[160:161], v[56:57], -v[4:5]
	v_add_f64 v[0:1], v[0:1], v[4:5]
	v_mul_f64 v[4:5], v[166:167], v[62:63]
	v_fma_f64 v[4:5], v[164:165], v[60:61], -v[4:5]
	v_add_f64 v[0:1], v[0:1], v[4:5]
	v_mul_f64 v[4:5], v[170:171], v[66:67]
	v_fma_f64 v[4:5], v[168:169], v[64:65], -v[4:5]
	v_add_f64 v[0:1], v[0:1], v[4:5]
	v_mul_f64 v[4:5], v[174:175], v[70:71]
	v_fma_f64 v[4:5], v[172:173], v[68:69], -v[4:5]
	v_add_f64 v[0:1], v[0:1], v[4:5]
	v_mul_f64 v[4:5], v[178:179], v[90:91]
	v_fma_f64 v[4:5], v[176:177], v[88:89], -v[4:5]
	v_add_f64 v[0:1], v[0:1], v[4:5]
	v_mul_f64 v[4:5], v[182:183], v[94:95]
	v_fma_f64 v[4:5], v[180:181], v[92:93], -v[4:5]
	v_add_f64 v[0:1], v[0:1], v[4:5]
	v_mul_f64 v[4:5], v[186:187], v[98:99]
	v_fma_f64 v[4:5], v[184:185], v[96:97], -v[4:5]
	v_add_f64 v[0:1], v[0:1], v[4:5]
	v_mul_f64 v[4:5], v[190:191], v[102:103]
	v_fma_f64 v[4:5], v[188:189], v[100:101], -v[4:5]
	v_add_f64 v[0:1], v[0:1], v[4:5]
	v_mul_f64 v[4:5], v[194:195], v[106:107]
	v_fma_f64 v[4:5], v[192:193], v[104:105], -v[4:5]
	v_add_f64 v[0:1], v[0:1], v[4:5]
	v_mul_f64 v[4:5], v[198:199], v[110:111]
	v_fma_f64 v[4:5], v[196:197], v[108:109], -v[4:5]
	v_add_f64 v[0:1], v[0:1], v[4:5]
	v_mul_f64 v[4:5], v[202:203], v[118:119]
	v_fma_f64 v[4:5], v[200:201], v[116:117], -v[4:5]
	v_add_f64 v[0:1], v[0:1], v[4:5]
	v_mul_f64 v[4:5], v[206:207], v[114:115]
	v_fma_f64 v[4:5], v[204:205], v[112:113], -v[4:5]
	v_add_f64 v[0:1], v[0:1], v[4:5]
	v_mul_f64 v[4:5], v[210:211], v[122:123]
	v_fma_f64 v[4:5], v[208:209], v[120:121], -v[4:5]
	v_add_f64 v[0:1], v[0:1], v[4:5]
	v_mul_f64 v[4:5], v[218:219], v[214:215]
	v_fma_f64 v[4:5], v[216:217], v[212:213], -v[4:5]
	v_add_f64 v[0:1], v[0:1], v[4:5]
	v_mul_f64 v[4:5], v[226:227], v[222:223]
	v_fma_f64 v[4:5], v[224:225], v[220:221], -v[4:5]
	v_add_f64 v[0:1], v[0:1], v[4:5]
	s_waitcnt vmcnt(0)
	v_add_f64 v[4:5], v[228:229], -v[0:1]
	v_accvgpr_read_b32 v0, a118
	v_add_f64 v[6:7], v[230:231], -v[250:251]
	v_cmp_lt_u32_e32 vcc, 16, v0
	scratch_store_dwordx4 off, v[4:7], off offset:288
	s_and_saveexec_b64 s[0:1], vcc
	s_cbranch_execz .LBB122_335
; %bb.334:
	scratch_load_dwordx4 v[6:9], off, s59
	v_mov_b32_e32 v3, v2
	v_mov_b32_e32 v4, v2
	;; [unrolled: 1-line block ×3, first 2 shown]
	v_accvgpr_read_b32 v0, a119
	scratch_store_dwordx4 off, v[2:5], off offset:272
	s_waitcnt vmcnt(1)
	ds_write_b128 v0, v[6:9]
.LBB122_335:
	s_or_b64 exec, exec, s[0:1]
	s_waitcnt lgkmcnt(0)
	; wave barrier
	scratch_load_dwordx4 v[88:91], off, off offset:288
	scratch_load_dwordx4 v[92:95], off, off offset:304
	;; [unrolled: 1-line block ×17, first 2 shown]
	ds_read_b128 v[212:215], v2 offset:1216
	ds_read_b128 v[204:207], v2 offset:1232
	;; [unrolled: 1-line block ×3, first 2 shown]
	scratch_load_dwordx4 v[20:23], off, off offset:560
	ds_read_b128 v[216:219], v2 offset:1264
	ds_read_b128 v[208:211], v2 offset:1280
	;; [unrolled: 1-line block ×5, first 2 shown]
	scratch_load_dwordx4 v[24:27], off, off offset:576
	ds_read_b128 v[180:183], v2 offset:1344
	ds_read_b128 v[160:163], v2 offset:1360
	;; [unrolled: 1-line block ×3, first 2 shown]
	scratch_load_dwordx4 v[28:31], off, off offset:592
	ds_read_b128 v[172:175], v2 offset:1392
	ds_read_b128 v[148:151], v2 offset:1408
	;; [unrolled: 1-line block ×5, first 2 shown]
	scratch_load_dwordx4 v[36:39], off, off offset:608
	ds_read_b128 v[48:51], v2 offset:1472
	scratch_load_dwordx4 v[52:55], off, off offset:624
	scratch_load_dwordx4 v[56:59], off, off offset:640
	;; [unrolled: 1-line block ×9, first 2 shown]
	ds_read_b128 v[140:143], v2 offset:1488
	ds_read_b128 v[232:235], v2 offset:1552
	;; [unrolled: 1-line block ×3, first 2 shown]
	s_waitcnt vmcnt(29) lgkmcnt(14)
	v_mul_f64 v[0:1], v[212:213], v[90:91]
	s_waitcnt vmcnt(28)
	v_mul_f64 v[152:153], v[204:205], v[94:95]
	v_fmac_f64_e32 v[0:1], v[214:215], v[88:89]
	s_waitcnt vmcnt(27)
	v_mul_f64 v[154:155], v[196:197], v[98:99]
	v_fmac_f64_e32 v[152:153], v[206:207], v[92:93]
	v_add_f64 v[0:1], v[0:1], 0
	s_waitcnt vmcnt(26)
	v_mul_f64 v[164:165], v[216:217], v[102:103]
	v_fmac_f64_e32 v[154:155], v[198:199], v[96:97]
	v_add_f64 v[0:1], v[0:1], v[152:153]
	;; [unrolled: 4-line block ×4, first 2 shown]
	s_waitcnt vmcnt(23) lgkmcnt(13)
	v_mul_f64 v[170:171], v[184:185], v[114:115]
	v_fmac_f64_e32 v[168:169], v[202:203], v[108:109]
	v_add_f64 v[0:1], v[0:1], v[166:167]
	s_waitcnt vmcnt(22) lgkmcnt(12)
	v_mul_f64 v[176:177], v[156:157], v[118:119]
	v_fmac_f64_e32 v[170:171], v[186:187], v[112:113]
	v_add_f64 v[0:1], v[0:1], v[168:169]
	;; [unrolled: 4-line block ×10, first 2 shown]
	v_fmac_f64_e32 v[224:225], v[34:35], v[12:13]
	v_add_f64 v[0:1], v[0:1], v[222:223]
	ds_read_b128 v[220:223], v2 offset:1504
	v_add_f64 v[0:1], v[0:1], v[224:225]
	ds_read_b128 v[224:227], v2 offset:1520
	s_waitcnt vmcnt(13) lgkmcnt(5)
	v_mul_f64 v[164:165], v[48:49], v[18:19]
	scratch_load_dwordx4 v[152:155], off, off offset:768
	v_fmac_f64_e32 v[164:165], v[50:51], v[16:17]
	s_waitcnt vmcnt(13) lgkmcnt(4)
	v_mul_f64 v[168:169], v[140:141], v[22:23]
	v_add_f64 v[0:1], v[0:1], v[164:165]
	v_fmac_f64_e32 v[168:169], v[142:143], v[20:21]
	scratch_load_dwordx4 v[164:167], off, off offset:784
	v_add_f64 v[0:1], v[0:1], v[168:169]
	s_waitcnt vmcnt(13) lgkmcnt(1)
	v_mul_f64 v[176:177], v[220:221], v[26:27]
	scratch_load_dwordx4 v[168:171], off, off offset:800
	v_fmac_f64_e32 v[176:177], v[222:223], v[24:25]
	s_waitcnt vmcnt(13) lgkmcnt(0)
	v_mul_f64 v[188:189], v[224:225], v[30:31]
	v_add_f64 v[0:1], v[0:1], v[176:177]
	scratch_load_dwordx4 v[176:179], off, off offset:816
	v_fmac_f64_e32 v[188:189], v[226:227], v[28:29]
	v_add_f64 v[0:1], v[0:1], v[188:189]
	s_waitcnt vmcnt(13)
	v_mul_f64 v[188:189], v[228:229], v[38:39]
	v_fmac_f64_e32 v[188:189], v[230:231], v[36:37]
	v_add_f64 v[0:1], v[0:1], v[188:189]
	scratch_load_dwordx4 v[188:191], off, off offset:832
	s_waitcnt vmcnt(13)
	v_mul_f64 v[192:193], v[232:233], v[54:55]
	v_fmac_f64_e32 v[192:193], v[234:235], v[52:53]
	v_mul_f64 v[90:91], v[214:215], v[90:91]
	v_add_f64 v[0:1], v[0:1], v[192:193]
	scratch_load_dwordx4 v[192:195], off, off offset:848
	v_fma_f64 v[240:241], v[212:213], v[88:89], -v[90:91]
	v_mul_f64 v[88:89], v[206:207], v[94:95]
	ds_read_b128 v[236:239], v2 offset:1568
	ds_read_b128 v[212:215], v2 offset:1584
	v_fma_f64 v[242:243], v[204:205], v[92:93], -v[88:89]
	scratch_load_dwordx4 v[92:95], off, off offset:864
	scratch_load_dwordx4 v[88:91], off, off offset:880
	v_mul_f64 v[98:99], v[198:199], v[98:99]
	v_fma_f64 v[244:245], v[196:197], v[96:97], -v[98:99]
	scratch_load_dwordx4 v[96:99], off, off offset:896
	s_waitcnt vmcnt(16) lgkmcnt(1)
	v_mul_f64 v[204:205], v[236:237], v[58:59]
	v_mul_f64 v[102:103], v[218:219], v[102:103]
	v_fmac_f64_e32 v[204:205], v[238:239], v[56:57]
	v_fma_f64 v[216:217], v[216:217], v[100:101], -v[102:103]
	ds_read_b128 v[100:103], v2 offset:1600
	s_waitcnt vmcnt(15) lgkmcnt(1)
	v_mul_f64 v[196:197], v[212:213], v[62:63]
	v_add_f64 v[0:1], v[0:1], v[204:205]
	v_fmac_f64_e32 v[196:197], v[214:215], v[60:61]
	v_add_f64 v[0:1], v[0:1], v[196:197]
	ds_read_b128 v[196:199], v2 offset:1616
	v_mul_f64 v[106:107], v[210:211], v[106:107]
	v_fma_f64 v[218:219], v[208:209], v[104:105], -v[106:107]
	ds_read_b128 v[104:107], v2 offset:1632
	s_waitcnt vmcnt(14) lgkmcnt(2)
	v_mul_f64 v[204:205], v[100:101], v[66:67]
	v_fmac_f64_e32 v[204:205], v[102:103], v[64:65]
	v_add_f64 v[0:1], v[0:1], v[204:205]
	s_waitcnt vmcnt(13) lgkmcnt(1)
	v_mul_f64 v[204:205], v[196:197], v[70:71]
	v_mul_f64 v[110:111], v[202:203], v[110:111]
	v_fmac_f64_e32 v[204:205], v[198:199], v[68:69]
	v_fma_f64 v[250:251], v[200:201], v[108:109], -v[110:111]
	ds_read_b128 v[108:111], v2 offset:1648
	s_waitcnt vmcnt(12) lgkmcnt(1)
	v_mul_f64 v[200:201], v[104:105], v[74:75]
	v_add_f64 v[0:1], v[0:1], v[204:205]
	v_fmac_f64_e32 v[200:201], v[106:107], v[72:73]
	v_add_f64 v[0:1], v[0:1], v[200:201]
	ds_read_b128 v[200:203], v2 offset:1664
	v_mul_f64 v[114:115], v[186:187], v[114:115]
	v_fma_f64 v[252:253], v[184:185], v[112:113], -v[114:115]
	ds_read_b128 v[112:115], v2 offset:1680
	s_waitcnt vmcnt(11) lgkmcnt(2)
	v_mul_f64 v[184:185], v[108:109], v[78:79]
	v_fmac_f64_e32 v[184:185], v[110:111], v[76:77]
	v_add_f64 v[0:1], v[0:1], v[184:185]
	s_waitcnt vmcnt(10) lgkmcnt(1)
	v_mul_f64 v[184:185], v[200:201], v[82:83]
	v_mul_f64 v[118:119], v[158:159], v[118:119]
	v_fmac_f64_e32 v[184:185], v[202:203], v[80:81]
	v_fma_f64 v[254:255], v[156:157], v[116:117], -v[118:119]
	s_waitcnt vmcnt(9) lgkmcnt(0)
	v_mul_f64 v[156:157], v[112:113], v[86:87]
	v_add_f64 v[0:1], v[0:1], v[184:185]
	ds_read_b128 v[116:119], v2 offset:1696
	v_fmac_f64_e32 v[156:157], v[114:115], v[84:85]
	v_add_f64 v[0:1], v[0:1], v[156:157]
	ds_read_b128 v[156:159], v2 offset:1712
	v_mul_f64 v[122:123], v[182:183], v[122:123]
	v_fma_f64 v[246:247], v[180:181], v[120:121], -v[122:123]
	ds_read_b128 v[120:123], v2 offset:1728
	v_accvgpr_write_b32 a123, v7
	v_mul_f64 v[126:127], v[162:163], v[126:127]
	v_accvgpr_write_b32 a122, v6
	v_accvgpr_write_b32 a121, v5
	;; [unrolled: 1-line block ×3, first 2 shown]
	v_fma_f64 v[4:5], v[160:161], v[124:125], -v[126:127]
	ds_read_b128 v[124:127], v2 offset:1744
	s_waitcnt vmcnt(8) lgkmcnt(3)
	v_mul_f64 v[184:185], v[116:117], v[154:155]
	v_fmac_f64_e32 v[184:185], v[118:119], v[152:153]
	s_waitcnt vmcnt(7) lgkmcnt(2)
	v_mul_f64 v[180:181], v[156:157], v[166:167]
	v_add_f64 v[0:1], v[0:1], v[184:185]
	v_fmac_f64_e32 v[180:181], v[158:159], v[164:165]
	s_waitcnt vmcnt(6) lgkmcnt(1)
	v_mul_f64 v[6:7], v[120:121], v[170:171]
	ds_read_b128 v[160:163], v2 offset:1760
	v_add_f64 v[0:1], v[0:1], v[180:181]
	v_fmac_f64_e32 v[6:7], v[122:123], v[168:169]
	v_add_f64 v[0:1], v[0:1], v[6:7]
	s_waitcnt vmcnt(5) lgkmcnt(1)
	v_mul_f64 v[6:7], v[124:125], v[178:179]
	v_fmac_f64_e32 v[6:7], v[126:127], v[176:177]
	v_add_f64 v[0:1], v[0:1], v[6:7]
	v_mul_f64 v[6:7], v[146:147], v[130:131]
	v_fma_f64 v[6:7], v[144:145], v[128:129], -v[6:7]
	ds_read_b128 v[128:131], v2 offset:1776
	s_waitcnt vmcnt(4) lgkmcnt(1)
	v_mul_f64 v[144:145], v[160:161], v[190:191]
	v_fmac_f64_e32 v[144:145], v[162:163], v[188:189]
	v_add_f64 v[180:181], v[0:1], v[144:145]
	v_mul_f64 v[0:1], v[174:175], v[134:135]
	v_fma_f64 v[0:1], v[172:173], v[132:133], -v[0:1]
	ds_read_b128 v[132:135], v2 offset:1792
	ds_read_b128 v[144:147], v2 offset:1808
	v_mul_f64 v[138:139], v[150:151], v[138:139]
	v_fma_f64 v[248:249], v[148:149], v[136:137], -v[138:139]
	ds_read_b128 v[136:139], v2 offset:1824
	s_waitcnt vmcnt(3) lgkmcnt(3)
	v_mul_f64 v[172:173], v[128:129], v[194:195]
	v_fmac_f64_e32 v[172:173], v[130:131], v[192:193]
	s_waitcnt vmcnt(2) lgkmcnt(2)
	v_mul_f64 v[148:149], v[132:133], v[94:95]
	v_add_f64 v[172:173], v[180:181], v[172:173]
	v_fmac_f64_e32 v[148:149], v[134:135], v[92:93]
	s_waitcnt vmcnt(1) lgkmcnt(1)
	v_mul_f64 v[150:151], v[144:145], v[90:91]
	v_add_f64 v[148:149], v[172:173], v[148:149]
	v_fmac_f64_e32 v[150:151], v[146:147], v[88:89]
	v_add_f64 v[148:149], v[148:149], v[150:151]
	ds_read_b128 v[172:175], v2 offset:1840
	scratch_load_dwordx4 v[208:211], off, off offset:944
	s_waitcnt vmcnt(1) lgkmcnt(1)
	v_mul_f64 v[150:151], v[136:137], v[98:99]
	v_fmac_f64_e32 v[150:151], v[138:139], v[96:97]
	v_add_f64 v[180:181], v[148:149], v[150:151]
	scratch_load_dwordx4 v[148:151], off, off offset:912
	ds_read_b128 v[184:187], v2 offset:1856
	v_accvgpr_write_b32 a125, v1
	v_accvgpr_write_b32 a124, v0
	s_waitcnt vmcnt(0) lgkmcnt(1)
	v_mul_f64 v[182:183], v[172:173], v[150:151]
	v_fmac_f64_e32 v[182:183], v[174:175], v[148:149]
	v_add_f64 v[204:205], v[180:181], v[182:183]
	scratch_load_dwordx4 v[180:183], off, off offset:928
	s_waitcnt vmcnt(0) lgkmcnt(0)
	v_mul_f64 v[206:207], v[184:185], v[182:183]
	v_fmac_f64_e32 v[206:207], v[186:187], v[180:181]
	v_add_f64 v[0:1], v[204:205], v[206:207]
	ds_read_b128 v[204:207], v2 offset:1872
	s_waitcnt lgkmcnt(0)
	v_mul_f64 v[2:3], v[204:205], v[210:211]
	v_fmac_f64_e32 v[2:3], v[206:207], v[208:209]
	v_add_f64 v[2:3], v[0:1], v[2:3]
	v_add_f64 v[0:1], v[240:241], 0
	;; [unrolled: 1-line block ×6, first 2 shown]
	scratch_load_dwordx4 v[216:219], off, off offset:272
	v_add_f64 v[0:1], v[0:1], v[250:251]
	v_add_f64 v[0:1], v[0:1], v[252:253]
	;; [unrolled: 1-line block ×6, first 2 shown]
	v_accvgpr_read_b32 v0, a124
	v_accvgpr_read_b32 v243, a123
	;; [unrolled: 1-line block ×4, first 2 shown]
	v_add_f64 v[0:1], v[250:251], v[0:1]
	v_accvgpr_read_b32 v241, a121
	v_accvgpr_read_b32 v240, a120
	v_mul_f64 v[4:5], v[46:47], v[242:243]
	v_add_f64 v[0:1], v[0:1], v[248:249]
	v_fma_f64 v[4:5], v[44:45], v[240:241], -v[4:5]
	v_add_f64 v[0:1], v[0:1], v[4:5]
	v_mul_f64 v[4:5], v[42:43], v[10:11]
	v_fma_f64 v[4:5], v[40:41], v[8:9], -v[4:5]
	v_add_f64 v[0:1], v[0:1], v[4:5]
	v_mul_f64 v[4:5], v[34:35], v[14:15]
	;; [unrolled: 3-line block ×28, first 2 shown]
	v_fma_f64 v[4:5], v[204:205], v[208:209], -v[4:5]
	v_add_f64 v[0:1], v[0:1], v[4:5]
	s_waitcnt vmcnt(0)
	v_add_f64 v[4:5], v[216:217], -v[0:1]
	v_accvgpr_read_b32 v0, a118
	v_add_f64 v[6:7], v[218:219], -v[2:3]
	v_cmp_lt_u32_e32 vcc, 15, v0
	scratch_store_dwordx4 off, v[4:7], off offset:272
	s_and_saveexec_b64 s[0:1], vcc
	s_cbranch_execz .LBB122_337
; %bb.336:
	scratch_load_dwordx4 v[2:5], off, s60
	v_mov_b32_e32 v6, 0
	v_mov_b32_e32 v7, v6
	;; [unrolled: 1-line block ×4, first 2 shown]
	v_accvgpr_read_b32 v0, a119
	scratch_store_dwordx4 off, v[6:9], off offset:256
	s_waitcnt vmcnt(1)
	ds_write_b128 v0, v[2:5]
.LBB122_337:
	s_or_b64 exec, exec, s[0:1]
	s_waitcnt lgkmcnt(0)
	; wave barrier
	scratch_load_dwordx4 v[96:99], off, off offset:272
	scratch_load_dwordx4 v[100:103], off, off offset:288
	;; [unrolled: 1-line block ×30, first 2 shown]
	v_mov_b32_e32 v2, 0
	ds_read_b128 v[136:139], v2 offset:1200
	ds_read_b128 v[144:147], v2 offset:1216
	ds_read_b128 v[148:151], v2 offset:1232
	ds_read_b128 v[164:167], v2 offset:1248
	ds_read_b128 v[176:179], v2 offset:1264
	ds_read_b128 v[188:191], v2 offset:1280
	ds_read_b128 v[200:203], v2 offset:1296
	ds_read_b128 v[208:211], v2 offset:1312
	ds_read_b128 v[212:215], v2 offset:1328
	ds_read_b128 v[216:219], v2 offset:1344
	ds_read_b128 v[220:223], v2 offset:1360
	ds_read_b128 v[224:227], v2 offset:1376
	ds_read_b128 v[228:231], v2 offset:1392
	ds_read_b128 v[246:249], v2 offset:1408
	ds_read_b128 v[250:253], v2 offset:1424
	ds_read_b128 v[68:71], v2 offset:1440
	ds_read_b128 v[64:67], v2 offset:1456
	ds_read_b128 v[124:127], v2 offset:1504
	ds_read_b128 v[128:131], v2 offset:1520
	ds_read_b128 v[132:135], v2 offset:1536
	s_waitcnt vmcnt(29) lgkmcnt(14)
	v_mul_f64 v[0:1], v[136:137], v[98:99]
	s_waitcnt vmcnt(28)
	v_mul_f64 v[72:73], v[144:145], v[102:103]
	v_fmac_f64_e32 v[0:1], v[138:139], v[96:97]
	s_waitcnt vmcnt(27)
	v_mul_f64 v[74:75], v[148:149], v[106:107]
	v_fmac_f64_e32 v[72:73], v[146:147], v[100:101]
	v_add_f64 v[0:1], v[0:1], 0
	s_waitcnt vmcnt(26)
	v_mul_f64 v[76:77], v[164:165], v[110:111]
	v_fmac_f64_e32 v[74:75], v[150:151], v[104:105]
	v_add_f64 v[0:1], v[0:1], v[72:73]
	s_waitcnt vmcnt(25)
	v_mul_f64 v[78:79], v[176:177], v[114:115]
	v_fmac_f64_e32 v[76:77], v[166:167], v[108:109]
	v_add_f64 v[0:1], v[0:1], v[74:75]
	s_waitcnt vmcnt(24)
	v_mul_f64 v[80:81], v[188:189], v[154:155]
	v_fmac_f64_e32 v[78:79], v[178:179], v[112:113]
	v_add_f64 v[0:1], v[0:1], v[76:77]
	s_waitcnt vmcnt(23) lgkmcnt(13)
	v_mul_f64 v[82:83], v[200:201], v[158:159]
	v_fmac_f64_e32 v[80:81], v[190:191], v[152:153]
	v_add_f64 v[0:1], v[0:1], v[78:79]
	s_waitcnt vmcnt(22) lgkmcnt(12)
	v_mul_f64 v[84:85], v[208:209], v[162:163]
	v_fmac_f64_e32 v[82:83], v[202:203], v[156:157]
	v_add_f64 v[0:1], v[0:1], v[80:81]
	;; [unrolled: 4-line block ×9, first 2 shown]
	s_waitcnt vmcnt(14) lgkmcnt(4)
	v_mul_f64 v[120:121], v[68:69], v[6:7]
	v_fmac_f64_e32 v[118:119], v[252:253], v[204:205]
	v_accvgpr_write_b32 a123, v7
	v_add_f64 v[0:1], v[0:1], v[116:117]
	v_fmac_f64_e32 v[120:121], v[70:71], v[4:5]
	v_accvgpr_write_b32 a122, v6
	v_accvgpr_write_b32 a121, v5
	;; [unrolled: 1-line block ×3, first 2 shown]
	v_add_f64 v[0:1], v[0:1], v[118:119]
	ds_read_b128 v[116:119], v2 offset:1472
	s_waitcnt vmcnt(13)
	v_mov_b64_e32 v[4:5], v[8:9]
	v_mov_b64_e32 v[6:7], v[10:11]
	s_waitcnt lgkmcnt(4)
	v_mul_f64 v[76:77], v[64:65], v[6:7]
	scratch_load_dwordx4 v[72:75], off, off offset:752
	v_add_f64 v[0:1], v[0:1], v[120:121]
	v_fmac_f64_e32 v[76:77], v[66:67], v[4:5]
	s_waitcnt vmcnt(13)
	v_mov_b64_e32 v[4:5], v[12:13]
	v_add_f64 v[0:1], v[0:1], v[76:77]
	v_mov_b64_e32 v[6:7], v[14:15]
	scratch_load_dwordx4 v[76:79], off, off offset:768
	ds_read_b128 v[120:123], v2 offset:1488
	s_waitcnt lgkmcnt(1)
	v_mul_f64 v[80:81], v[116:117], v[6:7]
	v_fmac_f64_e32 v[80:81], v[118:119], v[4:5]
	v_add_f64 v[0:1], v[0:1], v[80:81]
	scratch_load_dwordx4 v[80:83], off, off offset:784
	s_waitcnt vmcnt(14) lgkmcnt(0)
	v_mul_f64 v[84:85], v[120:121], v[236:237]
	v_fmac_f64_e32 v[84:85], v[122:123], v[234:235]
	s_waitcnt vmcnt(13)
	v_mul_f64 v[88:89], v[124:125], v[22:23]
	v_add_f64 v[0:1], v[0:1], v[84:85]
	v_fmac_f64_e32 v[88:89], v[126:127], v[20:21]
	scratch_load_dwordx4 v[84:87], off, off offset:800
	v_add_f64 v[0:1], v[0:1], v[88:89]
	s_waitcnt vmcnt(13)
	v_mul_f64 v[88:89], v[128:129], v[26:27]
	v_fmac_f64_e32 v[88:89], v[130:131], v[24:25]
	v_add_f64 v[0:1], v[0:1], v[88:89]
	scratch_load_dwordx4 v[88:91], off, off offset:816
	s_waitcnt vmcnt(13)
	v_mul_f64 v[92:93], v[132:133], v[30:31]
	v_fmac_f64_e32 v[92:93], v[134:135], v[28:29]
	v_add_f64 v[0:1], v[0:1], v[92:93]
	scratch_load_dwordx4 v[92:95], off, off offset:832
	v_mul_f64 v[98:99], v[138:139], v[98:99]
	v_fma_f64 v[240:241], v[136:137], v[96:97], -v[98:99]
	v_mul_f64 v[96:97], v[146:147], v[102:103]
	ds_read_b128 v[140:143], v2 offset:1552
	ds_read_b128 v[136:139], v2 offset:1568
	v_fma_f64 v[242:243], v[144:145], v[100:101], -v[96:97]
	scratch_load_dwordx4 v[100:103], off, off offset:848
	scratch_load_dwordx4 v[96:99], off, off offset:864
	s_waitcnt vmcnt(15) lgkmcnt(1)
	v_mul_f64 v[144:145], v[140:141], v[34:35]
	v_fmac_f64_e32 v[144:145], v[142:143], v[32:33]
	v_mul_f64 v[106:107], v[150:151], v[106:107]
	v_add_f64 v[0:1], v[0:1], v[144:145]
	s_waitcnt vmcnt(14) lgkmcnt(0)
	v_mul_f64 v[144:145], v[136:137], v[38:39]
	v_fma_f64 v[244:245], v[148:149], v[104:105], -v[106:107]
	v_mul_f64 v[104:105], v[166:167], v[110:111]
	v_fmac_f64_e32 v[144:145], v[138:139], v[36:37]
	v_fma_f64 v[254:255], v[164:165], v[108:109], -v[104:105]
	scratch_load_dwordx4 v[104:107], off, off offset:880
	v_add_f64 v[0:1], v[0:1], v[144:145]
	ds_read_b128 v[144:147], v2 offset:1584
	ds_read_b128 v[148:151], v2 offset:1600
	v_mul_f64 v[108:109], v[178:179], v[114:115]
	v_fma_f64 v[232:233], v[176:177], v[112:113], -v[108:109]
	scratch_load_dwordx4 v[108:111], off, off offset:896
	s_waitcnt vmcnt(15) lgkmcnt(1)
	v_mul_f64 v[112:113], v[144:145], v[42:43]
	v_fmac_f64_e32 v[112:113], v[146:147], v[40:41]
	v_add_f64 v[0:1], v[0:1], v[112:113]
	v_mul_f64 v[112:113], v[190:191], v[154:155]
	v_fma_f64 v[16:17], v[188:189], v[152:153], -v[112:113]
	scratch_load_dwordx4 v[112:115], off, off offset:912
	ds_read_b128 v[152:155], v2 offset:1616
	s_waitcnt vmcnt(15) lgkmcnt(1)
	v_mul_f64 v[6:7], v[148:149], v[46:47]
	v_fmac_f64_e32 v[6:7], v[150:151], v[44:45]
	v_accvgpr_write_b32 a131, v15
	v_add_f64 v[0:1], v[0:1], v[6:7]
	v_mul_f64 v[6:7], v[202:203], v[158:159]
	v_accvgpr_write_b32 a130, v14
	v_accvgpr_write_b32 a129, v13
	;; [unrolled: 1-line block ×3, first 2 shown]
	v_fma_f64 v[12:13], v[200:201], v[156:157], -v[6:7]
	ds_read_b128 v[156:159], v2 offset:1632
	s_waitcnt vmcnt(14) lgkmcnt(1)
	v_mul_f64 v[6:7], v[152:153], v[50:51]
	v_fmac_f64_e32 v[6:7], v[154:155], v[48:49]
	v_accvgpr_write_b32 a127, v11
	v_add_f64 v[0:1], v[0:1], v[6:7]
	v_mul_f64 v[6:7], v[210:211], v[162:163]
	v_accvgpr_write_b32 a126, v10
	v_accvgpr_write_b32 a125, v9
	;; [unrolled: 1-line block ×3, first 2 shown]
	v_fma_f64 v[10:11], v[208:209], v[160:161], -v[6:7]
	ds_read_b128 v[160:163], v2 offset:1648
	ds_read_b128 v[164:167], v2 offset:1664
	s_waitcnt vmcnt(13) lgkmcnt(2)
	v_mul_f64 v[6:7], v[156:157], v[54:55]
	v_fmac_f64_e32 v[6:7], v[158:159], v[52:53]
	v_add_f64 v[0:1], v[0:1], v[6:7]
	s_waitcnt vmcnt(12) lgkmcnt(1)
	v_mul_f64 v[6:7], v[160:161], v[62:63]
	v_fmac_f64_e32 v[6:7], v[162:163], v[60:61]
	v_add_f64 v[0:1], v[0:1], v[6:7]
	v_mul_f64 v[6:7], v[214:215], v[170:171]
	v_fma_f64 v[8:9], v[212:213], v[168:169], -v[6:7]
	s_waitcnt vmcnt(11) lgkmcnt(0)
	v_mul_f64 v[6:7], v[164:165], v[58:59]
	v_fmac_f64_e32 v[6:7], v[166:167], v[56:57]
	ds_read_b128 v[168:171], v2 offset:1680
	v_add_f64 v[0:1], v[0:1], v[6:7]
	v_mul_f64 v[6:7], v[218:219], v[174:175]
	v_fma_f64 v[14:15], v[216:217], v[172:173], -v[6:7]
	ds_read_b128 v[172:175], v2 offset:1696
	s_waitcnt vmcnt(10) lgkmcnt(1)
	v_mul_f64 v[6:7], v[168:169], v[74:75]
	ds_read_b128 v[176:179], v2 offset:1712
	v_fmac_f64_e32 v[6:7], v[170:171], v[72:73]
	v_add_f64 v[0:1], v[0:1], v[6:7]
	s_waitcnt vmcnt(9) lgkmcnt(1)
	v_mul_f64 v[6:7], v[172:173], v[78:79]
	v_fmac_f64_e32 v[6:7], v[174:175], v[76:77]
	v_add_f64 v[0:1], v[0:1], v[6:7]
	v_mul_f64 v[6:7], v[222:223], v[182:183]
	v_fma_f64 v[4:5], v[220:221], v[180:181], -v[6:7]
	ds_read_b128 v[180:183], v2 offset:1728
	s_waitcnt vmcnt(8) lgkmcnt(1)
	v_mul_f64 v[6:7], v[176:177], v[82:83]
	v_fmac_f64_e32 v[6:7], v[178:179], v[80:81]
	v_add_f64 v[0:1], v[0:1], v[6:7]
	v_mul_f64 v[6:7], v[226:227], v[186:187]
	v_fma_f64 v[6:7], v[224:225], v[184:185], -v[6:7]
	ds_read_b128 v[184:187], v2 offset:1744
	ds_read_b128 v[188:191], v2 offset:1760
	s_waitcnt vmcnt(7) lgkmcnt(2)
	v_mul_f64 v[18:19], v[180:181], v[86:87]
	v_fmac_f64_e32 v[18:19], v[182:183], v[84:85]
	v_add_f64 v[0:1], v[0:1], v[18:19]
	s_waitcnt vmcnt(6) lgkmcnt(1)
	v_mul_f64 v[18:19], v[184:185], v[90:91]
	v_fmac_f64_e32 v[18:19], v[186:187], v[88:89]
	v_add_f64 v[18:19], v[0:1], v[18:19]
	v_mul_f64 v[0:1], v[230:231], v[194:195]
	v_fma_f64 v[0:1], v[228:229], v[192:193], -v[0:1]
	ds_read_b128 v[192:195], v2 offset:1776
	s_waitcnt vmcnt(5) lgkmcnt(1)
	v_mul_f64 v[200:201], v[188:189], v[94:95]
	v_fmac_f64_e32 v[200:201], v[190:191], v[92:93]
	v_mul_f64 v[198:199], v[248:249], v[198:199]
	v_fma_f64 v[238:239], v[246:247], v[196:197], -v[198:199]
	ds_read_b128 v[196:199], v2 offset:1792
	v_add_f64 v[18:19], v[18:19], v[200:201]
	s_waitcnt vmcnt(4) lgkmcnt(1)
	v_mul_f64 v[200:201], v[192:193], v[102:103]
	v_fmac_f64_e32 v[200:201], v[194:195], v[100:101]
	v_add_f64 v[18:19], v[18:19], v[200:201]
	ds_read_b128 v[200:203], v2 offset:1808
	v_mul_f64 v[206:207], v[252:253], v[206:207]
	v_fma_f64 v[246:247], v[250:251], v[204:205], -v[206:207]
	ds_read_b128 v[204:207], v2 offset:1824
	s_waitcnt vmcnt(3) lgkmcnt(2)
	v_mul_f64 v[208:209], v[196:197], v[98:99]
	v_fmac_f64_e32 v[208:209], v[198:199], v[96:97]
	v_add_f64 v[18:19], v[18:19], v[208:209]
	s_waitcnt vmcnt(2) lgkmcnt(1)
	v_mul_f64 v[208:209], v[200:201], v[106:107]
	v_fmac_f64_e32 v[208:209], v[202:203], v[104:105]
	v_add_f64 v[18:19], v[18:19], v[208:209]
	;; [unrolled: 4-line block ×3, first 2 shown]
	ds_read_b128 v[208:211], v2 offset:1840
	ds_read_b128 v[216:219], v2 offset:1856
	;; [unrolled: 1-line block ×3, first 2 shown]
	s_waitcnt vmcnt(0) lgkmcnt(2)
	v_mul_f64 v[212:213], v[208:209], v[114:115]
	v_fmac_f64_e32 v[212:213], v[210:211], v[112:113]
	v_add_f64 v[18:19], v[18:19], v[212:213]
	scratch_load_dwordx4 v[212:215], off, off offset:928
	s_waitcnt vmcnt(0) lgkmcnt(1)
	v_mul_f64 v[220:221], v[216:217], v[214:215]
	v_fmac_f64_e32 v[220:221], v[218:219], v[212:213]
	v_add_f64 v[18:19], v[18:19], v[220:221]
	scratch_load_dwordx4 v[220:223], off, off offset:944
	;; [unrolled: 5-line block ×3, first 2 shown]
	v_add_f64 v[18:19], v[240:241], 0
	v_add_f64 v[18:19], v[18:19], v[242:243]
	;; [unrolled: 1-line block ×12, first 2 shown]
	v_accvgpr_read_b32 v6, a120
	v_accvgpr_read_b32 v8, a122
	;; [unrolled: 1-line block ×3, first 2 shown]
	v_add_f64 v[0:1], v[4:5], v[0:1]
	v_accvgpr_read_b32 v7, a121
	v_mul_f64 v[4:5], v[70:71], v[8:9]
	v_add_f64 v[0:1], v[0:1], v[238:239]
	v_fma_f64 v[4:5], v[68:69], v[6:7], -v[4:5]
	v_accvgpr_read_b32 v6, a124
	v_add_f64 v[0:1], v[0:1], v[246:247]
	v_accvgpr_read_b32 v8, a126
	v_accvgpr_read_b32 v9, a127
	v_add_f64 v[0:1], v[0:1], v[4:5]
	v_accvgpr_read_b32 v7, a125
	v_mul_f64 v[4:5], v[66:67], v[8:9]
	v_fma_f64 v[4:5], v[64:65], v[6:7], -v[4:5]
	v_accvgpr_read_b32 v6, a128
	v_accvgpr_read_b32 v8, a130
	;; [unrolled: 1-line block ×3, first 2 shown]
	v_add_f64 v[0:1], v[0:1], v[4:5]
	v_accvgpr_read_b32 v7, a129
	v_mul_f64 v[4:5], v[118:119], v[8:9]
	v_fma_f64 v[4:5], v[116:117], v[6:7], -v[4:5]
	v_add_f64 v[0:1], v[0:1], v[4:5]
	v_mul_f64 v[4:5], v[122:123], v[236:237]
	v_fma_f64 v[4:5], v[120:121], v[234:235], -v[4:5]
	v_add_f64 v[0:1], v[0:1], v[4:5]
	;; [unrolled: 3-line block ×26, first 2 shown]
	s_waitcnt vmcnt(0)
	v_add_f64 v[4:5], v[228:229], -v[0:1]
	v_accvgpr_read_b32 v0, a118
	v_add_f64 v[6:7], v[230:231], -v[250:251]
	v_cmp_lt_u32_e32 vcc, 14, v0
	scratch_store_dwordx4 off, v[4:7], off offset:256
	s_and_saveexec_b64 s[0:1], vcc
	s_cbranch_execz .LBB122_339
; %bb.338:
	scratch_load_dwordx4 v[6:9], off, s61
	v_mov_b32_e32 v3, v2
	v_mov_b32_e32 v4, v2
	;; [unrolled: 1-line block ×3, first 2 shown]
	v_accvgpr_read_b32 v0, a119
	scratch_store_dwordx4 off, v[2:5], off offset:240
	s_waitcnt vmcnt(1)
	ds_write_b128 v0, v[6:9]
.LBB122_339:
	s_or_b64 exec, exec, s[0:1]
	s_waitcnt lgkmcnt(0)
	; wave barrier
	scratch_load_dwordx4 v[72:75], off, off offset:256
	scratch_load_dwordx4 v[76:79], off, off offset:272
	;; [unrolled: 1-line block ×17, first 2 shown]
	ds_read_b128 v[176:179], v2 offset:1184
	ds_read_b128 v[192:195], v2 offset:1200
	;; [unrolled: 1-line block ×3, first 2 shown]
	scratch_load_dwordx4 v[20:23], off, off offset:528
	ds_read_b128 v[236:239], v2 offset:1232
	ds_read_b128 v[232:235], v2 offset:1248
	;; [unrolled: 1-line block ×5, first 2 shown]
	scratch_load_dwordx4 v[168:171], off, off offset:544
	ds_read_b128 v[224:227], v2 offset:1312
	ds_read_b128 v[212:215], v2 offset:1328
	;; [unrolled: 1-line block ×3, first 2 shown]
	scratch_load_dwordx4 v[12:15], off, off offset:560
	ds_read_b128 v[216:219], v2 offset:1360
	ds_read_b128 v[204:207], v2 offset:1376
	;; [unrolled: 1-line block ×5, first 2 shown]
	scratch_load_dwordx4 v[28:31], off, off offset:576
	ds_read_b128 v[32:35], v2 offset:1440
	scratch_load_dwordx4 v[36:39], off, off offset:592
	scratch_load_dwordx4 v[40:43], off, off offset:608
	;; [unrolled: 1-line block ×9, first 2 shown]
	ds_read_b128 v[132:135], v2 offset:1456
	s_waitcnt lgkmcnt(2)
	v_accvgpr_write_b32 a127, v19
	v_accvgpr_write_b32 a126, v18
	;; [unrolled: 1-line block ×4, first 2 shown]
	ds_read_b128 v[172:175], v2 offset:1520
	s_waitcnt vmcnt(29)
	v_mul_f64 v[0:1], v[176:177], v[74:75]
	s_waitcnt vmcnt(28)
	v_mul_f64 v[136:137], v[192:193], v[78:79]
	v_fmac_f64_e32 v[0:1], v[178:179], v[72:73]
	s_waitcnt vmcnt(27)
	v_mul_f64 v[138:139], v[188:189], v[82:83]
	v_fmac_f64_e32 v[136:137], v[194:195], v[76:77]
	v_add_f64 v[0:1], v[0:1], 0
	s_waitcnt vmcnt(26)
	v_mul_f64 v[140:141], v[236:237], v[86:87]
	v_fmac_f64_e32 v[138:139], v[190:191], v[80:81]
	v_add_f64 v[0:1], v[0:1], v[136:137]
	;; [unrolled: 4-line block ×14, first 2 shown]
	v_fmac_f64_e32 v[164:165], v[18:19], v[4:5]
	v_add_f64 v[0:1], v[0:1], v[162:163]
	s_waitcnt vmcnt(13) lgkmcnt(2)
	v_mul_f64 v[140:141], v[32:33], v[26:27]
	scratch_load_dwordx4 v[136:139], off, off offset:736
	v_add_f64 v[0:1], v[0:1], v[164:165]
	v_fmac_f64_e32 v[140:141], v[34:35], v[24:25]
	v_add_f64 v[0:1], v[0:1], v[140:141]
	ds_read_b128 v[160:163], v2 offset:1472
	scratch_load_dwordx4 v[140:143], off, off offset:752
	ds_read_b128 v[164:167], v2 offset:1488
	s_waitcnt vmcnt(13)
	v_mov_b64_e32 v[16:17], v[168:169]
	v_mov_b64_e32 v[18:19], v[170:171]
	ds_read_b128 v[168:171], v2 offset:1504
	s_waitcnt lgkmcnt(4)
	v_mul_f64 v[144:145], v[132:133], v[22:23]
	v_fmac_f64_e32 v[144:145], v[134:135], v[20:21]
	s_waitcnt lgkmcnt(2)
	v_mul_f64 v[148:149], v[160:161], v[18:19]
	v_add_f64 v[0:1], v[0:1], v[144:145]
	v_fmac_f64_e32 v[148:149], v[162:163], v[16:17]
	s_waitcnt vmcnt(12) lgkmcnt(1)
	v_mul_f64 v[152:153], v[164:165], v[14:15]
	scratch_load_dwordx4 v[144:147], off, off offset:768
	v_add_f64 v[0:1], v[0:1], v[148:149]
	v_fmac_f64_e32 v[152:153], v[166:167], v[12:13]
	scratch_load_dwordx4 v[148:151], off, off offset:784
	v_add_f64 v[0:1], v[0:1], v[152:153]
	s_waitcnt vmcnt(13) lgkmcnt(0)
	v_mul_f64 v[152:153], v[168:169], v[30:31]
	v_fmac_f64_e32 v[152:153], v[170:171], v[28:29]
	v_add_f64 v[0:1], v[0:1], v[152:153]
	scratch_load_dwordx4 v[152:155], off, off offset:800
	s_waitcnt vmcnt(13)
	v_mul_f64 v[156:157], v[172:173], v[38:39]
	v_fmac_f64_e32 v[156:157], v[174:175], v[36:37]
	v_mul_f64 v[74:75], v[178:179], v[74:75]
	v_add_f64 v[0:1], v[0:1], v[156:157]
	scratch_load_dwordx4 v[156:159], off, off offset:816
	v_fma_f64 v[240:241], v[176:177], v[72:73], -v[74:75]
	v_mul_f64 v[72:73], v[194:195], v[78:79]
	ds_read_b128 v[180:183], v2 offset:1536
	ds_read_b128 v[176:179], v2 offset:1552
	v_fma_f64 v[242:243], v[192:193], v[76:77], -v[72:73]
	scratch_load_dwordx4 v[76:79], off, off offset:832
	scratch_load_dwordx4 v[72:75], off, off offset:848
	v_mul_f64 v[82:83], v[190:191], v[82:83]
	v_fma_f64 v[244:245], v[188:189], v[80:81], -v[82:83]
	v_mul_f64 v[80:81], v[238:239], v[86:87]
	v_fma_f64 v[236:237], v[236:237], v[84:85], -v[80:81]
	scratch_load_dwordx4 v[80:83], off, off offset:864
	ds_read_b128 v[188:191], v2 offset:1568
	v_mul_f64 v[84:85], v[234:235], v[90:91]
	s_waitcnt vmcnt(16) lgkmcnt(2)
	v_mul_f64 v[192:193], v[180:181], v[42:43]
	v_fma_f64 v[238:239], v[232:233], v[88:89], -v[84:85]
	scratch_load_dwordx4 v[84:87], off, off offset:880
	v_fmac_f64_e32 v[192:193], v[182:183], v[40:41]
	v_add_f64 v[0:1], v[0:1], v[192:193]
	s_waitcnt vmcnt(16) lgkmcnt(1)
	v_mul_f64 v[192:193], v[176:177], v[46:47]
	v_fmac_f64_e32 v[192:193], v[178:179], v[44:45]
	v_add_f64 v[0:1], v[0:1], v[192:193]
	ds_read_b128 v[192:195], v2 offset:1584
	s_waitcnt vmcnt(15) lgkmcnt(1)
	v_mul_f64 v[88:89], v[188:189], v[50:51]
	v_fmac_f64_e32 v[88:89], v[190:191], v[48:49]
	v_add_f64 v[0:1], v[0:1], v[88:89]
	v_mul_f64 v[88:89], v[230:231], v[94:95]
	v_fma_f64 v[250:251], v[228:229], v[92:93], -v[88:89]
	scratch_load_dwordx4 v[88:91], off, off offset:896
	scratch_load_dwordx4 v[232:235], off, off offset:944
	ds_read_b128 v[92:95], v2 offset:1600
	v_mul_f64 v[98:99], v[222:223], v[98:99]
	v_fma_f64 v[252:253], v[220:221], v[96:97], -v[98:99]
	ds_read_b128 v[96:99], v2 offset:1616
	v_mul_f64 v[102:103], v[210:211], v[102:103]
	s_waitcnt vmcnt(16) lgkmcnt(2)
	v_mul_f64 v[228:229], v[192:193], v[54:55]
	v_fma_f64 v[254:255], v[208:209], v[100:101], -v[102:103]
	ds_read_b128 v[100:103], v2 offset:1632
	ds_read_b128 v[208:211], v2 offset:1648
	v_fmac_f64_e32 v[228:229], v[194:195], v[52:53]
	s_waitcnt vmcnt(15) lgkmcnt(3)
	v_mul_f64 v[220:221], v[92:93], v[58:59]
	v_add_f64 v[0:1], v[0:1], v[228:229]
	v_fmac_f64_e32 v[220:221], v[94:95], v[56:57]
	v_mul_f64 v[106:107], v[226:227], v[106:107]
	v_add_f64 v[0:1], v[0:1], v[220:221]
	s_waitcnt vmcnt(14) lgkmcnt(2)
	v_mul_f64 v[220:221], v[96:97], v[62:63]
	v_fma_f64 v[246:247], v[224:225], v[104:105], -v[106:107]
	ds_read_b128 v[104:107], v2 offset:1664
	v_fmac_f64_e32 v[220:221], v[98:99], v[60:61]
	v_mul_f64 v[110:111], v[214:215], v[110:111]
	v_add_f64 v[0:1], v[0:1], v[220:221]
	s_waitcnt vmcnt(13) lgkmcnt(2)
	v_mul_f64 v[220:221], v[100:101], v[70:71]
	v_fma_f64 v[8:9], v[212:213], v[108:109], -v[110:111]
	ds_read_b128 v[108:111], v2 offset:1680
	v_fmac_f64_e32 v[220:221], v[102:103], v[68:69]
	v_accvgpr_write_b32 a123, v7
	v_add_f64 v[0:1], v[0:1], v[220:221]
	s_waitcnt vmcnt(12) lgkmcnt(2)
	v_mul_f64 v[220:221], v[208:209], v[66:67]
	v_accvgpr_write_b32 a122, v6
	v_accvgpr_write_b32 a121, v5
	;; [unrolled: 1-line block ×3, first 2 shown]
	v_fmac_f64_e32 v[220:221], v[210:211], v[64:65]
	s_waitcnt vmcnt(11) lgkmcnt(1)
	v_mul_f64 v[6:7], v[104:105], v[138:139]
	v_add_f64 v[0:1], v[0:1], v[220:221]
	v_fmac_f64_e32 v[6:7], v[106:107], v[136:137]
	v_add_f64 v[0:1], v[0:1], v[6:7]
	s_waitcnt vmcnt(10) lgkmcnt(0)
	v_mul_f64 v[6:7], v[108:109], v[142:143]
	v_fmac_f64_e32 v[6:7], v[110:111], v[140:141]
	ds_read_b128 v[212:215], v2 offset:1696
	v_add_f64 v[0:1], v[0:1], v[6:7]
	v_mul_f64 v[6:7], v[202:203], v[114:115]
	v_fma_f64 v[6:7], v[200:201], v[112:113], -v[6:7]
	ds_read_b128 v[112:115], v2 offset:1712
	v_mul_f64 v[118:119], v[218:219], v[118:119]
	v_fma_f64 v[4:5], v[216:217], v[116:117], -v[118:119]
	ds_read_b128 v[116:119], v2 offset:1728
	s_waitcnt vmcnt(9) lgkmcnt(2)
	v_mul_f64 v[200:201], v[212:213], v[146:147]
	v_fmac_f64_e32 v[200:201], v[214:215], v[144:145]
	s_waitcnt vmcnt(8) lgkmcnt(1)
	v_mul_f64 v[10:11], v[112:113], v[150:151]
	v_add_f64 v[0:1], v[0:1], v[200:201]
	v_fmac_f64_e32 v[10:11], v[114:115], v[148:149]
	v_add_f64 v[0:1], v[0:1], v[10:11]
	ds_read_b128 v[200:203], v2 offset:1744
	s_waitcnt vmcnt(7) lgkmcnt(1)
	v_mul_f64 v[10:11], v[116:117], v[154:155]
	v_fmac_f64_e32 v[10:11], v[118:119], v[152:153]
	v_add_f64 v[10:11], v[0:1], v[10:11]
	v_mul_f64 v[0:1], v[206:207], v[122:123]
	v_fma_f64 v[0:1], v[204:205], v[120:121], -v[0:1]
	ds_read_b128 v[120:123], v2 offset:1760
	v_mul_f64 v[126:127], v[198:199], v[126:127]
	v_fma_f64 v[124:125], v[196:197], v[124:125], -v[126:127]
	s_waitcnt vmcnt(6) lgkmcnt(1)
	v_mul_f64 v[204:205], v[200:201], v[158:159]
	v_accvgpr_write_b32 a129, v125
	v_fmac_f64_e32 v[204:205], v[202:203], v[156:157]
	v_accvgpr_write_b32 a128, v124
	ds_read_b128 v[124:127], v2 offset:1776
	s_waitcnt vmcnt(5) lgkmcnt(1)
	v_mul_f64 v[196:197], v[120:121], v[78:79]
	v_add_f64 v[10:11], v[10:11], v[204:205]
	v_fmac_f64_e32 v[196:197], v[122:123], v[76:77]
	v_add_f64 v[10:11], v[10:11], v[196:197]
	ds_read_b128 v[196:199], v2 offset:1792
	v_mul_f64 v[130:131], v[186:187], v[130:131]
	v_fma_f64 v[248:249], v[184:185], v[128:129], -v[130:131]
	ds_read_b128 v[128:131], v2 offset:1808
	s_waitcnt vmcnt(4) lgkmcnt(2)
	v_mul_f64 v[184:185], v[124:125], v[74:75]
	v_fmac_f64_e32 v[184:185], v[126:127], v[72:73]
	v_add_f64 v[10:11], v[10:11], v[184:185]
	s_waitcnt vmcnt(3) lgkmcnt(1)
	v_mul_f64 v[184:185], v[196:197], v[82:83]
	v_fmac_f64_e32 v[184:185], v[198:199], v[80:81]
	v_add_f64 v[10:11], v[10:11], v[184:185]
	;; [unrolled: 4-line block ×3, first 2 shown]
	ds_read_b128 v[184:187], v2 offset:1824
	ds_read_b128 v[216:219], v2 offset:1840
	;; [unrolled: 1-line block ×3, first 2 shown]
	s_waitcnt vmcnt(1) lgkmcnt(2)
	v_mul_f64 v[204:205], v[184:185], v[90:91]
	v_fmac_f64_e32 v[204:205], v[186:187], v[88:89]
	v_add_f64 v[10:11], v[10:11], v[204:205]
	scratch_load_dwordx4 v[204:207], off, off offset:912
	s_waitcnt vmcnt(0) lgkmcnt(1)
	v_mul_f64 v[220:221], v[216:217], v[206:207]
	v_fmac_f64_e32 v[220:221], v[218:219], v[204:205]
	v_add_f64 v[10:11], v[10:11], v[220:221]
	scratch_load_dwordx4 v[220:223], off, off offset:928
	s_waitcnt vmcnt(0) lgkmcnt(0)
	v_mul_f64 v[228:229], v[224:225], v[222:223]
	v_fmac_f64_e32 v[228:229], v[226:227], v[220:221]
	v_add_f64 v[10:11], v[10:11], v[228:229]
	ds_read_b128 v[228:231], v2 offset:1872
	s_waitcnt lgkmcnt(0)
	v_mul_f64 v[2:3], v[228:229], v[234:235]
	v_fmac_f64_e32 v[2:3], v[230:231], v[232:233]
	v_add_f64 v[2:3], v[10:11], v[2:3]
	v_add_f64 v[10:11], v[240:241], 0
	;; [unrolled: 1-line block ×6, first 2 shown]
	scratch_load_dwordx4 v[236:239], off, off offset:240
	v_add_f64 v[10:11], v[10:11], v[250:251]
	v_add_f64 v[10:11], v[10:11], v[252:253]
	;; [unrolled: 1-line block ×8, first 2 shown]
	v_accvgpr_read_b32 v0, a128
	v_accvgpr_read_b32 v6, a120
	;; [unrolled: 1-line block ×7, first 2 shown]
	v_add_f64 v[0:1], v[250:251], v[0:1]
	v_accvgpr_read_b32 v7, a121
	v_accvgpr_read_b32 v241, a125
	;; [unrolled: 1-line block ×3, first 2 shown]
	v_mul_f64 v[4:5], v[242:243], v[8:9]
	v_add_f64 v[0:1], v[0:1], v[248:249]
	v_fma_f64 v[4:5], v[240:241], v[6:7], -v[4:5]
	v_add_f64 v[0:1], v[0:1], v[4:5]
	v_mul_f64 v[4:5], v[34:35], v[26:27]
	v_fma_f64 v[4:5], v[32:33], v[24:25], -v[4:5]
	v_add_f64 v[0:1], v[0:1], v[4:5]
	v_mul_f64 v[4:5], v[134:135], v[22:23]
	;; [unrolled: 3-line block ×28, first 2 shown]
	v_fma_f64 v[4:5], v[228:229], v[232:233], -v[4:5]
	v_add_f64 v[0:1], v[0:1], v[4:5]
	s_waitcnt vmcnt(0)
	v_add_f64 v[4:5], v[236:237], -v[0:1]
	v_accvgpr_read_b32 v0, a118
	v_add_f64 v[6:7], v[238:239], -v[2:3]
	v_cmp_lt_u32_e32 vcc, 13, v0
	scratch_store_dwordx4 off, v[4:7], off offset:240
	s_and_saveexec_b64 s[0:1], vcc
	s_cbranch_execz .LBB122_341
; %bb.340:
	scratch_load_dwordx4 v[2:5], off, s62
	v_mov_b32_e32 v6, 0
	v_mov_b32_e32 v7, v6
	;; [unrolled: 1-line block ×4, first 2 shown]
	v_accvgpr_read_b32 v0, a119
	scratch_store_dwordx4 off, v[6:9], off offset:224
	s_waitcnt vmcnt(1)
	ds_write_b128 v0, v[2:5]
.LBB122_341:
	s_or_b64 exec, exec, s[0:1]
	s_waitcnt lgkmcnt(0)
	; wave barrier
	scratch_load_dwordx4 v[80:83], off, off offset:240
	scratch_load_dwordx4 v[84:87], off, off offset:256
	;; [unrolled: 1-line block ×29, first 2 shown]
	v_mov_b32_e32 v2, 0
	ds_read_b128 v[132:135], v2 offset:1168
	ds_read_b128 v[136:139], v2 offset:1184
	;; [unrolled: 1-line block ×22, first 2 shown]
	s_waitcnt vmcnt(28) lgkmcnt(14)
	v_mul_f64 v[0:1], v[132:133], v[82:83]
	s_waitcnt vmcnt(27)
	v_mul_f64 v[56:57], v[136:137], v[86:87]
	v_fmac_f64_e32 v[0:1], v[134:135], v[80:81]
	s_waitcnt vmcnt(26)
	v_mul_f64 v[58:59], v[140:141], v[90:91]
	v_fmac_f64_e32 v[56:57], v[138:139], v[84:85]
	v_add_f64 v[0:1], v[0:1], 0
	s_waitcnt vmcnt(25)
	v_mul_f64 v[60:61], v[148:149], v[94:95]
	v_fmac_f64_e32 v[58:59], v[142:143], v[88:89]
	v_add_f64 v[0:1], v[0:1], v[56:57]
	;; [unrolled: 4-line block ×6, first 2 shown]
	s_waitcnt vmcnt(20) lgkmcnt(13)
	v_mul_f64 v[70:71], v[204:205], v[154:155]
	v_fmac_f64_e32 v[68:69], v[198:199], v[144:145]
	v_add_f64 v[0:1], v[0:1], v[66:67]
	s_waitcnt vmcnt(19) lgkmcnt(12)
	v_mul_f64 v[72:73], v[208:209], v[158:159]
	v_fmac_f64_e32 v[70:71], v[206:207], v[152:153]
	v_add_f64 v[0:1], v[0:1], v[68:69]
	;; [unrolled: 4-line block ×8, first 2 shown]
	v_fmac_f64_e32 v[112:113], v[248:249], v[192:193]
	v_add_f64 v[0:1], v[0:1], v[110:111]
	s_waitcnt vmcnt(12) lgkmcnt(5)
	v_mul_f64 v[60:61], v[250:251], v[202:203]
	scratch_load_dwordx4 v[56:59], off, off offset:704
	ds_read_b128 v[108:111], v2 offset:1456
	v_add_f64 v[0:1], v[0:1], v[112:113]
	v_fmac_f64_e32 v[60:61], v[252:253], v[200:201]
	v_add_f64 v[0:1], v[0:1], v[60:61]
	s_waitcnt vmcnt(12) lgkmcnt(5)
	v_mul_f64 v[64:65], v[52:53], v[6:7]
	scratch_load_dwordx4 v[60:63], off, off offset:720
	v_accvgpr_write_b32 a123, v7
	v_fmac_f64_e32 v[64:65], v[54:55], v[4:5]
	v_accvgpr_write_b32 a122, v6
	v_accvgpr_write_b32 a121, v5
	;; [unrolled: 1-line block ×3, first 2 shown]
	ds_read_b128 v[112:115], v2 offset:1472
	s_waitcnt vmcnt(12)
	v_mov_b64_e32 v[4:5], v[8:9]
	v_mov_b64_e32 v[6:7], v[10:11]
	s_waitcnt lgkmcnt(1)
	v_mul_f64 v[68:69], v[108:109], v[6:7]
	v_fmac_f64_e32 v[68:69], v[110:111], v[4:5]
	s_waitcnt vmcnt(11)
	v_mov_b64_e32 v[4:5], v[12:13]
	v_add_f64 v[0:1], v[0:1], v[64:65]
	v_mov_b64_e32 v[6:7], v[14:15]
	scratch_load_dwordx4 v[64:67], off, off offset:736
	v_add_f64 v[0:1], v[0:1], v[68:69]
	s_waitcnt lgkmcnt(0)
	v_mul_f64 v[68:69], v[112:113], v[6:7]
	v_fmac_f64_e32 v[68:69], v[114:115], v[4:5]
	s_waitcnt vmcnt(11)
	v_mov_b64_e32 v[4:5], v[16:17]
	v_add_f64 v[0:1], v[0:1], v[68:69]
	scratch_load_dwordx4 v[68:71], off, off offset:752
	v_mov_b64_e32 v[6:7], v[18:19]
	v_mul_f64 v[76:77], v[116:117], v[6:7]
	scratch_load_dwordx4 v[72:75], off, off offset:768
	v_fmac_f64_e32 v[76:77], v[118:119], v[4:5]
	v_add_f64 v[0:1], v[0:1], v[76:77]
	s_waitcnt vmcnt(12)
	v_mul_f64 v[76:77], v[120:121], v[236:237]
	v_fmac_f64_e32 v[76:77], v[122:123], v[234:235]
	v_add_f64 v[0:1], v[0:1], v[76:77]
	scratch_load_dwordx4 v[76:79], off, off offset:784
	v_mul_f64 v[82:83], v[134:135], v[82:83]
	v_fma_f64 v[240:241], v[132:133], v[80:81], -v[82:83]
	scratch_load_dwordx4 v[80:83], off, off offset:800
	v_mul_f64 v[86:87], v[138:139], v[86:87]
	v_fma_f64 v[242:243], v[136:137], v[84:85], -v[86:87]
	scratch_load_dwordx4 v[84:87], off, off offset:816
	v_mul_f64 v[90:91], v[142:143], v[90:91]
	s_waitcnt vmcnt(14)
	v_mul_f64 v[132:133], v[124:125], v[26:27]
	v_fma_f64 v[244:245], v[140:141], v[88:89], -v[90:91]
	scratch_load_dwordx4 v[88:91], off, off offset:832
	v_fmac_f64_e32 v[132:133], v[126:127], v[24:25]
	s_waitcnt vmcnt(14)
	v_mul_f64 v[136:137], v[128:129], v[30:31]
	v_mul_f64 v[94:95], v[150:151], v[94:95]
	v_add_f64 v[0:1], v[0:1], v[132:133]
	v_fmac_f64_e32 v[136:137], v[130:131], v[28:29]
	v_fma_f64 v[254:255], v[148:149], v[92:93], -v[94:95]
	v_mul_f64 v[92:93], v[162:163], v[98:99]
	ds_read_b128 v[132:135], v2 offset:1552
	v_add_f64 v[0:1], v[0:1], v[136:137]
	ds_read_b128 v[136:139], v2 offset:1568
	v_fma_f64 v[232:233], v[160:161], v[96:97], -v[92:93]
	scratch_load_dwordx4 v[96:99], off, off offset:848
	scratch_load_dwordx4 v[92:95], off, off offset:864
	v_mul_f64 v[102:103], v[174:175], v[102:103]
	v_fma_f64 v[20:21], v[172:173], v[100:101], -v[102:103]
	scratch_load_dwordx4 v[100:103], off, off offset:880
	v_accvgpr_write_b32 a135, v19
	v_mul_f64 v[6:7], v[186:187], v[106:107]
	v_accvgpr_write_b32 a134, v18
	v_accvgpr_write_b32 a133, v17
	;; [unrolled: 1-line block ×3, first 2 shown]
	v_fma_f64 v[16:17], v[184:185], v[104:105], -v[6:7]
	scratch_load_dwordx4 v[104:107], off, off offset:896
	s_waitcnt vmcnt(17) lgkmcnt(1)
	v_mul_f64 v[140:141], v[132:133], v[34:35]
	v_fmac_f64_e32 v[140:141], v[134:135], v[32:33]
	v_add_f64 v[0:1], v[0:1], v[140:141]
	ds_read_b128 v[140:143], v2 offset:1584
	v_accvgpr_write_b32 a131, v15
	v_mul_f64 v[6:7], v[198:199], v[146:147]
	v_accvgpr_write_b32 a130, v14
	v_accvgpr_write_b32 a129, v13
	;; [unrolled: 1-line block ×3, first 2 shown]
	v_fma_f64 v[12:13], v[196:197], v[144:145], -v[6:7]
	ds_read_b128 v[144:147], v2 offset:1600
	s_waitcnt vmcnt(16) lgkmcnt(2)
	v_mul_f64 v[148:149], v[136:137], v[38:39]
	v_fmac_f64_e32 v[148:149], v[138:139], v[36:37]
	v_add_f64 v[0:1], v[0:1], v[148:149]
	s_waitcnt vmcnt(15) lgkmcnt(1)
	v_mul_f64 v[6:7], v[140:141], v[42:43]
	ds_read_b128 v[148:151], v2 offset:1616
	v_fmac_f64_e32 v[6:7], v[142:143], v[40:41]
	v_add_f64 v[0:1], v[0:1], v[6:7]
	s_waitcnt vmcnt(14) lgkmcnt(1)
	v_mul_f64 v[6:7], v[144:145], v[46:47]
	v_fmac_f64_e32 v[6:7], v[146:147], v[44:45]
	v_accvgpr_write_b32 a127, v11
	v_add_f64 v[0:1], v[0:1], v[6:7]
	v_mul_f64 v[6:7], v[206:207], v[154:155]
	v_accvgpr_write_b32 a126, v10
	v_accvgpr_write_b32 a125, v9
	;; [unrolled: 1-line block ×3, first 2 shown]
	v_fma_f64 v[10:11], v[204:205], v[152:153], -v[6:7]
	ds_read_b128 v[152:155], v2 offset:1632
	s_waitcnt vmcnt(13) lgkmcnt(1)
	v_mul_f64 v[6:7], v[148:149], v[50:51]
	v_fmac_f64_e32 v[6:7], v[150:151], v[48:49]
	v_add_f64 v[0:1], v[0:1], v[6:7]
	v_mul_f64 v[6:7], v[210:211], v[158:159]
	v_fma_f64 v[14:15], v[208:209], v[156:157], -v[6:7]
	ds_read_b128 v[156:159], v2 offset:1648
	ds_read_b128 v[160:163], v2 offset:1664
	s_waitcnt vmcnt(12) lgkmcnt(2)
	v_mul_f64 v[6:7], v[152:153], v[58:59]
	v_fmac_f64_e32 v[6:7], v[154:155], v[56:57]
	v_add_f64 v[0:1], v[0:1], v[6:7]
	s_waitcnt vmcnt(11) lgkmcnt(1)
	v_mul_f64 v[6:7], v[156:157], v[62:63]
	v_fmac_f64_e32 v[6:7], v[158:159], v[60:61]
	v_add_f64 v[0:1], v[0:1], v[6:7]
	v_mul_f64 v[6:7], v[214:215], v[166:167]
	v_fma_f64 v[8:9], v[212:213], v[164:165], -v[6:7]
	ds_read_b128 v[164:167], v2 offset:1680
	v_mul_f64 v[18:19], v[218:219], v[170:171]
	v_fma_f64 v[18:19], v[216:217], v[168:169], -v[18:19]
	ds_read_b128 v[168:171], v2 offset:1696
	s_waitcnt vmcnt(10) lgkmcnt(2)
	v_mul_f64 v[6:7], v[160:161], v[66:67]
	v_fmac_f64_e32 v[6:7], v[162:163], v[64:65]
	v_add_f64 v[0:1], v[0:1], v[6:7]
	s_waitcnt vmcnt(9) lgkmcnt(1)
	v_mul_f64 v[6:7], v[164:165], v[70:71]
	ds_read_b128 v[172:175], v2 offset:1712
	v_fmac_f64_e32 v[6:7], v[166:167], v[68:69]
	v_add_f64 v[0:1], v[0:1], v[6:7]
	s_waitcnt vmcnt(8) lgkmcnt(1)
	v_mul_f64 v[6:7], v[168:169], v[74:75]
	v_fmac_f64_e32 v[6:7], v[170:171], v[72:73]
	v_add_f64 v[0:1], v[0:1], v[6:7]
	v_mul_f64 v[6:7], v[222:223], v[178:179]
	v_fma_f64 v[4:5], v[220:221], v[176:177], -v[6:7]
	ds_read_b128 v[176:179], v2 offset:1728
	s_waitcnt vmcnt(7) lgkmcnt(1)
	v_mul_f64 v[6:7], v[172:173], v[78:79]
	v_fmac_f64_e32 v[6:7], v[174:175], v[76:77]
	v_add_f64 v[0:1], v[0:1], v[6:7]
	v_mul_f64 v[6:7], v[226:227], v[182:183]
	v_fma_f64 v[6:7], v[224:225], v[180:181], -v[6:7]
	ds_read_b128 v[180:183], v2 offset:1744
	ds_read_b128 v[184:187], v2 offset:1760
	s_waitcnt vmcnt(6) lgkmcnt(2)
	v_mul_f64 v[22:23], v[176:177], v[82:83]
	v_fmac_f64_e32 v[22:23], v[178:179], v[80:81]
	v_add_f64 v[0:1], v[0:1], v[22:23]
	s_waitcnt vmcnt(5) lgkmcnt(1)
	v_mul_f64 v[22:23], v[180:181], v[86:87]
	v_fmac_f64_e32 v[22:23], v[182:183], v[84:85]
	v_add_f64 v[22:23], v[0:1], v[22:23]
	v_mul_f64 v[0:1], v[230:231], v[190:191]
	v_fma_f64 v[0:1], v[228:229], v[188:189], -v[0:1]
	ds_read_b128 v[188:191], v2 offset:1776
	s_waitcnt vmcnt(4) lgkmcnt(1)
	v_mul_f64 v[196:197], v[184:185], v[90:91]
	v_fmac_f64_e32 v[196:197], v[186:187], v[88:89]
	v_mul_f64 v[194:195], v[248:249], v[194:195]
	v_fma_f64 v[238:239], v[246:247], v[192:193], -v[194:195]
	ds_read_b128 v[192:195], v2 offset:1792
	v_add_f64 v[22:23], v[22:23], v[196:197]
	s_waitcnt vmcnt(3) lgkmcnt(1)
	v_mul_f64 v[196:197], v[188:189], v[98:99]
	v_fmac_f64_e32 v[196:197], v[190:191], v[96:97]
	v_add_f64 v[22:23], v[22:23], v[196:197]
	ds_read_b128 v[196:199], v2 offset:1808
	v_mul_f64 v[202:203], v[252:253], v[202:203]
	v_fma_f64 v[246:247], v[250:251], v[200:201], -v[202:203]
	ds_read_b128 v[200:203], v2 offset:1824
	s_waitcnt vmcnt(2) lgkmcnt(2)
	v_mul_f64 v[204:205], v[192:193], v[94:95]
	v_fmac_f64_e32 v[204:205], v[194:195], v[92:93]
	v_add_f64 v[22:23], v[22:23], v[204:205]
	s_waitcnt vmcnt(1) lgkmcnt(1)
	v_mul_f64 v[204:205], v[196:197], v[102:103]
	v_fmac_f64_e32 v[204:205], v[198:199], v[100:101]
	v_add_f64 v[22:23], v[22:23], v[204:205]
	;; [unrolled: 4-line block ×3, first 2 shown]
	scratch_load_dwordx4 v[204:207], off, off offset:912
	ds_read_b128 v[208:211], v2 offset:1840
	ds_read_b128 v[216:219], v2 offset:1856
	;; [unrolled: 1-line block ×3, first 2 shown]
	s_waitcnt vmcnt(0) lgkmcnt(2)
	v_mul_f64 v[212:213], v[208:209], v[206:207]
	v_fmac_f64_e32 v[212:213], v[210:211], v[204:205]
	v_add_f64 v[22:23], v[22:23], v[212:213]
	scratch_load_dwordx4 v[212:215], off, off offset:928
	s_waitcnt vmcnt(0) lgkmcnt(1)
	v_mul_f64 v[220:221], v[216:217], v[214:215]
	v_fmac_f64_e32 v[220:221], v[218:219], v[212:213]
	v_add_f64 v[22:23], v[22:23], v[220:221]
	scratch_load_dwordx4 v[220:223], off, off offset:944
	;; [unrolled: 5-line block ×3, first 2 shown]
	v_add_f64 v[22:23], v[240:241], 0
	v_add_f64 v[22:23], v[22:23], v[242:243]
	;; [unrolled: 1-line block ×14, first 2 shown]
	v_accvgpr_read_b32 v6, a120
	v_accvgpr_read_b32 v8, a122
	;; [unrolled: 1-line block ×3, first 2 shown]
	v_add_f64 v[0:1], v[4:5], v[0:1]
	v_accvgpr_read_b32 v7, a121
	v_mul_f64 v[4:5], v[54:55], v[8:9]
	v_add_f64 v[0:1], v[0:1], v[238:239]
	v_fma_f64 v[4:5], v[52:53], v[6:7], -v[4:5]
	v_accvgpr_read_b32 v6, a124
	v_add_f64 v[0:1], v[0:1], v[246:247]
	v_accvgpr_read_b32 v8, a126
	v_accvgpr_read_b32 v9, a127
	v_add_f64 v[0:1], v[0:1], v[4:5]
	v_accvgpr_read_b32 v7, a125
	v_mul_f64 v[4:5], v[110:111], v[8:9]
	v_fma_f64 v[4:5], v[108:109], v[6:7], -v[4:5]
	v_accvgpr_read_b32 v6, a128
	v_accvgpr_read_b32 v8, a130
	;; [unrolled: 1-line block ×3, first 2 shown]
	v_add_f64 v[0:1], v[0:1], v[4:5]
	v_accvgpr_read_b32 v7, a129
	v_mul_f64 v[4:5], v[114:115], v[8:9]
	v_fma_f64 v[4:5], v[112:113], v[6:7], -v[4:5]
	v_accvgpr_read_b32 v6, a132
	v_accvgpr_read_b32 v8, a134
	;; [unrolled: 1-line block ×3, first 2 shown]
	v_add_f64 v[0:1], v[0:1], v[4:5]
	v_accvgpr_read_b32 v7, a133
	v_mul_f64 v[4:5], v[118:119], v[8:9]
	v_fma_f64 v[4:5], v[116:117], v[6:7], -v[4:5]
	v_add_f64 v[0:1], v[0:1], v[4:5]
	v_mul_f64 v[4:5], v[122:123], v[236:237]
	v_fma_f64 v[4:5], v[120:121], v[234:235], -v[4:5]
	v_add_f64 v[0:1], v[0:1], v[4:5]
	;; [unrolled: 3-line block ×25, first 2 shown]
	s_waitcnt vmcnt(0)
	v_add_f64 v[4:5], v[228:229], -v[0:1]
	v_accvgpr_read_b32 v0, a118
	v_add_f64 v[6:7], v[230:231], -v[250:251]
	v_cmp_lt_u32_e32 vcc, 12, v0
	scratch_store_dwordx4 off, v[4:7], off offset:224
	s_and_saveexec_b64 s[0:1], vcc
	s_cbranch_execz .LBB122_343
; %bb.342:
	scratch_load_dwordx4 v[6:9], off, s63
	v_mov_b32_e32 v3, v2
	v_mov_b32_e32 v4, v2
	;; [unrolled: 1-line block ×3, first 2 shown]
	v_accvgpr_read_b32 v0, a119
	scratch_store_dwordx4 off, v[2:5], off offset:208
	s_waitcnt vmcnt(1)
	ds_write_b128 v0, v[6:9]
.LBB122_343:
	s_or_b64 exec, exec, s[0:1]
	s_waitcnt lgkmcnt(0)
	; wave barrier
	scratch_load_dwordx4 v[80:83], off, off offset:224
	scratch_load_dwordx4 v[84:87], off, off offset:240
	;; [unrolled: 1-line block ×17, first 2 shown]
	ds_read_b128 v[136:139], v2 offset:1152
	ds_read_b128 v[132:135], v2 offset:1168
	scratch_load_dwordx4 v[4:7], off, off offset:496
	ds_read_b128 v[236:239], v2 offset:1184
	ds_read_b128 v[228:231], v2 offset:1200
	;; [unrolled: 1-line block ×5, first 2 shown]
	scratch_load_dwordx4 v[8:11], off, off offset:512
	ds_read_b128 v[232:235], v2 offset:1264
	ds_read_b128 v[216:219], v2 offset:1280
	;; [unrolled: 1-line block ×3, first 2 shown]
	scratch_load_dwordx4 v[12:15], off, off offset:528
	ds_read_b128 v[220:223], v2 offset:1312
	ds_read_b128 v[172:175], v2 offset:1328
	;; [unrolled: 1-line block ×5, first 2 shown]
	scratch_load_dwordx4 v[16:19], off, off offset:544
	ds_read_b128 v[208:211], v2 offset:1392
	ds_read_b128 v[204:207], v2 offset:1408
	;; [unrolled: 1-line block ×3, first 2 shown]
	scratch_load_dwordx4 v[24:27], off, off offset:560
	scratch_load_dwordx4 v[28:31], off, off offset:576
	;; [unrolled: 1-line block ×8, first 2 shown]
	ds_read_b128 v[116:119], v2 offset:1472
	ds_read_b128 v[120:123], v2 offset:1488
	;; [unrolled: 1-line block ×4, first 2 shown]
	s_waitcnt vmcnt(28) lgkmcnt(14)
	v_mul_f64 v[0:1], v[136:137], v[82:83]
	s_waitcnt vmcnt(27)
	v_mul_f64 v[56:57], v[132:133], v[86:87]
	v_fmac_f64_e32 v[0:1], v[138:139], v[80:81]
	s_waitcnt vmcnt(26)
	v_mul_f64 v[58:59], v[236:237], v[90:91]
	v_fmac_f64_e32 v[56:57], v[134:135], v[84:85]
	v_add_f64 v[0:1], v[0:1], 0
	s_waitcnt vmcnt(25)
	v_mul_f64 v[60:61], v[228:229], v[94:95]
	v_fmac_f64_e32 v[58:59], v[238:239], v[88:89]
	v_add_f64 v[0:1], v[0:1], v[56:57]
	;; [unrolled: 4-line block ×6, first 2 shown]
	s_waitcnt vmcnt(20) lgkmcnt(13)
	v_mul_f64 v[70:71], v[216:217], v[154:155]
	v_fmac_f64_e32 v[68:69], v[234:235], v[144:145]
	v_add_f64 v[0:1], v[0:1], v[66:67]
	s_waitcnt vmcnt(19) lgkmcnt(12)
	v_mul_f64 v[72:73], v[160:161], v[158:159]
	v_fmac_f64_e32 v[70:71], v[218:219], v[152:153]
	v_add_f64 v[0:1], v[0:1], v[68:69]
	s_waitcnt vmcnt(18) lgkmcnt(11)
	v_mul_f64 v[74:75], v[220:221], v[166:167]
	v_fmac_f64_e32 v[72:73], v[162:163], v[156:157]
	v_add_f64 v[0:1], v[0:1], v[70:71]
	s_waitcnt vmcnt(17) lgkmcnt(10)
	v_mul_f64 v[76:77], v[172:173], v[170:171]
	v_fmac_f64_e32 v[74:75], v[222:223], v[164:165]
	v_add_f64 v[0:1], v[0:1], v[72:73]
	s_waitcnt vmcnt(16) lgkmcnt(9)
	v_mul_f64 v[78:79], v[212:213], v[178:179]
	v_fmac_f64_e32 v[76:77], v[174:175], v[168:169]
	v_add_f64 v[0:1], v[0:1], v[74:75]
	s_waitcnt vmcnt(15) lgkmcnt(8)
	v_mul_f64 v[108:109], v[184:185], v[182:183]
	v_fmac_f64_e32 v[78:79], v[214:215], v[176:177]
	v_add_f64 v[0:1], v[0:1], v[76:77]
	s_waitcnt vmcnt(14) lgkmcnt(7)
	v_mul_f64 v[110:111], v[196:197], v[190:191]
	v_fmac_f64_e32 v[108:109], v[186:187], v[180:181]
	v_add_f64 v[0:1], v[0:1], v[78:79]
	v_fmac_f64_e32 v[110:111], v[198:199], v[188:189]
	v_add_f64 v[0:1], v[0:1], v[108:109]
	s_waitcnt vmcnt(13) lgkmcnt(6)
	v_mul_f64 v[112:113], v[208:209], v[194:195]
	v_add_f64 v[0:1], v[0:1], v[110:111]
	scratch_load_dwordx4 v[56:59], off, off offset:688
	scratch_load_dwordx4 v[60:63], off, off offset:704
	ds_read_b128 v[108:111], v2 offset:1440
	s_waitcnt vmcnt(14) lgkmcnt(6)
	v_mul_f64 v[114:115], v[204:205], v[202:203]
	v_fmac_f64_e32 v[112:113], v[210:211], v[192:193]
	v_add_f64 v[0:1], v[0:1], v[112:113]
	v_fmac_f64_e32 v[114:115], v[206:207], v[200:201]
	s_waitcnt vmcnt(13) lgkmcnt(5)
	v_mul_f64 v[64:65], v[20:21], v[6:7]
	v_accvgpr_write_b32 a123, v7
	v_add_f64 v[0:1], v[0:1], v[114:115]
	v_fmac_f64_e32 v[64:65], v[22:23], v[4:5]
	v_accvgpr_write_b32 a122, v6
	v_accvgpr_write_b32 a121, v5
	v_accvgpr_write_b32 a120, v4
	ds_read_b128 v[112:115], v2 offset:1456
	s_waitcnt vmcnt(12)
	v_mov_b64_e32 v[4:5], v[8:9]
	v_mov_b64_e32 v[6:7], v[10:11]
	s_waitcnt lgkmcnt(1)
	v_mul_f64 v[68:69], v[108:109], v[6:7]
	v_fmac_f64_e32 v[68:69], v[110:111], v[4:5]
	s_waitcnt vmcnt(11)
	v_mov_b64_e32 v[4:5], v[12:13]
	v_add_f64 v[0:1], v[0:1], v[64:65]
	v_mov_b64_e32 v[6:7], v[14:15]
	v_add_f64 v[0:1], v[0:1], v[68:69]
	s_waitcnt lgkmcnt(0)
	v_mul_f64 v[68:69], v[112:113], v[6:7]
	scratch_load_dwordx4 v[64:67], off, off offset:720
	v_fmac_f64_e32 v[68:69], v[114:115], v[4:5]
	v_add_f64 v[0:1], v[0:1], v[68:69]
	scratch_load_dwordx4 v[68:71], off, off offset:736
	scratch_load_dwordx4 v[72:75], off, off offset:752
	s_waitcnt vmcnt(13)
	v_mul_f64 v[76:77], v[116:117], v[18:19]
	v_fmac_f64_e32 v[76:77], v[118:119], v[16:17]
	v_add_f64 v[0:1], v[0:1], v[76:77]
	s_waitcnt vmcnt(12)
	v_mul_f64 v[76:77], v[120:121], v[26:27]
	v_fmac_f64_e32 v[76:77], v[122:123], v[24:25]
	v_add_f64 v[0:1], v[0:1], v[76:77]
	scratch_load_dwordx4 v[76:79], off, off offset:768
	v_mul_f64 v[82:83], v[138:139], v[82:83]
	v_fma_f64 v[240:241], v[136:137], v[80:81], -v[82:83]
	scratch_load_dwordx4 v[80:83], off, off offset:784
	v_mul_f64 v[86:87], v[134:135], v[86:87]
	v_fma_f64 v[242:243], v[132:133], v[84:85], -v[86:87]
	scratch_load_dwordx4 v[84:87], off, off offset:800
	s_waitcnt vmcnt(14)
	v_mul_f64 v[136:137], v[124:125], v[30:31]
	v_mul_f64 v[90:91], v[238:239], v[90:91]
	v_fmac_f64_e32 v[136:137], v[126:127], v[28:29]
	v_fma_f64 v[236:237], v[236:237], v[88:89], -v[90:91]
	scratch_load_dwordx4 v[88:91], off, off offset:816
	v_add_f64 v[0:1], v[0:1], v[136:137]
	s_waitcnt vmcnt(14)
	v_mul_f64 v[136:137], v[128:129], v[34:35]
	v_mul_f64 v[94:95], v[230:231], v[94:95]
	v_fmac_f64_e32 v[136:137], v[130:131], v[32:33]
	v_fma_f64 v[238:239], v[228:229], v[92:93], -v[94:95]
	v_mul_f64 v[92:93], v[226:227], v[98:99]
	ds_read_b128 v[132:135], v2 offset:1536
	v_add_f64 v[0:1], v[0:1], v[136:137]
	ds_read_b128 v[136:139], v2 offset:1552
	v_fma_f64 v[244:245], v[224:225], v[96:97], -v[92:93]
	scratch_load_dwordx4 v[96:99], off, off offset:832
	scratch_load_dwordx4 v[92:95], off, off offset:848
	v_mul_f64 v[102:103], v[150:151], v[102:103]
	v_fma_f64 v[250:251], v[148:149], v[100:101], -v[102:103]
	scratch_load_dwordx4 v[100:103], off, off offset:864
	v_mul_f64 v[106:107], v[142:143], v[106:107]
	v_fma_f64 v[252:253], v[140:141], v[104:105], -v[106:107]
	v_mul_f64 v[104:105], v[234:235], v[146:147]
	v_fma_f64 v[254:255], v[232:233], v[144:145], -v[104:105]
	scratch_load_dwordx4 v[104:107], off, off offset:880
	ds_read_b128 v[140:143], v2 offset:1568
	ds_read_b128 v[144:147], v2 offset:1584
	s_waitcnt vmcnt(17) lgkmcnt(3)
	v_mul_f64 v[228:229], v[132:133], v[38:39]
	v_fmac_f64_e32 v[228:229], v[134:135], v[36:37]
	s_waitcnt vmcnt(16) lgkmcnt(2)
	v_mul_f64 v[224:225], v[136:137], v[42:43]
	v_add_f64 v[0:1], v[0:1], v[228:229]
	v_fmac_f64_e32 v[224:225], v[138:139], v[40:41]
	s_waitcnt vmcnt(15) lgkmcnt(1)
	v_mul_f64 v[148:149], v[140:141], v[46:47]
	v_add_f64 v[0:1], v[0:1], v[224:225]
	v_fmac_f64_e32 v[148:149], v[142:143], v[44:45]
	v_add_f64 v[0:1], v[0:1], v[148:149]
	ds_read_b128 v[148:151], v2 offset:1600
	v_mul_f64 v[154:155], v[218:219], v[154:155]
	v_fma_f64 v[246:247], v[216:217], v[152:153], -v[154:155]
	ds_read_b128 v[152:155], v2 offset:1616
	v_accvgpr_write_b32 a131, v15
	v_mul_f64 v[158:159], v[162:163], v[158:159]
	v_accvgpr_write_b32 a130, v14
	v_accvgpr_write_b32 a129, v13
	;; [unrolled: 1-line block ×3, first 2 shown]
	v_fma_f64 v[12:13], v[160:161], v[156:157], -v[158:159]
	ds_read_b128 v[156:159], v2 offset:1632
	ds_read_b128 v[160:163], v2 offset:1648
	s_waitcnt vmcnt(14) lgkmcnt(4)
	v_mul_f64 v[224:225], v[144:145], v[50:51]
	v_fmac_f64_e32 v[224:225], v[146:147], v[48:49]
	s_waitcnt vmcnt(13) lgkmcnt(3)
	v_mul_f64 v[216:217], v[148:149], v[54:55]
	v_add_f64 v[0:1], v[0:1], v[224:225]
	v_fmac_f64_e32 v[216:217], v[150:151], v[52:53]
	s_waitcnt vmcnt(12) lgkmcnt(2)
	v_mul_f64 v[6:7], v[152:153], v[58:59]
	v_add_f64 v[0:1], v[0:1], v[216:217]
	v_fmac_f64_e32 v[6:7], v[154:155], v[56:57]
	v_add_f64 v[0:1], v[0:1], v[6:7]
	s_waitcnt vmcnt(11) lgkmcnt(1)
	v_mul_f64 v[6:7], v[156:157], v[62:63]
	v_fmac_f64_e32 v[6:7], v[158:159], v[60:61]
	v_accvgpr_write_b32 a127, v11
	v_add_f64 v[0:1], v[0:1], v[6:7]
	v_mul_f64 v[6:7], v[222:223], v[166:167]
	v_accvgpr_write_b32 a126, v10
	v_accvgpr_write_b32 a125, v9
	;; [unrolled: 1-line block ×3, first 2 shown]
	v_fma_f64 v[8:9], v[220:221], v[164:165], -v[6:7]
	ds_read_b128 v[164:167], v2 offset:1664
	v_mul_f64 v[170:171], v[174:175], v[170:171]
	v_fma_f64 v[6:7], v[172:173], v[168:169], -v[170:171]
	ds_read_b128 v[168:171], v2 offset:1680
	s_waitcnt vmcnt(10) lgkmcnt(2)
	v_mul_f64 v[216:217], v[160:161], v[66:67]
	v_fmac_f64_e32 v[216:217], v[162:163], v[64:65]
	s_waitcnt vmcnt(9) lgkmcnt(1)
	v_mul_f64 v[10:11], v[164:165], v[70:71]
	v_add_f64 v[0:1], v[0:1], v[216:217]
	v_fmac_f64_e32 v[10:11], v[166:167], v[68:69]
	v_add_f64 v[0:1], v[0:1], v[10:11]
	s_waitcnt vmcnt(8) lgkmcnt(0)
	v_mul_f64 v[10:11], v[168:169], v[74:75]
	v_fmac_f64_e32 v[10:11], v[170:171], v[72:73]
	ds_read_b128 v[172:175], v2 offset:1696
	v_add_f64 v[0:1], v[0:1], v[10:11]
	v_mul_f64 v[10:11], v[214:215], v[178:179]
	v_fma_f64 v[10:11], v[212:213], v[176:177], -v[10:11]
	ds_read_b128 v[176:179], v2 offset:1712
	v_mul_f64 v[182:183], v[186:187], v[182:183]
	v_fma_f64 v[4:5], v[184:185], v[180:181], -v[182:183]
	ds_read_b128 v[180:183], v2 offset:1728
	ds_read_b128 v[184:187], v2 offset:1744
	s_waitcnt vmcnt(7) lgkmcnt(3)
	v_mul_f64 v[212:213], v[172:173], v[78:79]
	v_fmac_f64_e32 v[212:213], v[174:175], v[76:77]
	s_waitcnt vmcnt(6) lgkmcnt(2)
	v_mul_f64 v[14:15], v[176:177], v[82:83]
	v_add_f64 v[0:1], v[0:1], v[212:213]
	v_fmac_f64_e32 v[14:15], v[178:179], v[80:81]
	v_add_f64 v[0:1], v[0:1], v[14:15]
	s_waitcnt vmcnt(5) lgkmcnt(1)
	v_mul_f64 v[14:15], v[180:181], v[86:87]
	v_fmac_f64_e32 v[14:15], v[182:183], v[84:85]
	v_add_f64 v[14:15], v[0:1], v[14:15]
	v_mul_f64 v[0:1], v[198:199], v[190:191]
	v_fma_f64 v[0:1], v[196:197], v[188:189], -v[0:1]
	ds_read_b128 v[188:191], v2 offset:1760
	v_mul_f64 v[194:195], v[210:211], v[194:195]
	s_waitcnt vmcnt(4) lgkmcnt(1)
	v_mul_f64 v[196:197], v[184:185], v[90:91]
	v_fma_f64 v[192:193], v[208:209], v[192:193], -v[194:195]
	v_fmac_f64_e32 v[196:197], v[186:187], v[88:89]
	v_accvgpr_write_b32 a132, v192
	v_accvgpr_write_b32 a133, v193
	ds_read_b128 v[192:195], v2 offset:1776
	v_add_f64 v[14:15], v[14:15], v[196:197]
	s_waitcnt vmcnt(3) lgkmcnt(1)
	v_mul_f64 v[196:197], v[188:189], v[98:99]
	v_fmac_f64_e32 v[196:197], v[190:191], v[96:97]
	v_add_f64 v[14:15], v[14:15], v[196:197]
	ds_read_b128 v[196:199], v2 offset:1792
	v_mul_f64 v[202:203], v[206:207], v[202:203]
	v_fma_f64 v[248:249], v[204:205], v[200:201], -v[202:203]
	ds_read_b128 v[200:203], v2 offset:1808
	s_waitcnt vmcnt(2) lgkmcnt(2)
	v_mul_f64 v[204:205], v[192:193], v[94:95]
	v_fmac_f64_e32 v[204:205], v[194:195], v[92:93]
	v_add_f64 v[14:15], v[14:15], v[204:205]
	s_waitcnt vmcnt(1) lgkmcnt(1)
	v_mul_f64 v[204:205], v[196:197], v[102:103]
	v_fmac_f64_e32 v[204:205], v[198:199], v[100:101]
	v_add_f64 v[14:15], v[14:15], v[204:205]
	s_waitcnt vmcnt(0) lgkmcnt(0)
	v_mul_f64 v[204:205], v[200:201], v[106:107]
	v_fmac_f64_e32 v[204:205], v[202:203], v[104:105]
	v_add_f64 v[14:15], v[14:15], v[204:205]
	scratch_load_dwordx4 v[204:207], off, off offset:896
	scratch_load_dwordx4 v[232:235], off, off offset:944
	ds_read_b128 v[208:211], v2 offset:1824
	ds_read_b128 v[216:219], v2 offset:1840
	;; [unrolled: 1-line block ×3, first 2 shown]
	s_waitcnt vmcnt(1) lgkmcnt(2)
	v_mul_f64 v[212:213], v[208:209], v[206:207]
	v_fmac_f64_e32 v[212:213], v[210:211], v[204:205]
	v_add_f64 v[14:15], v[14:15], v[212:213]
	scratch_load_dwordx4 v[212:215], off, off offset:912
	s_waitcnt vmcnt(0) lgkmcnt(1)
	v_mul_f64 v[220:221], v[216:217], v[214:215]
	v_fmac_f64_e32 v[220:221], v[218:219], v[212:213]
	v_add_f64 v[14:15], v[14:15], v[220:221]
	scratch_load_dwordx4 v[220:223], off, off offset:928
	s_waitcnt vmcnt(0) lgkmcnt(0)
	v_mul_f64 v[228:229], v[224:225], v[222:223]
	v_fmac_f64_e32 v[228:229], v[226:227], v[220:221]
	v_add_f64 v[14:15], v[14:15], v[228:229]
	ds_read_b128 v[228:231], v2 offset:1872
	s_waitcnt lgkmcnt(0)
	v_mul_f64 v[2:3], v[228:229], v[234:235]
	v_fmac_f64_e32 v[2:3], v[230:231], v[232:233]
	v_add_f64 v[2:3], v[14:15], v[2:3]
	v_add_f64 v[14:15], v[240:241], 0
	;; [unrolled: 1-line block ×5, first 2 shown]
	scratch_load_dwordx4 v[236:239], off, off offset:208
	v_add_f64 v[14:15], v[14:15], v[244:245]
	v_add_f64 v[14:15], v[14:15], v[250:251]
	v_add_f64 v[14:15], v[14:15], v[252:253]
	v_add_f64 v[14:15], v[14:15], v[254:255]
	v_add_f64 v[14:15], v[14:15], v[246:247]
	v_add_f64 v[12:13], v[14:15], v[12:13]
	v_add_f64 v[8:9], v[12:13], v[8:9]
	v_add_f64 v[6:7], v[8:9], v[6:7]
	v_add_f64 v[6:7], v[6:7], v[10:11]
	v_add_f64 v[4:5], v[6:7], v[4:5]
	v_accvgpr_read_b32 v6, a120
	v_add_f64 v[250:251], v[4:5], v[0:1]
	v_accvgpr_read_b32 v0, a132
	v_accvgpr_read_b32 v8, a122
	;; [unrolled: 1-line block ×5, first 2 shown]
	v_mul_f64 v[4:5], v[22:23], v[8:9]
	v_add_f64 v[0:1], v[250:251], v[0:1]
	v_fma_f64 v[4:5], v[20:21], v[6:7], -v[4:5]
	v_accvgpr_read_b32 v6, a124
	v_add_f64 v[0:1], v[0:1], v[248:249]
	v_accvgpr_read_b32 v8, a126
	v_accvgpr_read_b32 v9, a127
	v_add_f64 v[0:1], v[0:1], v[4:5]
	v_accvgpr_read_b32 v7, a125
	v_mul_f64 v[4:5], v[110:111], v[8:9]
	v_fma_f64 v[4:5], v[108:109], v[6:7], -v[4:5]
	v_accvgpr_read_b32 v6, a128
	v_accvgpr_read_b32 v8, a130
	;; [unrolled: 1-line block ×3, first 2 shown]
	v_add_f64 v[0:1], v[0:1], v[4:5]
	v_accvgpr_read_b32 v7, a129
	v_mul_f64 v[4:5], v[114:115], v[8:9]
	v_fma_f64 v[4:5], v[112:113], v[6:7], -v[4:5]
	v_add_f64 v[0:1], v[0:1], v[4:5]
	v_mul_f64 v[4:5], v[118:119], v[18:19]
	v_fma_f64 v[4:5], v[116:117], v[16:17], -v[4:5]
	v_add_f64 v[0:1], v[0:1], v[4:5]
	;; [unrolled: 3-line block ×27, first 2 shown]
	s_waitcnt vmcnt(0)
	v_add_f64 v[4:5], v[236:237], -v[0:1]
	v_accvgpr_read_b32 v0, a118
	v_add_f64 v[6:7], v[238:239], -v[2:3]
	v_cmp_lt_u32_e32 vcc, 11, v0
	scratch_store_dwordx4 off, v[4:7], off offset:208
	s_and_saveexec_b64 s[0:1], vcc
	s_cbranch_execz .LBB122_345
; %bb.344:
	scratch_load_dwordx4 v[2:5], off, s64
	v_mov_b32_e32 v6, 0
	v_mov_b32_e32 v7, v6
	;; [unrolled: 1-line block ×4, first 2 shown]
	v_accvgpr_read_b32 v0, a119
	scratch_store_dwordx4 off, v[6:9], off offset:192
	s_waitcnt vmcnt(1)
	ds_write_b128 v0, v[2:5]
.LBB122_345:
	s_or_b64 exec, exec, s[0:1]
	s_waitcnt lgkmcnt(0)
	; wave barrier
	scratch_load_dwordx4 v[68:71], off, off offset:208
	scratch_load_dwordx4 v[72:75], off, off offset:224
	;; [unrolled: 1-line block ×28, first 2 shown]
	v_mov_b32_e32 v2, 0
	ds_read_b128 v[124:127], v2 offset:1136
	ds_read_b128 v[128:131], v2 offset:1152
	;; [unrolled: 1-line block ×23, first 2 shown]
	s_waitcnt vmcnt(27) lgkmcnt(14)
	v_mul_f64 v[0:1], v[124:125], v[70:71]
	s_waitcnt vmcnt(26)
	v_mul_f64 v[40:41], v[128:129], v[74:75]
	v_fmac_f64_e32 v[0:1], v[126:127], v[68:69]
	s_waitcnt vmcnt(25)
	v_mul_f64 v[42:43], v[132:133], v[78:79]
	v_fmac_f64_e32 v[40:41], v[130:131], v[72:73]
	v_add_f64 v[0:1], v[0:1], 0
	s_waitcnt vmcnt(24)
	v_mul_f64 v[44:45], v[136:137], v[82:83]
	v_fmac_f64_e32 v[42:43], v[134:135], v[76:77]
	v_add_f64 v[0:1], v[0:1], v[40:41]
	s_waitcnt vmcnt(23)
	v_mul_f64 v[46:47], v[140:141], v[86:87]
	v_fmac_f64_e32 v[44:45], v[138:139], v[80:81]
	v_add_f64 v[0:1], v[0:1], v[42:43]
	s_waitcnt vmcnt(22)
	v_mul_f64 v[48:49], v[156:157], v[90:91]
	v_fmac_f64_e32 v[46:47], v[142:143], v[84:85]
	v_add_f64 v[0:1], v[0:1], v[44:45]
	s_waitcnt vmcnt(21)
	v_mul_f64 v[50:51], v[168:169], v[94:95]
	v_fmac_f64_e32 v[48:49], v[158:159], v[88:89]
	v_add_f64 v[0:1], v[0:1], v[46:47]
	s_waitcnt vmcnt(20)
	v_mul_f64 v[52:53], v[180:181], v[98:99]
	v_fmac_f64_e32 v[50:51], v[170:171], v[92:93]
	v_add_f64 v[0:1], v[0:1], v[48:49]
	s_waitcnt vmcnt(19)
	v_mul_f64 v[54:55], v[192:193], v[114:115]
	v_fmac_f64_e32 v[52:53], v[182:183], v[96:97]
	v_add_f64 v[0:1], v[0:1], v[50:51]
	s_waitcnt vmcnt(18) lgkmcnt(13)
	v_mul_f64 v[56:57], v[200:201], v[146:147]
	v_fmac_f64_e32 v[54:55], v[194:195], v[112:113]
	v_add_f64 v[0:1], v[0:1], v[52:53]
	s_waitcnt vmcnt(17) lgkmcnt(12)
	v_mul_f64 v[58:59], v[204:205], v[150:151]
	v_fmac_f64_e32 v[56:57], v[202:203], v[144:145]
	v_add_f64 v[0:1], v[0:1], v[54:55]
	;; [unrolled: 4-line block ×7, first 2 shown]
	scratch_load_dwordx4 v[40:43], off, off offset:656
	scratch_load_dwordx4 v[44:47], off, off offset:672
	s_waitcnt vmcnt(13) lgkmcnt(6)
	v_mul_f64 v[102:103], v[228:229], v[186:187]
	v_fmac_f64_e32 v[100:101], v[226:227], v[176:177]
	v_add_f64 v[0:1], v[0:1], v[66:67]
	v_add_f64 v[0:1], v[0:1], v[100:101]
	v_fmac_f64_e32 v[102:103], v[230:231], v[184:185]
	v_add_f64 v[0:1], v[0:1], v[102:103]
	ds_read_b128 v[100:103], v2 offset:1440
	s_waitcnt vmcnt(12) lgkmcnt(6)
	v_mul_f64 v[48:49], v[246:247], v[190:191]
	v_fmac_f64_e32 v[48:49], v[248:249], v[188:189]
	v_add_f64 v[0:1], v[0:1], v[48:49]
	s_waitcnt vmcnt(11) lgkmcnt(5)
	v_mul_f64 v[48:49], v[250:251], v[198:199]
	v_fmac_f64_e32 v[48:49], v[252:253], v[196:197]
	v_add_f64 v[0:1], v[0:1], v[48:49]
	scratch_load_dwordx4 v[48:51], off, off offset:688
	scratch_load_dwordx4 v[52:55], off, off offset:704
	s_waitcnt vmcnt(12) lgkmcnt(0)
	v_mul_f64 v[56:57], v[100:101], v[6:7]
	v_accvgpr_write_b32 a123, v7
	v_fmac_f64_e32 v[56:57], v[102:103], v[4:5]
	v_accvgpr_write_b32 a122, v6
	v_accvgpr_write_b32 a121, v5
	;; [unrolled: 1-line block ×3, first 2 shown]
	s_waitcnt vmcnt(11)
	v_mov_b64_e32 v[4:5], v[8:9]
	v_mov_b64_e32 v[6:7], v[10:11]
	v_add_f64 v[0:1], v[0:1], v[56:57]
	v_mul_f64 v[56:57], v[104:105], v[6:7]
	v_fmac_f64_e32 v[56:57], v[106:107], v[4:5]
	v_add_f64 v[0:1], v[0:1], v[56:57]
	scratch_load_dwordx4 v[56:59], off, off offset:720
	s_waitcnt vmcnt(11)
	v_mov_b64_e32 v[4:5], v[12:13]
	v_mov_b64_e32 v[6:7], v[14:15]
	v_mul_f64 v[60:61], v[108:109], v[6:7]
	v_fmac_f64_e32 v[60:61], v[110:111], v[4:5]
	s_waitcnt vmcnt(10)
	v_mov_b64_e32 v[4:5], v[16:17]
	v_mov_b64_e32 v[6:7], v[18:19]
	v_add_f64 v[0:1], v[0:1], v[60:61]
	scratch_load_dwordx4 v[60:63], off, off offset:736
	v_mul_f64 v[64:65], v[116:117], v[6:7]
	v_fmac_f64_e32 v[64:65], v[118:119], v[4:5]
	v_add_f64 v[0:1], v[0:1], v[64:65]
	scratch_load_dwordx4 v[64:67], off, off offset:752
	v_mul_f64 v[70:71], v[126:127], v[70:71]
	s_waitcnt vmcnt(11)
	v_mov_b64_e32 v[4:5], v[20:21]
	v_fma_f64 v[240:241], v[124:125], v[68:69], -v[70:71]
	v_mov_b64_e32 v[6:7], v[22:23]
	scratch_load_dwordx4 v[68:71], off, off offset:768
	v_mul_f64 v[124:125], v[120:121], v[6:7]
	v_mul_f64 v[74:75], v[130:131], v[74:75]
	v_fmac_f64_e32 v[124:125], v[122:123], v[4:5]
	v_fma_f64 v[242:243], v[128:129], v[72:73], -v[74:75]
	scratch_load_dwordx4 v[72:75], off, off offset:784
	v_mul_f64 v[78:79], v[134:135], v[78:79]
	v_add_f64 v[0:1], v[0:1], v[124:125]
	ds_read_b128 v[124:127], v2 offset:1520
	ds_read_b128 v[128:131], v2 offset:1536
	v_fma_f64 v[244:245], v[132:133], v[76:77], -v[78:79]
	v_mul_f64 v[76:77], v[138:139], v[82:83]
	v_fma_f64 v[254:255], v[136:137], v[80:81], -v[76:77]
	scratch_load_dwordx4 v[76:79], off, off offset:800
	s_waitcnt vmcnt(13) lgkmcnt(1)
	v_mul_f64 v[132:133], v[124:125], v[236:237]
	v_fmac_f64_e32 v[132:133], v[126:127], v[234:235]
	v_add_f64 v[0:1], v[0:1], v[132:133]
	s_waitcnt vmcnt(12) lgkmcnt(0)
	v_mul_f64 v[132:133], v[128:129], v[30:31]
	scratch_load_dwordx4 v[80:83], off, off offset:816
	v_fmac_f64_e32 v[132:133], v[130:131], v[28:29]
	v_mul_f64 v[86:87], v[142:143], v[86:87]
	v_add_f64 v[0:1], v[0:1], v[132:133]
	v_fma_f64 v[232:233], v[140:141], v[84:85], -v[86:87]
	ds_read_b128 v[132:135], v2 offset:1552
	v_mul_f64 v[84:85], v[158:159], v[90:91]
	v_fma_f64 v[24:25], v[156:157], v[88:89], -v[84:85]
	scratch_load_dwordx4 v[88:91], off, off offset:832
	scratch_load_dwordx4 v[84:87], off, off offset:848
	v_accvgpr_write_b32 a139, v23
	v_mul_f64 v[6:7], v[170:171], v[94:95]
	v_accvgpr_write_b32 a138, v22
	v_accvgpr_write_b32 a137, v21
	;; [unrolled: 1-line block ×3, first 2 shown]
	v_fma_f64 v[20:21], v[168:169], v[92:93], -v[6:7]
	s_waitcnt vmcnt(14) lgkmcnt(0)
	v_mul_f64 v[6:7], v[132:133], v[34:35]
	v_fmac_f64_e32 v[6:7], v[134:135], v[32:33]
	v_accvgpr_write_b32 a135, v19
	v_add_f64 v[0:1], v[0:1], v[6:7]
	v_mul_f64 v[6:7], v[182:183], v[98:99]
	v_accvgpr_write_b32 a134, v18
	v_accvgpr_write_b32 a133, v17
	;; [unrolled: 1-line block ×3, first 2 shown]
	ds_read_b128 v[136:139], v2 offset:1568
	v_fma_f64 v[16:17], v[180:181], v[96:97], -v[6:7]
	scratch_load_dwordx4 v[96:99], off, off offset:864
	scratch_load_dwordx4 v[92:95], off, off offset:880
	v_accvgpr_write_b32 a131, v15
	v_mul_f64 v[6:7], v[194:195], v[114:115]
	v_accvgpr_write_b32 a130, v14
	v_accvgpr_write_b32 a129, v13
	;; [unrolled: 1-line block ×3, first 2 shown]
	v_fma_f64 v[12:13], v[192:193], v[112:113], -v[6:7]
	scratch_load_dwordx4 v[112:115], off, off offset:896
	ds_read_b128 v[140:143], v2 offset:1584
	s_waitcnt vmcnt(16) lgkmcnt(1)
	v_mul_f64 v[6:7], v[136:137], v[38:39]
	v_fmac_f64_e32 v[6:7], v[138:139], v[36:37]
	v_add_f64 v[0:1], v[0:1], v[6:7]
	v_mul_f64 v[6:7], v[202:203], v[146:147]
	v_fma_f64 v[14:15], v[200:201], v[144:145], -v[6:7]
	ds_read_b128 v[144:147], v2 offset:1600
	s_waitcnt vmcnt(15) lgkmcnt(1)
	v_mul_f64 v[6:7], v[140:141], v[42:43]
	v_fmac_f64_e32 v[6:7], v[142:143], v[40:41]
	v_accvgpr_write_b32 a127, v11
	v_add_f64 v[0:1], v[0:1], v[6:7]
	v_mul_f64 v[6:7], v[206:207], v[150:151]
	v_accvgpr_write_b32 a126, v10
	v_accvgpr_write_b32 a125, v9
	;; [unrolled: 1-line block ×3, first 2 shown]
	v_fma_f64 v[10:11], v[204:205], v[148:149], -v[6:7]
	ds_read_b128 v[148:151], v2 offset:1616
	v_mul_f64 v[18:19], v[210:211], v[154:155]
	v_fma_f64 v[18:19], v[208:209], v[152:153], -v[18:19]
	ds_read_b128 v[152:155], v2 offset:1632
	s_waitcnt vmcnt(14) lgkmcnt(2)
	v_mul_f64 v[6:7], v[144:145], v[46:47]
	v_fmac_f64_e32 v[6:7], v[146:147], v[44:45]
	v_add_f64 v[0:1], v[0:1], v[6:7]
	s_waitcnt vmcnt(13) lgkmcnt(1)
	v_mul_f64 v[6:7], v[148:149], v[50:51]
	ds_read_b128 v[156:159], v2 offset:1648
	v_fmac_f64_e32 v[6:7], v[150:151], v[48:49]
	v_add_f64 v[0:1], v[0:1], v[6:7]
	s_waitcnt vmcnt(12) lgkmcnt(1)
	v_mul_f64 v[6:7], v[152:153], v[54:55]
	v_fmac_f64_e32 v[6:7], v[154:155], v[52:53]
	v_add_f64 v[0:1], v[0:1], v[6:7]
	v_mul_f64 v[6:7], v[214:215], v[162:163]
	v_fma_f64 v[8:9], v[212:213], v[160:161], -v[6:7]
	ds_read_b128 v[160:163], v2 offset:1664
	s_waitcnt vmcnt(11) lgkmcnt(1)
	v_mul_f64 v[6:7], v[156:157], v[58:59]
	v_fmac_f64_e32 v[6:7], v[158:159], v[56:57]
	v_add_f64 v[0:1], v[0:1], v[6:7]
	v_mul_f64 v[6:7], v[218:219], v[166:167]
	v_fma_f64 v[22:23], v[216:217], v[164:165], -v[6:7]
	ds_read_b128 v[164:167], v2 offset:1680
	ds_read_b128 v[168:171], v2 offset:1696
	s_waitcnt vmcnt(10) lgkmcnt(2)
	v_mul_f64 v[6:7], v[160:161], v[62:63]
	v_fmac_f64_e32 v[6:7], v[162:163], v[60:61]
	v_add_f64 v[0:1], v[0:1], v[6:7]
	s_waitcnt vmcnt(9) lgkmcnt(1)
	v_mul_f64 v[6:7], v[164:165], v[66:67]
	v_fmac_f64_e32 v[6:7], v[166:167], v[64:65]
	v_add_f64 v[0:1], v[0:1], v[6:7]
	v_mul_f64 v[6:7], v[222:223], v[174:175]
	v_fma_f64 v[4:5], v[220:221], v[172:173], -v[6:7]
	ds_read_b128 v[172:175], v2 offset:1712
	v_mul_f64 v[6:7], v[226:227], v[178:179]
	v_fma_f64 v[6:7], v[224:225], v[176:177], -v[6:7]
	ds_read_b128 v[176:179], v2 offset:1728
	s_waitcnt vmcnt(8) lgkmcnt(2)
	v_mul_f64 v[26:27], v[168:169], v[70:71]
	v_fmac_f64_e32 v[26:27], v[170:171], v[68:69]
	v_add_f64 v[0:1], v[0:1], v[26:27]
	s_waitcnt vmcnt(7) lgkmcnt(1)
	v_mul_f64 v[26:27], v[172:173], v[74:75]
	v_fmac_f64_e32 v[26:27], v[174:175], v[72:73]
	v_add_f64 v[0:1], v[0:1], v[26:27]
	s_waitcnt vmcnt(6) lgkmcnt(0)
	v_mul_f64 v[26:27], v[176:177], v[78:79]
	v_fmac_f64_e32 v[26:27], v[178:179], v[76:77]
	ds_read_b128 v[180:183], v2 offset:1744
	v_add_f64 v[26:27], v[0:1], v[26:27]
	v_mul_f64 v[0:1], v[230:231], v[186:187]
	v_fma_f64 v[0:1], v[228:229], v[184:185], -v[0:1]
	ds_read_b128 v[184:187], v2 offset:1760
	s_waitcnt vmcnt(5) lgkmcnt(1)
	v_mul_f64 v[192:193], v[180:181], v[82:83]
	v_fmac_f64_e32 v[192:193], v[182:183], v[80:81]
	v_mul_f64 v[190:191], v[248:249], v[190:191]
	v_add_f64 v[26:27], v[26:27], v[192:193]
	v_fma_f64 v[238:239], v[246:247], v[188:189], -v[190:191]
	ds_read_b128 v[188:191], v2 offset:1776
	s_waitcnt vmcnt(4) lgkmcnt(1)
	v_mul_f64 v[192:193], v[184:185], v[90:91]
	v_fmac_f64_e32 v[192:193], v[186:187], v[88:89]
	v_add_f64 v[26:27], v[26:27], v[192:193]
	ds_read_b128 v[192:195], v2 offset:1792
	v_mul_f64 v[198:199], v[252:253], v[198:199]
	v_fma_f64 v[246:247], v[250:251], v[196:197], -v[198:199]
	ds_read_b128 v[196:199], v2 offset:1808
	ds_read_b128 v[208:211], v2 offset:1840
	s_waitcnt vmcnt(3) lgkmcnt(3)
	v_mul_f64 v[200:201], v[188:189], v[86:87]
	v_fmac_f64_e32 v[200:201], v[190:191], v[84:85]
	v_add_f64 v[26:27], v[26:27], v[200:201]
	s_waitcnt vmcnt(2) lgkmcnt(2)
	v_mul_f64 v[200:201], v[192:193], v[98:99]
	v_fmac_f64_e32 v[200:201], v[194:195], v[96:97]
	v_add_f64 v[26:27], v[26:27], v[200:201]
	;; [unrolled: 4-line block ×3, first 2 shown]
	ds_read_b128 v[200:203], v2 offset:1824
	ds_read_b128 v[216:219], v2 offset:1856
	;; [unrolled: 1-line block ×3, first 2 shown]
	s_waitcnt vmcnt(0) lgkmcnt(2)
	v_mul_f64 v[204:205], v[200:201], v[114:115]
	v_fmac_f64_e32 v[204:205], v[202:203], v[112:113]
	v_add_f64 v[26:27], v[26:27], v[204:205]
	scratch_load_dwordx4 v[204:207], off, off offset:912
	s_waitcnt vmcnt(0)
	v_mul_f64 v[212:213], v[208:209], v[206:207]
	v_fmac_f64_e32 v[212:213], v[210:211], v[204:205]
	v_add_f64 v[26:27], v[26:27], v[212:213]
	scratch_load_dwordx4 v[212:215], off, off offset:928
	s_waitcnt vmcnt(0) lgkmcnt(1)
	v_mul_f64 v[220:221], v[216:217], v[214:215]
	v_fmac_f64_e32 v[220:221], v[218:219], v[212:213]
	v_add_f64 v[26:27], v[26:27], v[220:221]
	scratch_load_dwordx4 v[220:223], off, off offset:944
	s_waitcnt vmcnt(0) lgkmcnt(0)
	v_mul_f64 v[228:229], v[224:225], v[222:223]
	v_fmac_f64_e32 v[228:229], v[226:227], v[220:221]
	v_add_f64 v[250:251], v[26:27], v[228:229]
	scratch_load_dwordx4 v[228:231], off, off offset:192
	v_add_f64 v[26:27], v[240:241], 0
	v_add_f64 v[26:27], v[26:27], v[242:243]
	;; [unrolled: 1-line block ×16, first 2 shown]
	v_accvgpr_read_b32 v6, a120
	v_accvgpr_read_b32 v8, a122
	;; [unrolled: 1-line block ×3, first 2 shown]
	v_add_f64 v[0:1], v[4:5], v[0:1]
	v_accvgpr_read_b32 v7, a121
	v_mul_f64 v[4:5], v[102:103], v[8:9]
	v_add_f64 v[0:1], v[0:1], v[238:239]
	v_fma_f64 v[4:5], v[100:101], v[6:7], -v[4:5]
	v_accvgpr_read_b32 v6, a124
	v_add_f64 v[0:1], v[0:1], v[246:247]
	v_accvgpr_read_b32 v8, a126
	v_accvgpr_read_b32 v9, a127
	v_add_f64 v[0:1], v[0:1], v[4:5]
	v_accvgpr_read_b32 v7, a125
	v_mul_f64 v[4:5], v[106:107], v[8:9]
	v_fma_f64 v[4:5], v[104:105], v[6:7], -v[4:5]
	v_accvgpr_read_b32 v6, a128
	v_accvgpr_read_b32 v8, a130
	v_accvgpr_read_b32 v9, a131
	v_add_f64 v[0:1], v[0:1], v[4:5]
	v_accvgpr_read_b32 v7, a129
	v_mul_f64 v[4:5], v[110:111], v[8:9]
	v_fma_f64 v[4:5], v[108:109], v[6:7], -v[4:5]
	v_accvgpr_read_b32 v6, a132
	;; [unrolled: 7-line block ×3, first 2 shown]
	v_accvgpr_read_b32 v8, a138
	v_accvgpr_read_b32 v9, a139
	v_add_f64 v[0:1], v[0:1], v[4:5]
	v_accvgpr_read_b32 v7, a137
	v_mul_f64 v[4:5], v[122:123], v[8:9]
	v_fma_f64 v[4:5], v[120:121], v[6:7], -v[4:5]
	v_add_f64 v[0:1], v[0:1], v[4:5]
	v_mul_f64 v[4:5], v[126:127], v[236:237]
	v_fma_f64 v[4:5], v[124:125], v[234:235], -v[4:5]
	v_add_f64 v[0:1], v[0:1], v[4:5]
	;; [unrolled: 3-line block ×24, first 2 shown]
	s_waitcnt vmcnt(0)
	v_add_f64 v[4:5], v[228:229], -v[0:1]
	v_accvgpr_read_b32 v0, a118
	v_add_f64 v[6:7], v[230:231], -v[250:251]
	v_cmp_lt_u32_e32 vcc, 10, v0
	scratch_store_dwordx4 off, v[4:7], off offset:192
	s_and_saveexec_b64 s[0:1], vcc
	s_cbranch_execz .LBB122_347
; %bb.346:
	scratch_load_dwordx4 v[6:9], off, s65
	v_mov_b32_e32 v3, v2
	v_mov_b32_e32 v4, v2
	;; [unrolled: 1-line block ×3, first 2 shown]
	v_accvgpr_read_b32 v0, a119
	scratch_store_dwordx4 off, v[2:5], off offset:176
	s_waitcnt vmcnt(1)
	ds_write_b128 v0, v[6:9]
.LBB122_347:
	s_or_b64 exec, exec, s[0:1]
	s_waitcnt lgkmcnt(0)
	; wave barrier
	scratch_load_dwordx4 v[40:43], off, off offset:192
	scratch_load_dwordx4 v[44:47], off, off offset:208
	;; [unrolled: 1-line block ×18, first 2 shown]
	ds_read_b128 v[164:167], v2 offset:1120
	ds_read_b128 v[232:235], v2 offset:1136
	;; [unrolled: 1-line block ×6, first 2 shown]
	scratch_load_dwordx4 v[140:143], off, off offset:480
	ds_read_b128 v[224:227], v2 offset:1216
	ds_read_b128 v[212:215], v2 offset:1232
	;; [unrolled: 1-line block ×3, first 2 shown]
	scratch_load_dwordx4 v[4:7], off, off offset:496
	ds_read_b128 v[228:231], v2 offset:1264
	ds_read_b128 v[216:219], v2 offset:1280
	;; [unrolled: 1-line block ×5, first 2 shown]
	scratch_load_dwordx4 v[8:11], off, off offset:512
	ds_read_b128 v[208:211], v2 offset:1344
	ds_read_b128 v[196:199], v2 offset:1360
	;; [unrolled: 1-line block ×3, first 2 shown]
	scratch_load_dwordx4 v[12:15], off, off offset:528
	ds_read_b128 v[200:203], v2 offset:1392
	scratch_load_dwordx4 v[16:19], off, off offset:544
	scratch_load_dwordx4 v[20:23], off, off offset:560
	scratch_load_dwordx4 v[32:35], off, off offset:576
	scratch_load_dwordx4 v[36:39], off, off offset:592
	scratch_load_dwordx4 v[28:31], off, off offset:608
	scratch_load_dwordx4 v[24:27], off, off offset:624
	scratch_load_dwordx4 v[72:75], off, off offset:640
	ds_read_b128 v[236:239], v2 offset:1408
	ds_read_b128 v[156:159], v2 offset:1472
	;; [unrolled: 1-line block ×4, first 2 shown]
	s_waitcnt vmcnt(28) lgkmcnt(14)
	v_mul_f64 v[0:1], v[164:165], v[42:43]
	s_waitcnt vmcnt(27)
	v_mul_f64 v[108:109], v[232:233], v[46:47]
	v_fmac_f64_e32 v[0:1], v[166:167], v[40:41]
	s_waitcnt vmcnt(26)
	v_mul_f64 v[110:111], v[168:169], v[50:51]
	v_fmac_f64_e32 v[108:109], v[234:235], v[44:45]
	v_add_f64 v[0:1], v[0:1], 0
	s_waitcnt vmcnt(25)
	v_mul_f64 v[116:117], v[220:221], v[54:55]
	v_fmac_f64_e32 v[110:111], v[170:171], v[48:49]
	v_add_f64 v[0:1], v[0:1], v[108:109]
	;; [unrolled: 4-line block ×6, first 2 shown]
	s_waitcnt vmcnt(20) lgkmcnt(13)
	v_mul_f64 v[126:127], v[180:181], v[78:79]
	v_fmac_f64_e32 v[124:125], v[214:215], v[68:69]
	v_add_f64 v[0:1], v[0:1], v[122:123]
	s_waitcnt vmcnt(19) lgkmcnt(12)
	v_mul_f64 v[128:129], v[228:229], v[82:83]
	v_fmac_f64_e32 v[126:127], v[182:183], v[76:77]
	v_add_f64 v[0:1], v[0:1], v[124:125]
	;; [unrolled: 4-line block ×9, first 2 shown]
	v_add_f64 v[0:1], v[0:1], v[148:149]
	v_fmac_f64_e32 v[150:151], v[186:187], v[112:113]
	s_waitcnt vmcnt(11) lgkmcnt(4)
	v_mul_f64 v[116:117], v[200:201], v[138:139]
	v_add_f64 v[0:1], v[0:1], v[150:151]
	v_fmac_f64_e32 v[116:117], v[202:203], v[136:137]
	v_add_f64 v[0:1], v[0:1], v[116:117]
	ds_read_b128 v[144:147], v2 offset:1424
	s_waitcnt vmcnt(10) lgkmcnt(4)
	v_mul_f64 v[116:117], v[236:237], v[142:143]
	scratch_load_dwordx4 v[108:111], off, off offset:656
	v_fmac_f64_e32 v[116:117], v[238:239], v[140:141]
	v_add_f64 v[0:1], v[0:1], v[116:117]
	scratch_load_dwordx4 v[116:119], off, off offset:672
	ds_read_b128 v[148:151], v2 offset:1440
	scratch_load_dwordx4 v[120:123], off, off offset:688
	s_waitcnt vmcnt(12) lgkmcnt(1)
	v_mul_f64 v[124:125], v[144:145], v[6:7]
	v_fmac_f64_e32 v[124:125], v[146:147], v[4:5]
	v_add_f64 v[0:1], v[0:1], v[124:125]
	s_waitcnt vmcnt(11) lgkmcnt(0)
	v_mul_f64 v[124:125], v[148:149], v[10:11]
	v_fmac_f64_e32 v[124:125], v[150:151], v[8:9]
	s_waitcnt vmcnt(10)
	v_mul_f64 v[128:129], v[152:153], v[14:15]
	v_add_f64 v[0:1], v[0:1], v[124:125]
	scratch_load_dwordx4 v[124:127], off, off offset:704
	v_fmac_f64_e32 v[128:129], v[154:155], v[12:13]
	v_add_f64 v[0:1], v[0:1], v[128:129]
	scratch_load_dwordx4 v[128:131], off, off offset:720
	s_waitcnt vmcnt(11)
	v_mul_f64 v[132:133], v[156:157], v[18:19]
	v_fmac_f64_e32 v[132:133], v[158:159], v[16:17]
	v_add_f64 v[0:1], v[0:1], v[132:133]
	scratch_load_dwordx4 v[132:135], off, off offset:736
	v_mul_f64 v[42:43], v[166:167], v[42:43]
	v_fma_f64 v[240:241], v[164:165], v[40:41], -v[42:43]
	scratch_load_dwordx4 v[40:43], off, off offset:752
	v_mul_f64 v[46:47], v[234:235], v[46:47]
	v_fma_f64 v[242:243], v[232:233], v[44:45], -v[46:47]
	scratch_load_dwordx4 v[44:47], off, off offset:768
	v_mul_f64 v[50:51], v[170:171], v[50:51]
	v_fma_f64 v[244:245], v[168:169], v[48:49], -v[50:51]
	v_mul_f64 v[48:49], v[222:223], v[54:55]
	v_fma_f64 v[250:251], v[220:221], v[52:53], -v[48:49]
	scratch_load_dwordx4 v[48:51], off, off offset:784
	scratch_load_dwordx4 v[52:55], off, off offset:800
	s_waitcnt vmcnt(15)
	v_mul_f64 v[164:165], v[160:161], v[22:23]
	v_fmac_f64_e32 v[164:165], v[162:163], v[20:21]
	v_add_f64 v[0:1], v[0:1], v[164:165]
	ds_read_b128 v[164:167], v2 offset:1504
	ds_read_b128 v[168:171], v2 offset:1520
	v_mul_f64 v[58:59], v[174:175], v[58:59]
	v_fma_f64 v[252:253], v[172:173], v[56:57], -v[58:59]
	ds_read_b128 v[172:175], v2 offset:1536
	v_mul_f64 v[56:57], v[178:179], v[62:63]
	v_fma_f64 v[254:255], v[176:177], v[60:61], -v[56:57]
	scratch_load_dwordx4 v[60:63], off, off offset:816
	scratch_load_dwordx4 v[56:59], off, off offset:832
	s_waitcnt vmcnt(16) lgkmcnt(2)
	v_mul_f64 v[232:233], v[164:165], v[34:35]
	v_fmac_f64_e32 v[232:233], v[166:167], v[32:33]
	s_waitcnt vmcnt(15) lgkmcnt(1)
	v_mul_f64 v[220:221], v[168:169], v[38:39]
	v_mul_f64 v[66:67], v[226:227], v[66:67]
	v_add_f64 v[0:1], v[0:1], v[232:233]
	v_fmac_f64_e32 v[220:221], v[170:171], v[36:37]
	v_fma_f64 v[246:247], v[224:225], v[64:65], -v[66:67]
	s_waitcnt vmcnt(14) lgkmcnt(0)
	v_mul_f64 v[64:65], v[172:173], v[30:31]
	v_add_f64 v[0:1], v[0:1], v[220:221]
	v_fmac_f64_e32 v[64:65], v[174:175], v[28:29]
	v_accvgpr_write_b32 a147, v23
	v_add_f64 v[0:1], v[0:1], v[64:65]
	v_mul_f64 v[64:65], v[214:215], v[70:71]
	v_accvgpr_write_b32 a146, v22
	v_accvgpr_write_b32 a145, v21
	;; [unrolled: 1-line block ×3, first 2 shown]
	ds_read_b128 v[176:179], v2 offset:1552
	v_fma_f64 v[20:21], v[212:213], v[68:69], -v[64:65]
	scratch_load_dwordx4 v[68:71], off, off offset:848
	scratch_load_dwordx4 v[64:67], off, off offset:864
	v_accvgpr_write_b32 a131, v7
	v_accvgpr_write_b32 a130, v6
	;; [unrolled: 1-line block ×5, first 2 shown]
	v_mul_f64 v[6:7], v[182:183], v[78:79]
	v_accvgpr_write_b32 a142, v18
	v_accvgpr_write_b32 a141, v17
	;; [unrolled: 1-line block ×3, first 2 shown]
	v_fma_f64 v[16:17], v[180:181], v[76:77], -v[6:7]
	s_waitcnt vmcnt(15) lgkmcnt(0)
	v_mul_f64 v[76:77], v[176:177], v[26:27]
	v_fmac_f64_e32 v[76:77], v[178:179], v[24:25]
	v_accvgpr_write_b32 a139, v15
	v_add_f64 v[0:1], v[0:1], v[76:77]
	v_mul_f64 v[76:77], v[230:231], v[82:83]
	v_accvgpr_write_b32 a138, v14
	v_accvgpr_write_b32 a137, v13
	;; [unrolled: 1-line block ×3, first 2 shown]
	v_fma_f64 v[12:13], v[228:229], v[80:81], -v[76:77]
	scratch_load_dwordx4 v[76:79], off, off offset:880
	scratch_load_dwordx4 v[232:235], off, off offset:944
	ds_read_b128 v[180:183], v2 offset:1568
	ds_read_b128 v[80:83], v2 offset:1584
	v_accvgpr_write_b32 a135, v11
	v_accvgpr_write_b32 a134, v10
	;; [unrolled: 1-line block ×4, first 2 shown]
	s_waitcnt vmcnt(16) lgkmcnt(1)
	v_mul_f64 v[10:11], v[180:181], v[74:75]
	v_fmac_f64_e32 v[10:11], v[182:183], v[72:73]
	v_add_f64 v[0:1], v[0:1], v[10:11]
	v_mul_f64 v[10:11], v[218:219], v[86:87]
	v_fma_f64 v[10:11], v[216:217], v[84:85], -v[10:11]
	ds_read_b128 v[84:87], v2 offset:1600
	v_mul_f64 v[90:91], v[190:191], v[90:91]
	v_fma_f64 v[8:9], v[188:189], v[88:89], -v[90:91]
	ds_read_b128 v[88:91], v2 offset:1616
	s_waitcnt vmcnt(15) lgkmcnt(2)
	v_mul_f64 v[212:213], v[80:81], v[110:111]
	v_fmac_f64_e32 v[212:213], v[82:83], v[108:109]
	s_waitcnt vmcnt(14) lgkmcnt(1)
	v_mul_f64 v[14:15], v[84:85], v[118:119]
	v_add_f64 v[0:1], v[0:1], v[212:213]
	v_fmac_f64_e32 v[14:15], v[86:87], v[116:117]
	v_add_f64 v[0:1], v[0:1], v[14:15]
	s_waitcnt vmcnt(13) lgkmcnt(0)
	v_mul_f64 v[14:15], v[88:89], v[122:123]
	v_fmac_f64_e32 v[14:15], v[90:91], v[120:121]
	ds_read_b128 v[188:191], v2 offset:1632
	v_add_f64 v[0:1], v[0:1], v[14:15]
	v_mul_f64 v[14:15], v[206:207], v[94:95]
	v_fma_f64 v[14:15], v[204:205], v[92:93], -v[14:15]
	ds_read_b128 v[92:95], v2 offset:1648
	v_mul_f64 v[98:99], v[194:195], v[98:99]
	v_fma_f64 v[6:7], v[192:193], v[96:97], -v[98:99]
	ds_read_b128 v[96:99], v2 offset:1664
	ds_read_b128 v[192:195], v2 offset:1680
	s_waitcnt vmcnt(12) lgkmcnt(3)
	v_mul_f64 v[204:205], v[188:189], v[126:127]
	v_fmac_f64_e32 v[204:205], v[190:191], v[124:125]
	s_waitcnt vmcnt(11) lgkmcnt(2)
	v_mul_f64 v[18:19], v[92:93], v[130:131]
	v_add_f64 v[0:1], v[0:1], v[204:205]
	v_fmac_f64_e32 v[18:19], v[94:95], v[128:129]
	v_add_f64 v[0:1], v[0:1], v[18:19]
	s_waitcnt vmcnt(10) lgkmcnt(1)
	v_mul_f64 v[18:19], v[96:97], v[134:135]
	v_fmac_f64_e32 v[18:19], v[98:99], v[132:133]
	v_add_f64 v[0:1], v[0:1], v[18:19]
	v_mul_f64 v[18:19], v[210:211], v[102:103]
	v_fma_f64 v[18:19], v[208:209], v[100:101], -v[18:19]
	ds_read_b128 v[100:103], v2 offset:1696
	v_mul_f64 v[106:107], v[198:199], v[106:107]
	v_fma_f64 v[4:5], v[196:197], v[104:105], -v[106:107]
	ds_read_b128 v[104:107], v2 offset:1712
	s_waitcnt vmcnt(9) lgkmcnt(2)
	v_mul_f64 v[204:205], v[192:193], v[42:43]
	v_fmac_f64_e32 v[204:205], v[194:195], v[40:41]
	s_waitcnt vmcnt(8) lgkmcnt(1)
	v_mul_f64 v[22:23], v[100:101], v[46:47]
	v_add_f64 v[0:1], v[0:1], v[204:205]
	v_fmac_f64_e32 v[22:23], v[102:103], v[44:45]
	v_add_f64 v[0:1], v[0:1], v[22:23]
	s_waitcnt vmcnt(7) lgkmcnt(0)
	v_mul_f64 v[22:23], v[104:105], v[50:51]
	ds_read_b128 v[196:199], v2 offset:1728
	v_fmac_f64_e32 v[22:23], v[106:107], v[48:49]
	v_add_f64 v[0:1], v[0:1], v[22:23]
	v_mul_f64 v[22:23], v[186:187], v[114:115]
	v_fma_f64 v[22:23], v[184:185], v[112:113], -v[22:23]
	ds_read_b128 v[112:115], v2 offset:1744
	s_waitcnt vmcnt(6) lgkmcnt(1)
	v_mul_f64 v[184:185], v[196:197], v[54:55]
	v_fmac_f64_e32 v[184:185], v[198:199], v[52:53]
	v_add_f64 v[184:185], v[0:1], v[184:185]
	v_mul_f64 v[0:1], v[202:203], v[138:139]
	v_fma_f64 v[0:1], v[200:201], v[136:137], -v[0:1]
	ds_read_b128 v[136:139], v2 offset:1760
	s_waitcnt vmcnt(5) lgkmcnt(1)
	v_mul_f64 v[186:187], v[112:113], v[62:63]
	v_fmac_f64_e32 v[186:187], v[114:115], v[60:61]
	v_add_f64 v[200:201], v[184:185], v[186:187]
	ds_read_b128 v[184:187], v2 offset:1776
	v_mul_f64 v[142:143], v[238:239], v[142:143]
	v_fma_f64 v[248:249], v[236:237], v[140:141], -v[142:143]
	ds_read_b128 v[140:143], v2 offset:1792
	ds_read_b128 v[208:211], v2 offset:1824
	s_waitcnt vmcnt(4) lgkmcnt(3)
	v_mul_f64 v[202:203], v[136:137], v[58:59]
	v_fmac_f64_e32 v[202:203], v[138:139], v[56:57]
	v_add_f64 v[200:201], v[200:201], v[202:203]
	s_waitcnt vmcnt(3) lgkmcnt(2)
	v_mul_f64 v[202:203], v[184:185], v[70:71]
	v_fmac_f64_e32 v[202:203], v[186:187], v[68:69]
	v_add_f64 v[200:201], v[200:201], v[202:203]
	;; [unrolled: 4-line block ×3, first 2 shown]
	ds_read_b128 v[200:203], v2 offset:1808
	ds_read_b128 v[216:219], v2 offset:1840
	;; [unrolled: 1-line block ×3, first 2 shown]
	s_waitcnt vmcnt(1) lgkmcnt(2)
	v_mul_f64 v[206:207], v[200:201], v[78:79]
	v_fmac_f64_e32 v[206:207], v[202:203], v[76:77]
	v_add_f64 v[212:213], v[204:205], v[206:207]
	scratch_load_dwordx4 v[204:207], off, off offset:896
	s_waitcnt vmcnt(0)
	v_mul_f64 v[214:215], v[208:209], v[206:207]
	v_fmac_f64_e32 v[214:215], v[210:211], v[204:205]
	v_add_f64 v[220:221], v[212:213], v[214:215]
	scratch_load_dwordx4 v[212:215], off, off offset:912
	s_waitcnt vmcnt(0) lgkmcnt(1)
	v_mul_f64 v[222:223], v[216:217], v[214:215]
	v_fmac_f64_e32 v[222:223], v[218:219], v[212:213]
	v_add_f64 v[228:229], v[220:221], v[222:223]
	scratch_load_dwordx4 v[220:223], off, off offset:928
	s_waitcnt vmcnt(0) lgkmcnt(0)
	v_mul_f64 v[230:231], v[224:225], v[222:223]
	v_fmac_f64_e32 v[230:231], v[226:227], v[220:221]
	v_add_f64 v[236:237], v[228:229], v[230:231]
	ds_read_b128 v[228:231], v2 offset:1872
	s_waitcnt lgkmcnt(0)
	v_mul_f64 v[2:3], v[228:229], v[234:235]
	v_fmac_f64_e32 v[2:3], v[230:231], v[232:233]
	v_add_f64 v[2:3], v[236:237], v[2:3]
	v_add_f64 v[236:237], v[240:241], 0
	;; [unrolled: 1-line block ×9, first 2 shown]
	scratch_load_dwordx4 v[236:239], off, off offset:176
	v_add_f64 v[16:17], v[20:21], v[16:17]
	v_add_f64 v[12:13], v[16:17], v[12:13]
	;; [unrolled: 1-line block ×8, first 2 shown]
	v_accvgpr_read_b32 v6, a128
	v_accvgpr_read_b32 v8, a130
	;; [unrolled: 1-line block ×3, first 2 shown]
	v_add_f64 v[250:251], v[4:5], v[22:23]
	v_accvgpr_read_b32 v7, a129
	v_mul_f64 v[4:5], v[146:147], v[8:9]
	v_add_f64 v[0:1], v[250:251], v[0:1]
	v_fma_f64 v[4:5], v[144:145], v[6:7], -v[4:5]
	v_accvgpr_read_b32 v6, a132
	v_add_f64 v[0:1], v[0:1], v[248:249]
	v_accvgpr_read_b32 v8, a134
	v_accvgpr_read_b32 v9, a135
	v_add_f64 v[0:1], v[0:1], v[4:5]
	v_accvgpr_read_b32 v7, a133
	v_mul_f64 v[4:5], v[150:151], v[8:9]
	v_fma_f64 v[4:5], v[148:149], v[6:7], -v[4:5]
	v_accvgpr_read_b32 v6, a136
	v_accvgpr_read_b32 v8, a138
	v_accvgpr_read_b32 v9, a139
	v_add_f64 v[0:1], v[0:1], v[4:5]
	v_accvgpr_read_b32 v7, a137
	v_mul_f64 v[4:5], v[154:155], v[8:9]
	v_fma_f64 v[4:5], v[152:153], v[6:7], -v[4:5]
	v_accvgpr_read_b32 v6, a140
	;; [unrolled: 7-line block ×3, first 2 shown]
	v_accvgpr_read_b32 v8, a146
	v_accvgpr_read_b32 v9, a147
	v_add_f64 v[0:1], v[0:1], v[4:5]
	v_accvgpr_read_b32 v7, a145
	v_mul_f64 v[4:5], v[162:163], v[8:9]
	v_fma_f64 v[4:5], v[160:161], v[6:7], -v[4:5]
	v_add_f64 v[0:1], v[0:1], v[4:5]
	v_mul_f64 v[4:5], v[166:167], v[34:35]
	v_fma_f64 v[4:5], v[164:165], v[32:33], -v[4:5]
	v_add_f64 v[0:1], v[0:1], v[4:5]
	;; [unrolled: 3-line block ×25, first 2 shown]
	s_waitcnt vmcnt(0)
	v_add_f64 v[4:5], v[236:237], -v[0:1]
	v_accvgpr_read_b32 v0, a118
	v_add_f64 v[6:7], v[238:239], -v[2:3]
	v_cmp_lt_u32_e32 vcc, 9, v0
	scratch_store_dwordx4 off, v[4:7], off offset:176
	s_and_saveexec_b64 s[0:1], vcc
	s_cbranch_execz .LBB122_349
; %bb.348:
	scratch_load_dwordx4 v[2:5], off, s66
	v_mov_b32_e32 v6, 0
	v_mov_b32_e32 v7, v6
	;; [unrolled: 1-line block ×4, first 2 shown]
	v_accvgpr_read_b32 v0, a119
	scratch_store_dwordx4 off, v[6:9], off offset:160
	s_waitcnt vmcnt(1)
	ds_write_b128 v0, v[2:5]
.LBB122_349:
	s_or_b64 exec, exec, s[0:1]
	s_waitcnt lgkmcnt(0)
	; wave barrier
	scratch_load_dwordx4 v[56:59], off, off offset:176
	scratch_load_dwordx4 v[60:63], off, off offset:192
	;; [unrolled: 1-line block ×28, first 2 shown]
	v_mov_b32_e32 v2, 0
	ds_read_b128 v[116:119], v2 offset:1104
	ds_read_b128 v[120:123], v2 offset:1120
	ds_read_b128 v[124:127], v2 offset:1136
	ds_read_b128 v[128:131], v2 offset:1152
	ds_read_b128 v[132:135], v2 offset:1168
	ds_read_b128 v[140:143], v2 offset:1184
	ds_read_b128 v[152:155], v2 offset:1200
	ds_read_b128 v[164:167], v2 offset:1216
	ds_read_b128 v[176:179], v2 offset:1232
	ds_read_b128 v[188:191], v2 offset:1248
	ds_read_b128 v[196:199], v2 offset:1264
	ds_read_b128 v[200:203], v2 offset:1280
	ds_read_b128 v[204:207], v2 offset:1296
	ds_read_b128 v[208:211], v2 offset:1312
	ds_read_b128 v[212:215], v2 offset:1328
	ds_read_b128 v[216:219], v2 offset:1344
	ds_read_b128 v[220:223], v2 offset:1360
	ds_read_b128 v[224:227], v2 offset:1376
	ds_read_b128 v[228:231], v2 offset:1392
	ds_read_b128 v[246:249], v2 offset:1408
	ds_read_b128 v[250:253], v2 offset:1424
	ds_read_b128 v[108:111], v2 offset:1472
	s_waitcnt vmcnt(27) lgkmcnt(14)
	v_mul_f64 v[0:1], v[116:117], v[58:59]
	s_waitcnt vmcnt(26)
	v_mul_f64 v[32:33], v[120:121], v[62:63]
	v_fmac_f64_e32 v[0:1], v[118:119], v[56:57]
	s_waitcnt vmcnt(25)
	v_mul_f64 v[34:35], v[124:125], v[66:67]
	v_fmac_f64_e32 v[32:33], v[122:123], v[60:61]
	v_add_f64 v[0:1], v[0:1], 0
	v_fmac_f64_e32 v[34:35], v[126:127], v[64:65]
	v_add_f64 v[0:1], v[0:1], v[32:33]
	v_add_f64 v[0:1], v[0:1], v[34:35]
	scratch_load_dwordx4 v[32:35], off, off offset:624
	s_waitcnt vmcnt(25)
	v_mul_f64 v[36:37], v[128:129], v[70:71]
	s_waitcnt vmcnt(24)
	v_mul_f64 v[38:39], v[132:133], v[74:75]
	v_fmac_f64_e32 v[36:37], v[130:131], v[68:69]
	s_waitcnt vmcnt(23)
	v_mul_f64 v[40:41], v[140:141], v[78:79]
	v_fmac_f64_e32 v[38:39], v[134:135], v[72:73]
	v_add_f64 v[0:1], v[0:1], v[36:37]
	s_waitcnt vmcnt(22)
	v_mul_f64 v[42:43], v[152:153], v[82:83]
	v_fmac_f64_e32 v[40:41], v[142:143], v[76:77]
	v_add_f64 v[0:1], v[0:1], v[38:39]
	;; [unrolled: 4-line block ×3, first 2 shown]
	s_waitcnt vmcnt(20) lgkmcnt(13)
	v_mul_f64 v[46:47], v[176:177], v[94:95]
	v_fmac_f64_e32 v[44:45], v[166:167], v[84:85]
	v_add_f64 v[0:1], v[0:1], v[42:43]
	s_waitcnt vmcnt(19) lgkmcnt(12)
	v_mul_f64 v[48:49], v[188:189], v[98:99]
	v_fmac_f64_e32 v[46:47], v[178:179], v[92:93]
	v_add_f64 v[0:1], v[0:1], v[44:45]
	;; [unrolled: 4-line block ×9, first 2 shown]
	v_add_f64 v[0:1], v[0:1], v[104:105]
	v_fmac_f64_e32 v[106:107], v[222:223], v[168:169]
	s_waitcnt vmcnt(11) lgkmcnt(4)
	v_mul_f64 v[40:41], v[224:225], v[174:175]
	v_add_f64 v[0:1], v[0:1], v[106:107]
	v_fmac_f64_e32 v[40:41], v[226:227], v[172:173]
	scratch_load_dwordx4 v[36:39], off, off offset:640
	v_add_f64 v[0:1], v[0:1], v[40:41]
	s_waitcnt vmcnt(11) lgkmcnt(3)
	v_mul_f64 v[40:41], v[228:229], v[182:183]
	v_fmac_f64_e32 v[40:41], v[230:231], v[180:181]
	s_waitcnt vmcnt(10) lgkmcnt(2)
	v_mul_f64 v[44:45], v[246:247], v[186:187]
	v_add_f64 v[0:1], v[0:1], v[40:41]
	v_fmac_f64_e32 v[44:45], v[248:249], v[184:185]
	scratch_load_dwordx4 v[40:43], off, off offset:656
	ds_read_b128 v[88:91], v2 offset:1440
	v_add_f64 v[0:1], v[0:1], v[44:45]
	s_waitcnt vmcnt(10) lgkmcnt(2)
	v_mul_f64 v[44:45], v[250:251], v[194:195]
	v_fmac_f64_e32 v[44:45], v[252:253], v[192:193]
	v_add_f64 v[0:1], v[0:1], v[44:45]
	scratch_load_dwordx4 v[44:47], off, off offset:672
	ds_read_b128 v[104:107], v2 offset:1456
	s_waitcnt vmcnt(10) lgkmcnt(1)
	v_mul_f64 v[48:49], v[88:89], v[6:7]
	v_accvgpr_write_b32 a123, v7
	v_fmac_f64_e32 v[48:49], v[90:91], v[4:5]
	v_accvgpr_write_b32 a122, v6
	v_accvgpr_write_b32 a121, v5
	;; [unrolled: 1-line block ×3, first 2 shown]
	s_waitcnt vmcnt(9)
	v_mov_b64_e32 v[4:5], v[8:9]
	v_add_f64 v[0:1], v[0:1], v[48:49]
	scratch_load_dwordx4 v[48:51], off, off offset:688
	v_mov_b64_e32 v[6:7], v[10:11]
	s_waitcnt lgkmcnt(0)
	v_mul_f64 v[52:53], v[104:105], v[6:7]
	v_fmac_f64_e32 v[52:53], v[106:107], v[4:5]
	v_add_f64 v[0:1], v[0:1], v[52:53]
	scratch_load_dwordx4 v[52:55], off, off offset:704
	v_mul_f64 v[58:59], v[118:119], v[58:59]
	s_waitcnt vmcnt(10)
	v_mov_b64_e32 v[4:5], v[12:13]
	v_fma_f64 v[240:241], v[116:117], v[56:57], -v[58:59]
	scratch_load_dwordx4 v[56:59], off, off offset:720
	v_mov_b64_e32 v[6:7], v[14:15]
	v_mul_f64 v[112:113], v[108:109], v[6:7]
	v_fmac_f64_e32 v[112:113], v[110:111], v[4:5]
	v_add_f64 v[0:1], v[0:1], v[112:113]
	ds_read_b128 v[112:115], v2 offset:1488
	ds_read_b128 v[116:119], v2 offset:1504
	v_mul_f64 v[62:63], v[122:123], v[62:63]
	v_fma_f64 v[242:243], v[120:121], v[60:61], -v[62:63]
	scratch_load_dwordx4 v[60:63], off, off offset:736
	s_waitcnt vmcnt(11)
	v_mov_b64_e32 v[4:5], v[16:17]
	v_mul_f64 v[66:67], v[126:127], v[66:67]
	v_mov_b64_e32 v[6:7], v[18:19]
	v_fma_f64 v[244:245], v[124:125], v[64:65], -v[66:67]
	scratch_load_dwordx4 v[64:67], off, off offset:752
	s_waitcnt lgkmcnt(1)
	v_mul_f64 v[120:121], v[112:113], v[6:7]
	v_fmac_f64_e32 v[120:121], v[114:115], v[4:5]
	s_waitcnt vmcnt(11)
	v_mov_b64_e32 v[4:5], v[20:21]
	v_mov_b64_e32 v[6:7], v[22:23]
	v_add_f64 v[0:1], v[0:1], v[120:121]
	s_waitcnt lgkmcnt(0)
	v_mul_f64 v[120:121], v[116:117], v[6:7]
	v_fmac_f64_e32 v[120:121], v[118:119], v[4:5]
	v_mul_f64 v[70:71], v[130:131], v[70:71]
	v_add_f64 v[0:1], v[0:1], v[120:121]
	v_fma_f64 v[254:255], v[128:129], v[68:69], -v[70:71]
	scratch_load_dwordx4 v[68:71], off, off offset:768
	ds_read_b128 v[120:123], v2 offset:1520
	ds_read_b128 v[124:127], v2 offset:1536
	v_mul_f64 v[74:75], v[134:135], v[74:75]
	v_accvgpr_write_b32 a127, v11
	v_fma_f64 v[232:233], v[132:133], v[72:73], -v[74:75]
	scratch_load_dwordx4 v[72:75], off, off offset:784
	v_accvgpr_write_b32 a126, v10
	v_accvgpr_write_b32 a125, v9
	v_accvgpr_write_b32 a124, v8
	v_mul_f64 v[78:79], v[142:143], v[78:79]
	s_waitcnt vmcnt(12)
	v_mov_b64_e32 v[8:9], v[24:25]
	v_fma_f64 v[28:29], v[140:141], v[76:77], -v[78:79]
	v_mov_b64_e32 v[10:11], v[26:27]
	scratch_load_dwordx4 v[76:79], off, off offset:800
	s_waitcnt lgkmcnt(1)
	v_mul_f64 v[6:7], v[120:121], v[10:11]
	v_fmac_f64_e32 v[6:7], v[122:123], v[8:9]
	v_accvgpr_write_b32 a143, v27
	v_add_f64 v[0:1], v[0:1], v[6:7]
	v_mul_f64 v[6:7], v[154:155], v[82:83]
	v_accvgpr_write_b32 a142, v26
	v_accvgpr_write_b32 a141, v25
	;; [unrolled: 1-line block ×3, first 2 shown]
	v_fma_f64 v[24:25], v[152:153], v[80:81], -v[6:7]
	s_waitcnt vmcnt(12) lgkmcnt(0)
	v_mul_f64 v[6:7], v[124:125], v[236:237]
	v_fmac_f64_e32 v[6:7], v[126:127], v[234:235]
	scratch_load_dwordx4 v[80:83], off, off offset:816
	v_accvgpr_write_b32 a139, v23
	v_add_f64 v[0:1], v[0:1], v[6:7]
	v_mul_f64 v[6:7], v[166:167], v[86:87]
	v_accvgpr_write_b32 a138, v22
	v_accvgpr_write_b32 a137, v21
	;; [unrolled: 1-line block ×3, first 2 shown]
	v_fma_f64 v[20:21], v[164:165], v[84:85], -v[6:7]
	scratch_load_dwordx4 v[84:87], off, off offset:832
	ds_read_b128 v[132:135], v2 offset:1552
	ds_read_b128 v[128:131], v2 offset:1568
	v_accvgpr_write_b32 a135, v19
	v_mul_f64 v[6:7], v[178:179], v[94:95]
	v_accvgpr_write_b32 a131, v15
	v_accvgpr_write_b32 a134, v18
	;; [unrolled: 1-line block ×4, first 2 shown]
	v_fma_f64 v[16:17], v[176:177], v[92:93], -v[6:7]
	v_mul_f64 v[6:7], v[190:191], v[98:99]
	v_accvgpr_write_b32 a130, v14
	v_accvgpr_write_b32 a129, v13
	;; [unrolled: 1-line block ×3, first 2 shown]
	v_fma_f64 v[14:15], v[188:189], v[96:97], -v[6:7]
	scratch_load_dwordx4 v[96:99], off, off offset:848
	scratch_load_dwordx4 v[92:95], off, off offset:864
	s_waitcnt vmcnt(15) lgkmcnt(1)
	v_mul_f64 v[6:7], v[132:133], v[34:35]
	v_fmac_f64_e32 v[6:7], v[134:135], v[32:33]
	v_add_f64 v[0:1], v[0:1], v[6:7]
	v_mul_f64 v[6:7], v[198:199], v[102:103]
	v_fma_f64 v[12:13], v[196:197], v[100:101], -v[6:7]
	scratch_load_dwordx4 v[100:103], off, off offset:880
	v_mul_f64 v[6:7], v[202:203], v[138:139]
	v_fma_f64 v[18:19], v[200:201], v[136:137], -v[6:7]
	ds_read_b128 v[136:139], v2 offset:1584
	ds_read_b128 v[140:143], v2 offset:1600
	s_waitcnt vmcnt(15) lgkmcnt(2)
	v_mul_f64 v[6:7], v[128:129], v[38:39]
	v_fmac_f64_e32 v[6:7], v[130:131], v[36:37]
	v_add_f64 v[0:1], v[0:1], v[6:7]
	s_waitcnt vmcnt(14) lgkmcnt(1)
	v_mul_f64 v[6:7], v[136:137], v[42:43]
	v_fmac_f64_e32 v[6:7], v[138:139], v[40:41]
	v_add_f64 v[0:1], v[0:1], v[6:7]
	v_mul_f64 v[6:7], v[206:207], v[146:147]
	v_fma_f64 v[10:11], v[204:205], v[144:145], -v[6:7]
	ds_read_b128 v[144:147], v2 offset:1616
	s_waitcnt vmcnt(13) lgkmcnt(1)
	v_mul_f64 v[6:7], v[140:141], v[46:47]
	v_fmac_f64_e32 v[6:7], v[142:143], v[44:45]
	v_add_f64 v[0:1], v[0:1], v[6:7]
	v_mul_f64 v[6:7], v[210:211], v[150:151]
	v_fma_f64 v[22:23], v[208:209], v[148:149], -v[6:7]
	ds_read_b128 v[148:151], v2 offset:1632
	s_waitcnt vmcnt(12) lgkmcnt(1)
	v_mul_f64 v[6:7], v[144:145], v[50:51]
	ds_read_b128 v[152:155], v2 offset:1648
	v_fmac_f64_e32 v[6:7], v[146:147], v[48:49]
	v_add_f64 v[0:1], v[0:1], v[6:7]
	v_mul_f64 v[6:7], v[214:215], v[158:159]
	v_fma_f64 v[8:9], v[212:213], v[156:157], -v[6:7]
	s_waitcnt vmcnt(11) lgkmcnt(1)
	v_mul_f64 v[6:7], v[148:149], v[54:55]
	v_fmac_f64_e32 v[6:7], v[150:151], v[52:53]
	ds_read_b128 v[156:159], v2 offset:1664
	v_add_f64 v[0:1], v[0:1], v[6:7]
	s_waitcnt vmcnt(10) lgkmcnt(1)
	v_mul_f64 v[6:7], v[152:153], v[58:59]
	v_fmac_f64_e32 v[6:7], v[154:155], v[56:57]
	v_add_f64 v[0:1], v[0:1], v[6:7]
	v_mul_f64 v[6:7], v[218:219], v[162:163]
	v_fma_f64 v[26:27], v[216:217], v[160:161], -v[6:7]
	ds_read_b128 v[160:163], v2 offset:1680
	ds_read_b128 v[164:167], v2 offset:1696
	s_waitcnt vmcnt(9) lgkmcnt(2)
	v_mul_f64 v[6:7], v[156:157], v[62:63]
	v_fmac_f64_e32 v[6:7], v[158:159], v[60:61]
	v_add_f64 v[0:1], v[0:1], v[6:7]
	s_waitcnt vmcnt(8) lgkmcnt(1)
	v_mul_f64 v[6:7], v[160:161], v[66:67]
	v_fmac_f64_e32 v[6:7], v[162:163], v[64:65]
	v_add_f64 v[0:1], v[0:1], v[6:7]
	v_mul_f64 v[6:7], v[222:223], v[170:171]
	v_fma_f64 v[4:5], v[220:221], v[168:169], -v[6:7]
	ds_read_b128 v[168:171], v2 offset:1712
	v_mul_f64 v[6:7], v[226:227], v[174:175]
	v_fma_f64 v[6:7], v[224:225], v[172:173], -v[6:7]
	ds_read_b128 v[172:175], v2 offset:1728
	s_waitcnt vmcnt(7) lgkmcnt(2)
	v_mul_f64 v[30:31], v[164:165], v[70:71]
	v_fmac_f64_e32 v[30:31], v[166:167], v[68:69]
	v_add_f64 v[0:1], v[0:1], v[30:31]
	s_waitcnt vmcnt(6) lgkmcnt(1)
	v_mul_f64 v[30:31], v[168:169], v[74:75]
	v_fmac_f64_e32 v[30:31], v[170:171], v[72:73]
	v_add_f64 v[0:1], v[0:1], v[30:31]
	s_waitcnt vmcnt(5) lgkmcnt(0)
	v_mul_f64 v[30:31], v[172:173], v[78:79]
	ds_read_b128 v[176:179], v2 offset:1744
	v_fmac_f64_e32 v[30:31], v[174:175], v[76:77]
	v_add_f64 v[30:31], v[0:1], v[30:31]
	v_mul_f64 v[0:1], v[230:231], v[182:183]
	v_fma_f64 v[0:1], v[228:229], v[180:181], -v[0:1]
	ds_read_b128 v[180:183], v2 offset:1760
	v_mul_f64 v[186:187], v[248:249], v[186:187]
	s_waitcnt vmcnt(4) lgkmcnt(1)
	v_mul_f64 v[188:189], v[176:177], v[82:83]
	v_fma_f64 v[238:239], v[246:247], v[184:185], -v[186:187]
	ds_read_b128 v[184:187], v2 offset:1776
	v_fmac_f64_e32 v[188:189], v[178:179], v[80:81]
	v_add_f64 v[30:31], v[30:31], v[188:189]
	ds_read_b128 v[188:191], v2 offset:1792
	s_waitcnt vmcnt(3) lgkmcnt(2)
	v_mul_f64 v[196:197], v[180:181], v[86:87]
	v_mul_f64 v[194:195], v[252:253], v[194:195]
	v_fmac_f64_e32 v[196:197], v[182:183], v[84:85]
	v_fma_f64 v[246:247], v[250:251], v[192:193], -v[194:195]
	ds_read_b128 v[192:195], v2 offset:1808
	ds_read_b128 v[200:203], v2 offset:1824
	v_add_f64 v[30:31], v[30:31], v[196:197]
	s_waitcnt vmcnt(2) lgkmcnt(3)
	v_mul_f64 v[196:197], v[184:185], v[98:99]
	v_fmac_f64_e32 v[196:197], v[186:187], v[96:97]
	v_add_f64 v[30:31], v[30:31], v[196:197]
	s_waitcnt vmcnt(1) lgkmcnt(2)
	v_mul_f64 v[196:197], v[188:189], v[94:95]
	v_fmac_f64_e32 v[196:197], v[190:191], v[92:93]
	;; [unrolled: 4-line block ×3, first 2 shown]
	v_add_f64 v[30:31], v[30:31], v[196:197]
	scratch_load_dwordx4 v[196:199], off, off offset:896
	ds_read_b128 v[208:211], v2 offset:1840
	ds_read_b128 v[216:219], v2 offset:1856
	;; [unrolled: 1-line block ×3, first 2 shown]
	s_waitcnt vmcnt(0) lgkmcnt(3)
	v_mul_f64 v[204:205], v[200:201], v[198:199]
	v_fmac_f64_e32 v[204:205], v[202:203], v[196:197]
	v_add_f64 v[30:31], v[30:31], v[204:205]
	scratch_load_dwordx4 v[204:207], off, off offset:912
	s_waitcnt vmcnt(0) lgkmcnt(2)
	v_mul_f64 v[212:213], v[208:209], v[206:207]
	v_fmac_f64_e32 v[212:213], v[210:211], v[204:205]
	v_add_f64 v[30:31], v[30:31], v[212:213]
	scratch_load_dwordx4 v[212:215], off, off offset:928
	;; [unrolled: 5-line block ×3, first 2 shown]
	s_waitcnt vmcnt(0) lgkmcnt(0)
	v_mul_f64 v[228:229], v[224:225], v[222:223]
	v_fmac_f64_e32 v[228:229], v[226:227], v[220:221]
	v_add_f64 v[250:251], v[30:31], v[228:229]
	v_add_f64 v[30:31], v[240:241], 0
	;; [unrolled: 1-line block ×3, first 2 shown]
	scratch_load_dwordx4 v[228:231], off, off offset:160
	v_add_f64 v[30:31], v[30:31], v[244:245]
	v_add_f64 v[30:31], v[30:31], v[254:255]
	;; [unrolled: 1-line block ×16, first 2 shown]
	v_accvgpr_read_b32 v6, a120
	v_accvgpr_read_b32 v8, a122
	;; [unrolled: 1-line block ×3, first 2 shown]
	v_add_f64 v[0:1], v[4:5], v[0:1]
	v_accvgpr_read_b32 v7, a121
	v_mul_f64 v[4:5], v[90:91], v[8:9]
	v_add_f64 v[0:1], v[0:1], v[238:239]
	v_fma_f64 v[4:5], v[88:89], v[6:7], -v[4:5]
	v_accvgpr_read_b32 v6, a124
	v_add_f64 v[0:1], v[0:1], v[246:247]
	v_accvgpr_read_b32 v8, a126
	v_accvgpr_read_b32 v9, a127
	v_add_f64 v[0:1], v[0:1], v[4:5]
	v_accvgpr_read_b32 v7, a125
	v_mul_f64 v[4:5], v[106:107], v[8:9]
	v_fma_f64 v[4:5], v[104:105], v[6:7], -v[4:5]
	v_accvgpr_read_b32 v6, a128
	v_accvgpr_read_b32 v8, a130
	v_accvgpr_read_b32 v9, a131
	v_add_f64 v[0:1], v[0:1], v[4:5]
	v_accvgpr_read_b32 v7, a129
	v_mul_f64 v[4:5], v[110:111], v[8:9]
	v_fma_f64 v[4:5], v[108:109], v[6:7], -v[4:5]
	v_accvgpr_read_b32 v6, a132
	;; [unrolled: 7-line block ×4, first 2 shown]
	v_accvgpr_read_b32 v8, a142
	v_accvgpr_read_b32 v9, a143
	v_add_f64 v[0:1], v[0:1], v[4:5]
	v_accvgpr_read_b32 v7, a141
	v_mul_f64 v[4:5], v[122:123], v[8:9]
	v_fma_f64 v[4:5], v[120:121], v[6:7], -v[4:5]
	v_add_f64 v[0:1], v[0:1], v[4:5]
	v_mul_f64 v[4:5], v[126:127], v[236:237]
	v_fma_f64 v[4:5], v[124:125], v[234:235], -v[4:5]
	v_add_f64 v[0:1], v[0:1], v[4:5]
	;; [unrolled: 3-line block ×23, first 2 shown]
	s_waitcnt vmcnt(0)
	v_add_f64 v[4:5], v[228:229], -v[0:1]
	v_accvgpr_read_b32 v0, a118
	v_add_f64 v[6:7], v[230:231], -v[250:251]
	v_cmp_lt_u32_e32 vcc, 8, v0
	scratch_store_dwordx4 off, v[4:7], off offset:160
	s_and_saveexec_b64 s[0:1], vcc
	s_cbranch_execz .LBB122_351
; %bb.350:
	scratch_load_dwordx4 v[6:9], off, s67
	v_mov_b32_e32 v3, v2
	v_mov_b32_e32 v4, v2
	;; [unrolled: 1-line block ×3, first 2 shown]
	v_accvgpr_read_b32 v0, a119
	scratch_store_dwordx4 off, v[2:5], off offset:144
	s_waitcnt vmcnt(1)
	ds_write_b128 v0, v[6:9]
.LBB122_351:
	s_or_b64 exec, exec, s[0:1]
	s_waitcnt lgkmcnt(0)
	; wave barrier
	scratch_load_dwordx4 v[56:59], off, off offset:160
	scratch_load_dwordx4 v[60:63], off, off offset:176
	;; [unrolled: 1-line block ×18, first 2 shown]
	ds_read_b128 v[116:119], v2 offset:1088
	ds_read_b128 v[220:223], v2 offset:1104
	;; [unrolled: 1-line block ×6, first 2 shown]
	scratch_load_dwordx4 v[180:183], off, off offset:448
	ds_read_b128 v[204:207], v2 offset:1184
	ds_read_b128 v[132:135], v2 offset:1200
	scratch_load_dwordx4 v[184:187], off, off offset:464
	ds_read_b128 v[224:227], v2 offset:1216
	ds_read_b128 v[216:219], v2 offset:1232
	;; [unrolled: 1-line block ×5, first 2 shown]
	scratch_load_dwordx4 v[192:195], off, off offset:480
	ds_read_b128 v[200:203], v2 offset:1296
	ds_read_b128 v[164:167], v2 offset:1312
	scratch_load_dwordx4 v[4:7], off, off offset:496
	ds_read_b128 v[212:215], v2 offset:1328
	ds_read_b128 v[188:191], v2 offset:1344
	;; [unrolled: 1-line block ×3, first 2 shown]
	scratch_load_dwordx4 v[8:11], off, off offset:512
	scratch_load_dwordx4 v[12:15], off, off offset:528
	;; [unrolled: 1-line block ×6, first 2 shown]
	ds_read_b128 v[228:231], v2 offset:1376
	ds_read_b128 v[232:235], v2 offset:1392
	ds_read_b128 v[236:239], v2 offset:1408
	ds_read_b128 v[108:111], v2 offset:1456
	s_waitcnt vmcnt(27) lgkmcnt(14)
	v_mul_f64 v[0:1], v[116:117], v[58:59]
	s_waitcnt vmcnt(26)
	v_mul_f64 v[32:33], v[220:221], v[62:63]
	v_fmac_f64_e32 v[0:1], v[118:119], v[56:57]
	s_waitcnt vmcnt(25)
	v_mul_f64 v[34:35], v[208:209], v[66:67]
	v_fmac_f64_e32 v[32:33], v[222:223], v[60:61]
	v_add_f64 v[0:1], v[0:1], 0
	v_fmac_f64_e32 v[34:35], v[210:211], v[64:65]
	v_add_f64 v[0:1], v[0:1], v[32:33]
	v_add_f64 v[0:1], v[0:1], v[34:35]
	scratch_load_dwordx4 v[32:35], off, off offset:608
	s_waitcnt vmcnt(25)
	v_mul_f64 v[36:37], v[120:121], v[70:71]
	s_waitcnt vmcnt(24)
	v_mul_f64 v[38:39], v[128:129], v[74:75]
	v_fmac_f64_e32 v[36:37], v[122:123], v[68:69]
	s_waitcnt vmcnt(23)
	v_mul_f64 v[40:41], v[124:125], v[78:79]
	v_fmac_f64_e32 v[38:39], v[130:131], v[72:73]
	v_add_f64 v[0:1], v[0:1], v[36:37]
	s_waitcnt vmcnt(22)
	v_mul_f64 v[42:43], v[204:205], v[82:83]
	v_fmac_f64_e32 v[40:41], v[126:127], v[76:77]
	v_add_f64 v[0:1], v[0:1], v[38:39]
	;; [unrolled: 4-line block ×3, first 2 shown]
	s_waitcnt vmcnt(20) lgkmcnt(13)
	v_mul_f64 v[46:47], v[224:225], v[94:95]
	v_fmac_f64_e32 v[44:45], v[134:135], v[84:85]
	v_add_f64 v[0:1], v[0:1], v[42:43]
	s_waitcnt vmcnt(19) lgkmcnt(12)
	v_mul_f64 v[48:49], v[216:217], v[98:99]
	v_fmac_f64_e32 v[46:47], v[226:227], v[92:93]
	v_add_f64 v[0:1], v[0:1], v[44:45]
	;; [unrolled: 4-line block ×9, first 2 shown]
	v_fmac_f64_e32 v[106:107], v[190:191], v[168:169]
	v_add_f64 v[0:1], v[0:1], v[104:105]
	s_waitcnt vmcnt(11) lgkmcnt(4)
	v_mul_f64 v[40:41], v[176:177], v[174:175]
	v_add_f64 v[0:1], v[0:1], v[106:107]
	v_fmac_f64_e32 v[40:41], v[178:179], v[172:173]
	scratch_load_dwordx4 v[36:39], off, off offset:624
	v_add_f64 v[0:1], v[0:1], v[40:41]
	s_waitcnt vmcnt(11) lgkmcnt(3)
	v_mul_f64 v[40:41], v[228:229], v[182:183]
	v_fmac_f64_e32 v[40:41], v[230:231], v[180:181]
	v_add_f64 v[0:1], v[0:1], v[40:41]
	scratch_load_dwordx4 v[40:43], off, off offset:640
	ds_read_b128 v[88:91], v2 offset:1424
	s_waitcnt vmcnt(11) lgkmcnt(3)
	v_mul_f64 v[44:45], v[232:233], v[186:187]
	v_fmac_f64_e32 v[44:45], v[234:235], v[184:185]
	v_add_f64 v[0:1], v[0:1], v[44:45]
	s_waitcnt vmcnt(10) lgkmcnt(2)
	v_mul_f64 v[44:45], v[236:237], v[194:195]
	v_fmac_f64_e32 v[44:45], v[238:239], v[192:193]
	s_waitcnt vmcnt(9) lgkmcnt(0)
	v_mul_f64 v[48:49], v[88:89], v[6:7]
	ds_read_b128 v[104:107], v2 offset:1440
	v_add_f64 v[0:1], v[0:1], v[44:45]
	scratch_load_dwordx4 v[44:47], off, off offset:656
	v_fmac_f64_e32 v[48:49], v[90:91], v[4:5]
	v_accvgpr_write_b32 a123, v7
	v_add_f64 v[0:1], v[0:1], v[48:49]
	scratch_load_dwordx4 v[48:51], off, off offset:672
	v_accvgpr_write_b32 a122, v6
	v_accvgpr_write_b32 a121, v5
	;; [unrolled: 1-line block ×3, first 2 shown]
	s_waitcnt vmcnt(10)
	v_mov_b64_e32 v[4:5], v[8:9]
	v_mov_b64_e32 v[6:7], v[10:11]
	s_waitcnt lgkmcnt(0)
	v_mul_f64 v[52:53], v[104:105], v[6:7]
	v_fmac_f64_e32 v[52:53], v[106:107], v[4:5]
	v_add_f64 v[0:1], v[0:1], v[52:53]
	scratch_load_dwordx4 v[52:55], off, off offset:688
	v_mul_f64 v[58:59], v[118:119], v[58:59]
	v_fma_f64 v[240:241], v[116:117], v[56:57], -v[58:59]
	scratch_load_dwordx4 v[56:59], off, off offset:704
	v_mul_f64 v[62:63], v[222:223], v[62:63]
	v_fma_f64 v[242:243], v[220:221], v[60:61], -v[62:63]
	scratch_load_dwordx4 v[60:63], off, off offset:720
	s_waitcnt vmcnt(12)
	v_mov_b64_e32 v[4:5], v[12:13]
	v_mul_f64 v[66:67], v[210:211], v[66:67]
	v_mov_b64_e32 v[6:7], v[14:15]
	v_fma_f64 v[244:245], v[208:209], v[64:65], -v[66:67]
	scratch_load_dwordx4 v[64:67], off, off offset:736
	v_mul_f64 v[112:113], v[108:109], v[6:7]
	v_fmac_f64_e32 v[112:113], v[110:111], v[4:5]
	v_add_f64 v[0:1], v[0:1], v[112:113]
	ds_read_b128 v[112:115], v2 offset:1472
	ds_read_b128 v[116:119], v2 offset:1488
	s_waitcnt vmcnt(12)
	v_mov_b64_e32 v[4:5], v[16:17]
	v_mul_f64 v[70:71], v[122:123], v[70:71]
	v_mov_b64_e32 v[6:7], v[18:19]
	v_fma_f64 v[250:251], v[120:121], v[68:69], -v[70:71]
	scratch_load_dwordx4 v[68:71], off, off offset:752
	v_mul_f64 v[74:75], v[130:131], v[74:75]
	s_waitcnt lgkmcnt(1)
	v_mul_f64 v[220:221], v[112:113], v[6:7]
	v_fma_f64 v[252:253], v[128:129], v[72:73], -v[74:75]
	scratch_load_dwordx4 v[72:75], off, off offset:768
	v_fmac_f64_e32 v[220:221], v[114:115], v[4:5]
	s_waitcnt vmcnt(13)
	v_mov_b64_e32 v[4:5], v[20:21]
	ds_read_b128 v[120:123], v2 offset:1504
	v_mul_f64 v[78:79], v[126:127], v[78:79]
	v_mov_b64_e32 v[6:7], v[22:23]
	v_fma_f64 v[254:255], v[124:125], v[76:77], -v[78:79]
	scratch_load_dwordx4 v[76:79], off, off offset:784
	s_waitcnt lgkmcnt(1)
	v_mul_f64 v[208:209], v[116:117], v[6:7]
	ds_read_b128 v[124:127], v2 offset:1520
	v_fmac_f64_e32 v[208:209], v[118:119], v[4:5]
	s_waitcnt vmcnt(13)
	v_mov_b64_e32 v[4:5], v[24:25]
	v_mul_f64 v[82:83], v[206:207], v[82:83]
	v_mov_b64_e32 v[6:7], v[26:27]
	v_fma_f64 v[246:247], v[204:205], v[80:81], -v[82:83]
	scratch_load_dwordx4 v[80:83], off, off offset:800
	v_add_f64 v[0:1], v[0:1], v[220:221]
	s_waitcnt lgkmcnt(1)
	v_mul_f64 v[128:129], v[120:121], v[6:7]
	v_add_f64 v[0:1], v[0:1], v[208:209]
	v_fmac_f64_e32 v[128:129], v[122:123], v[4:5]
	v_add_f64 v[0:1], v[0:1], v[128:129]
	s_waitcnt vmcnt(13) lgkmcnt(0)
	v_mul_f64 v[128:129], v[124:125], v[30:31]
	v_accvgpr_write_b32 a143, v27
	v_fmac_f64_e32 v[128:129], v[126:127], v[28:29]
	v_mul_f64 v[86:87], v[134:135], v[86:87]
	v_accvgpr_write_b32 a142, v26
	v_accvgpr_write_b32 a141, v25
	;; [unrolled: 1-line block ×3, first 2 shown]
	v_add_f64 v[0:1], v[0:1], v[128:129]
	v_fma_f64 v[24:25], v[132:133], v[84:85], -v[86:87]
	scratch_load_dwordx4 v[84:87], off, off offset:816
	ds_read_b128 v[132:135], v2 offset:1536
	ds_read_b128 v[128:131], v2 offset:1552
	v_accvgpr_write_b32 a139, v23
	v_mul_f64 v[6:7], v[226:227], v[94:95]
	v_accvgpr_write_b32 a135, v19
	v_accvgpr_write_b32 a138, v22
	v_accvgpr_write_b32 a137, v21
	v_accvgpr_write_b32 a136, v20
	v_fma_f64 v[20:21], v[224:225], v[92:93], -v[6:7]
	v_mul_f64 v[92:93], v[218:219], v[98:99]
	v_accvgpr_write_b32 a127, v11
	v_accvgpr_write_b32 a134, v18
	;; [unrolled: 1-line block ×4, first 2 shown]
	v_fma_f64 v[16:17], v[216:217], v[96:97], -v[92:93]
	scratch_load_dwordx4 v[96:99], off, off offset:832
	scratch_load_dwordx4 v[92:95], off, off offset:848
	v_accvgpr_write_b32 a126, v10
	v_accvgpr_write_b32 a125, v9
	;; [unrolled: 1-line block ×3, first 2 shown]
	s_waitcnt vmcnt(15) lgkmcnt(1)
	v_mul_f64 v[10:11], v[132:133], v[34:35]
	v_fmac_f64_e32 v[10:11], v[134:135], v[32:33]
	v_accvgpr_write_b32 a131, v15
	v_add_f64 v[0:1], v[0:1], v[10:11]
	v_mul_f64 v[10:11], v[198:199], v[102:103]
	v_accvgpr_write_b32 a130, v14
	v_accvgpr_write_b32 a129, v13
	v_accvgpr_write_b32 a128, v12
	v_fma_f64 v[12:13], v[196:197], v[100:101], -v[10:11]
	scratch_load_dwordx4 v[100:103], off, off offset:864
	v_mul_f64 v[138:139], v[142:143], v[138:139]
	v_fma_f64 v[10:11], v[140:141], v[136:137], -v[138:139]
	ds_read_b128 v[136:139], v2 offset:1568
	ds_read_b128 v[140:143], v2 offset:1584
	s_waitcnt vmcnt(15) lgkmcnt(2)
	v_mul_f64 v[14:15], v[128:129], v[38:39]
	v_fmac_f64_e32 v[14:15], v[130:131], v[36:37]
	v_add_f64 v[0:1], v[0:1], v[14:15]
	s_waitcnt vmcnt(14) lgkmcnt(1)
	v_mul_f64 v[14:15], v[136:137], v[42:43]
	v_fmac_f64_e32 v[14:15], v[138:139], v[40:41]
	v_add_f64 v[0:1], v[0:1], v[14:15]
	v_mul_f64 v[14:15], v[154:155], v[146:147]
	v_fma_f64 v[14:15], v[152:153], v[144:145], -v[14:15]
	ds_read_b128 v[144:147], v2 offset:1600
	s_waitcnt vmcnt(13) lgkmcnt(1)
	v_mul_f64 v[152:153], v[140:141], v[46:47]
	v_mul_f64 v[150:151], v[202:203], v[150:151]
	v_fmac_f64_e32 v[152:153], v[142:143], v[44:45]
	v_fma_f64 v[8:9], v[200:201], v[148:149], -v[150:151]
	ds_read_b128 v[148:151], v2 offset:1616
	s_waitcnt vmcnt(12) lgkmcnt(1)
	v_mul_f64 v[18:19], v[144:145], v[50:51]
	v_add_f64 v[0:1], v[0:1], v[152:153]
	v_fmac_f64_e32 v[18:19], v[146:147], v[48:49]
	v_add_f64 v[0:1], v[0:1], v[18:19]
	ds_read_b128 v[152:155], v2 offset:1632
	v_mul_f64 v[18:19], v[166:167], v[158:159]
	v_fma_f64 v[18:19], v[164:165], v[156:157], -v[18:19]
	ds_read_b128 v[156:159], v2 offset:1648
	v_mul_f64 v[162:163], v[214:215], v[162:163]
	s_waitcnt vmcnt(11) lgkmcnt(2)
	v_mul_f64 v[164:165], v[148:149], v[54:55]
	v_fma_f64 v[6:7], v[212:213], v[160:161], -v[162:163]
	ds_read_b128 v[160:163], v2 offset:1664
	v_fmac_f64_e32 v[164:165], v[150:151], v[52:53]
	v_add_f64 v[0:1], v[0:1], v[164:165]
	s_waitcnt vmcnt(10) lgkmcnt(2)
	v_mul_f64 v[164:165], v[152:153], v[58:59]
	v_fmac_f64_e32 v[164:165], v[154:155], v[56:57]
	s_waitcnt vmcnt(9) lgkmcnt(1)
	v_mul_f64 v[22:23], v[156:157], v[62:63]
	v_add_f64 v[0:1], v[0:1], v[164:165]
	v_fmac_f64_e32 v[22:23], v[158:159], v[60:61]
	v_add_f64 v[0:1], v[0:1], v[22:23]
	ds_read_b128 v[164:167], v2 offset:1680
	s_waitcnt vmcnt(8) lgkmcnt(1)
	v_mul_f64 v[22:23], v[160:161], v[66:67]
	v_fmac_f64_e32 v[22:23], v[162:163], v[64:65]
	v_add_f64 v[0:1], v[0:1], v[22:23]
	v_mul_f64 v[22:23], v[190:191], v[170:171]
	v_fma_f64 v[22:23], v[188:189], v[168:169], -v[22:23]
	ds_read_b128 v[168:171], v2 offset:1696
	v_mul_f64 v[174:175], v[178:179], v[174:175]
	v_fma_f64 v[4:5], v[176:177], v[172:173], -v[174:175]
	ds_read_b128 v[172:175], v2 offset:1712
	s_waitcnt vmcnt(7) lgkmcnt(2)
	v_mul_f64 v[188:189], v[164:165], v[70:71]
	v_fmac_f64_e32 v[188:189], v[166:167], v[68:69]
	s_waitcnt vmcnt(6) lgkmcnt(1)
	v_mul_f64 v[26:27], v[168:169], v[74:75]
	ds_read_b128 v[176:179], v2 offset:1728
	v_add_f64 v[0:1], v[0:1], v[188:189]
	v_fmac_f64_e32 v[26:27], v[170:171], v[72:73]
	v_add_f64 v[0:1], v[0:1], v[26:27]
	s_waitcnt vmcnt(5) lgkmcnt(1)
	v_mul_f64 v[26:27], v[172:173], v[78:79]
	v_fmac_f64_e32 v[26:27], v[174:175], v[76:77]
	v_add_f64 v[0:1], v[0:1], v[26:27]
	v_mul_f64 v[26:27], v[230:231], v[182:183]
	v_fma_f64 v[26:27], v[228:229], v[180:181], -v[26:27]
	ds_read_b128 v[180:183], v2 offset:1744
	s_waitcnt vmcnt(4) lgkmcnt(1)
	v_mul_f64 v[188:189], v[176:177], v[82:83]
	v_fmac_f64_e32 v[188:189], v[178:179], v[80:81]
	v_add_f64 v[196:197], v[0:1], v[188:189]
	v_mul_f64 v[0:1], v[234:235], v[186:187]
	v_fma_f64 v[0:1], v[232:233], v[184:185], -v[0:1]
	ds_read_b128 v[184:187], v2 offset:1760
	ds_read_b128 v[188:191], v2 offset:1776
	s_waitcnt vmcnt(3) lgkmcnt(2)
	v_mul_f64 v[198:199], v[180:181], v[86:87]
	v_mul_f64 v[194:195], v[238:239], v[194:195]
	v_fmac_f64_e32 v[198:199], v[182:183], v[84:85]
	v_fma_f64 v[248:249], v[236:237], v[192:193], -v[194:195]
	ds_read_b128 v[192:195], v2 offset:1792
	ds_read_b128 v[200:203], v2 offset:1808
	v_add_f64 v[196:197], v[196:197], v[198:199]
	s_waitcnt vmcnt(2) lgkmcnt(3)
	v_mul_f64 v[198:199], v[184:185], v[98:99]
	v_fmac_f64_e32 v[198:199], v[186:187], v[96:97]
	v_add_f64 v[196:197], v[196:197], v[198:199]
	s_waitcnt vmcnt(1) lgkmcnt(2)
	v_mul_f64 v[198:199], v[188:189], v[94:95]
	v_fmac_f64_e32 v[198:199], v[190:191], v[92:93]
	v_add_f64 v[196:197], v[196:197], v[198:199]
	scratch_load_dwordx4 v[232:235], off, off offset:944
	s_waitcnt vmcnt(1) lgkmcnt(1)
	v_mul_f64 v[198:199], v[192:193], v[102:103]
	v_fmac_f64_e32 v[198:199], v[194:195], v[100:101]
	v_add_f64 v[204:205], v[196:197], v[198:199]
	scratch_load_dwordx4 v[196:199], off, off offset:880
	ds_read_b128 v[208:211], v2 offset:1824
	ds_read_b128 v[216:219], v2 offset:1840
	;; [unrolled: 1-line block ×3, first 2 shown]
	s_waitcnt vmcnt(0) lgkmcnt(3)
	v_mul_f64 v[206:207], v[200:201], v[198:199]
	v_fmac_f64_e32 v[206:207], v[202:203], v[196:197]
	v_add_f64 v[212:213], v[204:205], v[206:207]
	scratch_load_dwordx4 v[204:207], off, off offset:896
	s_waitcnt vmcnt(0) lgkmcnt(2)
	v_mul_f64 v[214:215], v[208:209], v[206:207]
	v_fmac_f64_e32 v[214:215], v[210:211], v[204:205]
	v_add_f64 v[220:221], v[212:213], v[214:215]
	scratch_load_dwordx4 v[212:215], off, off offset:912
	;; [unrolled: 5-line block ×3, first 2 shown]
	s_waitcnt vmcnt(0) lgkmcnt(0)
	v_mul_f64 v[230:231], v[224:225], v[222:223]
	v_fmac_f64_e32 v[230:231], v[226:227], v[220:221]
	v_add_f64 v[236:237], v[228:229], v[230:231]
	ds_read_b128 v[228:231], v2 offset:1872
	s_waitcnt lgkmcnt(0)
	v_mul_f64 v[2:3], v[228:229], v[234:235]
	v_fmac_f64_e32 v[2:3], v[230:231], v[232:233]
	v_add_f64 v[2:3], v[236:237], v[2:3]
	v_add_f64 v[236:237], v[240:241], 0
	;; [unrolled: 1-line block ×9, first 2 shown]
	scratch_load_dwordx4 v[236:239], off, off offset:144
	v_add_f64 v[20:21], v[24:25], v[20:21]
	v_add_f64 v[16:17], v[20:21], v[16:17]
	;; [unrolled: 1-line block ×10, first 2 shown]
	v_accvgpr_read_b32 v6, a120
	v_accvgpr_read_b32 v8, a122
	v_accvgpr_read_b32 v9, a123
	v_add_f64 v[250:251], v[4:5], v[26:27]
	v_accvgpr_read_b32 v7, a121
	v_mul_f64 v[4:5], v[90:91], v[8:9]
	v_add_f64 v[0:1], v[250:251], v[0:1]
	v_fma_f64 v[4:5], v[88:89], v[6:7], -v[4:5]
	v_accvgpr_read_b32 v6, a124
	v_add_f64 v[0:1], v[0:1], v[248:249]
	v_accvgpr_read_b32 v8, a126
	v_accvgpr_read_b32 v9, a127
	v_add_f64 v[0:1], v[0:1], v[4:5]
	v_accvgpr_read_b32 v7, a125
	v_mul_f64 v[4:5], v[106:107], v[8:9]
	v_fma_f64 v[4:5], v[104:105], v[6:7], -v[4:5]
	v_accvgpr_read_b32 v6, a128
	v_accvgpr_read_b32 v8, a130
	v_accvgpr_read_b32 v9, a131
	v_add_f64 v[0:1], v[0:1], v[4:5]
	v_accvgpr_read_b32 v7, a129
	v_mul_f64 v[4:5], v[110:111], v[8:9]
	v_fma_f64 v[4:5], v[108:109], v[6:7], -v[4:5]
	v_accvgpr_read_b32 v6, a132
	v_accvgpr_read_b32 v8, a134
	v_accvgpr_read_b32 v9, a135
	v_add_f64 v[0:1], v[0:1], v[4:5]
	v_accvgpr_read_b32 v7, a133
	v_mul_f64 v[4:5], v[114:115], v[8:9]
	v_fma_f64 v[4:5], v[112:113], v[6:7], -v[4:5]
	v_accvgpr_read_b32 v6, a136
	v_accvgpr_read_b32 v8, a138
	v_accvgpr_read_b32 v9, a139
	v_add_f64 v[0:1], v[0:1], v[4:5]
	v_accvgpr_read_b32 v7, a137
	v_mul_f64 v[4:5], v[118:119], v[8:9]
	v_fma_f64 v[4:5], v[116:117], v[6:7], -v[4:5]
	v_accvgpr_read_b32 v6, a140
	v_accvgpr_read_b32 v8, a142
	v_accvgpr_read_b32 v9, a143
	v_add_f64 v[0:1], v[0:1], v[4:5]
	v_accvgpr_read_b32 v7, a141
	v_mul_f64 v[4:5], v[122:123], v[8:9]
	v_fma_f64 v[4:5], v[120:121], v[6:7], -v[4:5]
	v_add_f64 v[0:1], v[0:1], v[4:5]
	v_mul_f64 v[4:5], v[126:127], v[30:31]
	v_fma_f64 v[4:5], v[124:125], v[28:29], -v[4:5]
	v_add_f64 v[0:1], v[0:1], v[4:5]
	;; [unrolled: 3-line block ×24, first 2 shown]
	s_waitcnt vmcnt(0)
	v_add_f64 v[4:5], v[236:237], -v[0:1]
	v_accvgpr_read_b32 v0, a118
	v_add_f64 v[6:7], v[238:239], -v[2:3]
	v_cmp_lt_u32_e32 vcc, 7, v0
	scratch_store_dwordx4 off, v[4:7], off offset:144
	s_and_saveexec_b64 s[0:1], vcc
	s_cbranch_execz .LBB122_353
; %bb.352:
	scratch_load_dwordx4 v[2:5], off, s68
	v_mov_b32_e32 v6, 0
	v_mov_b32_e32 v7, v6
	;; [unrolled: 1-line block ×4, first 2 shown]
	v_accvgpr_read_b32 v0, a119
	scratch_store_dwordx4 off, v[6:9], off offset:128
	s_waitcnt vmcnt(1)
	ds_write_b128 v0, v[2:5]
.LBB122_353:
	s_or_b64 exec, exec, s[0:1]
	s_waitcnt lgkmcnt(0)
	; wave barrier
	scratch_load_dwordx4 v[48:51], off, off offset:144
	scratch_load_dwordx4 v[52:55], off, off offset:160
	;; [unrolled: 1-line block ×28, first 2 shown]
	v_mov_b32_e32 v2, 0
	ds_read_b128 v[104:107], v2 offset:1072
	ds_read_b128 v[112:115], v2 offset:1088
	;; [unrolled: 1-line block ×18, first 2 shown]
	scratch_load_dwordx4 a[120:123], off, off offset:592
	scratch_load_dwordx4 a[124:127], off, off offset:608
	ds_read_b128 v[220:223], v2 offset:1360
	ds_read_b128 v[224:227], v2 offset:1376
	;; [unrolled: 1-line block ×4, first 2 shown]
	scratch_load_dwordx4 v[234:237], off, off offset:624
	ds_read_b128 v[250:253], v2 offset:1424
	s_waitcnt vmcnt(30) lgkmcnt(14)
	v_mul_f64 v[0:1], v[104:105], v[50:51]
	s_waitcnt vmcnt(29)
	v_mul_f64 v[24:25], v[112:113], v[54:55]
	v_fmac_f64_e32 v[0:1], v[106:107], v[48:49]
	s_waitcnt vmcnt(28)
	v_mul_f64 v[26:27], v[116:117], v[58:59]
	v_fmac_f64_e32 v[24:25], v[114:115], v[52:53]
	v_add_f64 v[0:1], v[0:1], 0
	s_waitcnt vmcnt(27)
	v_mul_f64 v[28:29], v[120:121], v[62:63]
	v_fmac_f64_e32 v[26:27], v[118:119], v[56:57]
	v_add_f64 v[0:1], v[0:1], v[24:25]
	;; [unrolled: 4-line block ×7, first 2 shown]
	s_waitcnt vmcnt(21) lgkmcnt(13)
	v_mul_f64 v[40:41], v[172:173], v[86:87]
	v_fmac_f64_e32 v[38:39], v[162:163], v[80:81]
	v_add_f64 v[0:1], v[0:1], v[36:37]
	s_waitcnt vmcnt(20) lgkmcnt(12)
	v_mul_f64 v[42:43], v[184:185], v[94:95]
	v_fmac_f64_e32 v[40:41], v[174:175], v[84:85]
	v_add_f64 v[0:1], v[0:1], v[38:39]
	;; [unrolled: 4-line block ×8, first 2 shown]
	v_add_f64 v[0:1], v[0:1], v[96:97]
	v_fmac_f64_e32 v[98:99], v[214:215], v[152:153]
	s_waitcnt vmcnt(13) lgkmcnt(5)
	v_mul_f64 v[32:33], v[216:217], v[158:159]
	v_add_f64 v[0:1], v[0:1], v[98:99]
	v_fmac_f64_e32 v[32:33], v[218:219], v[156:157]
	v_add_f64 v[0:1], v[0:1], v[32:33]
	s_waitcnt vmcnt(12) lgkmcnt(4)
	v_mul_f64 v[32:33], v[220:221], v[166:167]
	v_fmac_f64_e32 v[32:33], v[222:223], v[164:165]
	s_waitcnt vmcnt(11) lgkmcnt(3)
	v_mul_f64 v[36:37], v[224:225], v[170:171]
	v_add_f64 v[0:1], v[0:1], v[32:33]
	v_fmac_f64_e32 v[36:37], v[226:227], v[168:169]
	v_add_f64 v[0:1], v[0:1], v[36:37]
	s_waitcnt vmcnt(10) lgkmcnt(2)
	v_mul_f64 v[36:37], v[228:229], v[178:179]
	v_fmac_f64_e32 v[36:37], v[230:231], v[176:177]
	v_add_f64 v[0:1], v[0:1], v[36:37]
	scratch_load_dwordx4 v[36:39], off, off offset:640
	s_waitcnt vmcnt(10) lgkmcnt(1)
	v_mul_f64 v[40:41], v[246:247], v[182:183]
	v_fmac_f64_e32 v[40:41], v[248:249], v[180:181]
	v_add_f64 v[0:1], v[0:1], v[40:41]
	scratch_load_dwordx4 v[40:43], off, off offset:656
	ds_read_b128 v[88:91], v2 offset:1440
	s_waitcnt vmcnt(10) lgkmcnt(1)
	v_mul_f64 v[44:45], v[250:251], v[190:191]
	v_fmac_f64_e32 v[44:45], v[252:253], v[188:189]
	v_add_f64 v[0:1], v[0:1], v[44:45]
	scratch_load_dwordx4 v[44:47], off, off offset:672
	v_mul_f64 v[50:51], v[106:107], v[50:51]
	v_fma_f64 v[240:241], v[104:105], v[48:49], -v[50:51]
	scratch_load_dwordx4 v[48:51], off, off offset:688
	s_waitcnt vmcnt(11) lgkmcnt(0)
	v_mul_f64 v[96:97], v[88:89], v[6:7]
	v_mul_f64 v[54:55], v[114:115], v[54:55]
	v_fmac_f64_e32 v[96:97], v[90:91], v[4:5]
	v_fma_f64 v[242:243], v[112:113], v[52:53], -v[54:55]
	scratch_load_dwordx4 v[52:55], off, off offset:704
	v_add_f64 v[0:1], v[0:1], v[96:97]
	ds_read_b128 v[96:99], v2 offset:1456
	ds_read_b128 v[104:107], v2 offset:1472
	v_accvgpr_write_b32 a131, v7
	v_accvgpr_write_b32 a130, v6
	;; [unrolled: 1-line block ×4, first 2 shown]
	s_waitcnt vmcnt(11)
	v_mov_b64_e32 v[4:5], v[8:9]
	v_mov_b64_e32 v[6:7], v[10:11]
	v_mul_f64 v[58:59], v[118:119], v[58:59]
	s_waitcnt lgkmcnt(1)
	v_mul_f64 v[112:113], v[96:97], v[6:7]
	v_fma_f64 v[244:245], v[116:117], v[56:57], -v[58:59]
	scratch_load_dwordx4 v[56:59], off, off offset:720
	v_fmac_f64_e32 v[112:113], v[98:99], v[4:5]
	s_waitcnt vmcnt(11)
	v_mov_b64_e32 v[4:5], v[12:13]
	v_mul_f64 v[62:63], v[122:123], v[62:63]
	v_mov_b64_e32 v[6:7], v[14:15]
	v_fma_f64 v[254:255], v[120:121], v[60:61], -v[62:63]
	scratch_load_dwordx4 v[60:63], off, off offset:736
	v_add_f64 v[0:1], v[0:1], v[112:113]
	s_waitcnt lgkmcnt(0)
	v_mul_f64 v[112:113], v[104:105], v[6:7]
	v_fmac_f64_e32 v[112:113], v[106:107], v[4:5]
	v_mul_f64 v[66:67], v[126:127], v[66:67]
	v_add_f64 v[0:1], v[0:1], v[112:113]
	ds_read_b128 v[112:115], v2 offset:1488
	ds_read_b128 v[116:119], v2 offset:1504
	v_fma_f64 v[232:233], v[124:125], v[64:65], -v[66:67]
	scratch_load_dwordx4 v[64:67], off, off offset:752
	v_accvgpr_write_b32 a135, v11
	v_accvgpr_write_b32 a134, v10
	;; [unrolled: 1-line block ×4, first 2 shown]
	s_waitcnt vmcnt(12)
	v_mov_b64_e32 v[8:9], v[16:17]
	v_mov_b64_e32 v[10:11], v[18:19]
	v_mul_f64 v[70:71], v[130:131], v[70:71]
	s_waitcnt lgkmcnt(1)
	v_mul_f64 v[6:7], v[112:113], v[10:11]
	v_fma_f64 v[32:33], v[128:129], v[68:69], -v[70:71]
	scratch_load_dwordx4 v[68:71], off, off offset:768
	v_fmac_f64_e32 v[6:7], v[114:115], v[8:9]
	v_add_f64 v[0:1], v[0:1], v[6:7]
	v_mul_f64 v[6:7], v[134:135], v[74:75]
	v_fma_f64 v[28:29], v[132:133], v[72:73], -v[6:7]
	s_waitcnt vmcnt(12)
	v_mov_b64_e32 v[8:9], v[20:21]
	scratch_load_dwordx4 v[72:75], off, off offset:784
	v_mov_b64_e32 v[10:11], v[22:23]
	s_waitcnt lgkmcnt(0)
	v_mul_f64 v[6:7], v[116:117], v[10:11]
	v_fmac_f64_e32 v[6:7], v[118:119], v[8:9]
	v_add_f64 v[0:1], v[0:1], v[6:7]
	v_mul_f64 v[6:7], v[150:151], v[78:79]
	v_fma_f64 v[24:25], v[148:149], v[76:77], -v[6:7]
	scratch_load_dwordx4 v[76:79], off, off offset:800
	ds_read_b128 v[124:127], v2 offset:1520
	ds_read_b128 v[120:123], v2 offset:1536
	v_accvgpr_write_b32 a147, v23
	v_mul_f64 v[6:7], v[162:163], v[82:83]
	v_accvgpr_write_b32 a143, v19
	v_accvgpr_write_b32 a146, v22
	;; [unrolled: 1-line block ×4, first 2 shown]
	v_fma_f64 v[20:21], v[160:161], v[80:81], -v[6:7]
	v_mul_f64 v[6:7], v[174:175], v[86:87]
	s_waitcnt vmcnt(13)
	v_accvgpr_read_b32 v8, a120
	v_accvgpr_write_b32 a142, v18
	v_accvgpr_write_b32 a141, v17
	;; [unrolled: 1-line block ×3, first 2 shown]
	v_fma_f64 v[16:17], v[172:173], v[84:85], -v[6:7]
	scratch_load_dwordx4 v[84:87], off, off offset:816
	scratch_load_dwordx4 v[80:83], off, off offset:832
	v_accvgpr_read_b32 v10, a122
	v_accvgpr_read_b32 v11, a123
	;; [unrolled: 1-line block ×3, first 2 shown]
	s_waitcnt lgkmcnt(1)
	v_mul_f64 v[6:7], v[124:125], v[10:11]
	v_fmac_f64_e32 v[6:7], v[126:127], v[8:9]
	s_waitcnt vmcnt(14)
	v_accvgpr_read_b32 v8, a124
	v_accvgpr_read_b32 v10, a126
	;; [unrolled: 1-line block ×3, first 2 shown]
	v_add_f64 v[0:1], v[0:1], v[6:7]
	v_accvgpr_read_b32 v9, a125
	s_waitcnt lgkmcnt(0)
	v_mul_f64 v[6:7], v[120:121], v[10:11]
	v_fmac_f64_e32 v[6:7], v[122:123], v[8:9]
	v_accvgpr_write_b32 a139, v15
	v_add_f64 v[0:1], v[0:1], v[6:7]
	v_mul_f64 v[6:7], v[186:187], v[94:95]
	v_accvgpr_write_b32 a138, v14
	v_accvgpr_write_b32 a137, v13
	;; [unrolled: 1-line block ×3, first 2 shown]
	v_fma_f64 v[14:15], v[184:185], v[92:93], -v[6:7]
	scratch_load_dwordx4 v[92:95], off, off offset:848
	v_mul_f64 v[6:7], v[194:195], v[102:103]
	v_fma_f64 v[18:19], v[192:193], v[100:101], -v[6:7]
	scratch_load_dwordx4 v[100:103], off, off offset:864
	v_mul_f64 v[6:7], v[198:199], v[110:111]
	v_fma_f64 v[12:13], v[196:197], v[108:109], -v[6:7]
	scratch_load_dwordx4 v[108:111], off, off offset:880
	ds_read_b128 v[128:131], v2 offset:1552
	ds_read_b128 v[132:135], v2 offset:1568
	;; [unrolled: 1-line block ×5, first 2 shown]
	s_waitcnt vmcnt(16) lgkmcnt(4)
	v_mul_f64 v[6:7], v[128:129], v[236:237]
	v_fmac_f64_e32 v[6:7], v[130:131], v[234:235]
	v_add_f64 v[0:1], v[0:1], v[6:7]
	v_mul_f64 v[6:7], v[202:203], v[138:139]
	v_fma_f64 v[22:23], v[200:201], v[136:137], -v[6:7]
	ds_read_b128 v[136:139], v2 offset:1584
	s_waitcnt vmcnt(15) lgkmcnt(4)
	v_mul_f64 v[6:7], v[132:133], v[38:39]
	v_fmac_f64_e32 v[6:7], v[134:135], v[36:37]
	v_add_f64 v[0:1], v[0:1], v[6:7]
	v_mul_f64 v[6:7], v[206:207], v[142:143]
	v_fma_f64 v[10:11], v[204:205], v[140:141], -v[6:7]
	ds_read_b128 v[140:143], v2 offset:1600
	;; [unrolled: 7-line block ×3, first 2 shown]
	s_waitcnt vmcnt(13) lgkmcnt(1)
	v_mul_f64 v[6:7], v[140:141], v[46:47]
	v_fmac_f64_e32 v[6:7], v[142:143], v[44:45]
	v_add_f64 v[0:1], v[0:1], v[6:7]
	v_mul_f64 v[182:183], v[248:249], v[182:183]
	s_waitcnt vmcnt(12) lgkmcnt(0)
	v_mul_f64 v[6:7], v[144:145], v[50:51]
	v_fmac_f64_e32 v[6:7], v[146:147], v[48:49]
	v_add_f64 v[0:1], v[0:1], v[6:7]
	v_mul_f64 v[6:7], v[214:215], v[154:155]
	v_fma_f64 v[8:9], v[212:213], v[152:153], -v[6:7]
	s_waitcnt vmcnt(11)
	v_mul_f64 v[6:7], v[148:149], v[54:55]
	v_fmac_f64_e32 v[6:7], v[150:151], v[52:53]
	ds_read_b128 v[152:155], v2 offset:1648
	v_add_f64 v[0:1], v[0:1], v[6:7]
	v_mul_f64 v[6:7], v[218:219], v[158:159]
	v_fma_f64 v[30:31], v[216:217], v[156:157], -v[6:7]
	ds_read_b128 v[156:159], v2 offset:1664
	s_waitcnt vmcnt(10) lgkmcnt(1)
	v_mul_f64 v[6:7], v[152:153], v[58:59]
	v_fmac_f64_e32 v[6:7], v[154:155], v[56:57]
	v_add_f64 v[0:1], v[0:1], v[6:7]
	s_waitcnt vmcnt(5)
	v_mul_f64 v[184:185], v[172:173], v[78:79]
	s_waitcnt lgkmcnt(0)
	v_mul_f64 v[6:7], v[156:157], v[62:63]
	v_fmac_f64_e32 v[6:7], v[158:159], v[60:61]
	v_add_f64 v[0:1], v[0:1], v[6:7]
	v_mul_f64 v[6:7], v[222:223], v[166:167]
	v_fma_f64 v[4:5], v[220:221], v[164:165], -v[6:7]
	ds_read_b128 v[164:167], v2 offset:1696
	v_mul_f64 v[6:7], v[160:161], v[66:67]
	v_fmac_f64_e32 v[6:7], v[162:163], v[64:65]
	v_add_f64 v[0:1], v[0:1], v[6:7]
	v_mul_f64 v[6:7], v[226:227], v[170:171]
	v_fma_f64 v[6:7], v[224:225], v[168:169], -v[6:7]
	ds_read_b128 v[168:171], v2 offset:1712
	s_waitcnt lgkmcnt(1)
	v_mul_f64 v[34:35], v[164:165], v[70:71]
	v_fmac_f64_e32 v[34:35], v[166:167], v[68:69]
	v_add_f64 v[0:1], v[0:1], v[34:35]
	v_fmac_f64_e32 v[184:185], v[174:175], v[76:77]
	s_waitcnt lgkmcnt(0)
	v_mul_f64 v[34:35], v[168:169], v[74:75]
	v_fmac_f64_e32 v[34:35], v[170:171], v[72:73]
	v_add_f64 v[34:35], v[0:1], v[34:35]
	v_mul_f64 v[0:1], v[230:231], v[178:179]
	v_fma_f64 v[0:1], v[228:229], v[176:177], -v[0:1]
	ds_read_b128 v[176:179], v2 offset:1744
	v_fma_f64 v[238:239], v[246:247], v[180:181], -v[182:183]
	ds_read_b128 v[180:183], v2 offset:1760
	v_add_f64 v[34:35], v[34:35], v[184:185]
	v_mul_f64 v[190:191], v[252:253], v[190:191]
	s_waitcnt vmcnt(4) lgkmcnt(1)
	v_mul_f64 v[184:185], v[176:177], v[86:87]
	v_fmac_f64_e32 v[184:185], v[178:179], v[84:85]
	v_add_f64 v[34:35], v[34:35], v[184:185]
	ds_read_b128 v[184:187], v2 offset:1776
	v_fma_f64 v[246:247], v[250:251], v[188:189], -v[190:191]
	ds_read_b128 v[188:191], v2 offset:1792
	s_waitcnt vmcnt(3) lgkmcnt(2)
	v_mul_f64 v[192:193], v[180:181], v[82:83]
	v_fmac_f64_e32 v[192:193], v[182:183], v[80:81]
	v_add_f64 v[34:35], v[34:35], v[192:193]
	s_waitcnt vmcnt(2) lgkmcnt(1)
	v_mul_f64 v[192:193], v[184:185], v[94:95]
	v_fmac_f64_e32 v[192:193], v[186:187], v[92:93]
	v_add_f64 v[34:35], v[34:35], v[192:193]
	;; [unrolled: 4-line block ×3, first 2 shown]
	ds_read_b128 v[192:195], v2 offset:1808
	ds_read_b128 v[200:203], v2 offset:1824
	;; [unrolled: 1-line block ×5, first 2 shown]
	s_waitcnt vmcnt(0) lgkmcnt(4)
	v_mul_f64 v[196:197], v[192:193], v[110:111]
	v_fmac_f64_e32 v[196:197], v[194:195], v[108:109]
	v_add_f64 v[34:35], v[34:35], v[196:197]
	scratch_load_dwordx4 v[196:199], off, off offset:896
	s_waitcnt vmcnt(0) lgkmcnt(3)
	v_mul_f64 v[204:205], v[200:201], v[198:199]
	v_fmac_f64_e32 v[204:205], v[202:203], v[196:197]
	v_add_f64 v[34:35], v[34:35], v[204:205]
	scratch_load_dwordx4 v[204:207], off, off offset:912
	;; [unrolled: 5-line block ×4, first 2 shown]
	s_waitcnt vmcnt(0) lgkmcnt(0)
	v_mul_f64 v[228:229], v[224:225], v[222:223]
	v_fmac_f64_e32 v[228:229], v[226:227], v[220:221]
	v_add_f64 v[250:251], v[34:35], v[228:229]
	v_add_f64 v[34:35], v[240:241], 0
	;; [unrolled: 1-line block ×6, first 2 shown]
	scratch_load_dwordx4 v[228:231], off, off offset:128
	v_add_f64 v[32:33], v[34:35], v[32:33]
	v_add_f64 v[28:29], v[32:33], v[28:29]
	;; [unrolled: 1-line block ×15, first 2 shown]
	v_accvgpr_read_b32 v6, a128
	v_accvgpr_read_b32 v8, a130
	;; [unrolled: 1-line block ×3, first 2 shown]
	v_add_f64 v[0:1], v[4:5], v[0:1]
	v_accvgpr_read_b32 v7, a129
	v_mul_f64 v[4:5], v[90:91], v[8:9]
	v_add_f64 v[0:1], v[0:1], v[238:239]
	v_fma_f64 v[4:5], v[88:89], v[6:7], -v[4:5]
	v_accvgpr_read_b32 v6, a132
	v_add_f64 v[0:1], v[0:1], v[246:247]
	v_accvgpr_read_b32 v8, a134
	v_accvgpr_read_b32 v9, a135
	v_add_f64 v[0:1], v[0:1], v[4:5]
	v_accvgpr_read_b32 v7, a133
	v_mul_f64 v[4:5], v[98:99], v[8:9]
	v_fma_f64 v[4:5], v[96:97], v[6:7], -v[4:5]
	v_accvgpr_read_b32 v6, a136
	v_accvgpr_read_b32 v8, a138
	v_accvgpr_read_b32 v9, a139
	v_add_f64 v[0:1], v[0:1], v[4:5]
	v_accvgpr_read_b32 v7, a137
	v_mul_f64 v[4:5], v[106:107], v[8:9]
	v_fma_f64 v[4:5], v[104:105], v[6:7], -v[4:5]
	v_accvgpr_read_b32 v6, a140
	;; [unrolled: 7-line block ×5, first 2 shown]
	v_accvgpr_read_b32 v8, a126
	v_accvgpr_read_b32 v9, a127
	v_add_f64 v[0:1], v[0:1], v[4:5]
	v_accvgpr_read_b32 v7, a125
	v_mul_f64 v[4:5], v[122:123], v[8:9]
	v_fma_f64 v[4:5], v[120:121], v[6:7], -v[4:5]
	v_add_f64 v[0:1], v[0:1], v[4:5]
	v_mul_f64 v[4:5], v[130:131], v[236:237]
	v_fma_f64 v[4:5], v[128:129], v[234:235], -v[4:5]
	v_add_f64 v[0:1], v[0:1], v[4:5]
	;; [unrolled: 3-line block ×22, first 2 shown]
	s_waitcnt vmcnt(0)
	v_add_f64 v[4:5], v[228:229], -v[0:1]
	v_accvgpr_read_b32 v0, a118
	v_add_f64 v[6:7], v[230:231], -v[250:251]
	v_cmp_lt_u32_e32 vcc, 6, v0
	scratch_store_dwordx4 off, v[4:7], off offset:128
	s_and_saveexec_b64 s[0:1], vcc
	s_cbranch_execz .LBB122_355
; %bb.354:
	scratch_load_dwordx4 v[6:9], off, s69
	v_mov_b32_e32 v3, v2
	v_mov_b32_e32 v4, v2
	;; [unrolled: 1-line block ×3, first 2 shown]
	v_accvgpr_read_b32 v0, a119
	scratch_store_dwordx4 off, v[2:5], off offset:112
	s_waitcnt vmcnt(1)
	ds_write_b128 v0, v[6:9]
.LBB122_355:
	s_or_b64 exec, exec, s[0:1]
	s_waitcnt lgkmcnt(0)
	; wave barrier
	scratch_load_dwordx4 v[48:51], off, off offset:128
	scratch_load_dwordx4 v[52:55], off, off offset:144
	;; [unrolled: 1-line block ×18, first 2 shown]
	ds_read_b128 v[104:107], v2 offset:1056
	ds_read_b128 v[208:211], v2 offset:1072
	;; [unrolled: 1-line block ×6, first 2 shown]
	scratch_load_dwordx4 v[164:167], off, off offset:416
	ds_read_b128 v[192:195], v2 offset:1152
	ds_read_b128 v[124:127], v2 offset:1168
	scratch_load_dwordx4 v[168:171], off, off offset:432
	ds_read_b128 v[212:215], v2 offset:1184
	ds_read_b128 v[204:207], v2 offset:1200
	;; [unrolled: 1-line block ×5, first 2 shown]
	scratch_load_dwordx4 v[176:179], off, off offset:448
	ds_read_b128 v[200:203], v2 offset:1264
	ds_read_b128 v[172:175], v2 offset:1280
	scratch_load_dwordx4 v[180:183], off, off offset:464
	ds_read_b128 v[216:219], v2 offset:1296
	ds_read_b128 v[184:187], v2 offset:1312
	;; [unrolled: 1-line block ×3, first 2 shown]
	scratch_load_dwordx4 v[188:191], off, off offset:480
	scratch_load_dwordx4 v[4:7], off, off offset:496
	;; [unrolled: 1-line block ×8, first 2 shown]
	ds_read_b128 v[220:223], v2 offset:1344
	ds_read_b128 v[224:227], v2 offset:1360
	;; [unrolled: 1-line block ×5, first 2 shown]
	s_waitcnt vmcnt(29) lgkmcnt(14)
	v_mul_f64 v[0:1], v[104:105], v[50:51]
	s_waitcnt vmcnt(28)
	v_mul_f64 v[24:25], v[208:209], v[54:55]
	v_fmac_f64_e32 v[0:1], v[106:107], v[48:49]
	s_waitcnt vmcnt(27)
	v_mul_f64 v[26:27], v[196:197], v[58:59]
	v_fmac_f64_e32 v[24:25], v[210:211], v[52:53]
	v_add_f64 v[0:1], v[0:1], 0
	s_waitcnt vmcnt(26)
	v_mul_f64 v[28:29], v[112:113], v[62:63]
	v_fmac_f64_e32 v[26:27], v[198:199], v[56:57]
	v_add_f64 v[0:1], v[0:1], v[24:25]
	;; [unrolled: 4-line block ×7, first 2 shown]
	s_waitcnt vmcnt(20) lgkmcnt(13)
	v_mul_f64 v[40:41], v[204:205], v[86:87]
	v_fmac_f64_e32 v[38:39], v[214:215], v[80:81]
	v_add_f64 v[0:1], v[0:1], v[36:37]
	s_waitcnt vmcnt(19) lgkmcnt(12)
	v_mul_f64 v[42:43], v[128:129], v[94:95]
	v_fmac_f64_e32 v[40:41], v[206:207], v[84:85]
	v_add_f64 v[0:1], v[0:1], v[38:39]
	;; [unrolled: 4-line block ×8, first 2 shown]
	v_fmac_f64_e32 v[98:99], v[186:187], v[152:153]
	v_add_f64 v[0:1], v[0:1], v[96:97]
	s_waitcnt vmcnt(12) lgkmcnt(5)
	v_mul_f64 v[32:33], v[160:161], v[158:159]
	v_add_f64 v[0:1], v[0:1], v[98:99]
	v_fmac_f64_e32 v[32:33], v[162:163], v[156:157]
	v_add_f64 v[0:1], v[0:1], v[32:33]
	s_waitcnt vmcnt(11) lgkmcnt(4)
	v_mul_f64 v[32:33], v[220:221], v[166:167]
	v_fmac_f64_e32 v[32:33], v[222:223], v[164:165]
	v_add_f64 v[0:1], v[0:1], v[32:33]
	scratch_load_dwordx4 v[32:35], off, off offset:608
	s_waitcnt vmcnt(11) lgkmcnt(3)
	v_mul_f64 v[36:37], v[224:225], v[170:171]
	v_fmac_f64_e32 v[36:37], v[226:227], v[168:169]
	v_add_f64 v[0:1], v[0:1], v[36:37]
	s_waitcnt vmcnt(10) lgkmcnt(2)
	v_mul_f64 v[36:37], v[228:229], v[178:179]
	v_fmac_f64_e32 v[36:37], v[230:231], v[176:177]
	v_add_f64 v[0:1], v[0:1], v[36:37]
	scratch_load_dwordx4 v[36:39], off, off offset:624
	s_waitcnt vmcnt(10) lgkmcnt(1)
	v_mul_f64 v[40:41], v[232:233], v[182:183]
	v_fmac_f64_e32 v[40:41], v[234:235], v[180:181]
	ds_read_b128 v[88:91], v2 offset:1424
	s_waitcnt vmcnt(9) lgkmcnt(1)
	v_mul_f64 v[44:45], v[236:237], v[190:191]
	v_add_f64 v[0:1], v[0:1], v[40:41]
	scratch_load_dwordx4 v[40:43], off, off offset:640
	v_fmac_f64_e32 v[44:45], v[238:239], v[188:189]
	v_add_f64 v[0:1], v[0:1], v[44:45]
	scratch_load_dwordx4 v[44:47], off, off offset:656
	v_mul_f64 v[50:51], v[106:107], v[50:51]
	v_fma_f64 v[240:241], v[104:105], v[48:49], -v[50:51]
	scratch_load_dwordx4 v[48:51], off, off offset:672
	s_waitcnt vmcnt(11) lgkmcnt(0)
	v_mul_f64 v[96:97], v[88:89], v[6:7]
	v_mul_f64 v[54:55], v[210:211], v[54:55]
	v_fmac_f64_e32 v[96:97], v[90:91], v[4:5]
	v_fma_f64 v[242:243], v[208:209], v[52:53], -v[54:55]
	scratch_load_dwordx4 v[52:55], off, off offset:688
	v_mul_f64 v[58:59], v[198:199], v[58:59]
	v_add_f64 v[0:1], v[0:1], v[96:97]
	ds_read_b128 v[96:99], v2 offset:1440
	ds_read_b128 v[104:107], v2 offset:1456
	v_fma_f64 v[244:245], v[196:197], v[56:57], -v[58:59]
	scratch_load_dwordx4 v[56:59], off, off offset:704
	v_mul_f64 v[62:63], v[114:115], v[62:63]
	v_accvgpr_write_b32 a131, v7
	v_fma_f64 v[250:251], v[112:113], v[60:61], -v[62:63]
	scratch_load_dwordx4 v[60:63], off, off offset:720
	v_accvgpr_write_b32 a130, v6
	v_accvgpr_write_b32 a129, v5
	;; [unrolled: 1-line block ×3, first 2 shown]
	s_waitcnt vmcnt(13)
	v_mov_b64_e32 v[4:5], v[8:9]
	v_mov_b64_e32 v[6:7], v[10:11]
	s_waitcnt lgkmcnt(1)
	v_mul_f64 v[208:209], v[96:97], v[6:7]
	v_fmac_f64_e32 v[208:209], v[98:99], v[4:5]
	s_waitcnt vmcnt(12)
	v_mov_b64_e32 v[4:5], v[12:13]
	ds_read_b128 v[112:115], v2 offset:1472
	v_mov_b64_e32 v[6:7], v[14:15]
	s_waitcnt lgkmcnt(1)
	v_mul_f64 v[196:197], v[104:105], v[6:7]
	v_mul_f64 v[66:67], v[122:123], v[66:67]
	;; [unrolled: 1-line block ×3, first 2 shown]
	v_fmac_f64_e32 v[196:197], v[106:107], v[4:5]
	v_fma_f64 v[252:253], v[120:121], v[64:65], -v[66:67]
	scratch_load_dwordx4 v[64:67], off, off offset:736
	v_fma_f64 v[254:255], v[116:117], v[68:69], -v[70:71]
	ds_read_b128 v[116:119], v2 offset:1488
	s_waitcnt vmcnt(12)
	v_mov_b64_e32 v[4:5], v[16:17]
	v_mov_b64_e32 v[6:7], v[18:19]
	scratch_load_dwordx4 v[68:71], off, off offset:752
	s_waitcnt lgkmcnt(1)
	v_mul_f64 v[120:121], v[112:113], v[6:7]
	v_mul_f64 v[74:75], v[194:195], v[74:75]
	v_add_f64 v[0:1], v[0:1], v[208:209]
	v_fmac_f64_e32 v[120:121], v[114:115], v[4:5]
	v_fma_f64 v[246:247], v[192:193], v[72:73], -v[74:75]
	s_waitcnt vmcnt(12)
	v_mov_b64_e32 v[4:5], v[20:21]
	scratch_load_dwordx4 v[72:75], off, off offset:768
	v_add_f64 v[0:1], v[0:1], v[196:197]
	v_mov_b64_e32 v[6:7], v[22:23]
	v_add_f64 v[0:1], v[0:1], v[120:121]
	s_waitcnt lgkmcnt(0)
	v_mul_f64 v[120:121], v[116:117], v[6:7]
	v_fmac_f64_e32 v[120:121], v[118:119], v[4:5]
	v_mul_f64 v[78:79], v[126:127], v[78:79]
	v_add_f64 v[0:1], v[0:1], v[120:121]
	v_fma_f64 v[28:29], v[124:125], v[76:77], -v[78:79]
	scratch_load_dwordx4 v[76:79], off, off offset:784
	ds_read_b128 v[124:127], v2 offset:1504
	ds_read_b128 v[120:123], v2 offset:1520
	v_mul_f64 v[6:7], v[214:215], v[82:83]
	v_fma_f64 v[24:25], v[212:213], v[80:81], -v[6:7]
	s_waitcnt vmcnt(13)
	v_accvgpr_read_b32 v4, a120
	v_accvgpr_write_b32 a135, v11
	v_accvgpr_write_b32 a147, v23
	v_mul_f64 v[80:81], v[206:207], v[86:87]
	v_accvgpr_read_b32 v6, a122
	v_accvgpr_read_b32 v7, a123
	v_accvgpr_write_b32 a134, v10
	v_accvgpr_write_b32 a133, v9
	;; [unrolled: 1-line block ×6, first 2 shown]
	v_fma_f64 v[20:21], v[204:205], v[84:85], -v[80:81]
	scratch_load_dwordx4 v[84:87], off, off offset:800
	v_accvgpr_read_b32 v5, a121
	s_waitcnt lgkmcnt(1)
	v_mul_f64 v[10:11], v[124:125], v[6:7]
	v_fmac_f64_e32 v[10:11], v[126:127], v[4:5]
	s_waitcnt vmcnt(13)
	v_accvgpr_read_b32 v4, a124
	v_accvgpr_read_b32 v6, a126
	;; [unrolled: 1-line block ×3, first 2 shown]
	v_add_f64 v[0:1], v[0:1], v[10:11]
	v_accvgpr_read_b32 v5, a125
	s_waitcnt lgkmcnt(0)
	v_mul_f64 v[10:11], v[120:121], v[6:7]
	v_fmac_f64_e32 v[10:11], v[122:123], v[4:5]
	v_accvgpr_write_b32 a143, v19
	scratch_load_dwordx4 v[80:83], off, off offset:816
	v_add_f64 v[0:1], v[0:1], v[10:11]
	v_mul_f64 v[10:11], v[130:131], v[94:95]
	v_accvgpr_write_b32 a139, v15
	v_accvgpr_write_b32 a142, v18
	;; [unrolled: 1-line block ×4, first 2 shown]
	v_fma_f64 v[16:17], v[128:129], v[92:93], -v[10:11]
	v_mul_f64 v[92:93], v[134:135], v[102:103]
	v_accvgpr_write_b32 a138, v14
	v_accvgpr_write_b32 a137, v13
	;; [unrolled: 1-line block ×3, first 2 shown]
	v_fma_f64 v[12:13], v[132:133], v[100:101], -v[92:93]
	scratch_load_dwordx4 v[92:95], off, off offset:832
	ds_read_b128 v[128:131], v2 offset:1536
	ds_read_b128 v[132:135], v2 offset:1552
	scratch_load_dwordx4 v[100:103], off, off offset:848
	v_mul_f64 v[14:15], v[150:151], v[110:111]
	v_fma_f64 v[14:15], v[148:149], v[108:109], -v[14:15]
	s_waitcnt vmcnt(15) lgkmcnt(1)
	v_mul_f64 v[108:109], v[128:129], v[34:35]
	v_fmac_f64_e32 v[108:109], v[130:131], v[32:33]
	v_add_f64 v[0:1], v[0:1], v[108:109]
	v_mul_f64 v[108:109], v[202:203], v[138:139]
	v_fma_f64 v[10:11], v[200:201], v[136:137], -v[108:109]
	scratch_load_dwordx4 v[108:111], off, off offset:864
	s_waitcnt vmcnt(15) lgkmcnt(0)
	v_mul_f64 v[18:19], v[132:133], v[38:39]
	v_fmac_f64_e32 v[18:19], v[134:135], v[36:37]
	ds_read_b128 v[136:139], v2 offset:1568
	v_add_f64 v[0:1], v[0:1], v[18:19]
	v_mul_f64 v[18:19], v[174:175], v[142:143]
	v_fma_f64 v[18:19], v[172:173], v[140:141], -v[18:19]
	ds_read_b128 v[140:143], v2 offset:1584
	v_mul_f64 v[146:147], v[218:219], v[146:147]
	v_fma_f64 v[8:9], v[216:217], v[144:145], -v[146:147]
	ds_read_b128 v[144:147], v2 offset:1600
	s_waitcnt vmcnt(14) lgkmcnt(2)
	v_mul_f64 v[148:149], v[136:137], v[42:43]
	v_fmac_f64_e32 v[148:149], v[138:139], v[40:41]
	s_waitcnt vmcnt(13) lgkmcnt(1)
	v_mul_f64 v[22:23], v[140:141], v[46:47]
	v_add_f64 v[0:1], v[0:1], v[148:149]
	v_fmac_f64_e32 v[22:23], v[142:143], v[44:45]
	ds_read_b128 v[148:151], v2 offset:1616
	v_add_f64 v[0:1], v[0:1], v[22:23]
	s_waitcnt vmcnt(12) lgkmcnt(1)
	v_mul_f64 v[22:23], v[144:145], v[50:51]
	v_fmac_f64_e32 v[22:23], v[146:147], v[48:49]
	v_add_f64 v[0:1], v[0:1], v[22:23]
	v_mul_f64 v[22:23], v[186:187], v[154:155]
	v_fma_f64 v[22:23], v[184:185], v[152:153], -v[22:23]
	ds_read_b128 v[152:155], v2 offset:1632
	v_mul_f64 v[158:159], v[162:163], v[158:159]
	v_fma_f64 v[6:7], v[160:161], v[156:157], -v[158:159]
	ds_read_b128 v[156:159], v2 offset:1648
	s_waitcnt vmcnt(11) lgkmcnt(2)
	v_mul_f64 v[172:173], v[148:149], v[54:55]
	v_fmac_f64_e32 v[172:173], v[150:151], v[52:53]
	s_waitcnt vmcnt(10) lgkmcnt(1)
	v_mul_f64 v[26:27], v[152:153], v[58:59]
	v_add_f64 v[0:1], v[0:1], v[172:173]
	v_fmac_f64_e32 v[26:27], v[154:155], v[56:57]
	v_add_f64 v[0:1], v[0:1], v[26:27]
	s_waitcnt vmcnt(9) lgkmcnt(0)
	v_mul_f64 v[26:27], v[156:157], v[62:63]
	v_fmac_f64_e32 v[26:27], v[158:159], v[60:61]
	ds_read_b128 v[160:163], v2 offset:1664
	v_add_f64 v[0:1], v[0:1], v[26:27]
	v_mul_f64 v[26:27], v[222:223], v[166:167]
	v_fma_f64 v[26:27], v[220:221], v[164:165], -v[26:27]
	ds_read_b128 v[164:167], v2 offset:1680
	v_mul_f64 v[170:171], v[226:227], v[170:171]
	v_fma_f64 v[4:5], v[224:225], v[168:169], -v[170:171]
	ds_read_b128 v[168:171], v2 offset:1696
	s_waitcnt vmcnt(8) lgkmcnt(2)
	v_mul_f64 v[172:173], v[160:161], v[66:67]
	v_fmac_f64_e32 v[172:173], v[162:163], v[64:65]
	s_waitcnt vmcnt(7) lgkmcnt(1)
	v_mul_f64 v[30:31], v[164:165], v[70:71]
	v_add_f64 v[0:1], v[0:1], v[172:173]
	v_fmac_f64_e32 v[30:31], v[166:167], v[68:69]
	v_add_f64 v[0:1], v[0:1], v[30:31]
	ds_read_b128 v[172:175], v2 offset:1712
	s_waitcnt vmcnt(6) lgkmcnt(1)
	v_mul_f64 v[30:31], v[168:169], v[74:75]
	v_fmac_f64_e32 v[30:31], v[170:171], v[72:73]
	v_add_f64 v[30:31], v[0:1], v[30:31]
	v_mul_f64 v[0:1], v[230:231], v[178:179]
	v_fma_f64 v[0:1], v[228:229], v[176:177], -v[0:1]
	ds_read_b128 v[176:179], v2 offset:1728
	v_mul_f64 v[182:183], v[234:235], v[182:183]
	s_waitcnt vmcnt(5) lgkmcnt(1)
	v_mul_f64 v[184:185], v[172:173], v[78:79]
	v_fma_f64 v[180:181], v[232:233], v[180:181], -v[182:183]
	v_fmac_f64_e32 v[184:185], v[174:175], v[76:77]
	v_accvgpr_write_b32 a148, v180
	v_mul_f64 v[190:191], v[238:239], v[190:191]
	v_accvgpr_write_b32 a149, v181
	ds_read_b128 v[180:183], v2 offset:1744
	v_add_f64 v[30:31], v[30:31], v[184:185]
	v_fma_f64 v[248:249], v[236:237], v[188:189], -v[190:191]
	scratch_load_dwordx4 v[236:239], off, off offset:112
	s_waitcnt vmcnt(5) lgkmcnt(1)
	v_mul_f64 v[184:185], v[176:177], v[86:87]
	v_fmac_f64_e32 v[184:185], v[178:179], v[84:85]
	v_add_f64 v[30:31], v[30:31], v[184:185]
	ds_read_b128 v[184:187], v2 offset:1760
	ds_read_b128 v[188:191], v2 offset:1776
	s_waitcnt vmcnt(4) lgkmcnt(2)
	v_mul_f64 v[192:193], v[180:181], v[82:83]
	v_fmac_f64_e32 v[192:193], v[182:183], v[80:81]
	v_add_f64 v[30:31], v[30:31], v[192:193]
	s_waitcnt vmcnt(3) lgkmcnt(1)
	v_mul_f64 v[192:193], v[184:185], v[94:95]
	v_fmac_f64_e32 v[192:193], v[186:187], v[92:93]
	v_add_f64 v[30:31], v[30:31], v[192:193]
	;; [unrolled: 4-line block ×3, first 2 shown]
	ds_read_b128 v[192:195], v2 offset:1792
	ds_read_b128 v[200:203], v2 offset:1808
	scratch_load_dwordx4 v[232:235], off, off offset:944
	ds_read_b128 v[208:211], v2 offset:1824
	ds_read_b128 v[216:219], v2 offset:1840
	s_waitcnt vmcnt(2) lgkmcnt(3)
	v_mul_f64 v[196:197], v[192:193], v[110:111]
	v_fmac_f64_e32 v[196:197], v[194:195], v[108:109]
	v_add_f64 v[30:31], v[30:31], v[196:197]
	scratch_load_dwordx4 v[196:199], off, off offset:880
	ds_read_b128 v[224:227], v2 offset:1856
	s_waitcnt vmcnt(0) lgkmcnt(3)
	v_mul_f64 v[204:205], v[200:201], v[198:199]
	v_fmac_f64_e32 v[204:205], v[202:203], v[196:197]
	v_add_f64 v[30:31], v[30:31], v[204:205]
	scratch_load_dwordx4 v[204:207], off, off offset:896
	s_waitcnt vmcnt(0) lgkmcnt(2)
	v_mul_f64 v[212:213], v[208:209], v[206:207]
	v_fmac_f64_e32 v[212:213], v[210:211], v[204:205]
	v_add_f64 v[30:31], v[30:31], v[212:213]
	scratch_load_dwordx4 v[212:215], off, off offset:912
	;; [unrolled: 5-line block ×3, first 2 shown]
	s_waitcnt vmcnt(0) lgkmcnt(0)
	v_mul_f64 v[228:229], v[224:225], v[222:223]
	v_fmac_f64_e32 v[228:229], v[226:227], v[220:221]
	v_add_f64 v[30:31], v[30:31], v[228:229]
	ds_read_b128 v[228:231], v2 offset:1872
	s_waitcnt lgkmcnt(0)
	v_mul_f64 v[2:3], v[228:229], v[234:235]
	v_fmac_f64_e32 v[2:3], v[230:231], v[232:233]
	v_add_f64 v[2:3], v[30:31], v[2:3]
	v_add_f64 v[30:31], v[240:241], 0
	;; [unrolled: 1-line block ×21, first 2 shown]
	v_accvgpr_read_b32 v6, a128
	v_add_f64 v[250:251], v[4:5], v[0:1]
	v_accvgpr_read_b32 v0, a148
	v_accvgpr_read_b32 v8, a130
	;; [unrolled: 1-line block ×5, first 2 shown]
	v_mul_f64 v[4:5], v[90:91], v[8:9]
	v_add_f64 v[0:1], v[250:251], v[0:1]
	v_fma_f64 v[4:5], v[88:89], v[6:7], -v[4:5]
	v_accvgpr_read_b32 v6, a132
	v_add_f64 v[0:1], v[0:1], v[248:249]
	v_accvgpr_read_b32 v8, a134
	v_accvgpr_read_b32 v9, a135
	v_add_f64 v[0:1], v[0:1], v[4:5]
	v_accvgpr_read_b32 v7, a133
	v_mul_f64 v[4:5], v[98:99], v[8:9]
	v_fma_f64 v[4:5], v[96:97], v[6:7], -v[4:5]
	v_accvgpr_read_b32 v6, a136
	v_accvgpr_read_b32 v8, a138
	v_accvgpr_read_b32 v9, a139
	v_add_f64 v[0:1], v[0:1], v[4:5]
	v_accvgpr_read_b32 v7, a137
	v_mul_f64 v[4:5], v[106:107], v[8:9]
	v_fma_f64 v[4:5], v[104:105], v[6:7], -v[4:5]
	v_accvgpr_read_b32 v6, a140
	;; [unrolled: 7-line block ×5, first 2 shown]
	v_accvgpr_read_b32 v8, a126
	v_accvgpr_read_b32 v9, a127
	v_add_f64 v[0:1], v[0:1], v[4:5]
	v_accvgpr_read_b32 v7, a125
	v_mul_f64 v[4:5], v[122:123], v[8:9]
	v_fma_f64 v[4:5], v[120:121], v[6:7], -v[4:5]
	v_add_f64 v[0:1], v[0:1], v[4:5]
	v_mul_f64 v[4:5], v[130:131], v[34:35]
	v_fma_f64 v[4:5], v[128:129], v[32:33], -v[4:5]
	v_add_f64 v[0:1], v[0:1], v[4:5]
	;; [unrolled: 3-line block ×23, first 2 shown]
	v_add_f64 v[4:5], v[236:237], -v[0:1]
	v_accvgpr_read_b32 v0, a118
	v_add_f64 v[6:7], v[238:239], -v[2:3]
	v_cmp_lt_u32_e32 vcc, 5, v0
	scratch_store_dwordx4 off, v[4:7], off offset:112
	s_and_saveexec_b64 s[0:1], vcc
	s_cbranch_execz .LBB122_357
; %bb.356:
	scratch_load_dwordx4 v[2:5], off, s70
	v_mov_b32_e32 v6, 0
	v_mov_b32_e32 v7, v6
	;; [unrolled: 1-line block ×4, first 2 shown]
	v_accvgpr_read_b32 v0, a119
	scratch_store_dwordx4 off, v[6:9], off offset:96
	s_waitcnt vmcnt(1)
	ds_write_b128 v0, v[2:5]
.LBB122_357:
	s_or_b64 exec, exec, s[0:1]
	s_waitcnt lgkmcnt(0)
	; wave barrier
	scratch_load_dwordx4 v[40:43], off, off offset:112
	scratch_load_dwordx4 v[44:47], off, off offset:128
	;; [unrolled: 1-line block ×29, first 2 shown]
	v_mov_b32_e32 v2, 0
	ds_read_b128 v[80:83], v2 offset:1040
	ds_read_b128 v[100:103], v2 offset:1056
	;; [unrolled: 1-line block ×18, first 2 shown]
	scratch_load_dwordx4 a[120:123], off, off offset:576
	scratch_load_dwordx4 a[124:127], off, off offset:592
	ds_read_b128 v[228:231], v2 offset:1392
	ds_read_b128 v[246:249], v2 offset:1408
	scratch_load_dwordx4 a[128:131], off, off offset:608
	scratch_load_dwordx4 v[234:237], off, off offset:624
	ds_read_b128 v[250:253], v2 offset:1424
	scratch_load_dwordx4 a[132:135], off, off offset:640
	ds_read_b128 v[224:227], v2 offset:1376
	s_waitcnt vmcnt(33) lgkmcnt(14)
	v_mul_f64 v[0:1], v[80:81], v[42:43]
	s_waitcnt vmcnt(32)
	v_mul_f64 v[20:21], v[100:101], v[46:47]
	v_fmac_f64_e32 v[0:1], v[82:83], v[40:41]
	s_waitcnt vmcnt(31)
	v_mul_f64 v[22:23], v[104:105], v[50:51]
	v_fmac_f64_e32 v[20:21], v[102:103], v[44:45]
	v_add_f64 v[0:1], v[0:1], 0
	s_waitcnt vmcnt(30)
	v_mul_f64 v[24:25], v[108:109], v[54:55]
	v_fmac_f64_e32 v[22:23], v[106:107], v[48:49]
	v_add_f64 v[0:1], v[0:1], v[20:21]
	;; [unrolled: 4-line block ×6, first 2 shown]
	s_waitcnt vmcnt(25) lgkmcnt(13)
	v_mul_f64 v[34:35], v[144:145], v[74:75]
	v_fmac_f64_e32 v[32:33], v[134:135], v[68:69]
	v_add_f64 v[0:1], v[0:1], v[30:31]
	s_waitcnt vmcnt(24) lgkmcnt(12)
	v_mul_f64 v[36:37], v[156:157], v[78:79]
	v_fmac_f64_e32 v[34:35], v[146:147], v[72:73]
	v_add_f64 v[0:1], v[0:1], v[32:33]
	;; [unrolled: 4-line block ×7, first 2 shown]
	v_fmac_f64_e32 v[218:219], v[198:199], v[124:125]
	v_add_f64 v[0:1], v[0:1], v[216:217]
	ds_read_b128 v[212:215], v2 offset:1328
	s_waitcnt vmcnt(18) lgkmcnt(7)
	v_mul_f64 v[220:221], v[200:201], v[130:131]
	v_add_f64 v[0:1], v[0:1], v[218:219]
	ds_read_b128 v[216:219], v2 offset:1344
	v_fmac_f64_e32 v[220:221], v[202:203], v[128:129]
	s_waitcnt vmcnt(17) lgkmcnt(7)
	v_mul_f64 v[20:21], v[204:205], v[138:139]
	v_add_f64 v[0:1], v[0:1], v[220:221]
	v_fmac_f64_e32 v[20:21], v[206:207], v[136:137]
	s_waitcnt vmcnt(16) lgkmcnt(6)
	v_mul_f64 v[24:25], v[208:209], v[142:143]
	ds_read_b128 v[220:223], v2 offset:1360
	v_add_f64 v[0:1], v[0:1], v[20:21]
	v_fmac_f64_e32 v[24:25], v[210:211], v[140:141]
	v_add_f64 v[0:1], v[0:1], v[24:25]
	s_waitcnt vmcnt(15) lgkmcnt(2)
	v_mul_f64 v[24:25], v[212:213], v[150:151]
	v_fmac_f64_e32 v[24:25], v[214:215], v[148:149]
	s_waitcnt vmcnt(14) lgkmcnt(1)
	v_mul_f64 v[28:29], v[216:217], v[154:155]
	v_add_f64 v[0:1], v[0:1], v[24:25]
	v_fmac_f64_e32 v[28:29], v[218:219], v[152:153]
	v_add_f64 v[0:1], v[0:1], v[28:29]
	s_waitcnt vmcnt(13) lgkmcnt(0)
	v_mul_f64 v[28:29], v[220:221], v[162:163]
	v_fmac_f64_e32 v[28:29], v[222:223], v[160:161]
	s_waitcnt vmcnt(12)
	v_mul_f64 v[32:33], v[224:225], v[166:167]
	v_add_f64 v[0:1], v[0:1], v[28:29]
	v_fmac_f64_e32 v[32:33], v[226:227], v[164:165]
	v_add_f64 v[0:1], v[0:1], v[32:33]
	s_waitcnt vmcnt(11)
	v_mul_f64 v[32:33], v[228:229], v[174:175]
	v_fmac_f64_e32 v[32:33], v[230:231], v[172:173]
	s_waitcnt vmcnt(10)
	v_mul_f64 v[36:37], v[246:247], v[178:179]
	v_mul_f64 v[42:43], v[82:83], v[42:43]
	v_add_f64 v[0:1], v[0:1], v[32:33]
	v_fmac_f64_e32 v[36:37], v[248:249], v[176:177]
	v_fma_f64 v[240:241], v[80:81], v[40:41], -v[42:43]
	ds_read_b128 v[80:83], v2 offset:1440
	s_waitcnt vmcnt(9)
	v_mul_f64 v[40:41], v[250:251], v[186:187]
	v_add_f64 v[0:1], v[0:1], v[36:37]
	v_fmac_f64_e32 v[40:41], v[252:253], v[184:185]
	v_add_f64 v[0:1], v[0:1], v[40:41]
	v_mul_f64 v[40:41], v[102:103], v[46:47]
	v_fma_f64 v[242:243], v[100:101], v[44:45], -v[40:41]
	scratch_load_dwordx4 v[40:43], off, off offset:656
	s_waitcnt vmcnt(9) lgkmcnt(0)
	v_mul_f64 v[44:45], v[80:81], v[6:7]
	v_fmac_f64_e32 v[44:45], v[82:83], v[4:5]
	v_add_f64 v[0:1], v[0:1], v[44:45]
	scratch_load_dwordx4 v[44:47], off, off offset:672
	v_mul_f64 v[50:51], v[106:107], v[50:51]
	v_fma_f64 v[244:245], v[104:105], v[48:49], -v[50:51]
	ds_read_b128 v[100:103], v2 offset:1456
	v_mul_f64 v[48:49], v[110:111], v[54:55]
	v_fma_f64 v[254:255], v[108:109], v[52:53], -v[48:49]
	scratch_load_dwordx4 v[52:55], off, off offset:688
	scratch_load_dwordx4 v[48:51], off, off offset:704
	v_accvgpr_write_b32 a139, v7
	v_accvgpr_write_b32 a138, v6
	;; [unrolled: 1-line block ×4, first 2 shown]
	s_waitcnt vmcnt(11)
	v_mov_b64_e32 v[4:5], v[8:9]
	v_mul_f64 v[58:59], v[114:115], v[58:59]
	v_mov_b64_e32 v[6:7], v[10:11]
	v_fma_f64 v[232:233], v[112:113], v[56:57], -v[58:59]
	ds_read_b128 v[104:107], v2 offset:1472
	ds_read_b128 v[108:111], v2 offset:1488
	s_waitcnt lgkmcnt(2)
	v_mul_f64 v[56:57], v[100:101], v[6:7]
	v_fmac_f64_e32 v[56:57], v[102:103], v[4:5]
	v_accvgpr_write_b32 a143, v11
	v_add_f64 v[0:1], v[0:1], v[56:57]
	v_mul_f64 v[56:57], v[118:119], v[62:63]
	v_accvgpr_write_b32 a142, v10
	v_accvgpr_write_b32 a141, v9
	;; [unrolled: 1-line block ×3, first 2 shown]
	v_fma_f64 v[36:37], v[116:117], v[60:61], -v[56:57]
	scratch_load_dwordx4 v[56:59], off, off offset:720
	scratch_load_dwordx4 v[60:63], off, off offset:736
	s_waitcnt vmcnt(12)
	v_mov_b64_e32 v[8:9], v[12:13]
	v_mov_b64_e32 v[10:11], v[14:15]
	s_waitcnt lgkmcnt(1)
	v_mul_f64 v[6:7], v[104:105], v[10:11]
	v_fmac_f64_e32 v[6:7], v[106:107], v[8:9]
	v_add_f64 v[0:1], v[0:1], v[6:7]
	v_mul_f64 v[6:7], v[122:123], v[66:67]
	v_fma_f64 v[32:33], v[120:121], v[64:65], -v[6:7]
	scratch_load_dwordx4 v[64:67], off, off offset:752
	v_mul_f64 v[6:7], v[134:135], v[70:71]
	v_fma_f64 v[28:29], v[132:133], v[68:69], -v[6:7]
	scratch_load_dwordx4 v[68:71], off, off offset:768
	v_mul_f64 v[6:7], v[146:147], v[74:75]
	v_fma_f64 v[24:25], v[144:145], v[72:73], -v[6:7]
	s_waitcnt vmcnt(13)
	v_mov_b64_e32 v[8:9], v[16:17]
	scratch_load_dwordx4 v[72:75], off, off offset:784
	ds_read_b128 v[112:115], v2 offset:1504
	ds_read_b128 v[116:119], v2 offset:1520
	v_mov_b64_e32 v[10:11], v[18:19]
	s_waitcnt lgkmcnt(2)
	v_mul_f64 v[6:7], v[108:109], v[10:11]
	v_fmac_f64_e32 v[6:7], v[110:111], v[8:9]
	v_add_f64 v[0:1], v[0:1], v[6:7]
	v_mul_f64 v[6:7], v[158:159], v[78:79]
	s_waitcnt vmcnt(13)
	v_accvgpr_read_b32 v8, a120
	v_accvgpr_write_b32 a151, v19
	v_fma_f64 v[20:21], v[156:157], v[76:77], -v[6:7]
	v_accvgpr_read_b32 v10, a122
	v_accvgpr_read_b32 v11, a123
	v_mul_f64 v[76:77], v[170:171], v[86:87]
	v_accvgpr_write_b32 a150, v18
	v_accvgpr_write_b32 a149, v17
	;; [unrolled: 1-line block ×3, first 2 shown]
	v_accvgpr_read_b32 v9, a121
	s_waitcnt lgkmcnt(1)
	v_mul_f64 v[6:7], v[112:113], v[10:11]
	v_fma_f64 v[16:17], v[168:169], v[84:85], -v[76:77]
	scratch_load_dwordx4 v[76:79], off, off offset:800
	v_fmac_f64_e32 v[6:7], v[114:115], v[8:9]
	v_accvgpr_write_b32 a147, v15
	v_add_f64 v[0:1], v[0:1], v[6:7]
	v_mul_f64 v[6:7], v[182:183], v[90:91]
	v_mul_f64 v[84:85], v[190:191], v[94:95]
	v_accvgpr_write_b32 a146, v14
	v_accvgpr_write_b32 a145, v13
	;; [unrolled: 1-line block ×3, first 2 shown]
	v_fma_f64 v[18:19], v[180:181], v[88:89], -v[6:7]
	ds_read_b128 v[120:123], v2 offset:1536
	v_fma_f64 v[14:15], v[188:189], v[92:93], -v[84:85]
	scratch_load_dwordx4 v[88:91], off, off offset:816
	scratch_load_dwordx4 v[84:87], off, off offset:832
	v_mul_f64 v[22:23], v[194:195], v[98:99]
	scratch_load_dwordx4 v[92:95], off, off offset:848
	v_fma_f64 v[22:23], v[192:193], v[96:97], -v[22:23]
	v_mul_f64 v[96:97], v[198:199], v[126:127]
	v_fma_f64 v[12:13], v[196:197], v[124:125], -v[96:97]
	scratch_load_dwordx4 v[96:99], off, off offset:864
	s_waitcnt vmcnt(17)
	v_accvgpr_read_b32 v8, a124
	v_accvgpr_read_b32 v10, a126
	;; [unrolled: 1-line block ×4, first 2 shown]
	s_waitcnt lgkmcnt(1)
	v_mul_f64 v[6:7], v[116:117], v[10:11]
	ds_read_b128 v[124:127], v2 offset:1552
	v_fmac_f64_e32 v[6:7], v[118:119], v[8:9]
	s_waitcnt vmcnt(16)
	v_accvgpr_read_b32 v8, a128
	v_mul_f64 v[26:27], v[202:203], v[130:131]
	v_accvgpr_read_b32 v10, a130
	v_accvgpr_read_b32 v11, a131
	v_fma_f64 v[26:27], v[200:201], v[128:129], -v[26:27]
	ds_read_b128 v[128:131], v2 offset:1568
	v_add_f64 v[0:1], v[0:1], v[6:7]
	v_accvgpr_read_b32 v9, a129
	s_waitcnt lgkmcnt(2)
	v_mul_f64 v[6:7], v[120:121], v[10:11]
	v_fmac_f64_e32 v[6:7], v[122:123], v[8:9]
	v_add_f64 v[0:1], v[0:1], v[6:7]
	s_waitcnt vmcnt(15) lgkmcnt(1)
	v_mul_f64 v[6:7], v[124:125], v[236:237]
	s_waitcnt vmcnt(14)
	v_accvgpr_read_b32 v8, a132
	ds_read_b128 v[132:135], v2 offset:1584
	v_fmac_f64_e32 v[6:7], v[126:127], v[234:235]
	v_accvgpr_read_b32 v10, a134
	v_accvgpr_read_b32 v11, a135
	v_add_f64 v[0:1], v[0:1], v[6:7]
	v_accvgpr_read_b32 v9, a133
	s_waitcnt lgkmcnt(1)
	v_mul_f64 v[6:7], v[128:129], v[10:11]
	v_fmac_f64_e32 v[6:7], v[130:131], v[8:9]
	v_add_f64 v[0:1], v[0:1], v[6:7]
	v_mul_f64 v[6:7], v[206:207], v[138:139]
	v_fma_f64 v[10:11], v[204:205], v[136:137], -v[6:7]
	ds_read_b128 v[136:139], v2 offset:1600
	s_waitcnt vmcnt(13) lgkmcnt(1)
	v_mul_f64 v[6:7], v[132:133], v[42:43]
	v_fmac_f64_e32 v[6:7], v[134:135], v[40:41]
	v_add_f64 v[0:1], v[0:1], v[6:7]
	v_mul_f64 v[6:7], v[210:211], v[142:143]
	v_fma_f64 v[30:31], v[208:209], v[140:141], -v[6:7]
	ds_read_b128 v[140:143], v2 offset:1616
	ds_read_b128 v[144:147], v2 offset:1632
	s_waitcnt vmcnt(12) lgkmcnt(2)
	v_mul_f64 v[6:7], v[136:137], v[46:47]
	v_fmac_f64_e32 v[6:7], v[138:139], v[44:45]
	v_add_f64 v[0:1], v[0:1], v[6:7]
	s_waitcnt vmcnt(11) lgkmcnt(1)
	v_mul_f64 v[6:7], v[140:141], v[54:55]
	v_fmac_f64_e32 v[6:7], v[142:143], v[52:53]
	v_add_f64 v[0:1], v[0:1], v[6:7]
	v_mul_f64 v[6:7], v[214:215], v[150:151]
	v_fma_f64 v[8:9], v[212:213], v[148:149], -v[6:7]
	ds_read_b128 v[148:151], v2 offset:1648
	v_mul_f64 v[34:35], v[218:219], v[154:155]
	v_fma_f64 v[34:35], v[216:217], v[152:153], -v[34:35]
	ds_read_b128 v[152:155], v2 offset:1664
	s_waitcnt vmcnt(10) lgkmcnt(2)
	v_mul_f64 v[6:7], v[144:145], v[50:51]
	v_fmac_f64_e32 v[6:7], v[146:147], v[48:49]
	v_add_f64 v[0:1], v[0:1], v[6:7]
	s_waitcnt vmcnt(9) lgkmcnt(1)
	v_mul_f64 v[6:7], v[148:149], v[58:59]
	ds_read_b128 v[156:159], v2 offset:1680
	v_fmac_f64_e32 v[6:7], v[150:151], v[56:57]
	v_add_f64 v[0:1], v[0:1], v[6:7]
	s_waitcnt vmcnt(8) lgkmcnt(1)
	v_mul_f64 v[6:7], v[152:153], v[62:63]
	v_fmac_f64_e32 v[6:7], v[154:155], v[60:61]
	v_add_f64 v[0:1], v[0:1], v[6:7]
	v_mul_f64 v[6:7], v[222:223], v[162:163]
	v_fma_f64 v[4:5], v[220:221], v[160:161], -v[6:7]
	ds_read_b128 v[160:163], v2 offset:1696
	s_waitcnt vmcnt(7) lgkmcnt(1)
	v_mul_f64 v[6:7], v[156:157], v[66:67]
	v_fmac_f64_e32 v[6:7], v[158:159], v[64:65]
	v_add_f64 v[0:1], v[0:1], v[6:7]
	v_mul_f64 v[6:7], v[226:227], v[166:167]
	v_fma_f64 v[6:7], v[224:225], v[164:165], -v[6:7]
	ds_read_b128 v[164:167], v2 offset:1712
	ds_read_b128 v[168:171], v2 offset:1728
	s_waitcnt vmcnt(6) lgkmcnt(2)
	v_mul_f64 v[38:39], v[160:161], v[70:71]
	v_fmac_f64_e32 v[38:39], v[162:163], v[68:69]
	v_add_f64 v[0:1], v[0:1], v[38:39]
	s_waitcnt vmcnt(5) lgkmcnt(1)
	v_mul_f64 v[38:39], v[164:165], v[74:75]
	v_fmac_f64_e32 v[38:39], v[166:167], v[72:73]
	v_add_f64 v[38:39], v[0:1], v[38:39]
	v_mul_f64 v[0:1], v[230:231], v[174:175]
	v_fma_f64 v[0:1], v[228:229], v[172:173], -v[0:1]
	ds_read_b128 v[172:175], v2 offset:1744
	s_waitcnt vmcnt(4) lgkmcnt(1)
	v_mul_f64 v[180:181], v[168:169], v[78:79]
	v_fmac_f64_e32 v[180:181], v[170:171], v[76:77]
	v_mul_f64 v[178:179], v[248:249], v[178:179]
	v_fma_f64 v[238:239], v[246:247], v[176:177], -v[178:179]
	ds_read_b128 v[176:179], v2 offset:1760
	v_add_f64 v[38:39], v[38:39], v[180:181]
	s_waitcnt vmcnt(3) lgkmcnt(1)
	v_mul_f64 v[180:181], v[172:173], v[90:91]
	v_fmac_f64_e32 v[180:181], v[174:175], v[88:89]
	v_add_f64 v[38:39], v[38:39], v[180:181]
	ds_read_b128 v[180:183], v2 offset:1776
	v_mul_f64 v[186:187], v[252:253], v[186:187]
	v_fma_f64 v[246:247], v[250:251], v[184:185], -v[186:187]
	ds_read_b128 v[184:187], v2 offset:1792
	s_waitcnt vmcnt(2) lgkmcnt(2)
	v_mul_f64 v[188:189], v[176:177], v[86:87]
	v_fmac_f64_e32 v[188:189], v[178:179], v[84:85]
	v_add_f64 v[38:39], v[38:39], v[188:189]
	s_waitcnt vmcnt(1) lgkmcnt(1)
	v_mul_f64 v[188:189], v[180:181], v[94:95]
	v_fmac_f64_e32 v[188:189], v[182:183], v[92:93]
	v_add_f64 v[38:39], v[38:39], v[188:189]
	s_waitcnt vmcnt(0) lgkmcnt(0)
	v_mul_f64 v[188:189], v[184:185], v[98:99]
	v_fmac_f64_e32 v[188:189], v[186:187], v[96:97]
	v_add_f64 v[38:39], v[38:39], v[188:189]
	scratch_load_dwordx4 v[188:191], off, off offset:880
	ds_read_b128 v[192:195], v2 offset:1808
	ds_read_b128 v[200:203], v2 offset:1824
	;; [unrolled: 1-line block ×5, first 2 shown]
	s_waitcnt vmcnt(0) lgkmcnt(4)
	v_mul_f64 v[196:197], v[192:193], v[190:191]
	v_fmac_f64_e32 v[196:197], v[194:195], v[188:189]
	v_add_f64 v[38:39], v[38:39], v[196:197]
	scratch_load_dwordx4 v[196:199], off, off offset:896
	s_waitcnt vmcnt(0) lgkmcnt(3)
	v_mul_f64 v[204:205], v[200:201], v[198:199]
	v_fmac_f64_e32 v[204:205], v[202:203], v[196:197]
	v_add_f64 v[38:39], v[38:39], v[204:205]
	scratch_load_dwordx4 v[204:207], off, off offset:912
	;; [unrolled: 5-line block ×4, first 2 shown]
	s_waitcnt vmcnt(0) lgkmcnt(0)
	v_mul_f64 v[228:229], v[224:225], v[222:223]
	v_fmac_f64_e32 v[228:229], v[226:227], v[220:221]
	v_add_f64 v[250:251], v[38:39], v[228:229]
	v_add_f64 v[38:39], v[240:241], 0
	;; [unrolled: 1-line block ×8, first 2 shown]
	scratch_load_dwordx4 v[228:231], off, off offset:96
	v_add_f64 v[28:29], v[32:33], v[28:29]
	v_add_f64 v[24:25], v[28:29], v[24:25]
	;; [unrolled: 1-line block ×15, first 2 shown]
	v_accvgpr_read_b32 v6, a136
	v_accvgpr_read_b32 v8, a138
	;; [unrolled: 1-line block ×3, first 2 shown]
	v_add_f64 v[0:1], v[4:5], v[0:1]
	v_accvgpr_read_b32 v7, a137
	v_mul_f64 v[4:5], v[82:83], v[8:9]
	v_add_f64 v[0:1], v[0:1], v[238:239]
	v_fma_f64 v[4:5], v[80:81], v[6:7], -v[4:5]
	v_accvgpr_read_b32 v6, a140
	v_add_f64 v[0:1], v[0:1], v[246:247]
	v_accvgpr_read_b32 v8, a142
	v_accvgpr_read_b32 v9, a143
	v_add_f64 v[0:1], v[0:1], v[4:5]
	v_accvgpr_read_b32 v7, a141
	v_mul_f64 v[4:5], v[102:103], v[8:9]
	v_fma_f64 v[4:5], v[100:101], v[6:7], -v[4:5]
	v_accvgpr_read_b32 v6, a144
	v_accvgpr_read_b32 v8, a146
	v_accvgpr_read_b32 v9, a147
	v_add_f64 v[0:1], v[0:1], v[4:5]
	v_accvgpr_read_b32 v7, a145
	v_mul_f64 v[4:5], v[106:107], v[8:9]
	v_fma_f64 v[4:5], v[104:105], v[6:7], -v[4:5]
	v_accvgpr_read_b32 v6, a148
	;; [unrolled: 7-line block ×5, first 2 shown]
	v_accvgpr_read_b32 v8, a130
	v_accvgpr_read_b32 v9, a131
	v_add_f64 v[0:1], v[0:1], v[4:5]
	v_accvgpr_read_b32 v7, a129
	v_mul_f64 v[4:5], v[122:123], v[8:9]
	v_fma_f64 v[4:5], v[120:121], v[6:7], -v[4:5]
	v_add_f64 v[0:1], v[0:1], v[4:5]
	v_mul_f64 v[4:5], v[126:127], v[236:237]
	v_accvgpr_read_b32 v6, a132
	v_fma_f64 v[4:5], v[124:125], v[234:235], -v[4:5]
	v_accvgpr_read_b32 v8, a134
	v_accvgpr_read_b32 v9, a135
	v_add_f64 v[0:1], v[0:1], v[4:5]
	v_accvgpr_read_b32 v7, a133
	v_mul_f64 v[4:5], v[130:131], v[8:9]
	v_fma_f64 v[4:5], v[128:129], v[6:7], -v[4:5]
	v_add_f64 v[0:1], v[0:1], v[4:5]
	v_mul_f64 v[4:5], v[134:135], v[42:43]
	v_fma_f64 v[4:5], v[132:133], v[40:41], -v[4:5]
	v_add_f64 v[0:1], v[0:1], v[4:5]
	;; [unrolled: 3-line block ×20, first 2 shown]
	s_waitcnt vmcnt(0)
	v_add_f64 v[4:5], v[228:229], -v[0:1]
	v_accvgpr_read_b32 v0, a118
	v_add_f64 v[6:7], v[230:231], -v[250:251]
	v_cmp_lt_u32_e32 vcc, 4, v0
	scratch_store_dwordx4 off, v[4:7], off offset:96
	s_and_saveexec_b64 s[0:1], vcc
	s_cbranch_execz .LBB122_359
; %bb.358:
	scratch_load_dwordx4 v[6:9], off, s71
	v_mov_b32_e32 v3, v2
	v_mov_b32_e32 v4, v2
	;; [unrolled: 1-line block ×3, first 2 shown]
	v_accvgpr_read_b32 v0, a119
	scratch_store_dwordx4 off, v[2:5], off offset:80
	s_waitcnt vmcnt(1)
	ds_write_b128 v0, v[6:9]
.LBB122_359:
	s_or_b64 exec, exec, s[0:1]
	s_waitcnt lgkmcnt(0)
	; wave barrier
	scratch_load_dwordx4 v[40:43], off, off offset:96
	scratch_load_dwordx4 v[44:47], off, off offset:112
	;; [unrolled: 1-line block ×18, first 2 shown]
	ds_read_b128 v[80:83], v2 offset:1024
	ds_read_b128 v[204:207], v2 offset:1040
	;; [unrolled: 1-line block ×6, first 2 shown]
	scratch_load_dwordx4 v[148:151], off, off offset:384
	ds_read_b128 v[180:183], v2 offset:1120
	ds_read_b128 v[112:115], v2 offset:1136
	scratch_load_dwordx4 v[152:155], off, off offset:400
	ds_read_b128 v[208:211], v2 offset:1152
	ds_read_b128 v[200:203], v2 offset:1168
	;; [unrolled: 1-line block ×5, first 2 shown]
	scratch_load_dwordx4 v[160:163], off, off offset:416
	ds_read_b128 v[196:199], v2 offset:1232
	ds_read_b128 v[192:195], v2 offset:1248
	;; [unrolled: 1-line block ×4, first 2 shown]
	scratch_load_dwordx4 v[164:167], off, off offset:432
	ds_read_b128 v[168:171], v2 offset:1296
	scratch_load_dwordx4 v[172:175], off, off offset:448
	scratch_load_dwordx4 v[176:179], off, off offset:464
	;; [unrolled: 1-line block ×7, first 2 shown]
	ds_read_b128 v[228:231], v2 offset:1376
	ds_read_b128 v[232:235], v2 offset:1392
	scratch_load_dwordx4 a[124:127], off, off offset:592
	scratch_load_dwordx4 a[128:131], off, off offset:608
	ds_read_b128 v[236:239], v2 offset:1408
	scratch_load_dwordx4 a[120:123], off, off offset:576
	ds_read_b128 v[224:227], v2 offset:1360
	s_waitcnt vmcnt(31) lgkmcnt(14)
	v_mul_f64 v[0:1], v[80:81], v[42:43]
	s_waitcnt vmcnt(30)
	v_mul_f64 v[20:21], v[204:205], v[46:47]
	v_fmac_f64_e32 v[0:1], v[82:83], v[40:41]
	s_waitcnt vmcnt(29)
	v_mul_f64 v[22:23], v[100:101], v[50:51]
	v_fmac_f64_e32 v[20:21], v[206:207], v[44:45]
	v_add_f64 v[0:1], v[0:1], 0
	v_fmac_f64_e32 v[22:23], v[102:103], v[48:49]
	v_add_f64 v[0:1], v[0:1], v[20:21]
	v_add_f64 v[0:1], v[0:1], v[22:23]
	scratch_load_dwordx4 v[20:23], off, off offset:560
	s_waitcnt vmcnt(29)
	v_mul_f64 v[24:25], v[116:117], v[54:55]
	s_waitcnt vmcnt(28)
	v_mul_f64 v[26:27], v[104:105], v[58:59]
	v_fmac_f64_e32 v[24:25], v[118:119], v[52:53]
	s_waitcnt vmcnt(27)
	v_mul_f64 v[28:29], v[108:109], v[62:63]
	v_fmac_f64_e32 v[26:27], v[106:107], v[56:57]
	v_add_f64 v[0:1], v[0:1], v[24:25]
	s_waitcnt vmcnt(26)
	v_mul_f64 v[30:31], v[180:181], v[66:67]
	v_fmac_f64_e32 v[28:29], v[110:111], v[60:61]
	v_add_f64 v[0:1], v[0:1], v[26:27]
	;; [unrolled: 4-line block ×3, first 2 shown]
	s_waitcnt vmcnt(24) lgkmcnt(13)
	v_mul_f64 v[34:35], v[208:209], v[74:75]
	v_fmac_f64_e32 v[32:33], v[114:115], v[68:69]
	v_add_f64 v[0:1], v[0:1], v[30:31]
	s_waitcnt vmcnt(23) lgkmcnt(12)
	v_mul_f64 v[36:37], v[200:201], v[78:79]
	v_fmac_f64_e32 v[34:35], v[210:211], v[72:73]
	v_add_f64 v[0:1], v[0:1], v[32:33]
	;; [unrolled: 4-line block ×8, first 2 shown]
	ds_read_b128 v[212:215], v2 offset:1312
	s_waitcnt vmcnt(16) lgkmcnt(6)
	v_mul_f64 v[222:223], v[144:145], v[138:139]
	v_fmac_f64_e32 v[220:221], v[158:159], v[128:129]
	v_add_f64 v[0:1], v[0:1], v[218:219]
	ds_read_b128 v[216:219], v2 offset:1328
	v_add_f64 v[0:1], v[0:1], v[220:221]
	v_fmac_f64_e32 v[222:223], v[146:147], v[136:137]
	v_add_f64 v[0:1], v[0:1], v[222:223]
	s_waitcnt vmcnt(15) lgkmcnt(6)
	v_mul_f64 v[24:25], v[168:169], v[142:143]
	ds_read_b128 v[220:223], v2 offset:1344
	v_fmac_f64_e32 v[24:25], v[170:171], v[140:141]
	v_add_f64 v[0:1], v[0:1], v[24:25]
	s_waitcnt vmcnt(14) lgkmcnt(2)
	v_mul_f64 v[24:25], v[212:213], v[150:151]
	v_fmac_f64_e32 v[24:25], v[214:215], v[148:149]
	s_waitcnt vmcnt(13) lgkmcnt(1)
	v_mul_f64 v[28:29], v[216:217], v[154:155]
	v_add_f64 v[0:1], v[0:1], v[24:25]
	v_fmac_f64_e32 v[28:29], v[218:219], v[152:153]
	v_add_f64 v[0:1], v[0:1], v[28:29]
	s_waitcnt vmcnt(12) lgkmcnt(0)
	v_mul_f64 v[28:29], v[220:221], v[162:163]
	v_fmac_f64_e32 v[28:29], v[222:223], v[160:161]
	s_waitcnt vmcnt(11)
	v_mul_f64 v[32:33], v[224:225], v[166:167]
	v_add_f64 v[0:1], v[0:1], v[28:29]
	v_fmac_f64_e32 v[32:33], v[226:227], v[164:165]
	v_add_f64 v[0:1], v[0:1], v[32:33]
	s_waitcnt vmcnt(10)
	v_mul_f64 v[32:33], v[228:229], v[174:175]
	v_fmac_f64_e32 v[32:33], v[230:231], v[172:173]
	s_waitcnt vmcnt(9)
	v_mul_f64 v[36:37], v[232:233], v[178:179]
	v_add_f64 v[0:1], v[0:1], v[32:33]
	v_fmac_f64_e32 v[36:37], v[234:235], v[176:177]
	v_mul_f64 v[42:43], v[82:83], v[42:43]
	v_add_f64 v[0:1], v[0:1], v[36:37]
	scratch_load_dwordx4 v[36:39], off, off offset:624
	v_fma_f64 v[240:241], v[80:81], v[40:41], -v[42:43]
	ds_read_b128 v[80:83], v2 offset:1424
	s_waitcnt vmcnt(9)
	v_mul_f64 v[40:41], v[236:237], v[186:187]
	v_fmac_f64_e32 v[40:41], v[238:239], v[184:185]
	v_add_f64 v[0:1], v[0:1], v[40:41]
	v_mul_f64 v[40:41], v[206:207], v[46:47]
	v_fma_f64 v[242:243], v[204:205], v[44:45], -v[40:41]
	scratch_load_dwordx4 v[40:43], off, off offset:640
	s_waitcnt vmcnt(9) lgkmcnt(0)
	v_mul_f64 v[44:45], v[80:81], v[6:7]
	v_fmac_f64_e32 v[44:45], v[82:83], v[4:5]
	v_add_f64 v[0:1], v[0:1], v[44:45]
	scratch_load_dwordx4 v[44:47], off, off offset:656
	v_mul_f64 v[50:51], v[102:103], v[50:51]
	v_fma_f64 v[244:245], v[100:101], v[48:49], -v[50:51]
	ds_read_b128 v[100:103], v2 offset:1440
	v_mul_f64 v[48:49], v[118:119], v[54:55]
	v_fma_f64 v[250:251], v[116:117], v[52:53], -v[48:49]
	scratch_load_dwordx4 v[52:55], off, off offset:672
	scratch_load_dwordx4 v[48:51], off, off offset:688
	v_accvgpr_write_b32 a135, v7
	v_accvgpr_write_b32 a134, v6
	;; [unrolled: 1-line block ×4, first 2 shown]
	s_waitcnt vmcnt(11)
	v_mov_b64_e32 v[4:5], v[8:9]
	v_mul_f64 v[58:59], v[106:107], v[58:59]
	v_mov_b64_e32 v[6:7], v[10:11]
	v_fma_f64 v[252:253], v[104:105], v[56:57], -v[58:59]
	s_waitcnt lgkmcnt(0)
	v_mul_f64 v[56:57], v[100:101], v[6:7]
	ds_read_b128 v[104:107], v2 offset:1456
	v_fmac_f64_e32 v[56:57], v[102:103], v[4:5]
	v_add_f64 v[0:1], v[0:1], v[56:57]
	v_mul_f64 v[56:57], v[110:111], v[62:63]
	v_fma_f64 v[254:255], v[108:109], v[60:61], -v[56:57]
	scratch_load_dwordx4 v[56:59], off, off offset:704
	scratch_load_dwordx4 v[60:63], off, off offset:720
	s_waitcnt vmcnt(12)
	v_mov_b64_e32 v[4:5], v[12:13]
	v_mul_f64 v[66:67], v[182:183], v[66:67]
	v_mov_b64_e32 v[6:7], v[14:15]
	v_fma_f64 v[246:247], v[180:181], v[64:65], -v[66:67]
	v_mul_f64 v[64:65], v[114:115], v[70:71]
	v_fma_f64 v[32:33], v[112:113], v[68:69], -v[64:65]
	ds_read_b128 v[112:115], v2 offset:1488
	s_waitcnt lgkmcnt(1)
	v_mul_f64 v[108:109], v[104:105], v[6:7]
	v_fmac_f64_e32 v[108:109], v[106:107], v[4:5]
	v_add_f64 v[0:1], v[0:1], v[108:109]
	ds_read_b128 v[108:111], v2 offset:1472
	ds_read_b128 v[116:119], v2 offset:1504
	scratch_load_dwordx4 v[64:67], off, off offset:736
	scratch_load_dwordx4 v[68:71], off, off offset:752
	v_mul_f64 v[6:7], v[210:211], v[74:75]
	v_fma_f64 v[28:29], v[208:209], v[72:73], -v[6:7]
	s_waitcnt vmcnt(13)
	v_mov_b64_e32 v[4:5], v[16:17]
	v_mov_b64_e32 v[6:7], v[18:19]
	s_waitcnt lgkmcnt(1)
	v_mul_f64 v[72:73], v[108:109], v[6:7]
	v_fmac_f64_e32 v[72:73], v[110:111], v[4:5]
	v_add_f64 v[0:1], v[0:1], v[72:73]
	v_mul_f64 v[72:73], v[202:203], v[78:79]
	v_fma_f64 v[24:25], v[200:201], v[76:77], -v[72:73]
	scratch_load_dwordx4 v[72:75], off, off offset:768
	s_waitcnt vmcnt(10)
	v_mov_b64_e32 v[4:5], v[20:21]
	v_accvgpr_write_b32 a139, v11
	v_mov_b64_e32 v[6:7], v[22:23]
	v_mul_f64 v[76:77], v[190:191], v[86:87]
	v_accvgpr_write_b32 a138, v10
	v_accvgpr_write_b32 a137, v9
	;; [unrolled: 1-line block ×3, first 2 shown]
	v_mul_f64 v[10:11], v[112:113], v[6:7]
	v_fma_f64 v[248:249], v[188:189], v[84:85], -v[76:77]
	scratch_load_dwordx4 v[76:79], off, off offset:784
	v_fmac_f64_e32 v[10:11], v[114:115], v[4:5]
	v_accvgpr_write_b32 a151, v23
	v_add_f64 v[0:1], v[0:1], v[10:11]
	v_mul_f64 v[10:11], v[122:123], v[90:91]
	v_accvgpr_write_b32 a150, v22
	v_accvgpr_write_b32 a149, v21
	v_accvgpr_write_b32 a148, v20
	v_fma_f64 v[20:21], v[120:121], v[88:89], -v[10:11]
	ds_read_b128 v[120:123], v2 offset:1520
	scratch_load_dwordx4 v[88:91], off, off offset:800
	scratch_load_dwordx4 v[84:87], off, off offset:816
	v_accvgpr_write_b32 a143, v15
	v_accvgpr_write_b32 a142, v14
	;; [unrolled: 1-line block ×5, first 2 shown]
	v_mul_f64 v[14:15], v[134:135], v[94:95]
	v_accvgpr_write_b32 a146, v18
	v_accvgpr_write_b32 a145, v17
	;; [unrolled: 1-line block ×3, first 2 shown]
	v_fma_f64 v[16:17], v[132:133], v[92:93], -v[14:15]
	v_mul_f64 v[92:93], v[198:199], v[98:99]
	v_fma_f64 v[14:15], v[196:197], v[96:97], -v[92:93]
	scratch_load_dwordx4 v[92:95], off, off offset:832
	v_mul_f64 v[96:97], v[158:159], v[130:131]
	v_fma_f64 v[12:13], v[156:157], v[128:129], -v[96:97]
	scratch_load_dwordx4 v[96:99], off, off offset:848
	v_accvgpr_read_b32 v4, a120
	v_accvgpr_read_b32 v6, a122
	;; [unrolled: 1-line block ×4, first 2 shown]
	s_waitcnt lgkmcnt(1)
	v_mul_f64 v[10:11], v[116:117], v[6:7]
	v_mul_f64 v[18:19], v[194:195], v[126:127]
	v_fmac_f64_e32 v[10:11], v[118:119], v[4:5]
	v_accvgpr_read_b32 v4, a124
	v_fma_f64 v[18:19], v[192:193], v[124:125], -v[18:19]
	ds_read_b128 v[124:127], v2 offset:1536
	ds_read_b128 v[128:131], v2 offset:1552
	v_accvgpr_read_b32 v6, a126
	v_accvgpr_read_b32 v7, a127
	v_add_f64 v[0:1], v[0:1], v[10:11]
	v_accvgpr_read_b32 v5, a125
	s_waitcnt lgkmcnt(2)
	v_mul_f64 v[10:11], v[120:121], v[6:7]
	v_fmac_f64_e32 v[10:11], v[122:123], v[4:5]
	v_accvgpr_read_b32 v4, a128
	v_accvgpr_read_b32 v6, a130
	;; [unrolled: 1-line block ×3, first 2 shown]
	v_add_f64 v[0:1], v[0:1], v[10:11]
	v_accvgpr_read_b32 v5, a129
	s_waitcnt lgkmcnt(1)
	v_mul_f64 v[10:11], v[124:125], v[6:7]
	ds_read_b128 v[132:135], v2 offset:1568
	v_fmac_f64_e32 v[10:11], v[126:127], v[4:5]
	v_add_f64 v[0:1], v[0:1], v[10:11]
	s_waitcnt vmcnt(14) lgkmcnt(1)
	v_mul_f64 v[10:11], v[128:129], v[38:39]
	v_fmac_f64_e32 v[10:11], v[130:131], v[36:37]
	v_add_f64 v[0:1], v[0:1], v[10:11]
	v_mul_f64 v[10:11], v[146:147], v[138:139]
	v_fma_f64 v[22:23], v[144:145], v[136:137], -v[10:11]
	ds_read_b128 v[136:139], v2 offset:1584
	s_waitcnt vmcnt(13) lgkmcnt(1)
	v_mul_f64 v[10:11], v[132:133], v[42:43]
	v_fmac_f64_e32 v[10:11], v[134:135], v[40:41]
	v_add_f64 v[0:1], v[0:1], v[10:11]
	v_mul_f64 v[10:11], v[170:171], v[142:143]
	v_fma_f64 v[8:9], v[168:169], v[140:141], -v[10:11]
	ds_read_b128 v[140:143], v2 offset:1600
	ds_read_b128 v[144:147], v2 offset:1616
	s_waitcnt vmcnt(12) lgkmcnt(2)
	v_mul_f64 v[10:11], v[136:137], v[46:47]
	v_fmac_f64_e32 v[10:11], v[138:139], v[44:45]
	v_add_f64 v[0:1], v[0:1], v[10:11]
	s_waitcnt vmcnt(11) lgkmcnt(1)
	v_mul_f64 v[10:11], v[140:141], v[54:55]
	v_fmac_f64_e32 v[10:11], v[142:143], v[52:53]
	v_add_f64 v[0:1], v[0:1], v[10:11]
	v_mul_f64 v[10:11], v[214:215], v[150:151]
	v_fma_f64 v[26:27], v[212:213], v[148:149], -v[10:11]
	ds_read_b128 v[148:151], v2 offset:1632
	v_mul_f64 v[154:155], v[218:219], v[154:155]
	v_fma_f64 v[6:7], v[216:217], v[152:153], -v[154:155]
	ds_read_b128 v[152:155], v2 offset:1648
	s_waitcnt vmcnt(10) lgkmcnt(2)
	v_mul_f64 v[10:11], v[144:145], v[50:51]
	v_fmac_f64_e32 v[10:11], v[146:147], v[48:49]
	v_add_f64 v[0:1], v[0:1], v[10:11]
	s_waitcnt vmcnt(9) lgkmcnt(1)
	v_mul_f64 v[10:11], v[148:149], v[58:59]
	ds_read_b128 v[156:159], v2 offset:1664
	v_fmac_f64_e32 v[10:11], v[150:151], v[56:57]
	v_add_f64 v[0:1], v[0:1], v[10:11]
	s_waitcnt vmcnt(8) lgkmcnt(1)
	v_mul_f64 v[10:11], v[152:153], v[62:63]
	v_fmac_f64_e32 v[10:11], v[154:155], v[60:61]
	v_add_f64 v[0:1], v[0:1], v[10:11]
	v_mul_f64 v[10:11], v[222:223], v[162:163]
	v_fma_f64 v[30:31], v[220:221], v[160:161], -v[10:11]
	ds_read_b128 v[160:163], v2 offset:1680
	s_waitcnt vmcnt(7) lgkmcnt(1)
	v_mul_f64 v[10:11], v[156:157], v[66:67]
	v_fmac_f64_e32 v[10:11], v[158:159], v[64:65]
	v_add_f64 v[0:1], v[0:1], v[10:11]
	v_mul_f64 v[10:11], v[226:227], v[166:167]
	v_fma_f64 v[4:5], v[224:225], v[164:165], -v[10:11]
	ds_read_b128 v[164:167], v2 offset:1696
	ds_read_b128 v[168:171], v2 offset:1712
	s_waitcnt vmcnt(6) lgkmcnt(2)
	v_mul_f64 v[10:11], v[160:161], v[70:71]
	v_fmac_f64_e32 v[10:11], v[162:163], v[68:69]
	v_add_f64 v[0:1], v[0:1], v[10:11]
	s_waitcnt vmcnt(5) lgkmcnt(1)
	v_mul_f64 v[10:11], v[164:165], v[74:75]
	v_fmac_f64_e32 v[10:11], v[166:167], v[72:73]
	v_add_f64 v[10:11], v[0:1], v[10:11]
	v_mul_f64 v[0:1], v[230:231], v[174:175]
	v_fma_f64 v[34:35], v[228:229], v[172:173], -v[0:1]
	ds_read_b128 v[172:175], v2 offset:1728
	s_waitcnt vmcnt(4) lgkmcnt(1)
	v_mul_f64 v[180:181], v[168:169], v[78:79]
	v_fmac_f64_e32 v[180:181], v[170:171], v[76:77]
	v_mul_f64 v[0:1], v[234:235], v[178:179]
	v_fma_f64 v[0:1], v[232:233], v[176:177], -v[0:1]
	ds_read_b128 v[176:179], v2 offset:1744
	v_add_f64 v[10:11], v[10:11], v[180:181]
	s_waitcnt vmcnt(3) lgkmcnt(1)
	v_mul_f64 v[180:181], v[172:173], v[90:91]
	v_fmac_f64_e32 v[180:181], v[174:175], v[88:89]
	v_add_f64 v[188:189], v[10:11], v[180:181]
	ds_read_b128 v[180:183], v2 offset:1760
	v_mul_f64 v[10:11], v[238:239], v[186:187]
	v_fma_f64 v[10:11], v[236:237], v[184:185], -v[10:11]
	ds_read_b128 v[184:187], v2 offset:1776
	s_waitcnt vmcnt(2) lgkmcnt(2)
	v_mul_f64 v[190:191], v[176:177], v[86:87]
	v_fmac_f64_e32 v[190:191], v[178:179], v[84:85]
	v_add_f64 v[188:189], v[188:189], v[190:191]
	s_waitcnt vmcnt(1) lgkmcnt(1)
	v_mul_f64 v[190:191], v[180:181], v[94:95]
	v_fmac_f64_e32 v[190:191], v[182:183], v[92:93]
	v_add_f64 v[188:189], v[188:189], v[190:191]
	;; [unrolled: 4-line block ×3, first 2 shown]
	scratch_load_dwordx4 v[188:191], off, off offset:864
	scratch_load_dwordx4 v[232:235], off, off offset:944
	ds_read_b128 v[192:195], v2 offset:1792
	ds_read_b128 v[200:203], v2 offset:1808
	;; [unrolled: 1-line block ×5, first 2 shown]
	s_waitcnt vmcnt(1) lgkmcnt(4)
	v_mul_f64 v[198:199], v[192:193], v[190:191]
	v_fmac_f64_e32 v[198:199], v[194:195], v[188:189]
	v_add_f64 v[204:205], v[196:197], v[198:199]
	scratch_load_dwordx4 v[196:199], off, off offset:880
	s_waitcnt vmcnt(0) lgkmcnt(3)
	v_mul_f64 v[206:207], v[200:201], v[198:199]
	v_fmac_f64_e32 v[206:207], v[202:203], v[196:197]
	v_add_f64 v[212:213], v[204:205], v[206:207]
	scratch_load_dwordx4 v[204:207], off, off offset:896
	s_waitcnt vmcnt(0) lgkmcnt(2)
	v_mul_f64 v[214:215], v[208:209], v[206:207]
	v_fmac_f64_e32 v[214:215], v[210:211], v[204:205]
	v_add_f64 v[220:221], v[212:213], v[214:215]
	scratch_load_dwordx4 v[212:215], off, off offset:912
	s_waitcnt vmcnt(0) lgkmcnt(1)
	v_mul_f64 v[222:223], v[216:217], v[214:215]
	v_fmac_f64_e32 v[222:223], v[218:219], v[212:213]
	v_add_f64 v[228:229], v[220:221], v[222:223]
	scratch_load_dwordx4 v[220:223], off, off offset:928
	s_waitcnt vmcnt(0) lgkmcnt(0)
	v_mul_f64 v[230:231], v[224:225], v[222:223]
	v_fmac_f64_e32 v[230:231], v[226:227], v[220:221]
	v_add_f64 v[236:237], v[228:229], v[230:231]
	ds_read_b128 v[228:231], v2 offset:1872
	s_waitcnt lgkmcnt(0)
	v_mul_f64 v[2:3], v[228:229], v[234:235]
	v_fmac_f64_e32 v[2:3], v[230:231], v[232:233]
	v_add_f64 v[2:3], v[236:237], v[2:3]
	v_add_f64 v[236:237], v[240:241], 0
	;; [unrolled: 1-line block ×11, first 2 shown]
	scratch_load_dwordx4 v[236:239], off, off offset:80
	v_add_f64 v[24:25], v[24:25], v[248:249]
	v_add_f64 v[20:21], v[24:25], v[20:21]
	;; [unrolled: 1-line block ×12, first 2 shown]
	v_accvgpr_read_b32 v6, a132
	v_accvgpr_read_b32 v8, a134
	;; [unrolled: 1-line block ×3, first 2 shown]
	v_add_f64 v[250:251], v[4:5], v[34:35]
	v_accvgpr_read_b32 v7, a133
	v_mul_f64 v[4:5], v[82:83], v[8:9]
	v_add_f64 v[0:1], v[250:251], v[0:1]
	v_fma_f64 v[4:5], v[80:81], v[6:7], -v[4:5]
	v_accvgpr_read_b32 v6, a136
	v_add_f64 v[0:1], v[0:1], v[10:11]
	v_accvgpr_read_b32 v8, a138
	v_accvgpr_read_b32 v9, a139
	v_add_f64 v[0:1], v[0:1], v[4:5]
	v_accvgpr_read_b32 v7, a137
	v_mul_f64 v[4:5], v[102:103], v[8:9]
	v_fma_f64 v[4:5], v[100:101], v[6:7], -v[4:5]
	v_accvgpr_read_b32 v6, a140
	v_accvgpr_read_b32 v8, a142
	v_accvgpr_read_b32 v9, a143
	v_add_f64 v[0:1], v[0:1], v[4:5]
	v_accvgpr_read_b32 v7, a141
	v_mul_f64 v[4:5], v[106:107], v[8:9]
	v_fma_f64 v[4:5], v[104:105], v[6:7], -v[4:5]
	v_accvgpr_read_b32 v6, a144
	v_accvgpr_read_b32 v8, a146
	v_accvgpr_read_b32 v9, a147
	v_add_f64 v[0:1], v[0:1], v[4:5]
	v_accvgpr_read_b32 v7, a145
	v_mul_f64 v[4:5], v[110:111], v[8:9]
	v_fma_f64 v[4:5], v[108:109], v[6:7], -v[4:5]
	v_accvgpr_read_b32 v6, a148
	v_accvgpr_read_b32 v8, a150
	v_accvgpr_read_b32 v9, a151
	v_add_f64 v[0:1], v[0:1], v[4:5]
	v_accvgpr_read_b32 v7, a149
	v_mul_f64 v[4:5], v[114:115], v[8:9]
	v_fma_f64 v[4:5], v[112:113], v[6:7], -v[4:5]
	v_accvgpr_read_b32 v6, a120
	v_accvgpr_read_b32 v8, a122
	v_accvgpr_read_b32 v9, a123
	v_add_f64 v[0:1], v[0:1], v[4:5]
	v_accvgpr_read_b32 v7, a121
	v_mul_f64 v[4:5], v[118:119], v[8:9]
	v_fma_f64 v[4:5], v[116:117], v[6:7], -v[4:5]
	v_accvgpr_read_b32 v6, a124
	v_accvgpr_read_b32 v8, a126
	v_accvgpr_read_b32 v9, a127
	v_add_f64 v[0:1], v[0:1], v[4:5]
	v_accvgpr_read_b32 v7, a125
	v_mul_f64 v[4:5], v[122:123], v[8:9]
	v_fma_f64 v[4:5], v[120:121], v[6:7], -v[4:5]
	v_accvgpr_read_b32 v6, a128
	v_accvgpr_read_b32 v8, a130
	v_accvgpr_read_b32 v9, a131
	v_add_f64 v[0:1], v[0:1], v[4:5]
	v_accvgpr_read_b32 v7, a129
	v_mul_f64 v[4:5], v[126:127], v[8:9]
	v_fma_f64 v[4:5], v[124:125], v[6:7], -v[4:5]
	v_add_f64 v[0:1], v[0:1], v[4:5]
	v_mul_f64 v[4:5], v[130:131], v[38:39]
	v_fma_f64 v[4:5], v[128:129], v[36:37], -v[4:5]
	v_add_f64 v[0:1], v[0:1], v[4:5]
	;; [unrolled: 3-line block ×22, first 2 shown]
	s_waitcnt vmcnt(0)
	v_add_f64 v[4:5], v[236:237], -v[0:1]
	v_accvgpr_read_b32 v0, a118
	v_add_f64 v[6:7], v[238:239], -v[2:3]
	v_cmp_lt_u32_e32 vcc, 3, v0
	scratch_store_dwordx4 off, v[4:7], off offset:80
	s_and_saveexec_b64 s[0:1], vcc
	s_cbranch_execz .LBB122_361
; %bb.360:
	scratch_load_dwordx4 v[2:5], off, s72
	v_mov_b32_e32 v6, 0
	v_mov_b32_e32 v7, v6
	;; [unrolled: 1-line block ×4, first 2 shown]
	v_accvgpr_read_b32 v0, a119
	scratch_store_dwordx4 off, v[6:9], off offset:64
	s_waitcnt vmcnt(1)
	ds_write_b128 v0, v[2:5]
.LBB122_361:
	s_or_b64 exec, exec, s[0:1]
	s_waitcnt lgkmcnt(0)
	; wave barrier
	scratch_load_dwordx4 v[16:19], off, off offset:80
	scratch_load_dwordx4 v[20:23], off, off offset:96
	;; [unrolled: 1-line block ×30, first 2 shown]
	v_mov_b32_e32 v2, 0
	ds_read_b128 v[84:87], v2 offset:1008
	ds_read_b128 v[96:99], v2 offset:1024
	;; [unrolled: 1-line block ×17, first 2 shown]
	scratch_load_dwordx4 a[120:123], off, off offset:560
	scratch_load_dwordx4 a[124:127], off, off offset:576
	;; [unrolled: 1-line block ×4, first 2 shown]
	ds_read_b128 v[228:231], v2 offset:1376
	ds_read_b128 v[236:239], v2 offset:1392
	scratch_load_dwordx4 a[136:139], off, off offset:624
	ds_read_b128 v[246:249], v2 offset:1408
	ds_read_b128 v[250:253], v2 offset:1424
	;; [unrolled: 1-line block ×3, first 2 shown]
	s_waitcnt vmcnt(34) lgkmcnt(14)
	v_mul_f64 v[0:1], v[84:85], v[18:19]
	s_waitcnt vmcnt(33)
	v_mul_f64 v[40:41], v[96:97], v[22:23]
	v_fmac_f64_e32 v[0:1], v[86:87], v[16:17]
	s_waitcnt vmcnt(32)
	v_mul_f64 v[42:43], v[104:105], v[26:27]
	v_fmac_f64_e32 v[40:41], v[98:99], v[20:21]
	v_add_f64 v[0:1], v[0:1], 0
	s_waitcnt vmcnt(31)
	v_mul_f64 v[48:49], v[108:109], v[30:31]
	v_fmac_f64_e32 v[42:43], v[106:107], v[24:25]
	v_add_f64 v[0:1], v[0:1], v[40:41]
	;; [unrolled: 4-line block ×6, first 2 shown]
	s_waitcnt vmcnt(26) lgkmcnt(13)
	v_mul_f64 v[206:207], v[140:141], v[62:63]
	v_fmac_f64_e32 v[204:205], v[126:127], v[52:53]
	v_add_f64 v[0:1], v[0:1], v[58:59]
	s_waitcnt vmcnt(25) lgkmcnt(12)
	v_mul_f64 v[208:209], v[152:153], v[66:67]
	v_fmac_f64_e32 v[206:207], v[142:143], v[60:61]
	v_add_f64 v[0:1], v[0:1], v[204:205]
	;; [unrolled: 4-line block ×6, first 2 shown]
	ds_read_b128 v[204:207], v2 offset:1280
	ds_read_b128 v[208:211], v2 offset:1296
	s_waitcnt vmcnt(20) lgkmcnt(9)
	v_mul_f64 v[218:219], v[192:193], v[90:91]
	v_fmac_f64_e32 v[216:217], v[190:191], v[80:81]
	v_add_f64 v[0:1], v[0:1], v[214:215]
	s_waitcnt vmcnt(19) lgkmcnt(8)
	v_mul_f64 v[220:221], v[196:197], v[94:95]
	v_fmac_f64_e32 v[218:219], v[194:195], v[88:89]
	v_add_f64 v[0:1], v[0:1], v[216:217]
	v_fmac_f64_e32 v[220:221], v[198:199], v[92:93]
	v_add_f64 v[0:1], v[0:1], v[218:219]
	s_waitcnt vmcnt(18) lgkmcnt(7)
	v_mul_f64 v[40:41], v[200:201], v[102:103]
	ds_read_b128 v[212:215], v2 offset:1312
	ds_read_b128 v[216:219], v2 offset:1328
	v_add_f64 v[0:1], v[0:1], v[220:221]
	v_fmac_f64_e32 v[40:41], v[202:203], v[100:101]
	v_add_f64 v[0:1], v[0:1], v[40:41]
	s_waitcnt vmcnt(17) lgkmcnt(3)
	v_mul_f64 v[40:41], v[204:205], v[130:131]
	v_fmac_f64_e32 v[40:41], v[206:207], v[128:129]
	ds_read_b128 v[220:223], v2 offset:1344
	v_add_f64 v[0:1], v[0:1], v[40:41]
	s_waitcnt vmcnt(16) lgkmcnt(3)
	v_mul_f64 v[40:41], v[208:209], v[134:135]
	v_fmac_f64_e32 v[40:41], v[210:211], v[132:133]
	s_waitcnt vmcnt(15) lgkmcnt(2)
	v_mul_f64 v[48:49], v[212:213], v[138:139]
	v_add_f64 v[0:1], v[0:1], v[40:41]
	v_fmac_f64_e32 v[48:49], v[214:215], v[136:137]
	s_waitcnt vmcnt(14) lgkmcnt(1)
	v_mul_f64 v[56:57], v[216:217], v[146:147]
	v_add_f64 v[0:1], v[0:1], v[48:49]
	v_fmac_f64_e32 v[56:57], v[218:219], v[144:145]
	v_add_f64 v[0:1], v[0:1], v[56:57]
	s_waitcnt vmcnt(13) lgkmcnt(0)
	v_mul_f64 v[56:57], v[220:221], v[150:151]
	v_fmac_f64_e32 v[56:57], v[222:223], v[148:149]
	v_add_f64 v[0:1], v[0:1], v[56:57]
	s_waitcnt vmcnt(12)
	v_mul_f64 v[56:57], v[224:225], v[158:159]
	v_fmac_f64_e32 v[56:57], v[226:227], v[156:157]
	s_waitcnt vmcnt(11)
	v_mul_f64 v[232:233], v[228:229], v[162:163]
	v_add_f64 v[0:1], v[0:1], v[56:57]
	v_fmac_f64_e32 v[232:233], v[230:231], v[160:161]
	v_add_f64 v[0:1], v[0:1], v[232:233]
	s_waitcnt vmcnt(10)
	v_mul_f64 v[232:233], v[236:237], v[170:171]
	v_mul_f64 v[18:19], v[86:87], v[18:19]
	v_fmac_f64_e32 v[232:233], v[238:239], v[168:169]
	v_fma_f64 v[240:241], v[84:85], v[16:17], -v[18:19]
	s_waitcnt vmcnt(9)
	v_mul_f64 v[84:85], v[246:247], v[174:175]
	v_add_f64 v[0:1], v[0:1], v[232:233]
	v_fmac_f64_e32 v[84:85], v[248:249], v[172:173]
	v_add_f64 v[0:1], v[0:1], v[84:85]
	ds_read_b128 v[84:87], v2 offset:1440
	scratch_load_dwordx4 v[56:59], off, off offset:640
	scratch_load_dwordx4 v[40:43], off, off offset:656
	scratch_load_dwordx4 v[48:51], off, off offset:672
	v_mul_f64 v[30:31], v[110:111], v[30:31]
	v_mul_f64 v[22:23], v[98:99], v[22:23]
	;; [unrolled: 1-line block ×3, first 2 shown]
	v_fma_f64 v[254:255], v[108:109], v[28:29], -v[30:31]
	s_waitcnt vmcnt(11)
	v_mul_f64 v[28:29], v[250:251], v[182:183]
	v_fma_f64 v[242:243], v[96:97], v[20:21], -v[22:23]
	v_fma_f64 v[244:245], v[104:105], v[24:25], -v[26:27]
	v_fmac_f64_e32 v[28:29], v[252:253], v[180:181]
	ds_read_b128 v[104:107], v2 offset:1472
	s_waitcnt vmcnt(10) lgkmcnt(1)
	v_mul_f64 v[96:97], v[84:85], v[6:7]
	v_add_f64 v[0:1], v[0:1], v[28:29]
	v_fmac_f64_e32 v[96:97], v[86:87], v[4:5]
	v_add_f64 v[0:1], v[0:1], v[96:97]
	ds_read_b128 v[96:99], v2 offset:1456
	v_mul_f64 v[34:35], v[114:115], v[34:35]
	v_accvgpr_write_b32 a143, v7
	v_mul_f64 v[38:39], v[118:119], v[38:39]
	v_fma_f64 v[232:233], v[112:113], v[32:33], -v[34:35]
	v_accvgpr_write_b32 a142, v6
	v_accvgpr_write_b32 a141, v5
	;; [unrolled: 1-line block ×3, first 2 shown]
	v_fma_f64 v[32:33], v[116:117], v[36:37], -v[38:39]
	scratch_load_dwordx4 v[36:39], off, off offset:688
	v_mul_f64 v[6:7], v[122:123], v[46:47]
	v_mul_f64 v[46:47], v[126:127], v[54:55]
	v_fma_f64 v[28:29], v[120:121], v[44:45], -v[6:7]
	v_fma_f64 v[24:25], v[124:125], v[52:53], -v[46:47]
	scratch_load_dwordx4 v[52:55], off, off offset:704
	ds_read_b128 v[112:115], v2 offset:1504
	s_waitcnt vmcnt(11) lgkmcnt(1)
	v_mul_f64 v[44:45], v[96:97], v[10:11]
	v_fmac_f64_e32 v[44:45], v[98:99], v[8:9]
	v_add_f64 v[0:1], v[0:1], v[44:45]
	scratch_load_dwordx4 v[44:47], off, off offset:720
	s_waitcnt vmcnt(11)
	v_mov_b64_e32 v[4:5], v[12:13]
	v_mov_b64_e32 v[6:7], v[14:15]
	v_accvgpr_write_b32 a147, v11
	v_mul_f64 v[108:109], v[104:105], v[6:7]
	v_accvgpr_write_b32 a146, v10
	v_accvgpr_write_b32 a145, v9
	;; [unrolled: 1-line block ×3, first 2 shown]
	v_mul_f64 v[10:11], v[142:143], v[62:63]
	v_fmac_f64_e32 v[108:109], v[106:107], v[4:5]
	v_fma_f64 v[20:21], v[140:141], v[60:61], -v[10:11]
	scratch_load_dwordx4 v[60:63], off, off offset:736
	v_add_f64 v[0:1], v[0:1], v[108:109]
	ds_read_b128 v[108:111], v2 offset:1488
	v_mul_f64 v[66:67], v[154:155], v[66:67]
	v_fma_f64 v[16:17], v[152:153], v[64:65], -v[66:67]
	scratch_load_dwordx4 v[64:67], off, off offset:752
	s_waitcnt vmcnt(12)
	v_accvgpr_read_b32 v4, a120
	v_accvgpr_write_b32 a151, v15
	v_accvgpr_read_b32 v6, a122
	v_accvgpr_read_b32 v7, a123
	v_accvgpr_write_b32 a150, v14
	v_accvgpr_write_b32 a149, v13
	;; [unrolled: 1-line block ×3, first 2 shown]
	v_mul_f64 v[14:15], v[166:167], v[70:71]
	v_accvgpr_read_b32 v5, a121
	s_waitcnt lgkmcnt(0)
	v_mul_f64 v[116:117], v[108:109], v[6:7]
	v_fma_f64 v[14:15], v[164:165], v[68:69], -v[14:15]
	v_mul_f64 v[68:69], v[178:179], v[74:75]
	v_fmac_f64_e32 v[116:117], v[110:111], v[4:5]
	s_waitcnt vmcnt(11)
	v_accvgpr_read_b32 v4, a124
	v_fma_f64 v[12:13], v[176:177], v[72:73], -v[68:69]
	scratch_load_dwordx4 v[68:71], off, off offset:768
	v_accvgpr_read_b32 v6, a126
	v_accvgpr_read_b32 v7, a127
	;; [unrolled: 1-line block ×3, first 2 shown]
	v_mul_f64 v[18:19], v[112:113], v[6:7]
	v_add_f64 v[0:1], v[0:1], v[116:117]
	v_fmac_f64_e32 v[18:19], v[114:115], v[4:5]
	scratch_load_dwordx4 v[72:75], off, off offset:784
	v_add_f64 v[0:1], v[0:1], v[18:19]
	v_mul_f64 v[18:19], v[186:187], v[78:79]
	v_fma_f64 v[18:19], v[184:185], v[76:77], -v[18:19]
	ds_read_b128 v[116:119], v2 offset:1520
	v_mul_f64 v[76:77], v[190:191], v[82:83]
	v_fma_f64 v[184:185], v[188:189], v[80:81], -v[76:77]
	scratch_load_dwordx4 v[80:83], off, off offset:800
	scratch_load_dwordx4 v[76:79], off, off offset:816
	ds_read_b128 v[120:123], v2 offset:1536
	s_waitcnt vmcnt(14)
	v_accvgpr_read_b32 v4, a128
	v_mul_f64 v[90:91], v[194:195], v[90:91]
	v_accvgpr_read_b32 v6, a130
	v_accvgpr_read_b32 v7, a131
	v_fma_f64 v[186:187], v[192:193], v[88:89], -v[90:91]
	v_accvgpr_read_b32 v5, a129
	s_waitcnt lgkmcnt(1)
	v_mul_f64 v[88:89], v[116:117], v[6:7]
	v_fmac_f64_e32 v[88:89], v[118:119], v[4:5]
	s_waitcnt vmcnt(13)
	v_accvgpr_read_b32 v4, a132
	v_add_f64 v[0:1], v[0:1], v[88:89]
	v_mul_f64 v[88:89], v[198:199], v[94:95]
	v_mul_f64 v[22:23], v[202:203], v[102:103]
	v_accvgpr_read_b32 v6, a134
	v_accvgpr_read_b32 v7, a135
	v_fma_f64 v[10:11], v[196:197], v[92:93], -v[88:89]
	scratch_load_dwordx4 v[92:95], off, off offset:832
	scratch_load_dwordx4 v[88:91], off, off offset:848
	v_fma_f64 v[22:23], v[200:201], v[100:101], -v[22:23]
	v_accvgpr_read_b32 v5, a133
	s_waitcnt lgkmcnt(0)
	v_mul_f64 v[100:101], v[120:121], v[6:7]
	v_fmac_f64_e32 v[100:101], v[122:123], v[4:5]
	v_add_f64 v[0:1], v[0:1], v[100:101]
	v_mul_f64 v[100:101], v[206:207], v[130:131]
	v_fma_f64 v[8:9], v[204:205], v[128:129], -v[100:101]
	scratch_load_dwordx4 v[100:103], off, off offset:864
	ds_read_b128 v[124:127], v2 offset:1552
	ds_read_b128 v[128:131], v2 offset:1568
	s_waitcnt vmcnt(15)
	v_accvgpr_read_b32 v4, a136
	v_accvgpr_read_b32 v6, a138
	;; [unrolled: 1-line block ×4, first 2 shown]
	s_waitcnt lgkmcnt(1)
	v_mul_f64 v[26:27], v[124:125], v[6:7]
	v_fmac_f64_e32 v[26:27], v[126:127], v[4:5]
	v_add_f64 v[0:1], v[0:1], v[26:27]
	v_mul_f64 v[26:27], v[210:211], v[134:135]
	v_fma_f64 v[26:27], v[208:209], v[132:133], -v[26:27]
	ds_read_b128 v[132:135], v2 offset:1584
	v_mul_f64 v[138:139], v[214:215], v[138:139]
	v_fma_f64 v[6:7], v[212:213], v[136:137], -v[138:139]
	ds_read_b128 v[136:139], v2 offset:1600
	s_waitcnt vmcnt(14) lgkmcnt(2)
	v_mul_f64 v[140:141], v[128:129], v[58:59]
	v_fmac_f64_e32 v[140:141], v[130:131], v[56:57]
	s_waitcnt vmcnt(13) lgkmcnt(1)
	v_mul_f64 v[30:31], v[132:133], v[42:43]
	v_add_f64 v[0:1], v[0:1], v[140:141]
	v_fmac_f64_e32 v[30:31], v[134:135], v[40:41]
	v_add_f64 v[0:1], v[0:1], v[30:31]
	s_waitcnt vmcnt(12) lgkmcnt(0)
	v_mul_f64 v[30:31], v[136:137], v[50:51]
	v_fmac_f64_e32 v[30:31], v[138:139], v[48:49]
	ds_read_b128 v[140:143], v2 offset:1616
	v_add_f64 v[0:1], v[0:1], v[30:31]
	v_mul_f64 v[30:31], v[218:219], v[146:147]
	v_fma_f64 v[30:31], v[216:217], v[144:145], -v[30:31]
	ds_read_b128 v[144:147], v2 offset:1632
	v_mul_f64 v[150:151], v[222:223], v[150:151]
	v_fma_f64 v[4:5], v[220:221], v[148:149], -v[150:151]
	ds_read_b128 v[148:151], v2 offset:1648
	s_waitcnt vmcnt(11) lgkmcnt(2)
	v_mul_f64 v[152:153], v[140:141], v[38:39]
	v_fmac_f64_e32 v[152:153], v[142:143], v[36:37]
	s_waitcnt vmcnt(10) lgkmcnt(1)
	v_mul_f64 v[34:35], v[144:145], v[54:55]
	v_add_f64 v[0:1], v[0:1], v[152:153]
	v_fmac_f64_e32 v[34:35], v[146:147], v[52:53]
	v_add_f64 v[0:1], v[0:1], v[34:35]
	ds_read_b128 v[152:155], v2 offset:1664
	s_waitcnt vmcnt(9) lgkmcnt(1)
	v_mul_f64 v[34:35], v[148:149], v[46:47]
	v_fmac_f64_e32 v[34:35], v[150:151], v[44:45]
	v_add_f64 v[0:1], v[0:1], v[34:35]
	v_mul_f64 v[34:35], v[226:227], v[158:159]
	v_fma_f64 v[34:35], v[224:225], v[156:157], -v[34:35]
	ds_read_b128 v[156:159], v2 offset:1680
	s_waitcnt vmcnt(8) lgkmcnt(1)
	v_mul_f64 v[164:165], v[152:153], v[62:63]
	v_fmac_f64_e32 v[164:165], v[154:155], v[60:61]
	v_mul_f64 v[162:163], v[230:231], v[162:163]
	v_fma_f64 v[234:235], v[228:229], v[160:161], -v[162:163]
	ds_read_b128 v[160:163], v2 offset:1696
	v_add_f64 v[0:1], v[0:1], v[164:165]
	s_waitcnt vmcnt(7) lgkmcnt(1)
	v_mul_f64 v[164:165], v[156:157], v[66:67]
	v_fmac_f64_e32 v[164:165], v[158:159], v[64:65]
	v_add_f64 v[0:1], v[0:1], v[164:165]
	ds_read_b128 v[164:167], v2 offset:1712
	v_mul_f64 v[170:171], v[238:239], v[170:171]
	v_fma_f64 v[236:237], v[236:237], v[168:169], -v[170:171]
	ds_read_b128 v[168:171], v2 offset:1728
	s_waitcnt vmcnt(6) lgkmcnt(2)
	v_mul_f64 v[176:177], v[160:161], v[70:71]
	v_fmac_f64_e32 v[176:177], v[162:163], v[68:69]
	v_add_f64 v[0:1], v[0:1], v[176:177]
	s_waitcnt vmcnt(5) lgkmcnt(1)
	v_mul_f64 v[176:177], v[164:165], v[74:75]
	v_fmac_f64_e32 v[176:177], v[166:167], v[72:73]
	v_mul_f64 v[174:175], v[248:249], v[174:175]
	v_add_f64 v[0:1], v[0:1], v[176:177]
	v_fma_f64 v[238:239], v[246:247], v[172:173], -v[174:175]
	ds_read_b128 v[172:175], v2 offset:1744
	s_waitcnt vmcnt(4) lgkmcnt(1)
	v_mul_f64 v[176:177], v[168:169], v[82:83]
	v_fmac_f64_e32 v[176:177], v[170:171], v[80:81]
	v_add_f64 v[0:1], v[0:1], v[176:177]
	ds_read_b128 v[176:179], v2 offset:1760
	v_mul_f64 v[182:183], v[252:253], v[182:183]
	v_fma_f64 v[246:247], v[250:251], v[180:181], -v[182:183]
	ds_read_b128 v[180:183], v2 offset:1776
	ds_read_b128 v[250:253], v2 offset:1792
	s_waitcnt vmcnt(3) lgkmcnt(3)
	v_mul_f64 v[188:189], v[172:173], v[78:79]
	v_fmac_f64_e32 v[188:189], v[174:175], v[76:77]
	v_add_f64 v[0:1], v[0:1], v[188:189]
	s_waitcnt vmcnt(2) lgkmcnt(2)
	v_mul_f64 v[188:189], v[176:177], v[94:95]
	v_fmac_f64_e32 v[188:189], v[178:179], v[92:93]
	v_add_f64 v[0:1], v[0:1], v[188:189]
	;; [unrolled: 4-line block ×4, first 2 shown]
	scratch_load_dwordx4 v[188:191], off, off offset:880
	ds_read_b128 v[192:195], v2 offset:1808
	ds_read_b128 v[200:203], v2 offset:1824
	ds_read_b128 v[208:211], v2 offset:1840
	ds_read_b128 v[216:219], v2 offset:1856
	ds_read_b128 v[224:227], v2 offset:1872
	s_waitcnt vmcnt(0) lgkmcnt(4)
	v_mul_f64 v[196:197], v[192:193], v[190:191]
	v_fmac_f64_e32 v[196:197], v[194:195], v[188:189]
	v_add_f64 v[0:1], v[0:1], v[196:197]
	scratch_load_dwordx4 v[196:199], off, off offset:896
	s_waitcnt vmcnt(0) lgkmcnt(3)
	v_mul_f64 v[204:205], v[200:201], v[198:199]
	v_fmac_f64_e32 v[204:205], v[202:203], v[196:197]
	v_add_f64 v[0:1], v[0:1], v[204:205]
	scratch_load_dwordx4 v[204:207], off, off offset:912
	;; [unrolled: 5-line block ×4, first 2 shown]
	s_waitcnt vmcnt(0) lgkmcnt(0)
	v_mul_f64 v[228:229], v[224:225], v[222:223]
	v_fmac_f64_e32 v[228:229], v[226:227], v[220:221]
	v_add_f64 v[0:1], v[0:1], v[228:229]
	v_add_f64 v[228:229], v[240:241], 0
	;; [unrolled: 1-line block ×9, first 2 shown]
	scratch_load_dwordx4 v[228:231], off, off offset:64
	v_add_f64 v[20:21], v[24:25], v[20:21]
	v_add_f64 v[16:17], v[20:21], v[16:17]
	;; [unrolled: 1-line block ×15, first 2 shown]
	v_accvgpr_read_b32 v8, a140
	v_add_f64 v[4:5], v[248:249], v[234:235]
	v_accvgpr_read_b32 v10, a142
	v_accvgpr_read_b32 v11, a143
	v_add_f64 v[4:5], v[4:5], v[236:237]
	v_accvgpr_read_b32 v9, a141
	v_mul_f64 v[6:7], v[86:87], v[10:11]
	v_add_f64 v[4:5], v[4:5], v[238:239]
	v_fma_f64 v[6:7], v[84:85], v[8:9], -v[6:7]
	v_accvgpr_read_b32 v8, a144
	v_add_f64 v[4:5], v[4:5], v[246:247]
	v_accvgpr_read_b32 v10, a146
	v_accvgpr_read_b32 v11, a147
	v_add_f64 v[4:5], v[4:5], v[6:7]
	v_accvgpr_read_b32 v9, a145
	v_mul_f64 v[6:7], v[98:99], v[10:11]
	v_fma_f64 v[6:7], v[96:97], v[8:9], -v[6:7]
	v_accvgpr_read_b32 v8, a148
	v_accvgpr_read_b32 v10, a150
	v_accvgpr_read_b32 v11, a151
	v_add_f64 v[4:5], v[4:5], v[6:7]
	v_accvgpr_read_b32 v9, a149
	v_mul_f64 v[6:7], v[106:107], v[10:11]
	v_fma_f64 v[6:7], v[104:105], v[8:9], -v[6:7]
	v_accvgpr_read_b32 v8, a120
	;; [unrolled: 7-line block ×6, first 2 shown]
	v_accvgpr_read_b32 v10, a138
	v_accvgpr_read_b32 v11, a139
	v_add_f64 v[4:5], v[4:5], v[6:7]
	v_accvgpr_read_b32 v9, a137
	v_mul_f64 v[6:7], v[126:127], v[10:11]
	v_fma_f64 v[6:7], v[124:125], v[8:9], -v[6:7]
	v_add_f64 v[4:5], v[4:5], v[6:7]
	v_mul_f64 v[6:7], v[130:131], v[58:59]
	v_fma_f64 v[6:7], v[128:129], v[56:57], -v[6:7]
	v_add_f64 v[4:5], v[4:5], v[6:7]
	;; [unrolled: 3-line block ×21, first 2 shown]
	s_waitcnt vmcnt(0)
	v_add_f64 v[6:7], v[230:231], -v[0:1]
	v_accvgpr_read_b32 v0, a118
	v_add_f64 v[4:5], v[228:229], -v[4:5]
	v_cmp_lt_u32_e32 vcc, 2, v0
	scratch_store_dwordx4 off, v[4:7], off offset:64
	s_and_saveexec_b64 s[0:1], vcc
	s_cbranch_execz .LBB122_363
; %bb.362:
	scratch_load_dwordx4 v[6:9], off, s73
	v_mov_b32_e32 v3, v2
	v_mov_b32_e32 v4, v2
	;; [unrolled: 1-line block ×3, first 2 shown]
	v_accvgpr_read_b32 v0, a119
	scratch_store_dwordx4 off, v[2:5], off offset:48
	s_waitcnt vmcnt(1)
	ds_write_b128 v0, v[6:9]
.LBB122_363:
	s_or_b64 exec, exec, s[0:1]
	s_waitcnt lgkmcnt(0)
	; wave barrier
	scratch_load_dwordx4 v[16:19], off, off offset:64
	scratch_load_dwordx4 v[20:23], off, off offset:80
	;; [unrolled: 1-line block ×17, first 2 shown]
	ds_read_b128 v[112:115], v2 offset:992
	ds_read_b128 v[96:99], v2 offset:1008
	ds_read_b128 v[84:87], v2 offset:1024
	scratch_load_dwordx4 v[120:123], off, off offset:336
	ds_read_b128 v[184:187], v2 offset:1040
	ds_read_b128 v[140:143], v2 offset:1056
	ds_read_b128 v[104:107], v2 offset:1072
	scratch_load_dwordx4 v[132:135], off, off offset:352
	;; [unrolled: 4-line block ×3, first 2 shown]
	ds_read_b128 v[200:203], v2 offset:1136
	ds_read_b128 v[192:195], v2 offset:1152
	ds_read_b128 v[176:179], v2 offset:1168
	ds_read_b128 v[116:119], v2 offset:1184
	ds_read_b128 v[124:127], v2 offset:1200
	scratch_load_dwordx4 v[144:147], off, off offset:384
	ds_read_b128 v[180:183], v2 offset:1216
	ds_read_b128 v[152:155], v2 offset:1232
	;; [unrolled: 1-line block ×3, first 2 shown]
	scratch_load_dwordx4 v[148:151], off, off offset:400
	scratch_load_dwordx4 v[156:159], off, off offset:416
	scratch_load_dwordx4 v[160:163], off, off offset:432
	scratch_load_dwordx4 v[168:171], off, off offset:448
	scratch_load_dwordx4 v[172:175], off, off offset:464
	scratch_load_dwordx4 v[196:199], off, off offset:480
	scratch_load_dwordx4 v[4:7], off, off offset:496
	scratch_load_dwordx4 v[8:11], off, off offset:512
	scratch_load_dwordx4 v[12:15], off, off offset:528
	scratch_load_dwordx4 a[120:123], off, off offset:544
	scratch_load_dwordx4 a[124:127], off, off offset:560
	scratch_load_dwordx4 a[128:131], off, off offset:576
	scratch_load_dwordx4 a[132:135], off, off offset:592
	ds_read_b128 v[204:207], v2 offset:1264
	scratch_load_dwordx4 a[136:139], off, off offset:608
	scratch_load_dwordx4 a[140:143], off, off offset:624
	ds_read_b128 v[228:231], v2 offset:1360
	ds_read_b128 v[232:235], v2 offset:1376
	;; [unrolled: 1-line block ×4, first 2 shown]
	s_waitcnt vmcnt(35) lgkmcnt(14)
	v_mul_f64 v[0:1], v[112:113], v[18:19]
	s_waitcnt vmcnt(34)
	v_mul_f64 v[48:49], v[96:97], v[22:23]
	v_fmac_f64_e32 v[0:1], v[114:115], v[16:17]
	s_waitcnt vmcnt(33)
	v_mul_f64 v[50:51], v[84:85], v[26:27]
	v_fmac_f64_e32 v[48:49], v[98:99], v[20:21]
	v_add_f64 v[0:1], v[0:1], 0
	s_waitcnt vmcnt(32)
	v_mul_f64 v[56:57], v[184:185], v[30:31]
	v_fmac_f64_e32 v[50:51], v[86:87], v[24:25]
	v_add_f64 v[0:1], v[0:1], v[48:49]
	;; [unrolled: 4-line block ×6, first 2 shown]
	s_waitcnt vmcnt(27) lgkmcnt(13)
	v_mul_f64 v[210:211], v[108:109], v[54:55]
	v_fmac_f64_e32 v[208:209], v[166:167], v[44:45]
	v_add_f64 v[0:1], v[0:1], v[66:67]
	s_waitcnt vmcnt(26) lgkmcnt(12)
	v_mul_f64 v[212:213], v[200:201], v[62:63]
	v_fmac_f64_e32 v[210:211], v[110:111], v[52:53]
	v_add_f64 v[0:1], v[0:1], v[208:209]
	;; [unrolled: 4-line block ×8, first 2 shown]
	ds_read_b128 v[208:211], v2 offset:1280
	v_fmac_f64_e32 v[224:225], v[154:155], v[92:93]
	v_add_f64 v[0:1], v[0:1], v[222:223]
	s_waitcnt vmcnt(19) lgkmcnt(6)
	v_mul_f64 v[48:49], v[128:129], v[102:103]
	ds_read_b128 v[212:215], v2 offset:1296
	ds_read_b128 v[216:219], v2 offset:1312
	v_add_f64 v[0:1], v[0:1], v[224:225]
	v_fmac_f64_e32 v[48:49], v[130:131], v[100:101]
	v_add_f64 v[0:1], v[0:1], v[48:49]
	s_waitcnt vmcnt(18) lgkmcnt(7)
	v_mul_f64 v[48:49], v[204:205], v[122:123]
	v_fmac_f64_e32 v[48:49], v[206:207], v[120:121]
	ds_read_b128 v[220:223], v2 offset:1328
	ds_read_b128 v[224:227], v2 offset:1344
	v_add_f64 v[0:1], v[0:1], v[48:49]
	s_waitcnt vmcnt(17) lgkmcnt(4)
	v_mul_f64 v[48:49], v[208:209], v[134:135]
	v_fmac_f64_e32 v[48:49], v[210:211], v[132:133]
	s_waitcnt vmcnt(16) lgkmcnt(3)
	v_mul_f64 v[56:57], v[212:213], v[138:139]
	v_add_f64 v[0:1], v[0:1], v[48:49]
	v_fmac_f64_e32 v[56:57], v[214:215], v[136:137]
	s_waitcnt vmcnt(15) lgkmcnt(2)
	v_mul_f64 v[64:65], v[216:217], v[146:147]
	v_add_f64 v[0:1], v[0:1], v[56:57]
	v_fmac_f64_e32 v[64:65], v[218:219], v[144:145]
	v_add_f64 v[0:1], v[0:1], v[64:65]
	s_waitcnt vmcnt(14) lgkmcnt(1)
	v_mul_f64 v[64:65], v[220:221], v[150:151]
	v_fmac_f64_e32 v[64:65], v[222:223], v[148:149]
	v_add_f64 v[0:1], v[0:1], v[64:65]
	s_waitcnt vmcnt(13) lgkmcnt(0)
	v_mul_f64 v[64:65], v[224:225], v[158:159]
	v_fmac_f64_e32 v[64:65], v[226:227], v[156:157]
	v_mul_f64 v[30:31], v[186:187], v[30:31]
	v_add_f64 v[0:1], v[0:1], v[64:65]
	v_fma_f64 v[252:253], v[184:185], v[28:29], -v[30:31]
	scratch_load_dwordx4 v[64:67], off, off offset:640
	scratch_load_dwordx4 v[184:187], off, off offset:656
	s_waitcnt vmcnt(14)
	v_mul_f64 v[240:241], v[228:229], v[162:163]
	v_mul_f64 v[26:27], v[86:87], v[26:27]
	v_fmac_f64_e32 v[240:241], v[230:231], v[160:161]
	v_fma_f64 v[244:245], v[84:85], v[24:25], -v[26:27]
	ds_read_b128 v[84:87], v2 offset:1424
	v_add_f64 v[0:1], v[0:1], v[240:241]
	s_waitcnt vmcnt(13)
	v_mul_f64 v[240:241], v[232:233], v[170:171]
	v_fmac_f64_e32 v[240:241], v[234:235], v[168:169]
	v_mul_f64 v[18:19], v[114:115], v[18:19]
	v_add_f64 v[0:1], v[0:1], v[240:241]
	v_fma_f64 v[240:241], v[112:113], v[16:17], -v[18:19]
	s_waitcnt vmcnt(12)
	v_mul_f64 v[112:113], v[236:237], v[174:175]
	v_fmac_f64_e32 v[112:113], v[238:239], v[172:173]
	v_mul_f64 v[22:23], v[98:99], v[22:23]
	s_waitcnt vmcnt(11)
	v_mul_f64 v[28:29], v[248:249], v[198:199]
	v_mul_f64 v[38:39], v[106:107], v[38:39]
	v_add_f64 v[0:1], v[0:1], v[112:113]
	v_fma_f64 v[242:243], v[96:97], v[20:21], -v[22:23]
	v_fmac_f64_e32 v[28:29], v[250:251], v[196:197]
	v_fma_f64 v[246:247], v[104:105], v[36:37], -v[38:39]
	ds_read_b128 v[104:107], v2 offset:1456
	s_waitcnt vmcnt(10) lgkmcnt(1)
	v_mul_f64 v[96:97], v[84:85], v[6:7]
	v_add_f64 v[0:1], v[0:1], v[28:29]
	v_fmac_f64_e32 v[96:97], v[86:87], v[4:5]
	scratch_load_dwordx4 v[56:59], off, off offset:672
	v_mul_f64 v[42:43], v[190:191], v[42:43]
	v_add_f64 v[0:1], v[0:1], v[96:97]
	ds_read_b128 v[96:99], v2 offset:1440
	ds_read_b128 v[112:115], v2 offset:1488
	v_fma_f64 v[42:43], v[188:189], v[40:41], -v[42:43]
	v_mul_f64 v[40:41], v[166:167], v[46:47]
	v_fma_f64 v[36:37], v[164:165], v[44:45], -v[40:41]
	scratch_load_dwordx4 v[44:47], off, off offset:688
	v_accvgpr_write_b32 a147, v7
	v_accvgpr_write_b32 a146, v6
	;; [unrolled: 1-line block ×4, first 2 shown]
	s_waitcnt vmcnt(11) lgkmcnt(1)
	v_mul_f64 v[6:7], v[96:97], v[10:11]
	v_fmac_f64_e32 v[6:7], v[98:99], v[8:9]
	v_accvgpr_write_b32 a151, v11
	v_mul_f64 v[34:35], v[142:143], v[34:35]
	v_accvgpr_write_b32 a150, v10
	v_accvgpr_write_b32 a149, v9
	;; [unrolled: 1-line block ×3, first 2 shown]
	v_add_f64 v[0:1], v[0:1], v[6:7]
	scratch_load_dwordx4 v[48:51], off, off offset:704
	v_mul_f64 v[6:7], v[110:111], v[54:55]
	s_waitcnt vmcnt(11)
	v_mul_f64 v[10:11], v[104:105], v[14:15]
	v_fma_f64 v[254:255], v[140:141], v[32:33], -v[34:35]
	v_fma_f64 v[32:33], v[108:109], v[52:53], -v[6:7]
	v_fmac_f64_e32 v[10:11], v[106:107], v[12:13]
	scratch_load_dwordx4 v[52:55], off, off offset:720
	v_add_f64 v[0:1], v[0:1], v[10:11]
	v_mul_f64 v[10:11], v[202:203], v[62:63]
	ds_read_b128 v[108:111], v2 offset:1472
	v_fma_f64 v[28:29], v[200:201], v[60:61], -v[10:11]
	scratch_load_dwordx4 v[60:63], off, off offset:736
	v_mul_f64 v[70:71], v[194:195], v[70:71]
	v_fma_f64 v[24:25], v[192:193], v[68:69], -v[70:71]
	v_mul_f64 v[68:69], v[178:179], v[74:75]
	s_waitcnt vmcnt(12)
	v_accvgpr_read_b32 v4, a120
	v_fma_f64 v[20:21], v[176:177], v[72:73], -v[68:69]
	scratch_load_dwordx4 v[68:71], off, off offset:752
	v_accvgpr_write_b32 a155, v15
	v_accvgpr_read_b32 v6, a122
	v_accvgpr_read_b32 v7, a123
	v_accvgpr_write_b32 a154, v14
	v_accvgpr_write_b32 a153, v13
	;; [unrolled: 1-line block ×3, first 2 shown]
	v_accvgpr_read_b32 v5, a121
	s_waitcnt lgkmcnt(0)
	v_mul_f64 v[14:15], v[108:109], v[6:7]
	v_fmac_f64_e32 v[14:15], v[110:111], v[4:5]
	s_waitcnt vmcnt(12)
	v_accvgpr_read_b32 v4, a124
	v_accvgpr_read_b32 v6, a126
	;; [unrolled: 1-line block ×3, first 2 shown]
	v_add_f64 v[0:1], v[0:1], v[14:15]
	v_accvgpr_read_b32 v5, a125
	v_mul_f64 v[14:15], v[112:113], v[6:7]
	scratch_load_dwordx4 v[72:75], off, off offset:768
	v_fmac_f64_e32 v[14:15], v[114:115], v[4:5]
	v_add_f64 v[0:1], v[0:1], v[14:15]
	v_mul_f64 v[14:15], v[118:119], v[78:79]
	v_fma_f64 v[16:17], v[116:117], v[76:77], -v[14:15]
	ds_read_b128 v[116:119], v2 offset:1504
	v_mul_f64 v[18:19], v[126:127], v[82:83]
	v_fma_f64 v[18:19], v[124:125], v[80:81], -v[18:19]
	scratch_load_dwordx4 v[80:83], off, off offset:784
	scratch_load_dwordx4 v[76:79], off, off offset:800
	s_waitcnt vmcnt(14)
	v_accvgpr_read_b32 v4, a128
	v_accvgpr_read_b32 v6, a130
	;; [unrolled: 1-line block ×4, first 2 shown]
	s_waitcnt lgkmcnt(0)
	v_mul_f64 v[22:23], v[116:117], v[6:7]
	v_fmac_f64_e32 v[22:23], v[118:119], v[4:5]
	v_mul_f64 v[90:91], v[182:183], v[90:91]
	v_add_f64 v[0:1], v[0:1], v[22:23]
	v_mul_f64 v[22:23], v[154:155], v[94:95]
	v_fma_f64 v[14:15], v[180:181], v[88:89], -v[90:91]
	ds_read_b128 v[124:127], v2 offset:1520
	v_fma_f64 v[22:23], v[152:153], v[92:93], -v[22:23]
	scratch_load_dwordx4 v[92:95], off, off offset:816
	scratch_load_dwordx4 v[88:91], off, off offset:832
	v_mul_f64 v[102:103], v[130:131], v[102:103]
	v_fma_f64 v[12:13], v[128:129], v[100:101], -v[102:103]
	scratch_load_dwordx4 v[100:103], off, off offset:848
	s_waitcnt vmcnt(16)
	v_accvgpr_read_b32 v4, a132
	v_accvgpr_read_b32 v6, a134
	;; [unrolled: 1-line block ×3, first 2 shown]
	ds_read_b128 v[128:131], v2 offset:1536
	v_accvgpr_read_b32 v5, a133
	s_waitcnt lgkmcnt(1)
	v_mul_f64 v[26:27], v[124:125], v[6:7]
	v_fmac_f64_e32 v[26:27], v[126:127], v[4:5]
	v_add_f64 v[0:1], v[0:1], v[26:27]
	v_mul_f64 v[26:27], v[206:207], v[122:123]
	v_fma_f64 v[26:27], v[204:205], v[120:121], -v[26:27]
	ds_read_b128 v[120:123], v2 offset:1552
	s_waitcnt vmcnt(15)
	v_accvgpr_read_b32 v4, a136
	v_accvgpr_read_b32 v6, a138
	;; [unrolled: 1-line block ×3, first 2 shown]
	v_mul_f64 v[134:135], v[210:211], v[134:135]
	v_accvgpr_read_b32 v5, a137
	s_waitcnt lgkmcnt(1)
	v_mul_f64 v[140:141], v[128:129], v[6:7]
	v_fma_f64 v[10:11], v[208:209], v[132:133], -v[134:135]
	ds_read_b128 v[132:135], v2 offset:1568
	v_fmac_f64_e32 v[140:141], v[130:131], v[4:5]
	s_waitcnt vmcnt(14)
	v_accvgpr_read_b32 v4, a140
	v_mul_f64 v[138:139], v[214:215], v[138:139]
	v_accvgpr_read_b32 v6, a142
	v_accvgpr_read_b32 v7, a143
	v_fma_f64 v[8:9], v[212:213], v[136:137], -v[138:139]
	ds_read_b128 v[136:139], v2 offset:1584
	v_accvgpr_read_b32 v5, a141
	s_waitcnt lgkmcnt(2)
	v_mul_f64 v[30:31], v[120:121], v[6:7]
	v_add_f64 v[0:1], v[0:1], v[140:141]
	v_fmac_f64_e32 v[30:31], v[122:123], v[4:5]
	v_add_f64 v[0:1], v[0:1], v[30:31]
	s_waitcnt vmcnt(13) lgkmcnt(1)
	v_mul_f64 v[30:31], v[132:133], v[66:67]
	s_waitcnt vmcnt(12)
	v_mov_b64_e32 v[4:5], v[184:185]
	v_fmac_f64_e32 v[30:31], v[134:135], v[64:65]
	v_mov_b64_e32 v[6:7], v[186:187]
	v_add_f64 v[0:1], v[0:1], v[30:31]
	s_waitcnt lgkmcnt(0)
	v_mul_f64 v[30:31], v[136:137], v[6:7]
	v_fmac_f64_e32 v[30:31], v[138:139], v[4:5]
	ds_read_b128 v[140:143], v2 offset:1600
	v_add_f64 v[0:1], v[0:1], v[30:31]
	v_mul_f64 v[30:31], v[218:219], v[146:147]
	v_fma_f64 v[30:31], v[216:217], v[144:145], -v[30:31]
	ds_read_b128 v[144:147], v2 offset:1616
	s_waitcnt vmcnt(11) lgkmcnt(1)
	v_mul_f64 v[34:35], v[140:141], v[58:59]
	v_fmac_f64_e32 v[34:35], v[142:143], v[56:57]
	v_add_f64 v[0:1], v[0:1], v[34:35]
	v_mul_f64 v[34:35], v[222:223], v[150:151]
	s_waitcnt vmcnt(10) lgkmcnt(0)
	v_mul_f64 v[152:153], v[144:145], v[46:47]
	v_fma_f64 v[34:35], v[220:221], v[148:149], -v[34:35]
	ds_read_b128 v[148:151], v2 offset:1632
	v_fmac_f64_e32 v[152:153], v[146:147], v[44:45]
	v_add_f64 v[0:1], v[0:1], v[152:153]
	ds_read_b128 v[152:155], v2 offset:1648
	v_mul_f64 v[158:159], v[226:227], v[158:159]
	v_fma_f64 v[6:7], v[224:225], v[156:157], -v[158:159]
	ds_read_b128 v[156:159], v2 offset:1664
	v_mul_f64 v[162:163], v[230:231], v[162:163]
	s_waitcnt vmcnt(9) lgkmcnt(2)
	v_mul_f64 v[164:165], v[148:149], v[50:51]
	v_fma_f64 v[4:5], v[228:229], v[160:161], -v[162:163]
	ds_read_b128 v[160:163], v2 offset:1680
	v_fmac_f64_e32 v[164:165], v[150:151], v[48:49]
	s_waitcnt vmcnt(8) lgkmcnt(2)
	v_mul_f64 v[38:39], v[152:153], v[54:55]
	v_add_f64 v[0:1], v[0:1], v[164:165]
	v_fmac_f64_e32 v[38:39], v[154:155], v[52:53]
	v_add_f64 v[0:1], v[0:1], v[38:39]
	s_waitcnt vmcnt(7) lgkmcnt(1)
	v_mul_f64 v[38:39], v[156:157], v[62:63]
	v_fmac_f64_e32 v[38:39], v[158:159], v[60:61]
	v_add_f64 v[0:1], v[0:1], v[38:39]
	s_waitcnt vmcnt(6) lgkmcnt(0)
	v_mul_f64 v[38:39], v[160:161], v[70:71]
	ds_read_b128 v[164:167], v2 offset:1696
	v_fmac_f64_e32 v[38:39], v[162:163], v[68:69]
	v_add_f64 v[0:1], v[0:1], v[38:39]
	v_mul_f64 v[38:39], v[234:235], v[170:171]
	v_fma_f64 v[38:39], v[232:233], v[168:169], -v[38:39]
	ds_read_b128 v[168:171], v2 offset:1712
	s_waitcnt vmcnt(5) lgkmcnt(1)
	v_mul_f64 v[40:41], v[164:165], v[74:75]
	v_fmac_f64_e32 v[40:41], v[166:167], v[72:73]
	v_add_f64 v[40:41], v[0:1], v[40:41]
	v_mul_f64 v[0:1], v[238:239], v[174:175]
	v_fma_f64 v[0:1], v[236:237], v[172:173], -v[0:1]
	ds_read_b128 v[172:175], v2 offset:1728
	s_waitcnt vmcnt(4) lgkmcnt(1)
	v_mul_f64 v[176:177], v[168:169], v[82:83]
	v_fmac_f64_e32 v[176:177], v[170:171], v[80:81]
	v_add_f64 v[40:41], v[40:41], v[176:177]
	ds_read_b128 v[176:179], v2 offset:1744
	v_mul_f64 v[180:181], v[250:251], v[198:199]
	v_accvgpr_write_b32 a156, v184
	v_fma_f64 v[248:249], v[248:249], v[196:197], -v[180:181]
	ds_read_b128 v[180:183], v2 offset:1760
	ds_read_b128 v[192:195], v2 offset:1792
	v_accvgpr_write_b32 a157, v185
	v_accvgpr_write_b32 a158, v186
	;; [unrolled: 1-line block ×3, first 2 shown]
	s_waitcnt vmcnt(3) lgkmcnt(3)
	v_mul_f64 v[184:185], v[172:173], v[78:79]
	v_fmac_f64_e32 v[184:185], v[174:175], v[76:77]
	v_add_f64 v[40:41], v[40:41], v[184:185]
	s_waitcnt vmcnt(2) lgkmcnt(2)
	v_mul_f64 v[184:185], v[176:177], v[94:95]
	v_fmac_f64_e32 v[184:185], v[178:179], v[92:93]
	v_add_f64 v[40:41], v[40:41], v[184:185]
	;; [unrolled: 4-line block ×3, first 2 shown]
	ds_read_b128 v[184:187], v2 offset:1776
	ds_read_b128 v[200:203], v2 offset:1808
	scratch_load_dwordx4 v[236:239], off, off offset:48
	scratch_load_dwordx4 v[232:235], off, off offset:944
	ds_read_b128 v[208:211], v2 offset:1824
	ds_read_b128 v[216:219], v2 offset:1840
	s_waitcnt vmcnt(2) lgkmcnt(3)
	v_mul_f64 v[188:189], v[184:185], v[102:103]
	v_fmac_f64_e32 v[188:189], v[186:187], v[100:101]
	v_add_f64 v[40:41], v[40:41], v[188:189]
	scratch_load_dwordx4 v[188:191], off, off offset:864
	ds_read_b128 v[224:227], v2 offset:1856
	s_waitcnt vmcnt(0)
	v_mul_f64 v[196:197], v[192:193], v[190:191]
	v_fmac_f64_e32 v[196:197], v[194:195], v[188:189]
	v_add_f64 v[40:41], v[40:41], v[196:197]
	scratch_load_dwordx4 v[196:199], off, off offset:880
	s_waitcnt vmcnt(0) lgkmcnt(3)
	v_mul_f64 v[204:205], v[200:201], v[198:199]
	v_fmac_f64_e32 v[204:205], v[202:203], v[196:197]
	v_add_f64 v[40:41], v[40:41], v[204:205]
	scratch_load_dwordx4 v[204:207], off, off offset:896
	s_waitcnt vmcnt(0) lgkmcnt(2)
	;; [unrolled: 5-line block ×4, first 2 shown]
	v_mul_f64 v[228:229], v[224:225], v[222:223]
	v_fmac_f64_e32 v[228:229], v[226:227], v[220:221]
	v_add_f64 v[40:41], v[40:41], v[228:229]
	ds_read_b128 v[228:231], v2 offset:1872
	s_waitcnt lgkmcnt(0)
	v_mul_f64 v[2:3], v[228:229], v[234:235]
	v_fmac_f64_e32 v[2:3], v[230:231], v[232:233]
	v_add_f64 v[2:3], v[40:41], v[2:3]
	v_add_f64 v[40:41], v[240:241], 0
	;; [unrolled: 1-line block ×25, first 2 shown]
	v_accvgpr_read_b32 v6, a144
	v_accvgpr_read_b32 v8, a146
	;; [unrolled: 1-line block ×3, first 2 shown]
	v_add_f64 v[250:251], v[4:5], v[38:39]
	v_accvgpr_read_b32 v7, a145
	v_mul_f64 v[4:5], v[86:87], v[8:9]
	v_add_f64 v[0:1], v[250:251], v[0:1]
	v_fma_f64 v[4:5], v[84:85], v[6:7], -v[4:5]
	v_accvgpr_read_b32 v6, a148
	v_add_f64 v[0:1], v[0:1], v[248:249]
	v_accvgpr_read_b32 v8, a150
	v_accvgpr_read_b32 v9, a151
	v_add_f64 v[0:1], v[0:1], v[4:5]
	v_accvgpr_read_b32 v7, a149
	v_mul_f64 v[4:5], v[98:99], v[8:9]
	v_fma_f64 v[4:5], v[96:97], v[6:7], -v[4:5]
	v_accvgpr_read_b32 v6, a152
	v_accvgpr_read_b32 v8, a154
	v_accvgpr_read_b32 v9, a155
	v_add_f64 v[0:1], v[0:1], v[4:5]
	v_accvgpr_read_b32 v7, a153
	v_mul_f64 v[4:5], v[106:107], v[8:9]
	v_fma_f64 v[4:5], v[104:105], v[6:7], -v[4:5]
	v_accvgpr_read_b32 v6, a120
	;; [unrolled: 7-line block ×7, first 2 shown]
	v_accvgpr_read_b32 v8, a142
	v_accvgpr_read_b32 v9, a143
	v_add_f64 v[0:1], v[0:1], v[4:5]
	v_accvgpr_read_b32 v7, a141
	v_mul_f64 v[4:5], v[122:123], v[8:9]
	v_fma_f64 v[4:5], v[120:121], v[6:7], -v[4:5]
	v_add_f64 v[0:1], v[0:1], v[4:5]
	v_mul_f64 v[4:5], v[134:135], v[66:67]
	v_accvgpr_read_b32 v6, a156
	v_fma_f64 v[4:5], v[132:133], v[64:65], -v[4:5]
	v_accvgpr_read_b32 v8, a158
	v_accvgpr_read_b32 v9, a159
	v_add_f64 v[0:1], v[0:1], v[4:5]
	v_accvgpr_read_b32 v7, a157
	v_mul_f64 v[4:5], v[138:139], v[8:9]
	v_fma_f64 v[4:5], v[136:137], v[6:7], -v[4:5]
	v_add_f64 v[0:1], v[0:1], v[4:5]
	v_mul_f64 v[4:5], v[142:143], v[58:59]
	v_fma_f64 v[4:5], v[140:141], v[56:57], -v[4:5]
	v_add_f64 v[0:1], v[0:1], v[4:5]
	;; [unrolled: 3-line block ×19, first 2 shown]
	v_add_f64 v[4:5], v[236:237], -v[0:1]
	v_accvgpr_read_b32 v0, a118
	v_add_f64 v[6:7], v[238:239], -v[2:3]
	v_cmp_lt_u32_e32 vcc, 1, v0
	scratch_store_dwordx4 off, v[4:7], off offset:48
	s_and_saveexec_b64 s[0:1], vcc
	s_cbranch_execz .LBB122_365
; %bb.364:
	scratch_load_dwordx4 v[2:5], off, s74
	v_mov_b32_e32 v6, 0
	v_mov_b32_e32 v7, v6
	;; [unrolled: 1-line block ×4, first 2 shown]
	v_accvgpr_read_b32 v0, a119
	scratch_store_dwordx4 off, v[6:9], off offset:32
	s_waitcnt vmcnt(1)
	ds_write_b128 v0, v[2:5]
.LBB122_365:
	s_or_b64 exec, exec, s[0:1]
	s_waitcnt lgkmcnt(0)
	; wave barrier
	scratch_load_dwordx4 v[24:27], off, off offset:48
	scratch_load_dwordx4 v[28:31], off, off offset:64
	scratch_load_dwordx4 v[32:35], off, off offset:80
	scratch_load_dwordx4 v[36:39], off, off offset:96
	scratch_load_dwordx4 v[40:43], off, off offset:112
	scratch_load_dwordx4 v[44:47], off, off offset:128
	scratch_load_dwordx4 v[48:51], off, off offset:144
	scratch_load_dwordx4 v[52:55], off, off offset:160
	scratch_load_dwordx4 v[56:59], off, off offset:176
	scratch_load_dwordx4 v[60:63], off, off offset:192
	scratch_load_dwordx4 v[64:67], off, off offset:208
	scratch_load_dwordx4 v[68:71], off, off offset:224
	scratch_load_dwordx4 v[72:75], off, off offset:240
	scratch_load_dwordx4 v[76:79], off, off offset:256
	scratch_load_dwordx4 v[84:87], off, off offset:272
	scratch_load_dwordx4 v[88:91], off, off offset:288
	scratch_load_dwordx4 v[92:95], off, off offset:304
	scratch_load_dwordx4 v[120:123], off, off offset:320
	scratch_load_dwordx4 v[124:127], off, off offset:336
	scratch_load_dwordx4 v[128:131], off, off offset:352
	scratch_load_dwordx4 v[132:135], off, off offset:368
	scratch_load_dwordx4 v[136:139], off, off offset:384
	scratch_load_dwordx4 v[140:143], off, off offset:400
	scratch_load_dwordx4 v[144:147], off, off offset:416
	scratch_load_dwordx4 v[152:155], off, off offset:432
	scratch_load_dwordx4 v[156:159], off, off offset:448
	scratch_load_dwordx4 v[164:167], off, off offset:464
	scratch_load_dwordx4 v[168:171], off, off offset:480
	scratch_load_dwordx4 v[176:179], off, off offset:496
	scratch_load_dwordx4 a[120:123], off, off offset:512
	v_mov_b32_e32 v2, 0
	ds_read_b128 v[80:83], v2 offset:976
	ds_read_b128 v[96:99], v2 offset:992
	;; [unrolled: 1-line block ×17, first 2 shown]
	scratch_load_dwordx4 a[124:127], off, off offset:528
	scratch_load_dwordx4 a[128:131], off, off offset:544
	;; [unrolled: 1-line block ×6, first 2 shown]
	ds_read_b128 v[224:227], v2 offset:1312
	ds_read_b128 v[228:231], v2 offset:1328
	;; [unrolled: 1-line block ×6, first 2 shown]
	scratch_load_dwordx4 a[148:151], off, off offset:624
	ds_read_b128 v[242:245], v2 offset:1408
	ds_read_b128 v[220:223], v2 offset:1296
	s_waitcnt vmcnt(36) lgkmcnt(14)
	v_mul_f64 v[0:1], v[80:81], v[26:27]
	s_waitcnt vmcnt(35)
	v_mul_f64 v[4:5], v[96:97], v[30:31]
	v_fmac_f64_e32 v[0:1], v[82:83], v[24:25]
	s_waitcnt vmcnt(34)
	v_mul_f64 v[6:7], v[100:101], v[34:35]
	v_fmac_f64_e32 v[4:5], v[98:99], v[28:29]
	v_add_f64 v[0:1], v[0:1], 0
	s_waitcnt vmcnt(33)
	v_mul_f64 v[8:9], v[104:105], v[38:39]
	v_fmac_f64_e32 v[6:7], v[102:103], v[32:33]
	v_add_f64 v[0:1], v[0:1], v[4:5]
	;; [unrolled: 4-line block ×9, first 2 shown]
	s_waitcnt vmcnt(25) lgkmcnt(13)
	v_mul_f64 v[208:209], v[184:185], v[70:71]
	v_fmac_f64_e32 v[22:23], v[182:183], v[64:65]
	v_add_f64 v[0:1], v[0:1], v[20:21]
	s_waitcnt vmcnt(24) lgkmcnt(12)
	v_mul_f64 v[210:211], v[188:189], v[74:75]
	v_fmac_f64_e32 v[208:209], v[186:187], v[68:69]
	v_add_f64 v[0:1], v[0:1], v[22:23]
	;; [unrolled: 4-line block ×4, first 2 shown]
	ds_read_b128 v[208:211], v2 offset:1248
	v_fmac_f64_e32 v[214:215], v[198:199], v[84:85]
	v_add_f64 v[0:1], v[0:1], v[212:213]
	s_waitcnt vmcnt(21) lgkmcnt(10)
	v_mul_f64 v[216:217], v[200:201], v[90:91]
	v_add_f64 v[0:1], v[0:1], v[214:215]
	ds_read_b128 v[212:215], v2 offset:1264
	v_fmac_f64_e32 v[216:217], v[202:203], v[88:89]
	s_waitcnt vmcnt(20) lgkmcnt(10)
	v_mul_f64 v[4:5], v[204:205], v[94:95]
	v_add_f64 v[0:1], v[0:1], v[216:217]
	v_fmac_f64_e32 v[4:5], v[206:207], v[92:93]
	ds_read_b128 v[216:219], v2 offset:1280
	v_add_f64 v[0:1], v[0:1], v[4:5]
	s_waitcnt vmcnt(19) lgkmcnt(2)
	v_mul_f64 v[4:5], v[208:209], v[122:123]
	v_fmac_f64_e32 v[4:5], v[210:211], v[120:121]
	v_add_f64 v[0:1], v[0:1], v[4:5]
	s_waitcnt vmcnt(18) lgkmcnt(1)
	v_mul_f64 v[4:5], v[212:213], v[126:127]
	v_fmac_f64_e32 v[4:5], v[214:215], v[124:125]
	;; [unrolled: 4-line block ×3, first 2 shown]
	v_add_f64 v[0:1], v[0:1], v[4:5]
	s_waitcnt vmcnt(16)
	v_mul_f64 v[4:5], v[220:221], v[134:135]
	v_fmac_f64_e32 v[4:5], v[222:223], v[132:133]
	v_add_f64 v[0:1], v[0:1], v[4:5]
	s_waitcnt vmcnt(15)
	v_mul_f64 v[4:5], v[224:225], v[138:139]
	v_fmac_f64_e32 v[4:5], v[226:227], v[136:137]
	;; [unrolled: 4-line block ×3, first 2 shown]
	v_add_f64 v[0:1], v[0:1], v[4:5]
	v_mul_f64 v[4:5], v[82:83], v[26:27]
	v_fma_f64 v[240:241], v[80:81], v[24:25], -v[4:5]
	s_waitcnt vmcnt(13)
	v_mul_f64 v[4:5], v[232:233], v[146:147]
	v_fmac_f64_e32 v[4:5], v[234:235], v[144:145]
	v_add_f64 v[0:1], v[0:1], v[4:5]
	s_waitcnt vmcnt(12)
	v_mul_f64 v[4:5], v[236:237], v[154:155]
	v_fmac_f64_e32 v[4:5], v[238:239], v[152:153]
	v_add_f64 v[0:1], v[0:1], v[4:5]
	;; [unrolled: 4-line block ×3, first 2 shown]
	v_mul_f64 v[4:5], v[98:99], v[30:31]
	v_fma_f64 v[254:255], v[96:97], v[28:29], -v[4:5]
	v_mul_f64 v[4:5], v[102:103], v[34:35]
	v_fma_f64 v[32:33], v[100:101], v[32:33], -v[4:5]
	;; [unrolled: 2-line block ×3, first 2 shown]
	s_waitcnt vmcnt(10)
	v_mul_f64 v[4:5], v[250:251], v[166:167]
	v_fmac_f64_e32 v[4:5], v[252:253], v[164:165]
	v_add_f64 v[0:1], v[0:1], v[4:5]
	ds_read_b128 v[80:83], v2 offset:1440
	s_waitcnt vmcnt(9)
	v_mul_f64 v[4:5], v[242:243], v[170:171]
	v_fmac_f64_e32 v[4:5], v[244:245], v[168:169]
	scratch_load_dwordx4 v[36:39], off, off offset:640
	v_add_f64 v[0:1], v[0:1], v[4:5]
	v_mul_f64 v[4:5], v[110:111], v[42:43]
	v_fma_f64 v[24:25], v[108:109], v[40:41], -v[4:5]
	v_mul_f64 v[40:41], v[118:119], v[50:51]
	ds_read_b128 v[4:7], v2 offset:1424
	ds_read_b128 v[96:99], v2 offset:1456
	v_fma_f64 v[16:17], v[116:117], v[48:49], -v[40:41]
	scratch_load_dwordx4 v[40:43], off, off offset:656
	v_mul_f64 v[14:15], v[114:115], v[46:47]
	v_fma_f64 v[20:21], v[112:113], v[44:45], -v[14:15]
	v_mul_f64 v[44:45], v[150:151], v[54:55]
	s_waitcnt vmcnt(10) lgkmcnt(1)
	v_mul_f64 v[18:19], v[4:5], v[178:179]
	s_waitcnt vmcnt(9)
	v_accvgpr_read_b32 v8, a120
	v_fma_f64 v[14:15], v[148:149], v[52:53], -v[44:45]
	scratch_load_dwordx4 v[44:47], off, off offset:672
	v_fmac_f64_e32 v[18:19], v[6:7], v[176:177]
	v_accvgpr_read_b32 v10, a122
	v_accvgpr_read_b32 v11, a123
	v_add_f64 v[0:1], v[0:1], v[18:19]
	v_accvgpr_read_b32 v9, a121
	v_mul_f64 v[18:19], v[80:81], v[10:11]
	scratch_load_dwordx4 v[48:51], off, off offset:688
	scratch_load_dwordx4 v[52:55], off, off offset:704
	v_fmac_f64_e32 v[18:19], v[82:83], v[8:9]
	ds_read_b128 v[100:103], v2 offset:1472
	ds_read_b128 v[104:107], v2 offset:1488
	s_waitcnt vmcnt(11)
	v_accvgpr_read_b32 v8, a124
	v_add_f64 v[0:1], v[0:1], v[18:19]
	v_mul_f64 v[18:19], v[162:163], v[58:59]
	v_accvgpr_read_b32 v10, a126
	v_accvgpr_read_b32 v11, a127
	v_fma_f64 v[18:19], v[160:161], v[56:57], -v[18:19]
	v_accvgpr_read_b32 v9, a125
	s_waitcnt lgkmcnt(2)
	v_mul_f64 v[56:57], v[96:97], v[10:11]
	v_fmac_f64_e32 v[56:57], v[98:99], v[8:9]
	s_waitcnt vmcnt(10)
	v_accvgpr_read_b32 v8, a128
	v_mul_f64 v[22:23], v[174:175], v[62:63]
	v_accvgpr_read_b32 v10, a130
	v_accvgpr_read_b32 v11, a131
	v_fma_f64 v[22:23], v[172:173], v[60:61], -v[22:23]
	v_add_f64 v[0:1], v[0:1], v[56:57]
	v_mul_f64 v[56:57], v[182:183], v[66:67]
	v_accvgpr_read_b32 v9, a129
	s_waitcnt lgkmcnt(1)
	v_mul_f64 v[60:61], v[100:101], v[10:11]
	v_fma_f64 v[172:173], v[180:181], v[64:65], -v[56:57]
	scratch_load_dwordx4 v[56:59], off, off offset:720
	v_fmac_f64_e32 v[60:61], v[102:103], v[8:9]
	v_add_f64 v[0:1], v[0:1], v[60:61]
	v_mul_f64 v[60:61], v[186:187], v[70:71]
	v_fma_f64 v[174:175], v[184:185], v[68:69], -v[60:61]
	scratch_load_dwordx4 v[60:63], off, off offset:736
	v_mul_f64 v[64:65], v[190:191], v[74:75]
	ds_read_b128 v[108:111], v2 offset:1504
	s_waitcnt vmcnt(11)
	v_accvgpr_read_b32 v8, a132
	v_fma_f64 v[180:181], v[188:189], v[72:73], -v[64:65]
	scratch_load_dwordx4 v[64:67], off, off offset:752
	v_accvgpr_read_b32 v10, a134
	v_accvgpr_read_b32 v11, a135
	;; [unrolled: 1-line block ×3, first 2 shown]
	s_waitcnt lgkmcnt(1)
	v_mul_f64 v[72:73], v[104:105], v[10:11]
	v_fmac_f64_e32 v[72:73], v[106:107], v[8:9]
	s_waitcnt vmcnt(11)
	v_accvgpr_read_b32 v8, a136
	v_mul_f64 v[68:69], v[194:195], v[78:79]
	v_accvgpr_read_b32 v10, a138
	v_accvgpr_read_b32 v11, a139
	v_fma_f64 v[182:183], v[192:193], v[76:77], -v[68:69]
	v_accvgpr_read_b32 v9, a137
	s_waitcnt lgkmcnt(0)
	v_mul_f64 v[76:77], v[108:109], v[10:11]
	scratch_load_dwordx4 v[68:71], off, off offset:768
	v_add_f64 v[0:1], v[0:1], v[72:73]
	v_fmac_f64_e32 v[76:77], v[110:111], v[8:9]
	v_mul_f64 v[72:73], v[198:199], v[86:87]
	v_add_f64 v[0:1], v[0:1], v[76:77]
	v_mul_f64 v[76:77], v[202:203], v[90:91]
	v_fma_f64 v[184:185], v[196:197], v[84:85], -v[72:73]
	scratch_load_dwordx4 v[72:75], off, off offset:784
	v_fma_f64 v[186:187], v[200:201], v[88:89], -v[76:77]
	scratch_load_dwordx4 v[76:79], off, off offset:800
	ds_read_b128 v[116:119], v2 offset:1520
	ds_read_b128 v[112:115], v2 offset:1536
	s_waitcnt vmcnt(13)
	v_accvgpr_read_b32 v8, a140
	v_mul_f64 v[84:85], v[206:207], v[94:95]
	scratch_load_dwordx4 v[88:91], off, off offset:816
	v_accvgpr_read_b32 v10, a142
	v_accvgpr_read_b32 v11, a143
	v_fma_f64 v[12:13], v[204:205], v[92:93], -v[84:85]
	v_accvgpr_read_b32 v9, a141
	s_waitcnt lgkmcnt(1)
	v_mul_f64 v[92:93], v[116:117], v[10:11]
	scratch_load_dwordx4 v[84:87], off, off offset:832
	v_fmac_f64_e32 v[92:93], v[118:119], v[8:9]
	v_add_f64 v[0:1], v[0:1], v[92:93]
	v_mul_f64 v[92:93], v[214:215], v[126:127]
	v_fma_f64 v[10:11], v[212:213], v[124:125], -v[92:93]
	scratch_load_dwordx4 v[92:95], off, off offset:848
	v_mul_f64 v[26:27], v[210:211], v[122:123]
	v_fma_f64 v[26:27], v[208:209], v[120:121], -v[26:27]
	v_mul_f64 v[30:31], v[218:219], v[130:131]
	ds_read_b128 v[120:123], v2 offset:1552
	v_fma_f64 v[30:31], v[216:217], v[128:129], -v[30:31]
	s_waitcnt vmcnt(15)
	v_accvgpr_read_b32 v126, a144
	v_accvgpr_read_b32 v128, a146
	;; [unrolled: 1-line block ×4, first 2 shown]
	s_waitcnt lgkmcnt(1)
	v_mul_f64 v[124:125], v[112:113], v[128:129]
	s_waitcnt vmcnt(14)
	v_accvgpr_read_b32 v148, a148
	v_fmac_f64_e32 v[124:125], v[114:115], v[126:127]
	v_accvgpr_read_b32 v150, a150
	v_accvgpr_read_b32 v151, a151
	v_add_f64 v[0:1], v[0:1], v[124:125]
	ds_read_b128 v[124:127], v2 offset:1568
	v_accvgpr_read_b32 v149, a149
	s_waitcnt lgkmcnt(1)
	v_mul_f64 v[128:129], v[120:121], v[150:151]
	v_fmac_f64_e32 v[128:129], v[122:123], v[148:149]
	v_add_f64 v[0:1], v[0:1], v[128:129]
	v_mul_f64 v[128:129], v[222:223], v[134:135]
	v_fma_f64 v[8:9], v[220:221], v[132:133], -v[128:129]
	ds_read_b128 v[128:131], v2 offset:1584
	ds_read_b128 v[132:135], v2 offset:1600
	s_waitcnt vmcnt(13) lgkmcnt(2)
	v_mul_f64 v[34:35], v[124:125], v[38:39]
	v_fmac_f64_e32 v[34:35], v[126:127], v[36:37]
	v_add_f64 v[0:1], v[0:1], v[34:35]
	v_mul_f64 v[34:35], v[226:227], v[138:139]
	v_fma_f64 v[34:35], v[224:225], v[136:137], -v[34:35]
	s_waitcnt vmcnt(12) lgkmcnt(1)
	v_mul_f64 v[136:137], v[128:129], v[42:43]
	v_fmac_f64_e32 v[136:137], v[130:131], v[40:41]
	v_add_f64 v[0:1], v[0:1], v[136:137]
	ds_read_b128 v[136:139], v2 offset:1616
	v_mul_f64 v[142:143], v[230:231], v[142:143]
	v_fma_f64 v[228:229], v[228:229], v[140:141], -v[142:143]
	ds_read_b128 v[140:143], v2 offset:1632
	s_waitcnt vmcnt(11) lgkmcnt(2)
	v_mul_f64 v[148:149], v[132:133], v[46:47]
	v_add_f64 v[240:241], v[240:241], 0
	v_fmac_f64_e32 v[148:149], v[134:135], v[44:45]
	v_add_f64 v[240:241], v[240:241], v[254:255]
	v_add_f64 v[0:1], v[0:1], v[148:149]
	s_waitcnt vmcnt(10) lgkmcnt(1)
	v_mul_f64 v[148:149], v[136:137], v[50:51]
	v_add_f64 v[32:33], v[240:241], v[32:33]
	v_fmac_f64_e32 v[148:149], v[138:139], v[48:49]
	v_mul_f64 v[146:147], v[234:235], v[146:147]
	v_add_f64 v[28:29], v[32:33], v[28:29]
	v_add_f64 v[0:1], v[0:1], v[148:149]
	v_fma_f64 v[230:231], v[232:233], v[144:145], -v[146:147]
	ds_read_b128 v[144:147], v2 offset:1648
	s_waitcnt vmcnt(9) lgkmcnt(1)
	v_mul_f64 v[148:149], v[140:141], v[54:55]
	v_add_f64 v[24:25], v[28:29], v[24:25]
	v_fmac_f64_e32 v[148:149], v[142:143], v[52:53]
	v_add_f64 v[20:21], v[24:25], v[20:21]
	v_add_f64 v[0:1], v[0:1], v[148:149]
	ds_read_b128 v[148:151], v2 offset:1664
	v_add_f64 v[16:17], v[20:21], v[16:17]
	v_mul_f64 v[154:155], v[238:239], v[154:155]
	v_add_f64 v[14:15], v[16:17], v[14:15]
	v_fma_f64 v[232:233], v[236:237], v[152:153], -v[154:155]
	ds_read_b128 v[152:155], v2 offset:1680
	v_add_f64 v[14:15], v[14:15], v[18:19]
	s_waitcnt vmcnt(8) lgkmcnt(2)
	v_mul_f64 v[160:161], v[144:145], v[58:59]
	v_add_f64 v[14:15], v[14:15], v[22:23]
	v_fmac_f64_e32 v[160:161], v[146:147], v[56:57]
	v_add_f64 v[14:15], v[14:15], v[172:173]
	v_add_f64 v[0:1], v[0:1], v[160:161]
	s_waitcnt vmcnt(7) lgkmcnt(1)
	v_mul_f64 v[160:161], v[148:149], v[62:63]
	v_add_f64 v[14:15], v[14:15], v[174:175]
	v_fmac_f64_e32 v[160:161], v[150:151], v[60:61]
	v_mul_f64 v[158:159], v[248:249], v[158:159]
	v_add_f64 v[14:15], v[14:15], v[180:181]
	v_fma_f64 v[234:235], v[246:247], v[156:157], -v[158:159]
	ds_read_b128 v[156:159], v2 offset:1696
	v_add_f64 v[0:1], v[0:1], v[160:161]
	s_waitcnt vmcnt(6) lgkmcnt(1)
	v_mul_f64 v[160:161], v[152:153], v[66:67]
	v_add_f64 v[14:15], v[14:15], v[182:183]
	v_fmac_f64_e32 v[160:161], v[154:155], v[64:65]
	v_add_f64 v[14:15], v[14:15], v[184:185]
	v_add_f64 v[0:1], v[0:1], v[160:161]
	ds_read_b128 v[160:163], v2 offset:1712
	v_add_f64 v[14:15], v[14:15], v[186:187]
	v_mul_f64 v[166:167], v[252:253], v[166:167]
	v_add_f64 v[12:13], v[14:15], v[12:13]
	v_fma_f64 v[236:237], v[250:251], v[164:165], -v[166:167]
	ds_read_b128 v[164:167], v2 offset:1728
	v_mul_f64 v[170:171], v[244:245], v[170:171]
	v_add_f64 v[12:13], v[12:13], v[26:27]
	s_waitcnt vmcnt(5) lgkmcnt(2)
	v_mul_f64 v[188:189], v[156:157], v[70:71]
	v_fma_f64 v[238:239], v[242:243], v[168:169], -v[170:171]
	ds_read_b128 v[168:171], v2 offset:1744
	ds_read_b128 v[242:245], v2 offset:1760
	v_add_f64 v[10:11], v[12:13], v[10:11]
	v_fmac_f64_e32 v[188:189], v[158:159], v[68:69]
	v_add_f64 v[10:11], v[10:11], v[30:31]
	v_add_f64 v[0:1], v[0:1], v[188:189]
	s_waitcnt vmcnt(4) lgkmcnt(3)
	v_mul_f64 v[188:189], v[160:161], v[74:75]
	v_add_f64 v[8:9], v[10:11], v[8:9]
	v_fmac_f64_e32 v[188:189], v[162:163], v[72:73]
	v_mul_f64 v[6:7], v[6:7], v[178:179]
	v_add_f64 v[8:9], v[8:9], v[34:35]
	v_add_f64 v[0:1], v[0:1], v[188:189]
	s_waitcnt vmcnt(3) lgkmcnt(2)
	v_mul_f64 v[188:189], v[164:165], v[78:79]
	v_fma_f64 v[246:247], v[4:5], v[176:177], -v[6:7]
	ds_read_b128 v[176:179], v2 offset:1776
	ds_read_b128 v[250:253], v2 offset:1792
	v_add_f64 v[8:9], v[8:9], v[228:229]
	v_fmac_f64_e32 v[188:189], v[166:167], v[76:77]
	v_add_f64 v[8:9], v[8:9], v[230:231]
	scratch_load_dwordx4 v[228:231], off, off offset:32
	s_waitcnt vmcnt(3) lgkmcnt(3)
	v_mul_f64 v[4:5], v[168:169], v[90:91]
	v_add_f64 v[0:1], v[0:1], v[188:189]
	v_fmac_f64_e32 v[4:5], v[170:171], v[88:89]
	v_add_f64 v[0:1], v[0:1], v[4:5]
	s_waitcnt vmcnt(2) lgkmcnt(2)
	v_mul_f64 v[4:5], v[242:243], v[86:87]
	v_fmac_f64_e32 v[4:5], v[244:245], v[84:85]
	v_add_f64 v[0:1], v[0:1], v[4:5]
	s_waitcnt vmcnt(1) lgkmcnt(1)
	v_mul_f64 v[4:5], v[176:177], v[94:95]
	v_fmac_f64_e32 v[4:5], v[178:179], v[92:93]
	v_add_f64 v[0:1], v[0:1], v[4:5]
	scratch_load_dwordx4 v[4:7], off, off offset:864
	ds_read_b128 v[192:195], v2 offset:1808
	ds_read_b128 v[200:203], v2 offset:1824
	;; [unrolled: 1-line block ×5, first 2 shown]
	v_accvgpr_read_b32 v12, a120
	v_accvgpr_read_b32 v14, a122
	;; [unrolled: 1-line block ×4, first 2 shown]
	v_mul_f64 v[10:11], v[82:83], v[14:15]
	v_fma_f64 v[10:11], v[80:81], v[12:13], -v[10:11]
	v_accvgpr_read_b32 v12, a124
	v_accvgpr_read_b32 v14, a126
	;; [unrolled: 1-line block ×4, first 2 shown]
	s_waitcnt vmcnt(0) lgkmcnt(5)
	v_mul_f64 v[188:189], v[250:251], v[6:7]
	v_fmac_f64_e32 v[188:189], v[252:253], v[4:5]
	v_add_f64 v[0:1], v[0:1], v[188:189]
	scratch_load_dwordx4 v[188:191], off, off offset:880
	v_mul_f64 v[6:7], v[252:253], v[6:7]
	v_fma_f64 v[4:5], v[250:251], v[4:5], -v[6:7]
	s_waitcnt vmcnt(0) lgkmcnt(4)
	v_mul_f64 v[196:197], v[192:193], v[190:191]
	v_fmac_f64_e32 v[196:197], v[194:195], v[188:189]
	v_add_f64 v[0:1], v[0:1], v[196:197]
	scratch_load_dwordx4 v[196:199], off, off offset:896
	v_mul_f64 v[6:7], v[194:195], v[190:191]
	v_fma_f64 v[6:7], v[192:193], v[188:189], -v[6:7]
	s_waitcnt vmcnt(0) lgkmcnt(3)
	v_mul_f64 v[204:205], v[200:201], v[198:199]
	v_fmac_f64_e32 v[204:205], v[202:203], v[196:197]
	v_add_f64 v[0:1], v[0:1], v[204:205]
	scratch_load_dwordx4 v[204:207], off, off offset:912
	s_waitcnt vmcnt(0) lgkmcnt(2)
	v_mul_f64 v[212:213], v[208:209], v[206:207]
	v_fmac_f64_e32 v[212:213], v[210:211], v[204:205]
	v_add_f64 v[0:1], v[0:1], v[212:213]
	scratch_load_dwordx4 v[212:215], off, off offset:928
	;; [unrolled: 5-line block ×3, first 2 shown]
	s_waitcnt vmcnt(0) lgkmcnt(0)
	v_mul_f64 v[248:249], v[224:225], v[222:223]
	v_fmac_f64_e32 v[248:249], v[226:227], v[220:221]
	v_add_f64 v[0:1], v[0:1], v[248:249]
	v_add_f64 v[248:249], v[8:9], v[232:233]
	;; [unrolled: 1-line block ×7, first 2 shown]
	v_mul_f64 v[10:11], v[98:99], v[14:15]
	v_fma_f64 v[10:11], v[96:97], v[12:13], -v[10:11]
	v_accvgpr_read_b32 v12, a128
	v_accvgpr_read_b32 v14, a130
	v_accvgpr_read_b32 v15, a131
	v_add_f64 v[8:9], v[8:9], v[10:11]
	v_accvgpr_read_b32 v13, a129
	v_mul_f64 v[10:11], v[102:103], v[14:15]
	v_fma_f64 v[10:11], v[100:101], v[12:13], -v[10:11]
	v_accvgpr_read_b32 v12, a132
	v_accvgpr_read_b32 v14, a134
	v_accvgpr_read_b32 v15, a135
	v_add_f64 v[8:9], v[8:9], v[10:11]
	v_accvgpr_read_b32 v13, a133
	;; [unrolled: 7-line block ×6, first 2 shown]
	v_mul_f64 v[10:11], v[122:123], v[14:15]
	v_fma_f64 v[10:11], v[120:121], v[12:13], -v[10:11]
	v_add_f64 v[8:9], v[8:9], v[10:11]
	v_mul_f64 v[10:11], v[126:127], v[38:39]
	v_fma_f64 v[10:11], v[124:125], v[36:37], -v[10:11]
	v_add_f64 v[8:9], v[8:9], v[10:11]
	;; [unrolled: 3-line block ×15, first 2 shown]
	v_add_f64 v[4:5], v[8:9], v[4:5]
	v_add_f64 v[4:5], v[4:5], v[6:7]
	v_mul_f64 v[6:7], v[202:203], v[198:199]
	v_fma_f64 v[6:7], v[200:201], v[196:197], -v[6:7]
	v_add_f64 v[4:5], v[4:5], v[6:7]
	v_mul_f64 v[6:7], v[210:211], v[206:207]
	v_fma_f64 v[6:7], v[208:209], v[204:205], -v[6:7]
	;; [unrolled: 3-line block ×4, first 2 shown]
	v_add_f64 v[4:5], v[4:5], v[6:7]
	v_add_f64 v[6:7], v[230:231], -v[0:1]
	v_accvgpr_read_b32 v0, a118
	v_add_f64 v[4:5], v[228:229], -v[4:5]
	v_cmp_ne_u32_e32 vcc, 0, v0
	scratch_store_dwordx4 off, v[4:7], off offset:32
	s_and_saveexec_b64 s[0:1], vcc
	s_cbranch_execz .LBB122_367
; %bb.366:
	scratch_load_dwordx4 v[6:9], off, off offset:16
	v_mov_b32_e32 v3, v2
	v_mov_b32_e32 v4, v2
	;; [unrolled: 1-line block ×3, first 2 shown]
	v_accvgpr_read_b32 v0, a119
	scratch_store_dwordx4 off, v[2:5], off offset:16
	s_waitcnt vmcnt(1)
	ds_write_b128 v0, v[6:9]
.LBB122_367:
	s_or_b64 exec, exec, s[0:1]
	s_waitcnt lgkmcnt(0)
	; wave barrier
	scratch_load_dwordx4 v[8:11], off, off offset:32
	scratch_load_dwordx4 v[12:15], off, off offset:48
	;; [unrolled: 1-line block ×17, first 2 shown]
	ds_read_b128 v[168:171], v2 offset:960
	ds_read_b128 v[124:127], v2 offset:976
	scratch_load_dwordx4 v[104:107], off, off offset:304
	ds_read_b128 v[180:183], v2 offset:992
	ds_read_b128 v[156:159], v2 offset:1008
	;; [unrolled: 1-line block ×5, first 2 shown]
	scratch_load_dwordx4 v[120:123], off, off offset:320
	ds_read_b128 v[160:163], v2 offset:1072
	ds_read_b128 v[108:111], v2 offset:1088
	scratch_load_dwordx4 v[128:131], off, off offset:336
	ds_read_b128 v[192:195], v2 offset:1104
	ds_read_b128 v[176:179], v2 offset:1120
	;; [unrolled: 1-line block ×5, first 2 shown]
	scratch_load_dwordx4 v[132:135], off, off offset:352
	ds_read_b128 v[172:175], v2 offset:1184
	ds_read_b128 v[148:151], v2 offset:1200
	scratch_load_dwordx4 v[136:139], off, off offset:368
	ds_read_b128 v[188:191], v2 offset:1216
	scratch_load_dwordx4 v[140:143], off, off offset:384
	scratch_load_dwordx4 v[144:147], off, off offset:400
	;; [unrolled: 1-line block ×12, first 2 shown]
	ds_read_b128 v[208:211], v2 offset:1232
	ds_read_b128 v[232:235], v2 offset:1328
	;; [unrolled: 1-line block ×3, first 2 shown]
	scratch_load_dwordx4 a[142:145], off, off offset:576
	scratch_load_dwordx4 a[146:149], off, off offset:608
	;; [unrolled: 1-line block ×4, first 2 shown]
	s_and_b64 vcc, exec, s[10:11]
	ds_read_b128 v[242:245], v2 offset:1376
	ds_read_b128 v[228:231], v2 offset:1312
	;; [unrolled: 1-line block ×3, first 2 shown]
	s_waitcnt vmcnt(37) lgkmcnt(14)
	v_mul_f64 v[0:1], v[168:169], v[10:11]
	s_waitcnt vmcnt(36)
	v_mul_f64 v[40:41], v[124:125], v[14:15]
	v_fmac_f64_e32 v[0:1], v[170:171], v[8:9]
	s_waitcnt vmcnt(35)
	v_mul_f64 v[42:43], v[180:181], v[18:19]
	v_fmac_f64_e32 v[40:41], v[126:127], v[12:13]
	v_add_f64 v[0:1], v[0:1], 0
	s_waitcnt vmcnt(34)
	v_mul_f64 v[48:49], v[156:157], v[22:23]
	v_fmac_f64_e32 v[42:43], v[182:183], v[16:17]
	v_add_f64 v[0:1], v[0:1], v[40:41]
	;; [unrolled: 4-line block ×7, first 2 shown]
	s_waitcnt vmcnt(28) lgkmcnt(13)
	v_mul_f64 v[212:213], v[192:193], v[58:59]
	v_fmac_f64_e32 v[62:63], v[110:111], v[44:45]
	v_add_f64 v[0:1], v[0:1], v[60:61]
	s_waitcnt vmcnt(27) lgkmcnt(12)
	v_mul_f64 v[214:215], v[176:177], v[66:67]
	v_fmac_f64_e32 v[212:213], v[194:195], v[56:57]
	v_add_f64 v[0:1], v[0:1], v[62:63]
	;; [unrolled: 4-line block ×6, first 2 shown]
	ds_read_b128 v[212:215], v2 offset:1248
	s_waitcnt vmcnt(22) lgkmcnt(8)
	v_mul_f64 v[224:225], v[148:149], v[90:91]
	v_fmac_f64_e32 v[222:223], v[174:175], v[80:81]
	v_add_f64 v[0:1], v[0:1], v[220:221]
	ds_read_b128 v[216:219], v2 offset:1264
	v_fmac_f64_e32 v[224:225], v[150:151], v[88:89]
	v_add_f64 v[0:1], v[0:1], v[222:223]
	s_waitcnt vmcnt(21) lgkmcnt(8)
	v_mul_f64 v[40:41], v[188:189], v[94:95]
	v_add_f64 v[0:1], v[0:1], v[224:225]
	v_fmac_f64_e32 v[40:41], v[190:191], v[92:93]
	ds_read_b128 v[220:223], v2 offset:1280
	v_add_f64 v[0:1], v[0:1], v[40:41]
	s_waitcnt vmcnt(20) lgkmcnt(8)
	v_mul_f64 v[40:41], v[208:209], v[106:107]
	ds_read_b128 v[224:227], v2 offset:1296
	v_fmac_f64_e32 v[40:41], v[210:211], v[104:105]
	s_waitcnt vmcnt(19) lgkmcnt(3)
	v_mul_f64 v[48:49], v[212:213], v[122:123]
	v_add_f64 v[0:1], v[0:1], v[40:41]
	v_fmac_f64_e32 v[48:49], v[214:215], v[120:121]
	s_waitcnt vmcnt(18) lgkmcnt(2)
	v_mul_f64 v[52:53], v[216:217], v[130:131]
	v_add_f64 v[0:1], v[0:1], v[48:49]
	v_fmac_f64_e32 v[52:53], v[218:219], v[128:129]
	v_add_f64 v[0:1], v[0:1], v[52:53]
	s_waitcnt vmcnt(17) lgkmcnt(1)
	v_mul_f64 v[52:53], v[220:221], v[134:135]
	v_fmac_f64_e32 v[52:53], v[222:223], v[132:133]
	s_waitcnt vmcnt(16) lgkmcnt(0)
	v_mul_f64 v[60:61], v[224:225], v[138:139]
	v_add_f64 v[0:1], v[0:1], v[52:53]
	v_fmac_f64_e32 v[60:61], v[226:227], v[136:137]
	v_add_f64 v[0:1], v[0:1], v[60:61]
	s_waitcnt vmcnt(15)
	v_mul_f64 v[60:61], v[228:229], v[142:143]
	v_mul_f64 v[10:11], v[170:171], v[10:11]
	v_fmac_f64_e32 v[60:61], v[230:231], v[140:141]
	v_fma_f64 v[240:241], v[168:169], v[8:9], -v[10:11]
	ds_read_b128 v[168:171], v2 offset:1360
	v_add_f64 v[0:1], v[0:1], v[60:61]
	s_waitcnt vmcnt(14)
	v_mul_f64 v[60:61], v[232:233], v[146:147]
	v_fmac_f64_e32 v[60:61], v[234:235], v[144:145]
	s_waitcnt vmcnt(13)
	v_mul_f64 v[8:9], v[236:237], v[154:155]
	v_add_f64 v[0:1], v[0:1], v[60:61]
	v_fmac_f64_e32 v[8:9], v[238:239], v[152:153]
	v_add_f64 v[0:1], v[0:1], v[8:9]
	v_mul_f64 v[8:9], v[126:127], v[14:15]
	v_fma_f64 v[250:251], v[124:125], v[12:13], -v[8:9]
	s_waitcnt vmcnt(12) lgkmcnt(0)
	v_mul_f64 v[12:13], v[168:169], v[186:187]
	v_fmac_f64_e32 v[12:13], v[170:171], v[184:185]
	v_add_f64 v[0:1], v[0:1], v[12:13]
	v_mul_f64 v[12:13], v[182:183], v[18:19]
	v_fma_f64 v[252:253], v[180:181], v[16:17], -v[12:13]
	s_waitcnt vmcnt(11)
	v_mul_f64 v[12:13], v[242:243], v[198:199]
	v_fmac_f64_e32 v[12:13], v[244:245], v[196:197]
	v_add_f64 v[0:1], v[0:1], v[12:13]
	v_mul_f64 v[12:13], v[158:159], v[22:23]
	v_fma_f64 v[254:255], v[156:157], v[20:21], -v[12:13]
	scratch_load_dwordx4 v[156:159], off, off offset:592
	ds_read_b128 v[180:183], v2 offset:1392
	v_accvgpr_write_b32 a125, v37
	v_mul_f64 v[6:7], v[86:87], v[6:7]
	v_accvgpr_write_b32 a124, v36
	v_accvgpr_write_b32 a123, v35
	s_waitcnt vmcnt(11) lgkmcnt(0)
	v_mul_f64 v[16:17], v[180:181], v[202:203]
	v_accvgpr_write_b32 a122, v34
	v_fmac_f64_e32 v[16:17], v[182:183], v[200:201]
	v_fma_f64 v[36:37], v[84:85], v[4:5], -v[6:7]
	ds_read_b128 v[84:87], v2 offset:1424
	s_waitcnt vmcnt(10)
	v_mul_f64 v[24:25], v[246:247], v[206:207]
	v_add_f64 v[0:1], v[0:1], v[16:17]
	v_fmac_f64_e32 v[24:25], v[248:249], v[204:205]
	v_add_f64 v[0:1], v[0:1], v[24:25]
	v_mul_f64 v[24:25], v[98:99], v[28:29]
	scratch_load_dwordx4 v[60:63], off, off offset:656
	v_mul_f64 v[20:21], v[102:103], v[32:33]
	v_fma_f64 v[32:33], v[96:97], v[26:27], -v[24:25]
	s_waitcnt vmcnt(10)
	v_accvgpr_read_b32 v4, a118
	ds_read_b128 v[96:99], v2 offset:1440
	scratch_load_dwordx4 v[52:55], off, off offset:672
	scratch_load_dwordx4 v[48:51], off, off offset:688
	v_accvgpr_read_b32 v6, a120
	v_accvgpr_read_b32 v7, a121
	;; [unrolled: 1-line block ×3, first 2 shown]
	s_waitcnt lgkmcnt(1)
	v_mul_f64 v[10:11], v[84:85], v[6:7]
	v_fmac_f64_e32 v[10:11], v[86:87], v[4:5]
	s_waitcnt vmcnt(11)
	v_accvgpr_read_b32 v4, a126
	v_add_f64 v[0:1], v[0:1], v[10:11]
	v_mul_f64 v[10:11], v[110:111], v[46:47]
	v_accvgpr_read_b32 v6, a128
	v_accvgpr_read_b32 v7, a129
	v_fma_f64 v[40:41], v[100:101], v[30:31], -v[20:21]
	v_fma_f64 v[26:27], v[108:109], v[44:45], -v[10:11]
	ds_read_b128 v[100:103], v2 offset:1456
	ds_read_b128 v[108:111], v2 offset:1472
	v_accvgpr_read_b32 v5, a127
	s_waitcnt lgkmcnt(2)
	v_mul_f64 v[44:45], v[96:97], v[6:7]
	v_accvgpr_read_b32 v12, a122
	v_fmac_f64_e32 v[44:45], v[98:99], v[4:5]
	v_accvgpr_read_b32 v14, a124
	v_accvgpr_read_b32 v15, a125
	v_add_f64 v[0:1], v[0:1], v[44:45]
	v_mul_f64 v[44:45], v[178:179], v[66:67]
	v_mul_f64 v[28:29], v[162:163], v[14:15]
	;; [unrolled: 1-line block ×3, first 2 shown]
	v_fma_f64 v[176:177], v[176:177], v[64:65], -v[44:45]
	scratch_load_dwordx4 v[44:47], off, off offset:704
	s_waitcnt vmcnt(11)
	v_accvgpr_read_b32 v4, a130
	v_fma_f64 v[20:21], v[192:193], v[56:57], -v[14:15]
	v_accvgpr_read_b32 v6, a132
	v_accvgpr_read_b32 v7, a133
	v_mul_f64 v[56:57], v[166:167], v[70:71]
	v_accvgpr_read_b32 v5, a131
	s_waitcnt lgkmcnt(1)
	v_mul_f64 v[64:65], v[100:101], v[6:7]
	v_fma_f64 v[178:179], v[164:165], v[68:69], -v[56:57]
	scratch_load_dwordx4 v[56:59], off, off offset:720
	v_fmac_f64_e32 v[64:65], v[102:103], v[4:5]
	v_add_f64 v[0:1], v[0:1], v[64:65]
	v_mul_f64 v[64:65], v[118:119], v[74:75]
	v_fma_f64 v[16:17], v[116:117], v[72:73], -v[64:65]
	scratch_load_dwordx4 v[64:67], off, off offset:736
	scratch_load_dwordx4 v[68:71], off, off offset:752
	s_waitcnt vmcnt(13)
	v_accvgpr_read_b32 v4, a134
	v_accvgpr_read_b32 v6, a136
	v_accvgpr_read_b32 v7, a137
	v_accvgpr_read_b32 v5, a135
	s_waitcnt lgkmcnt(0)
	v_mul_f64 v[72:73], v[108:109], v[6:7]
	v_fmac_f64_e32 v[72:73], v[110:111], v[4:5]
	v_add_f64 v[0:1], v[0:1], v[72:73]
	v_mul_f64 v[72:73], v[174:175], v[82:83]
	v_mul_f64 v[18:19], v[114:115], v[78:79]
	v_fma_f64 v[14:15], v[172:173], v[80:81], -v[72:73]
	scratch_load_dwordx4 v[72:75], off, off offset:768
	v_accvgpr_read_b32 v13, a123
	v_fma_f64 v[18:19], v[112:113], v[76:77], -v[18:19]
	v_mul_f64 v[76:77], v[150:151], v[90:91]
	v_fma_f64 v[30:31], v[160:161], v[12:13], -v[28:29]
	v_fma_f64 v[12:13], v[148:149], v[88:89], -v[76:77]
	scratch_load_dwordx4 v[76:79], off, off offset:784
	ds_read_b128 v[112:115], v2 offset:1488
	ds_read_b128 v[116:119], v2 offset:1504
	s_waitcnt vmcnt(14)
	v_accvgpr_read_b32 v4, a138
	v_accvgpr_read_b32 v6, a140
	;; [unrolled: 1-line block ×4, first 2 shown]
	s_waitcnt lgkmcnt(1)
	v_mul_f64 v[22:23], v[112:113], v[6:7]
	v_fmac_f64_e32 v[22:23], v[114:115], v[4:5]
	ds_read_b128 v[124:127], v2 offset:1520
	s_waitcnt vmcnt(13)
	v_accvgpr_read_b32 v4, a142
	v_accvgpr_read_b32 v6, a144
	;; [unrolled: 1-line block ×4, first 2 shown]
	s_waitcnt lgkmcnt(1)
	v_mul_f64 v[24:25], v[116:117], v[6:7]
	v_mul_f64 v[80:81], v[210:211], v[106:107]
	v_fma_f64 v[10:11], v[208:209], v[104:105], -v[80:81]
	v_fmac_f64_e32 v[24:25], v[118:119], v[4:5]
	ds_read_b128 v[104:107], v2 offset:1536
	s_waitcnt vmcnt(9)
	v_mov_b64_e32 v[4:5], v[156:157]
	v_mul_f64 v[28:29], v[218:219], v[130:131]
	v_mov_b64_e32 v[6:7], v[158:159]
	v_fma_f64 v[28:29], v[216:217], v[128:129], -v[28:29]
	s_waitcnt lgkmcnt(1)
	v_mul_f64 v[128:129], v[124:125], v[6:7]
	v_add_f64 v[0:1], v[0:1], v[22:23]
	v_fmac_f64_e32 v[128:129], v[126:127], v[4:5]
	v_accvgpr_read_b32 v4, a146
	v_add_f64 v[0:1], v[0:1], v[24:25]
	v_mul_f64 v[24:25], v[214:215], v[122:123]
	v_accvgpr_read_b32 v6, a148
	v_accvgpr_read_b32 v7, a149
	v_fma_f64 v[24:25], v[212:213], v[120:121], -v[24:25]
	ds_read_b128 v[120:123], v2 offset:1552
	v_add_f64 v[0:1], v[0:1], v[128:129]
	v_accvgpr_read_b32 v5, a147
	s_waitcnt lgkmcnt(1)
	v_mul_f64 v[128:129], v[104:105], v[6:7]
	v_fmac_f64_e32 v[128:129], v[106:107], v[4:5]
	v_add_f64 v[0:1], v[0:1], v[128:129]
	v_mul_f64 v[128:129], v[222:223], v[134:135]
	v_fma_f64 v[8:9], v[220:221], v[132:133], -v[128:129]
	v_accvgpr_read_b32 v4, a150
	ds_read_b128 v[128:131], v2 offset:1568
	v_accvgpr_read_b32 v6, a152
	v_accvgpr_read_b32 v7, a153
	v_accvgpr_read_b32 v5, a151
	s_waitcnt lgkmcnt(1)
	v_mul_f64 v[34:35], v[120:121], v[6:7]
	v_fmac_f64_e32 v[34:35], v[122:123], v[4:5]
	v_accvgpr_read_b32 v4, a154
	v_add_f64 v[0:1], v[0:1], v[34:35]
	v_mul_f64 v[34:35], v[226:227], v[138:139]
	v_accvgpr_read_b32 v6, a156
	v_accvgpr_read_b32 v7, a157
	v_fma_f64 v[34:35], v[224:225], v[136:137], -v[34:35]
	v_accvgpr_read_b32 v5, a155
	s_waitcnt lgkmcnt(0)
	v_mul_f64 v[136:137], v[128:129], v[6:7]
	ds_read_b128 v[132:135], v2 offset:1584
	v_fmac_f64_e32 v[136:137], v[130:131], v[4:5]
	v_add_f64 v[0:1], v[0:1], v[136:137]
	ds_read_b128 v[136:139], v2 offset:1600
	v_accvgpr_mov_b32 a122, a126
	s_waitcnt vmcnt(8) lgkmcnt(1)
	v_mul_f64 v[148:149], v[132:133], v[62:63]
	v_fmac_f64_e32 v[148:149], v[134:135], v[60:61]
	v_mul_f64 v[142:143], v[230:231], v[142:143]
	s_waitcnt vmcnt(7) lgkmcnt(0)
	v_mul_f64 v[38:39], v[136:137], v[54:55]
	v_accvgpr_mov_b32 a123, a127
	v_accvgpr_mov_b32 a124, a128
	;; [unrolled: 1-line block ×4, first 2 shown]
	v_add_f64 v[0:1], v[0:1], v[148:149]
	v_fma_f64 v[6:7], v[228:229], v[140:141], -v[142:143]
	ds_read_b128 v[140:143], v2 offset:1616
	v_fmac_f64_e32 v[38:39], v[138:139], v[52:53]
	v_accvgpr_mov_b32 a127, a131
	v_accvgpr_mov_b32 a128, a132
	;; [unrolled: 1-line block ×4, first 2 shown]
	v_add_f64 v[0:1], v[0:1], v[38:39]
	v_mul_f64 v[38:39], v[234:235], v[146:147]
	v_accvgpr_mov_b32 a131, a135
	v_accvgpr_mov_b32 a132, a136
	;; [unrolled: 1-line block ×4, first 2 shown]
	v_fma_f64 v[38:39], v[232:233], v[144:145], -v[38:39]
	ds_read_b128 v[144:147], v2 offset:1632
	v_accvgpr_mov_b32 a135, a139
	v_accvgpr_mov_b32 a136, a140
	v_accvgpr_mov_b32 a137, a141
	v_accvgpr_mov_b32 a138, a142
	v_accvgpr_mov_b32 a139, a143
	v_accvgpr_mov_b32 a140, a144
	v_accvgpr_mov_b32 a141, a145
	v_accvgpr_write_b32 a142, v156
	ds_read_b128 v[148:151], v2 offset:1648
	v_accvgpr_write_b32 a143, v157
	v_accvgpr_write_b32 a144, v158
	;; [unrolled: 1-line block ×3, first 2 shown]
	s_waitcnt vmcnt(6) lgkmcnt(2)
	v_mul_f64 v[156:157], v[140:141], v[50:51]
	v_fmac_f64_e32 v[156:157], v[142:143], v[48:49]
	v_mul_f64 v[154:155], v[238:239], v[154:155]
	v_add_f64 v[0:1], v[0:1], v[156:157]
	s_waitcnt vmcnt(5) lgkmcnt(1)
	v_mul_f64 v[156:157], v[144:145], v[46:47]
	v_fma_f64 v[232:233], v[236:237], v[152:153], -v[154:155]
	ds_read_b128 v[152:155], v2 offset:1664
	v_fmac_f64_e32 v[156:157], v[146:147], v[44:45]
	v_add_f64 v[0:1], v[0:1], v[156:157]
	s_waitcnt vmcnt(4) lgkmcnt(1)
	v_mul_f64 v[156:157], v[148:149], v[58:59]
	v_fmac_f64_e32 v[156:157], v[150:151], v[56:57]
	v_add_f64 v[0:1], v[0:1], v[156:157]
	v_mul_f64 v[156:157], v[170:171], v[186:187]
	scratch_load_dwordx4 v[88:91], off, off offset:800
	scratch_load_dwordx4 v[80:83], off, off offset:816
	v_fma_f64 v[234:235], v[168:169], v[184:185], -v[156:157]
	ds_read_b128 v[156:159], v2 offset:1680
	s_waitcnt vmcnt(5) lgkmcnt(1)
	v_mul_f64 v[160:161], v[152:153], v[66:67]
	v_fmac_f64_e32 v[160:161], v[154:155], v[64:65]
	v_add_f64 v[0:1], v[0:1], v[160:161]
	ds_read_b128 v[160:163], v2 offset:1696
	v_mul_f64 v[22:23], v[190:191], v[94:95]
	v_mul_f64 v[164:165], v[244:245], v[198:199]
	v_fma_f64 v[22:23], v[188:189], v[92:93], -v[22:23]
	scratch_load_dwordx4 v[92:95], off, off offset:832
	v_fma_f64 v[4:5], v[242:243], v[196:197], -v[164:165]
	ds_read_b128 v[164:167], v2 offset:1712
	ds_read_b128 v[172:175], v2 offset:1728
	s_waitcnt vmcnt(5) lgkmcnt(3)
	v_mul_f64 v[42:43], v[156:157], v[70:71]
	v_mul_f64 v[168:169], v[182:183], v[202:203]
	v_fmac_f64_e32 v[42:43], v[158:159], v[68:69]
	v_fma_f64 v[238:239], v[180:181], v[200:201], -v[168:169]
	scratch_load_dwordx4 v[180:183], off, off offset:848
	v_add_f64 v[0:1], v[0:1], v[42:43]
	s_waitcnt vmcnt(5) lgkmcnt(2)
	v_mul_f64 v[42:43], v[160:161], v[74:75]
	v_fmac_f64_e32 v[42:43], v[162:163], v[72:73]
	scratch_load_dwordx4 v[188:191], off, off offset:864
	scratch_load_dwordx4 v[196:199], off, off offset:880
	v_add_f64 v[0:1], v[0:1], v[42:43]
	s_waitcnt vmcnt(6) lgkmcnt(1)
	v_mul_f64 v[42:43], v[164:165], v[78:79]
	v_fmac_f64_e32 v[42:43], v[166:167], v[76:77]
	v_add_f64 v[0:1], v[0:1], v[42:43]
	v_mul_f64 v[42:43], v[248:249], v[206:207]
	v_fma_f64 v[246:247], v[246:247], v[204:205], -v[42:43]
	scratch_load_dwordx4 v[204:207], off, off offset:896
	scratch_load_dwordx4 v[212:215], off, off offset:912
	;; [unrolled: 1-line block ×4, first 2 shown]
	ds_read_b128 v[168:171], v2 offset:1744
	ds_read_b128 v[242:245], v2 offset:1760
	;; [unrolled: 1-line block ×8, first 2 shown]
	s_waitcnt vmcnt(9) lgkmcnt(8)
	v_mul_f64 v[42:43], v[172:173], v[90:91]
	v_fmac_f64_e32 v[42:43], v[174:175], v[88:89]
	v_add_f64 v[0:1], v[0:1], v[42:43]
	s_waitcnt vmcnt(8) lgkmcnt(7)
	v_mul_f64 v[42:43], v[168:169], v[82:83]
	v_fmac_f64_e32 v[42:43], v[170:171], v[80:81]
	v_add_f64 v[0:1], v[0:1], v[42:43]
	;; [unrolled: 4-line block ×9, first 2 shown]
	ds_read_b128 v[0:3], v2 offset:1872
	s_waitcnt vmcnt(0) lgkmcnt(0)
	v_mul_f64 v[236:237], v[0:1], v[230:231]
	v_fmac_f64_e32 v[236:237], v[2:3], v[228:229]
	v_add_f64 v[236:237], v[42:43], v[236:237]
	v_add_f64 v[42:43], v[240:241], 0
	;; [unrolled: 1-line block ×27, first 2 shown]
	scratch_load_dwordx4 v[232:235], off, off offset:16
	v_accvgpr_read_b32 v8, a118
	v_accvgpr_read_b32 v10, a120
	;; [unrolled: 1-line block ×3, first 2 shown]
	v_add_f64 v[248:249], v[6:7], v[4:5]
	v_accvgpr_read_b32 v9, a119
	v_mul_f64 v[6:7], v[86:87], v[10:11]
	v_add_f64 v[4:5], v[248:249], v[238:239]
	v_fma_f64 v[6:7], v[84:85], v[8:9], -v[6:7]
	v_accvgpr_read_b32 v8, a122
	v_add_f64 v[4:5], v[4:5], v[246:247]
	v_accvgpr_read_b32 v10, a124
	v_accvgpr_read_b32 v11, a125
	v_add_f64 v[4:5], v[4:5], v[6:7]
	v_accvgpr_read_b32 v9, a123
	v_mul_f64 v[6:7], v[98:99], v[10:11]
	v_fma_f64 v[6:7], v[96:97], v[8:9], -v[6:7]
	v_accvgpr_read_b32 v8, a126
	v_accvgpr_read_b32 v10, a128
	v_accvgpr_read_b32 v11, a129
	v_add_f64 v[4:5], v[4:5], v[6:7]
	v_accvgpr_read_b32 v9, a127
	v_mul_f64 v[6:7], v[102:103], v[10:11]
	v_fma_f64 v[6:7], v[100:101], v[8:9], -v[6:7]
	v_accvgpr_read_b32 v8, a130
	;; [unrolled: 7-line block ×8, first 2 shown]
	v_accvgpr_read_b32 v10, a156
	v_accvgpr_read_b32 v11, a157
	v_add_f64 v[4:5], v[4:5], v[6:7]
	v_accvgpr_read_b32 v9, a155
	v_mul_f64 v[6:7], v[130:131], v[10:11]
	v_fma_f64 v[6:7], v[128:129], v[8:9], -v[6:7]
	v_add_f64 v[4:5], v[4:5], v[6:7]
	v_mul_f64 v[6:7], v[134:135], v[62:63]
	v_fma_f64 v[6:7], v[132:133], v[60:61], -v[6:7]
	v_add_f64 v[4:5], v[4:5], v[6:7]
	;; [unrolled: 3-line block ×18, first 2 shown]
	v_mul_f64 v[6:7], v[226:227], v[222:223]
	v_fma_f64 v[6:7], v[224:225], v[220:221], -v[6:7]
	v_mul_f64 v[2:3], v[2:3], v[230:231]
	v_add_f64 v[4:5], v[4:5], v[6:7]
	v_fma_f64 v[0:1], v[0:1], v[228:229], -v[2:3]
	v_add_f64 v[0:1], v[4:5], v[0:1]
	s_waitcnt vmcnt(0)
	v_add_f64 v[0:1], v[232:233], -v[0:1]
	v_add_f64 v[2:3], v[234:235], -v[236:237]
	scratch_store_dwordx4 off, v[0:3], off offset:16
	s_cbranch_vccz .LBB122_484
; %bb.368:
	s_nop 0
	v_mov_b32_e32 v0, 0
	global_load_dword v1, v0, s[8:9] offset:228
	s_waitcnt vmcnt(0)
	v_readfirstlane_b32 s0, v1
	s_add_i32 s0, s0, -1
	s_cmp_lg_u32 s0, 57
	s_cbranch_scc0 .LBB122_370
; %bb.369:
	s_lshl_b32 s0, s0, 4
	s_add_i32 s0, s0, 16
	scratch_load_dwordx4 v[2:5], off, s0
	scratch_load_dwordx4 v[6:9], off, s17
	s_waitcnt vmcnt(1)
	scratch_store_dwordx4 off, v[2:5], s17
	s_waitcnt vmcnt(1)
	scratch_store_dwordx4 off, v[6:9], s0
.LBB122_370:
	global_load_dword v0, v0, s[8:9] offset:224
	s_waitcnt vmcnt(0)
	v_readfirstlane_b32 s0, v0
	s_add_i32 s0, s0, -1
	s_cmp_eq_u32 s0, 56
	s_cbranch_scc1 .LBB122_372
; %bb.371:
	s_lshl_b32 s0, s0, 4
	s_add_i32 s0, s0, 16
	scratch_load_dwordx4 v[0:3], off, s0
	scratch_load_dwordx4 v[4:7], off, s18
	s_waitcnt vmcnt(1)
	scratch_store_dwordx4 off, v[0:3], s18
	s_waitcnt vmcnt(1)
	scratch_store_dwordx4 off, v[4:7], s0
.LBB122_372:
	v_mov_b32_e32 v0, 0
	global_load_dword v1, v0, s[8:9] offset:220
	s_waitcnt vmcnt(0)
	v_readfirstlane_b32 s0, v1
	s_add_i32 s0, s0, -1
	s_cmp_eq_u32 s0, 55
	s_cbranch_scc1 .LBB122_374
; %bb.373:
	s_lshl_b32 s0, s0, 4
	s_add_i32 s0, s0, 16
	scratch_load_dwordx4 v[2:5], off, s0
	scratch_load_dwordx4 v[6:9], off, s19
	s_waitcnt vmcnt(1)
	scratch_store_dwordx4 off, v[2:5], s19
	s_waitcnt vmcnt(1)
	scratch_store_dwordx4 off, v[6:9], s0
.LBB122_374:
	global_load_dword v0, v0, s[8:9] offset:216
	s_waitcnt vmcnt(0)
	v_readfirstlane_b32 s0, v0
	s_add_i32 s0, s0, -1
	s_cmp_eq_u32 s0, 54
	s_cbranch_scc1 .LBB122_376
; %bb.375:
	s_lshl_b32 s0, s0, 4
	s_add_i32 s0, s0, 16
	scratch_load_dwordx4 v[0:3], off, s0
	scratch_load_dwordx4 v[4:7], off, s20
	s_waitcnt vmcnt(1)
	scratch_store_dwordx4 off, v[0:3], s20
	s_waitcnt vmcnt(1)
	scratch_store_dwordx4 off, v[4:7], s0
.LBB122_376:
	v_mov_b32_e32 v0, 0
	global_load_dword v1, v0, s[8:9] offset:212
	s_waitcnt vmcnt(0)
	v_readfirstlane_b32 s0, v1
	s_add_i32 s0, s0, -1
	s_cmp_eq_u32 s0, 53
	s_cbranch_scc1 .LBB122_378
; %bb.377:
	s_lshl_b32 s0, s0, 4
	s_add_i32 s0, s0, 16
	scratch_load_dwordx4 v[2:5], off, s0
	scratch_load_dwordx4 v[6:9], off, s21
	s_waitcnt vmcnt(1)
	scratch_store_dwordx4 off, v[2:5], s21
	s_waitcnt vmcnt(1)
	scratch_store_dwordx4 off, v[6:9], s0
.LBB122_378:
	global_load_dword v0, v0, s[8:9] offset:208
	s_waitcnt vmcnt(0)
	v_readfirstlane_b32 s0, v0
	s_add_i32 s0, s0, -1
	s_cmp_eq_u32 s0, 52
	s_cbranch_scc1 .LBB122_380
; %bb.379:
	s_lshl_b32 s0, s0, 4
	s_add_i32 s0, s0, 16
	scratch_load_dwordx4 v[0:3], off, s0
	scratch_load_dwordx4 v[4:7], off, s22
	s_waitcnt vmcnt(1)
	scratch_store_dwordx4 off, v[0:3], s22
	s_waitcnt vmcnt(1)
	scratch_store_dwordx4 off, v[4:7], s0
.LBB122_380:
	v_mov_b32_e32 v0, 0
	global_load_dword v1, v0, s[8:9] offset:204
	s_waitcnt vmcnt(0)
	v_readfirstlane_b32 s0, v1
	s_add_i32 s0, s0, -1
	s_cmp_eq_u32 s0, 51
	s_cbranch_scc1 .LBB122_382
; %bb.381:
	s_lshl_b32 s0, s0, 4
	s_add_i32 s0, s0, 16
	scratch_load_dwordx4 v[2:5], off, s0
	scratch_load_dwordx4 v[6:9], off, s23
	s_waitcnt vmcnt(1)
	scratch_store_dwordx4 off, v[2:5], s23
	s_waitcnt vmcnt(1)
	scratch_store_dwordx4 off, v[6:9], s0
.LBB122_382:
	global_load_dword v0, v0, s[8:9] offset:200
	s_waitcnt vmcnt(0)
	v_readfirstlane_b32 s0, v0
	s_add_i32 s0, s0, -1
	s_cmp_eq_u32 s0, 50
	s_cbranch_scc1 .LBB122_384
; %bb.383:
	s_lshl_b32 s0, s0, 4
	s_add_i32 s0, s0, 16
	scratch_load_dwordx4 v[0:3], off, s0
	scratch_load_dwordx4 v[4:7], off, s24
	s_waitcnt vmcnt(1)
	scratch_store_dwordx4 off, v[0:3], s24
	s_waitcnt vmcnt(1)
	scratch_store_dwordx4 off, v[4:7], s0
.LBB122_384:
	v_mov_b32_e32 v0, 0
	global_load_dword v1, v0, s[8:9] offset:196
	s_waitcnt vmcnt(0)
	v_readfirstlane_b32 s0, v1
	s_add_i32 s0, s0, -1
	s_cmp_eq_u32 s0, 49
	s_cbranch_scc1 .LBB122_386
; %bb.385:
	s_lshl_b32 s0, s0, 4
	s_add_i32 s0, s0, 16
	scratch_load_dwordx4 v[2:5], off, s0
	scratch_load_dwordx4 v[6:9], off, s25
	s_waitcnt vmcnt(1)
	scratch_store_dwordx4 off, v[2:5], s25
	s_waitcnt vmcnt(1)
	scratch_store_dwordx4 off, v[6:9], s0
.LBB122_386:
	global_load_dword v0, v0, s[8:9] offset:192
	s_waitcnt vmcnt(0)
	v_readfirstlane_b32 s0, v0
	s_add_i32 s0, s0, -1
	s_cmp_eq_u32 s0, 48
	s_cbranch_scc1 .LBB122_388
; %bb.387:
	s_lshl_b32 s0, s0, 4
	s_add_i32 s0, s0, 16
	scratch_load_dwordx4 v[0:3], off, s0
	scratch_load_dwordx4 v[4:7], off, s26
	s_waitcnt vmcnt(1)
	scratch_store_dwordx4 off, v[0:3], s26
	s_waitcnt vmcnt(1)
	scratch_store_dwordx4 off, v[4:7], s0
.LBB122_388:
	v_mov_b32_e32 v0, 0
	global_load_dword v1, v0, s[8:9] offset:188
	s_waitcnt vmcnt(0)
	v_readfirstlane_b32 s0, v1
	s_add_i32 s0, s0, -1
	s_cmp_eq_u32 s0, 47
	s_cbranch_scc1 .LBB122_390
; %bb.389:
	s_lshl_b32 s0, s0, 4
	s_add_i32 s0, s0, 16
	scratch_load_dwordx4 v[2:5], off, s0
	scratch_load_dwordx4 v[6:9], off, s27
	s_waitcnt vmcnt(1)
	scratch_store_dwordx4 off, v[2:5], s27
	s_waitcnt vmcnt(1)
	scratch_store_dwordx4 off, v[6:9], s0
.LBB122_390:
	global_load_dword v0, v0, s[8:9] offset:184
	s_waitcnt vmcnt(0)
	v_readfirstlane_b32 s0, v0
	s_add_i32 s0, s0, -1
	s_cmp_eq_u32 s0, 46
	s_cbranch_scc1 .LBB122_392
; %bb.391:
	s_lshl_b32 s0, s0, 4
	s_add_i32 s0, s0, 16
	scratch_load_dwordx4 v[0:3], off, s0
	scratch_load_dwordx4 v[4:7], off, s28
	s_waitcnt vmcnt(1)
	scratch_store_dwordx4 off, v[0:3], s28
	s_waitcnt vmcnt(1)
	scratch_store_dwordx4 off, v[4:7], s0
.LBB122_392:
	v_mov_b32_e32 v0, 0
	global_load_dword v1, v0, s[8:9] offset:180
	s_waitcnt vmcnt(0)
	v_readfirstlane_b32 s0, v1
	s_add_i32 s0, s0, -1
	s_cmp_eq_u32 s0, 45
	s_cbranch_scc1 .LBB122_394
; %bb.393:
	s_lshl_b32 s0, s0, 4
	s_add_i32 s0, s0, 16
	scratch_load_dwordx4 v[2:5], off, s0
	scratch_load_dwordx4 v[6:9], off, s29
	s_waitcnt vmcnt(1)
	scratch_store_dwordx4 off, v[2:5], s29
	s_waitcnt vmcnt(1)
	scratch_store_dwordx4 off, v[6:9], s0
.LBB122_394:
	global_load_dword v0, v0, s[8:9] offset:176
	s_waitcnt vmcnt(0)
	v_readfirstlane_b32 s0, v0
	s_add_i32 s0, s0, -1
	s_cmp_eq_u32 s0, 44
	s_cbranch_scc1 .LBB122_396
; %bb.395:
	s_lshl_b32 s0, s0, 4
	s_add_i32 s0, s0, 16
	scratch_load_dwordx4 v[0:3], off, s0
	scratch_load_dwordx4 v[4:7], off, s30
	s_waitcnt vmcnt(1)
	scratch_store_dwordx4 off, v[0:3], s30
	s_waitcnt vmcnt(1)
	scratch_store_dwordx4 off, v[4:7], s0
.LBB122_396:
	v_mov_b32_e32 v0, 0
	global_load_dword v1, v0, s[8:9] offset:172
	s_waitcnt vmcnt(0)
	v_readfirstlane_b32 s0, v1
	s_add_i32 s0, s0, -1
	s_cmp_eq_u32 s0, 43
	s_cbranch_scc1 .LBB122_398
; %bb.397:
	s_lshl_b32 s0, s0, 4
	s_add_i32 s0, s0, 16
	scratch_load_dwordx4 v[2:5], off, s0
	scratch_load_dwordx4 v[6:9], off, s31
	s_waitcnt vmcnt(1)
	scratch_store_dwordx4 off, v[2:5], s31
	s_waitcnt vmcnt(1)
	scratch_store_dwordx4 off, v[6:9], s0
.LBB122_398:
	global_load_dword v0, v0, s[8:9] offset:168
	s_waitcnt vmcnt(0)
	v_readfirstlane_b32 s0, v0
	s_add_i32 s0, s0, -1
	s_cmp_eq_u32 s0, 42
	s_cbranch_scc1 .LBB122_400
; %bb.399:
	s_lshl_b32 s0, s0, 4
	s_add_i32 s0, s0, 16
	scratch_load_dwordx4 v[0:3], off, s0
	scratch_load_dwordx4 v[4:7], off, s33
	s_waitcnt vmcnt(1)
	scratch_store_dwordx4 off, v[0:3], s33
	s_waitcnt vmcnt(1)
	scratch_store_dwordx4 off, v[4:7], s0
.LBB122_400:
	v_mov_b32_e32 v0, 0
	global_load_dword v1, v0, s[8:9] offset:164
	s_waitcnt vmcnt(0)
	v_readfirstlane_b32 s0, v1
	s_add_i32 s0, s0, -1
	s_cmp_eq_u32 s0, 41
	s_cbranch_scc1 .LBB122_402
; %bb.401:
	s_lshl_b32 s0, s0, 4
	s_add_i32 s0, s0, 16
	scratch_load_dwordx4 v[2:5], off, s0
	scratch_load_dwordx4 v[6:9], off, s34
	s_waitcnt vmcnt(1)
	scratch_store_dwordx4 off, v[2:5], s34
	s_waitcnt vmcnt(1)
	scratch_store_dwordx4 off, v[6:9], s0
.LBB122_402:
	global_load_dword v0, v0, s[8:9] offset:160
	s_waitcnt vmcnt(0)
	v_readfirstlane_b32 s0, v0
	s_add_i32 s0, s0, -1
	s_cmp_eq_u32 s0, 40
	s_cbranch_scc1 .LBB122_404
; %bb.403:
	s_lshl_b32 s0, s0, 4
	s_add_i32 s0, s0, 16
	scratch_load_dwordx4 v[0:3], off, s0
	scratch_load_dwordx4 v[4:7], off, s35
	s_waitcnt vmcnt(1)
	scratch_store_dwordx4 off, v[0:3], s35
	s_waitcnt vmcnt(1)
	scratch_store_dwordx4 off, v[4:7], s0
.LBB122_404:
	v_mov_b32_e32 v0, 0
	global_load_dword v1, v0, s[8:9] offset:156
	s_waitcnt vmcnt(0)
	v_readfirstlane_b32 s0, v1
	s_add_i32 s0, s0, -1
	s_cmp_eq_u32 s0, 39
	s_cbranch_scc1 .LBB122_406
; %bb.405:
	s_lshl_b32 s0, s0, 4
	s_add_i32 s0, s0, 16
	scratch_load_dwordx4 v[2:5], off, s0
	scratch_load_dwordx4 v[6:9], off, s36
	s_waitcnt vmcnt(1)
	scratch_store_dwordx4 off, v[2:5], s36
	s_waitcnt vmcnt(1)
	scratch_store_dwordx4 off, v[6:9], s0
.LBB122_406:
	global_load_dword v0, v0, s[8:9] offset:152
	s_waitcnt vmcnt(0)
	v_readfirstlane_b32 s0, v0
	s_add_i32 s0, s0, -1
	s_cmp_eq_u32 s0, 38
	s_cbranch_scc1 .LBB122_408
; %bb.407:
	s_lshl_b32 s0, s0, 4
	s_add_i32 s0, s0, 16
	scratch_load_dwordx4 v[0:3], off, s0
	scratch_load_dwordx4 v[4:7], off, s37
	s_waitcnt vmcnt(1)
	scratch_store_dwordx4 off, v[0:3], s37
	s_waitcnt vmcnt(1)
	scratch_store_dwordx4 off, v[4:7], s0
.LBB122_408:
	v_mov_b32_e32 v0, 0
	global_load_dword v1, v0, s[8:9] offset:148
	s_waitcnt vmcnt(0)
	v_readfirstlane_b32 s0, v1
	s_add_i32 s0, s0, -1
	s_cmp_eq_u32 s0, 37
	s_cbranch_scc1 .LBB122_410
; %bb.409:
	s_lshl_b32 s0, s0, 4
	s_add_i32 s0, s0, 16
	scratch_load_dwordx4 v[2:5], off, s0
	scratch_load_dwordx4 v[6:9], off, s38
	s_waitcnt vmcnt(1)
	scratch_store_dwordx4 off, v[2:5], s38
	s_waitcnt vmcnt(1)
	scratch_store_dwordx4 off, v[6:9], s0
.LBB122_410:
	global_load_dword v0, v0, s[8:9] offset:144
	s_waitcnt vmcnt(0)
	v_readfirstlane_b32 s0, v0
	s_add_i32 s0, s0, -1
	s_cmp_eq_u32 s0, 36
	s_cbranch_scc1 .LBB122_412
; %bb.411:
	s_lshl_b32 s0, s0, 4
	s_add_i32 s0, s0, 16
	scratch_load_dwordx4 v[0:3], off, s0
	scratch_load_dwordx4 v[4:7], off, s39
	s_waitcnt vmcnt(1)
	scratch_store_dwordx4 off, v[0:3], s39
	s_waitcnt vmcnt(1)
	scratch_store_dwordx4 off, v[4:7], s0
.LBB122_412:
	v_mov_b32_e32 v0, 0
	global_load_dword v1, v0, s[8:9] offset:140
	s_waitcnt vmcnt(0)
	v_readfirstlane_b32 s0, v1
	s_add_i32 s0, s0, -1
	s_cmp_eq_u32 s0, 35
	s_cbranch_scc1 .LBB122_414
; %bb.413:
	s_lshl_b32 s0, s0, 4
	s_add_i32 s0, s0, 16
	scratch_load_dwordx4 v[2:5], off, s0
	scratch_load_dwordx4 v[6:9], off, s40
	s_waitcnt vmcnt(1)
	scratch_store_dwordx4 off, v[2:5], s40
	s_waitcnt vmcnt(1)
	scratch_store_dwordx4 off, v[6:9], s0
.LBB122_414:
	global_load_dword v0, v0, s[8:9] offset:136
	s_waitcnt vmcnt(0)
	v_readfirstlane_b32 s0, v0
	s_add_i32 s0, s0, -1
	s_cmp_eq_u32 s0, 34
	s_cbranch_scc1 .LBB122_416
; %bb.415:
	s_lshl_b32 s0, s0, 4
	s_add_i32 s0, s0, 16
	scratch_load_dwordx4 v[0:3], off, s0
	scratch_load_dwordx4 v[4:7], off, s41
	s_waitcnt vmcnt(1)
	scratch_store_dwordx4 off, v[0:3], s41
	s_waitcnt vmcnt(1)
	scratch_store_dwordx4 off, v[4:7], s0
.LBB122_416:
	v_mov_b32_e32 v0, 0
	global_load_dword v1, v0, s[8:9] offset:132
	s_waitcnt vmcnt(0)
	v_readfirstlane_b32 s0, v1
	s_add_i32 s0, s0, -1
	s_cmp_eq_u32 s0, 33
	s_cbranch_scc1 .LBB122_418
; %bb.417:
	s_lshl_b32 s0, s0, 4
	s_add_i32 s0, s0, 16
	scratch_load_dwordx4 v[2:5], off, s0
	scratch_load_dwordx4 v[6:9], off, s42
	s_waitcnt vmcnt(1)
	scratch_store_dwordx4 off, v[2:5], s42
	s_waitcnt vmcnt(1)
	scratch_store_dwordx4 off, v[6:9], s0
.LBB122_418:
	global_load_dword v0, v0, s[8:9] offset:128
	s_waitcnt vmcnt(0)
	v_readfirstlane_b32 s0, v0
	s_add_i32 s0, s0, -1
	s_cmp_eq_u32 s0, 32
	s_cbranch_scc1 .LBB122_420
; %bb.419:
	s_lshl_b32 s0, s0, 4
	s_add_i32 s0, s0, 16
	scratch_load_dwordx4 v[0:3], off, s0
	scratch_load_dwordx4 v[4:7], off, s43
	s_waitcnt vmcnt(1)
	scratch_store_dwordx4 off, v[0:3], s43
	s_waitcnt vmcnt(1)
	scratch_store_dwordx4 off, v[4:7], s0
.LBB122_420:
	v_mov_b32_e32 v0, 0
	global_load_dword v1, v0, s[8:9] offset:124
	s_waitcnt vmcnt(0)
	v_readfirstlane_b32 s0, v1
	s_add_i32 s0, s0, -1
	s_cmp_eq_u32 s0, 31
	s_cbranch_scc1 .LBB122_422
; %bb.421:
	s_lshl_b32 s0, s0, 4
	s_add_i32 s0, s0, 16
	scratch_load_dwordx4 v[2:5], off, s0
	scratch_load_dwordx4 v[6:9], off, s44
	s_waitcnt vmcnt(1)
	scratch_store_dwordx4 off, v[2:5], s44
	s_waitcnt vmcnt(1)
	scratch_store_dwordx4 off, v[6:9], s0
.LBB122_422:
	global_load_dword v0, v0, s[8:9] offset:120
	s_waitcnt vmcnt(0)
	v_readfirstlane_b32 s0, v0
	s_add_i32 s0, s0, -1
	s_cmp_eq_u32 s0, 30
	s_cbranch_scc1 .LBB122_424
; %bb.423:
	s_lshl_b32 s0, s0, 4
	s_add_i32 s0, s0, 16
	scratch_load_dwordx4 v[0:3], off, s0
	scratch_load_dwordx4 v[4:7], off, s45
	s_waitcnt vmcnt(1)
	scratch_store_dwordx4 off, v[0:3], s45
	s_waitcnt vmcnt(1)
	scratch_store_dwordx4 off, v[4:7], s0
.LBB122_424:
	v_mov_b32_e32 v0, 0
	global_load_dword v1, v0, s[8:9] offset:116
	s_waitcnt vmcnt(0)
	v_readfirstlane_b32 s0, v1
	s_add_i32 s0, s0, -1
	s_cmp_eq_u32 s0, 29
	s_cbranch_scc1 .LBB122_426
; %bb.425:
	s_lshl_b32 s0, s0, 4
	s_add_i32 s0, s0, 16
	scratch_load_dwordx4 v[2:5], off, s0
	scratch_load_dwordx4 v[6:9], off, s46
	s_waitcnt vmcnt(1)
	scratch_store_dwordx4 off, v[2:5], s46
	s_waitcnt vmcnt(1)
	scratch_store_dwordx4 off, v[6:9], s0
.LBB122_426:
	global_load_dword v0, v0, s[8:9] offset:112
	s_waitcnt vmcnt(0)
	v_readfirstlane_b32 s0, v0
	s_add_i32 s0, s0, -1
	s_cmp_eq_u32 s0, 28
	s_cbranch_scc1 .LBB122_428
; %bb.427:
	s_lshl_b32 s0, s0, 4
	s_add_i32 s0, s0, 16
	scratch_load_dwordx4 v[0:3], off, s0
	scratch_load_dwordx4 v[4:7], off, s47
	s_waitcnt vmcnt(1)
	scratch_store_dwordx4 off, v[0:3], s47
	s_waitcnt vmcnt(1)
	scratch_store_dwordx4 off, v[4:7], s0
.LBB122_428:
	v_mov_b32_e32 v0, 0
	global_load_dword v1, v0, s[8:9] offset:108
	s_waitcnt vmcnt(0)
	v_readfirstlane_b32 s0, v1
	s_add_i32 s0, s0, -1
	s_cmp_eq_u32 s0, 27
	s_cbranch_scc1 .LBB122_430
; %bb.429:
	s_lshl_b32 s0, s0, 4
	s_add_i32 s0, s0, 16
	scratch_load_dwordx4 v[2:5], off, s0
	scratch_load_dwordx4 v[6:9], off, s48
	s_waitcnt vmcnt(1)
	scratch_store_dwordx4 off, v[2:5], s48
	s_waitcnt vmcnt(1)
	scratch_store_dwordx4 off, v[6:9], s0
.LBB122_430:
	global_load_dword v0, v0, s[8:9] offset:104
	s_waitcnt vmcnt(0)
	v_readfirstlane_b32 s0, v0
	s_add_i32 s0, s0, -1
	s_cmp_eq_u32 s0, 26
	s_cbranch_scc1 .LBB122_432
; %bb.431:
	s_lshl_b32 s0, s0, 4
	s_add_i32 s0, s0, 16
	scratch_load_dwordx4 v[0:3], off, s0
	scratch_load_dwordx4 v[4:7], off, s49
	s_waitcnt vmcnt(1)
	scratch_store_dwordx4 off, v[0:3], s49
	s_waitcnt vmcnt(1)
	scratch_store_dwordx4 off, v[4:7], s0
.LBB122_432:
	v_mov_b32_e32 v0, 0
	global_load_dword v1, v0, s[8:9] offset:100
	s_waitcnt vmcnt(0)
	v_readfirstlane_b32 s0, v1
	s_add_i32 s0, s0, -1
	s_cmp_eq_u32 s0, 25
	s_cbranch_scc1 .LBB122_434
; %bb.433:
	s_lshl_b32 s0, s0, 4
	s_add_i32 s0, s0, 16
	scratch_load_dwordx4 v[2:5], off, s0
	scratch_load_dwordx4 v[6:9], off, s50
	s_waitcnt vmcnt(1)
	scratch_store_dwordx4 off, v[2:5], s50
	s_waitcnt vmcnt(1)
	scratch_store_dwordx4 off, v[6:9], s0
.LBB122_434:
	global_load_dword v0, v0, s[8:9] offset:96
	s_waitcnt vmcnt(0)
	v_readfirstlane_b32 s0, v0
	s_add_i32 s0, s0, -1
	s_cmp_eq_u32 s0, 24
	s_cbranch_scc1 .LBB122_436
; %bb.435:
	s_lshl_b32 s0, s0, 4
	s_add_i32 s0, s0, 16
	scratch_load_dwordx4 v[0:3], off, s0
	scratch_load_dwordx4 v[4:7], off, s51
	s_waitcnt vmcnt(1)
	scratch_store_dwordx4 off, v[0:3], s51
	s_waitcnt vmcnt(1)
	scratch_store_dwordx4 off, v[4:7], s0
.LBB122_436:
	v_mov_b32_e32 v0, 0
	global_load_dword v1, v0, s[8:9] offset:92
	s_waitcnt vmcnt(0)
	v_readfirstlane_b32 s0, v1
	s_add_i32 s0, s0, -1
	s_cmp_eq_u32 s0, 23
	s_cbranch_scc1 .LBB122_438
; %bb.437:
	s_lshl_b32 s0, s0, 4
	s_add_i32 s0, s0, 16
	scratch_load_dwordx4 v[2:5], off, s0
	scratch_load_dwordx4 v[6:9], off, s52
	s_waitcnt vmcnt(1)
	scratch_store_dwordx4 off, v[2:5], s52
	s_waitcnt vmcnt(1)
	scratch_store_dwordx4 off, v[6:9], s0
.LBB122_438:
	global_load_dword v0, v0, s[8:9] offset:88
	s_waitcnt vmcnt(0)
	v_readfirstlane_b32 s0, v0
	s_add_i32 s0, s0, -1
	s_cmp_eq_u32 s0, 22
	s_cbranch_scc1 .LBB122_440
; %bb.439:
	s_lshl_b32 s0, s0, 4
	s_add_i32 s0, s0, 16
	scratch_load_dwordx4 v[0:3], off, s0
	scratch_load_dwordx4 v[4:7], off, s53
	s_waitcnt vmcnt(1)
	scratch_store_dwordx4 off, v[0:3], s53
	s_waitcnt vmcnt(1)
	scratch_store_dwordx4 off, v[4:7], s0
.LBB122_440:
	v_mov_b32_e32 v0, 0
	global_load_dword v1, v0, s[8:9] offset:84
	s_waitcnt vmcnt(0)
	v_readfirstlane_b32 s0, v1
	s_add_i32 s0, s0, -1
	s_cmp_eq_u32 s0, 21
	s_cbranch_scc1 .LBB122_442
; %bb.441:
	s_lshl_b32 s0, s0, 4
	s_add_i32 s0, s0, 16
	scratch_load_dwordx4 v[2:5], off, s0
	scratch_load_dwordx4 v[6:9], off, s54
	s_waitcnt vmcnt(1)
	scratch_store_dwordx4 off, v[2:5], s54
	s_waitcnt vmcnt(1)
	scratch_store_dwordx4 off, v[6:9], s0
.LBB122_442:
	global_load_dword v0, v0, s[8:9] offset:80
	s_waitcnt vmcnt(0)
	v_readfirstlane_b32 s0, v0
	s_add_i32 s0, s0, -1
	s_cmp_eq_u32 s0, 20
	s_cbranch_scc1 .LBB122_444
; %bb.443:
	s_lshl_b32 s0, s0, 4
	s_add_i32 s0, s0, 16
	scratch_load_dwordx4 v[0:3], off, s0
	scratch_load_dwordx4 v[4:7], off, s55
	s_waitcnt vmcnt(1)
	scratch_store_dwordx4 off, v[0:3], s55
	s_waitcnt vmcnt(1)
	scratch_store_dwordx4 off, v[4:7], s0
.LBB122_444:
	v_mov_b32_e32 v0, 0
	global_load_dword v1, v0, s[8:9] offset:76
	s_waitcnt vmcnt(0)
	v_readfirstlane_b32 s0, v1
	s_add_i32 s0, s0, -1
	s_cmp_eq_u32 s0, 19
	s_cbranch_scc1 .LBB122_446
; %bb.445:
	s_lshl_b32 s0, s0, 4
	s_add_i32 s0, s0, 16
	scratch_load_dwordx4 v[2:5], off, s0
	scratch_load_dwordx4 v[6:9], off, s56
	s_waitcnt vmcnt(1)
	scratch_store_dwordx4 off, v[2:5], s56
	s_waitcnt vmcnt(1)
	scratch_store_dwordx4 off, v[6:9], s0
.LBB122_446:
	global_load_dword v0, v0, s[8:9] offset:72
	s_waitcnt vmcnt(0)
	v_readfirstlane_b32 s0, v0
	s_add_i32 s0, s0, -1
	s_cmp_eq_u32 s0, 18
	s_cbranch_scc1 .LBB122_448
; %bb.447:
	s_lshl_b32 s0, s0, 4
	s_add_i32 s0, s0, 16
	scratch_load_dwordx4 v[0:3], off, s0
	scratch_load_dwordx4 v[4:7], off, s57
	s_waitcnt vmcnt(1)
	scratch_store_dwordx4 off, v[0:3], s57
	s_waitcnt vmcnt(1)
	scratch_store_dwordx4 off, v[4:7], s0
.LBB122_448:
	v_mov_b32_e32 v0, 0
	global_load_dword v1, v0, s[8:9] offset:68
	s_waitcnt vmcnt(0)
	v_readfirstlane_b32 s0, v1
	s_add_i32 s0, s0, -1
	s_cmp_eq_u32 s0, 17
	s_cbranch_scc1 .LBB122_450
; %bb.449:
	s_lshl_b32 s0, s0, 4
	s_add_i32 s0, s0, 16
	scratch_load_dwordx4 v[2:5], off, s0
	scratch_load_dwordx4 v[6:9], off, s58
	s_waitcnt vmcnt(1)
	scratch_store_dwordx4 off, v[2:5], s58
	s_waitcnt vmcnt(1)
	scratch_store_dwordx4 off, v[6:9], s0
.LBB122_450:
	global_load_dword v0, v0, s[8:9] offset:64
	s_waitcnt vmcnt(0)
	v_readfirstlane_b32 s0, v0
	s_add_i32 s0, s0, -1
	s_cmp_eq_u32 s0, 16
	s_cbranch_scc1 .LBB122_452
; %bb.451:
	s_lshl_b32 s0, s0, 4
	s_add_i32 s0, s0, 16
	scratch_load_dwordx4 v[0:3], off, s0
	scratch_load_dwordx4 v[4:7], off, s59
	s_waitcnt vmcnt(1)
	scratch_store_dwordx4 off, v[0:3], s59
	s_waitcnt vmcnt(1)
	scratch_store_dwordx4 off, v[4:7], s0
.LBB122_452:
	v_mov_b32_e32 v0, 0
	global_load_dword v1, v0, s[8:9] offset:60
	s_waitcnt vmcnt(0)
	v_readfirstlane_b32 s0, v1
	s_add_i32 s0, s0, -1
	s_cmp_eq_u32 s0, 15
	s_cbranch_scc1 .LBB122_454
; %bb.453:
	s_lshl_b32 s0, s0, 4
	s_add_i32 s0, s0, 16
	scratch_load_dwordx4 v[2:5], off, s0
	scratch_load_dwordx4 v[6:9], off, s60
	s_waitcnt vmcnt(1)
	scratch_store_dwordx4 off, v[2:5], s60
	s_waitcnt vmcnt(1)
	scratch_store_dwordx4 off, v[6:9], s0
.LBB122_454:
	global_load_dword v0, v0, s[8:9] offset:56
	s_waitcnt vmcnt(0)
	v_readfirstlane_b32 s0, v0
	s_add_i32 s0, s0, -1
	s_cmp_eq_u32 s0, 14
	s_cbranch_scc1 .LBB122_456
; %bb.455:
	s_lshl_b32 s0, s0, 4
	s_add_i32 s0, s0, 16
	scratch_load_dwordx4 v[0:3], off, s0
	scratch_load_dwordx4 v[4:7], off, s61
	s_waitcnt vmcnt(1)
	scratch_store_dwordx4 off, v[0:3], s61
	s_waitcnt vmcnt(1)
	scratch_store_dwordx4 off, v[4:7], s0
.LBB122_456:
	v_mov_b32_e32 v0, 0
	global_load_dword v1, v0, s[8:9] offset:52
	s_waitcnt vmcnt(0)
	v_readfirstlane_b32 s0, v1
	s_add_i32 s0, s0, -1
	s_cmp_eq_u32 s0, 13
	s_cbranch_scc1 .LBB122_458
; %bb.457:
	s_lshl_b32 s0, s0, 4
	s_add_i32 s0, s0, 16
	scratch_load_dwordx4 v[2:5], off, s0
	scratch_load_dwordx4 v[6:9], off, s62
	s_waitcnt vmcnt(1)
	scratch_store_dwordx4 off, v[2:5], s62
	s_waitcnt vmcnt(1)
	scratch_store_dwordx4 off, v[6:9], s0
.LBB122_458:
	global_load_dword v0, v0, s[8:9] offset:48
	s_waitcnt vmcnt(0)
	v_readfirstlane_b32 s0, v0
	s_add_i32 s0, s0, -1
	s_cmp_eq_u32 s0, 12
	s_cbranch_scc1 .LBB122_460
; %bb.459:
	s_lshl_b32 s0, s0, 4
	s_add_i32 s0, s0, 16
	scratch_load_dwordx4 v[0:3], off, s0
	scratch_load_dwordx4 v[4:7], off, s63
	s_waitcnt vmcnt(1)
	scratch_store_dwordx4 off, v[0:3], s63
	s_waitcnt vmcnt(1)
	scratch_store_dwordx4 off, v[4:7], s0
.LBB122_460:
	v_mov_b32_e32 v0, 0
	global_load_dword v1, v0, s[8:9] offset:44
	s_waitcnt vmcnt(0)
	v_readfirstlane_b32 s0, v1
	s_add_i32 s0, s0, -1
	s_cmp_eq_u32 s0, 11
	s_cbranch_scc1 .LBB122_462
; %bb.461:
	s_lshl_b32 s0, s0, 4
	s_add_i32 s0, s0, 16
	scratch_load_dwordx4 v[2:5], off, s0
	scratch_load_dwordx4 v[6:9], off, s64
	s_waitcnt vmcnt(1)
	scratch_store_dwordx4 off, v[2:5], s64
	s_waitcnt vmcnt(1)
	scratch_store_dwordx4 off, v[6:9], s0
.LBB122_462:
	global_load_dword v0, v0, s[8:9] offset:40
	s_waitcnt vmcnt(0)
	v_readfirstlane_b32 s0, v0
	s_add_i32 s0, s0, -1
	s_cmp_eq_u32 s0, 10
	s_cbranch_scc1 .LBB122_464
; %bb.463:
	s_lshl_b32 s0, s0, 4
	s_add_i32 s0, s0, 16
	scratch_load_dwordx4 v[0:3], off, s0
	scratch_load_dwordx4 v[4:7], off, s65
	s_waitcnt vmcnt(1)
	scratch_store_dwordx4 off, v[0:3], s65
	s_waitcnt vmcnt(1)
	scratch_store_dwordx4 off, v[4:7], s0
.LBB122_464:
	v_mov_b32_e32 v0, 0
	global_load_dword v1, v0, s[8:9] offset:36
	s_waitcnt vmcnt(0)
	v_readfirstlane_b32 s0, v1
	s_add_i32 s0, s0, -1
	s_cmp_eq_u32 s0, 9
	s_cbranch_scc1 .LBB122_466
; %bb.465:
	s_lshl_b32 s0, s0, 4
	s_add_i32 s0, s0, 16
	scratch_load_dwordx4 v[2:5], off, s0
	scratch_load_dwordx4 v[6:9], off, s66
	s_waitcnt vmcnt(1)
	scratch_store_dwordx4 off, v[2:5], s66
	s_waitcnt vmcnt(1)
	scratch_store_dwordx4 off, v[6:9], s0
.LBB122_466:
	global_load_dword v0, v0, s[8:9] offset:32
	s_waitcnt vmcnt(0)
	v_readfirstlane_b32 s0, v0
	s_add_i32 s0, s0, -1
	s_cmp_eq_u32 s0, 8
	s_cbranch_scc1 .LBB122_468
; %bb.467:
	s_lshl_b32 s0, s0, 4
	s_add_i32 s0, s0, 16
	scratch_load_dwordx4 v[0:3], off, s0
	scratch_load_dwordx4 v[4:7], off, s67
	s_waitcnt vmcnt(1)
	scratch_store_dwordx4 off, v[0:3], s67
	s_waitcnt vmcnt(1)
	scratch_store_dwordx4 off, v[4:7], s0
.LBB122_468:
	v_mov_b32_e32 v0, 0
	global_load_dword v1, v0, s[8:9] offset:28
	s_waitcnt vmcnt(0)
	v_readfirstlane_b32 s0, v1
	s_add_i32 s0, s0, -1
	s_cmp_eq_u32 s0, 7
	s_cbranch_scc1 .LBB122_470
; %bb.469:
	s_lshl_b32 s0, s0, 4
	s_add_i32 s0, s0, 16
	scratch_load_dwordx4 v[2:5], off, s0
	scratch_load_dwordx4 v[6:9], off, s68
	s_waitcnt vmcnt(1)
	scratch_store_dwordx4 off, v[2:5], s68
	s_waitcnt vmcnt(1)
	scratch_store_dwordx4 off, v[6:9], s0
.LBB122_470:
	global_load_dword v0, v0, s[8:9] offset:24
	s_waitcnt vmcnt(0)
	v_readfirstlane_b32 s0, v0
	s_add_i32 s0, s0, -1
	s_cmp_eq_u32 s0, 6
	s_cbranch_scc1 .LBB122_472
; %bb.471:
	s_lshl_b32 s0, s0, 4
	s_add_i32 s0, s0, 16
	scratch_load_dwordx4 v[0:3], off, s0
	scratch_load_dwordx4 v[4:7], off, s69
	s_waitcnt vmcnt(1)
	scratch_store_dwordx4 off, v[0:3], s69
	s_waitcnt vmcnt(1)
	scratch_store_dwordx4 off, v[4:7], s0
.LBB122_472:
	v_mov_b32_e32 v0, 0
	global_load_dword v1, v0, s[8:9] offset:20
	s_waitcnt vmcnt(0)
	v_readfirstlane_b32 s0, v1
	s_add_i32 s0, s0, -1
	s_cmp_eq_u32 s0, 5
	s_cbranch_scc1 .LBB122_474
; %bb.473:
	s_lshl_b32 s0, s0, 4
	s_add_i32 s0, s0, 16
	scratch_load_dwordx4 v[2:5], off, s0
	scratch_load_dwordx4 v[6:9], off, s70
	s_waitcnt vmcnt(1)
	scratch_store_dwordx4 off, v[2:5], s70
	s_waitcnt vmcnt(1)
	scratch_store_dwordx4 off, v[6:9], s0
.LBB122_474:
	global_load_dword v0, v0, s[8:9] offset:16
	s_waitcnt vmcnt(0)
	v_readfirstlane_b32 s0, v0
	s_add_i32 s0, s0, -1
	s_cmp_eq_u32 s0, 4
	s_cbranch_scc1 .LBB122_476
; %bb.475:
	s_lshl_b32 s0, s0, 4
	s_add_i32 s0, s0, 16
	scratch_load_dwordx4 v[0:3], off, s0
	scratch_load_dwordx4 v[4:7], off, s71
	s_waitcnt vmcnt(1)
	scratch_store_dwordx4 off, v[0:3], s71
	s_waitcnt vmcnt(1)
	scratch_store_dwordx4 off, v[4:7], s0
.LBB122_476:
	v_mov_b32_e32 v0, 0
	global_load_dword v1, v0, s[8:9] offset:12
	s_waitcnt vmcnt(0)
	v_readfirstlane_b32 s0, v1
	s_add_i32 s0, s0, -1
	s_cmp_eq_u32 s0, 3
	s_cbranch_scc1 .LBB122_478
; %bb.477:
	s_lshl_b32 s0, s0, 4
	s_add_i32 s0, s0, 16
	scratch_load_dwordx4 v[2:5], off, s0
	scratch_load_dwordx4 v[6:9], off, s72
	s_waitcnt vmcnt(1)
	scratch_store_dwordx4 off, v[2:5], s72
	s_waitcnt vmcnt(1)
	scratch_store_dwordx4 off, v[6:9], s0
.LBB122_478:
	global_load_dword v0, v0, s[8:9] offset:8
	s_waitcnt vmcnt(0)
	v_readfirstlane_b32 s0, v0
	s_add_i32 s0, s0, -1
	s_cmp_eq_u32 s0, 2
	s_cbranch_scc1 .LBB122_480
; %bb.479:
	s_lshl_b32 s0, s0, 4
	s_add_i32 s0, s0, 16
	scratch_load_dwordx4 v[0:3], off, s0
	scratch_load_dwordx4 v[4:7], off, s73
	s_waitcnt vmcnt(1)
	scratch_store_dwordx4 off, v[0:3], s73
	s_waitcnt vmcnt(1)
	scratch_store_dwordx4 off, v[4:7], s0
.LBB122_480:
	v_mov_b32_e32 v0, 0
	global_load_dword v1, v0, s[8:9] offset:4
	s_waitcnt vmcnt(0)
	v_readfirstlane_b32 s0, v1
	s_add_i32 s0, s0, -1
	s_cmp_eq_u32 s0, 1
	s_cbranch_scc1 .LBB122_482
; %bb.481:
	s_lshl_b32 s0, s0, 4
	s_add_i32 s0, s0, 16
	scratch_load_dwordx4 v[2:5], off, s0
	scratch_load_dwordx4 v[6:9], off, s74
	s_waitcnt vmcnt(1)
	scratch_store_dwordx4 off, v[2:5], s74
	s_waitcnt vmcnt(1)
	scratch_store_dwordx4 off, v[6:9], s0
.LBB122_482:
	global_load_dword v0, v0, s[8:9]
	s_waitcnt vmcnt(0)
	v_readfirstlane_b32 s0, v0
	s_add_i32 s0, s0, -1
	s_cmp_eq_u32 s0, 0
	s_cbranch_scc1 .LBB122_484
; %bb.483:
	s_lshl_b32 s0, s0, 4
	s_add_i32 s0, s0, 16
	scratch_load_dwordx4 v[0:3], off, s0
	scratch_load_dwordx4 v[4:7], off, off offset:16
	s_waitcnt vmcnt(1)
	scratch_store_dwordx4 off, v[0:3], off offset:16
	s_waitcnt vmcnt(1)
	scratch_store_dwordx4 off, v[4:7], s0
.LBB122_484:
	scratch_load_dwordx4 v[0:3], off, off offset:16
	s_nop 0
	v_accvgpr_read_b32 v5, a1
	v_accvgpr_read_b32 v4, a0
	s_waitcnt vmcnt(0)
	flat_store_dwordx4 v[4:5], v[0:3]
	scratch_load_dwordx4 v[0:3], off, s74
	v_accvgpr_read_b32 v5, a3
	v_accvgpr_read_b32 v4, a2
	s_waitcnt vmcnt(0)
	flat_store_dwordx4 v[4:5], v[0:3]
	scratch_load_dwordx4 v[0:3], off, s73
	;; [unrolled: 5-line block ×58, first 2 shown]
	v_accvgpr_read_b32 v4, a116
	v_accvgpr_read_b32 v5, a117
	s_waitcnt vmcnt(0)
	flat_store_dwordx4 v[4:5], v[0:3]
	s_endpgm
	.section	.rodata,"a",@progbits
	.p2align	6, 0x0
	.amdhsa_kernel _ZN9rocsolver6v33100L18getri_kernel_smallILi59E19rocblas_complex_numIdEPKPS3_EEvT1_iilPiilS8_bb
		.amdhsa_group_segment_fixed_size 1896
		.amdhsa_private_segment_fixed_size 976
		.amdhsa_kernarg_size 60
		.amdhsa_user_sgpr_count 2
		.amdhsa_user_sgpr_dispatch_ptr 0
		.amdhsa_user_sgpr_queue_ptr 0
		.amdhsa_user_sgpr_kernarg_segment_ptr 1
		.amdhsa_user_sgpr_dispatch_id 0
		.amdhsa_user_sgpr_kernarg_preload_length 0
		.amdhsa_user_sgpr_kernarg_preload_offset 0
		.amdhsa_user_sgpr_private_segment_size 0
		.amdhsa_uses_dynamic_stack 0
		.amdhsa_enable_private_segment 1
		.amdhsa_system_sgpr_workgroup_id_x 1
		.amdhsa_system_sgpr_workgroup_id_y 0
		.amdhsa_system_sgpr_workgroup_id_z 0
		.amdhsa_system_sgpr_workgroup_info 0
		.amdhsa_system_vgpr_workitem_id 0
		.amdhsa_next_free_vgpr 416
		.amdhsa_next_free_sgpr 97
		.amdhsa_accum_offset 256
		.amdhsa_reserve_vcc 1
		.amdhsa_float_round_mode_32 0
		.amdhsa_float_round_mode_16_64 0
		.amdhsa_float_denorm_mode_32 3
		.amdhsa_float_denorm_mode_16_64 3
		.amdhsa_dx10_clamp 1
		.amdhsa_ieee_mode 1
		.amdhsa_fp16_overflow 0
		.amdhsa_tg_split 0
		.amdhsa_exception_fp_ieee_invalid_op 0
		.amdhsa_exception_fp_denorm_src 0
		.amdhsa_exception_fp_ieee_div_zero 0
		.amdhsa_exception_fp_ieee_overflow 0
		.amdhsa_exception_fp_ieee_underflow 0
		.amdhsa_exception_fp_ieee_inexact 0
		.amdhsa_exception_int_div_zero 0
	.end_amdhsa_kernel
	.section	.text._ZN9rocsolver6v33100L18getri_kernel_smallILi59E19rocblas_complex_numIdEPKPS3_EEvT1_iilPiilS8_bb,"axG",@progbits,_ZN9rocsolver6v33100L18getri_kernel_smallILi59E19rocblas_complex_numIdEPKPS3_EEvT1_iilPiilS8_bb,comdat
.Lfunc_end122:
	.size	_ZN9rocsolver6v33100L18getri_kernel_smallILi59E19rocblas_complex_numIdEPKPS3_EEvT1_iilPiilS8_bb, .Lfunc_end122-_ZN9rocsolver6v33100L18getri_kernel_smallILi59E19rocblas_complex_numIdEPKPS3_EEvT1_iilPiilS8_bb
                                        ; -- End function
	.set _ZN9rocsolver6v33100L18getri_kernel_smallILi59E19rocblas_complex_numIdEPKPS3_EEvT1_iilPiilS8_bb.num_vgpr, 256
	.set _ZN9rocsolver6v33100L18getri_kernel_smallILi59E19rocblas_complex_numIdEPKPS3_EEvT1_iilPiilS8_bb.num_agpr, 160
	.set _ZN9rocsolver6v33100L18getri_kernel_smallILi59E19rocblas_complex_numIdEPKPS3_EEvT1_iilPiilS8_bb.numbered_sgpr, 97
	.set _ZN9rocsolver6v33100L18getri_kernel_smallILi59E19rocblas_complex_numIdEPKPS3_EEvT1_iilPiilS8_bb.num_named_barrier, 0
	.set _ZN9rocsolver6v33100L18getri_kernel_smallILi59E19rocblas_complex_numIdEPKPS3_EEvT1_iilPiilS8_bb.private_seg_size, 976
	.set _ZN9rocsolver6v33100L18getri_kernel_smallILi59E19rocblas_complex_numIdEPKPS3_EEvT1_iilPiilS8_bb.uses_vcc, 1
	.set _ZN9rocsolver6v33100L18getri_kernel_smallILi59E19rocblas_complex_numIdEPKPS3_EEvT1_iilPiilS8_bb.uses_flat_scratch, 0
	.set _ZN9rocsolver6v33100L18getri_kernel_smallILi59E19rocblas_complex_numIdEPKPS3_EEvT1_iilPiilS8_bb.has_dyn_sized_stack, 0
	.set _ZN9rocsolver6v33100L18getri_kernel_smallILi59E19rocblas_complex_numIdEPKPS3_EEvT1_iilPiilS8_bb.has_recursion, 0
	.set _ZN9rocsolver6v33100L18getri_kernel_smallILi59E19rocblas_complex_numIdEPKPS3_EEvT1_iilPiilS8_bb.has_indirect_call, 0
	.section	.AMDGPU.csdata,"",@progbits
; Kernel info:
; codeLenInByte = 147060
; TotalNumSgprs: 103
; NumVgprs: 256
; NumAgprs: 160
; TotalNumVgprs: 416
; ScratchSize: 976
; MemoryBound: 0
; FloatMode: 240
; IeeeMode: 1
; LDSByteSize: 1896 bytes/workgroup (compile time only)
; SGPRBlocks: 12
; VGPRBlocks: 51
; NumSGPRsForWavesPerEU: 103
; NumVGPRsForWavesPerEU: 416
; AccumOffset: 256
; Occupancy: 1
; WaveLimiterHint : 1
; COMPUTE_PGM_RSRC2:SCRATCH_EN: 1
; COMPUTE_PGM_RSRC2:USER_SGPR: 2
; COMPUTE_PGM_RSRC2:TRAP_HANDLER: 0
; COMPUTE_PGM_RSRC2:TGID_X_EN: 1
; COMPUTE_PGM_RSRC2:TGID_Y_EN: 0
; COMPUTE_PGM_RSRC2:TGID_Z_EN: 0
; COMPUTE_PGM_RSRC2:TIDIG_COMP_CNT: 0
; COMPUTE_PGM_RSRC3_GFX90A:ACCUM_OFFSET: 63
; COMPUTE_PGM_RSRC3_GFX90A:TG_SPLIT: 0
	.section	.text._ZN9rocsolver6v33100L18getri_kernel_smallILi60E19rocblas_complex_numIdEPKPS3_EEvT1_iilPiilS8_bb,"axG",@progbits,_ZN9rocsolver6v33100L18getri_kernel_smallILi60E19rocblas_complex_numIdEPKPS3_EEvT1_iilPiilS8_bb,comdat
	.globl	_ZN9rocsolver6v33100L18getri_kernel_smallILi60E19rocblas_complex_numIdEPKPS3_EEvT1_iilPiilS8_bb ; -- Begin function _ZN9rocsolver6v33100L18getri_kernel_smallILi60E19rocblas_complex_numIdEPKPS3_EEvT1_iilPiilS8_bb
	.p2align	8
	.type	_ZN9rocsolver6v33100L18getri_kernel_smallILi60E19rocblas_complex_numIdEPKPS3_EEvT1_iilPiilS8_bb,@function
_ZN9rocsolver6v33100L18getri_kernel_smallILi60E19rocblas_complex_numIdEPKPS3_EEvT1_iilPiilS8_bb: ; @_ZN9rocsolver6v33100L18getri_kernel_smallILi60E19rocblas_complex_numIdEPKPS3_EEvT1_iilPiilS8_bb
; %bb.0:
	v_mov_b32_e32 v240, v0
	v_cmp_gt_u32_e32 vcc, 60, v240
	s_and_saveexec_b64 s[4:5], vcc
	s_cbranch_execz .LBB123_254
; %bb.1:
	s_load_dword s14, s[0:1], 0x38
	s_load_dwordx2 s[8:9], s[0:1], 0x0
	s_load_dwordx4 s[4:7], s[0:1], 0x28
	s_waitcnt lgkmcnt(0)
	s_bitcmp1_b32 s14, 8
	s_cselect_b64 s[10:11], -1, 0
	s_ashr_i32 s3, s2, 31
	s_lshl_b64 s[12:13], s[2:3], 3
	s_add_u32 s8, s8, s12
	s_addc_u32 s9, s9, s13
	s_load_dwordx2 s[12:13], s[8:9], 0x0
	s_bfe_u32 s8, s14, 0x10008
	s_cmp_eq_u32 s8, 0
                                        ; implicit-def: $sgpr8_sgpr9
	s_cbranch_scc1 .LBB123_3
; %bb.2:
	s_load_dword s8, s[0:1], 0x20
	s_load_dwordx2 s[14:15], s[0:1], 0x18
	s_mul_i32 s9, s4, s3
	s_mul_hi_u32 s16, s4, s2
	s_add_i32 s16, s16, s9
	s_mul_i32 s5, s5, s2
	s_add_i32 s5, s16, s5
	s_mul_i32 s4, s4, s2
	s_waitcnt lgkmcnt(0)
	s_ashr_i32 s9, s8, 31
	s_lshl_b64 s[4:5], s[4:5], 2
	s_add_u32 s14, s14, s4
	s_addc_u32 s15, s15, s5
	s_lshl_b64 s[4:5], s[8:9], 2
	s_add_u32 s8, s14, s4
	s_addc_u32 s9, s15, s5
.LBB123_3:
	s_load_dwordx2 s[4:5], s[0:1], 0x8
	s_load_dword s14, s[0:1], 0x38
	v_lshlrev_b32_e32 v14, 4, v240
	v_mov_b32_e32 v15, 0
	s_movk_i32 s15, 0x80
	s_waitcnt lgkmcnt(0)
	s_ashr_i32 s1, s4, 31
	s_mov_b32 s0, s4
	s_lshl_b64 s[0:1], s[0:1], 4
	s_add_u32 s0, s12, s0
	s_addc_u32 s1, s13, s1
	v_lshl_add_u64 v[0:1], s[0:1], 0, v[14:15]
	flat_load_dwordx4 v[2:5], v[0:1]
	s_mov_b32 s12, s5
	s_ashr_i32 s13, s5, 31
	v_accvgpr_write_b32 a0, v0
	v_accvgpr_write_b32 a1, v1
	v_lshl_add_u64 v[0:1], s[12:13], 4, v[0:1]
	s_add_i32 s4, s5, s5
	v_add_u32_e32 v6, s4, v240
	v_accvgpr_write_b32 a3, v1
	v_ashrrev_i32_e32 v7, 31, v6
	v_accvgpr_write_b32 a2, v0
	s_movk_i32 s4, 0x50
	s_movk_i32 s12, 0x60
	s_movk_i32 s13, 0x70
	s_movk_i32 s16, 0x90
	s_movk_i32 s17, 0xa0
	s_movk_i32 s18, 0xb0
	s_movk_i32 s19, 0xc0
	s_movk_i32 s20, 0xd0
	s_movk_i32 s21, 0xe0
	s_movk_i32 s22, 0xf0
	s_movk_i32 s23, 0x100
	s_movk_i32 s24, 0x110
	s_movk_i32 s25, 0x120
	s_movk_i32 s26, 0x130
	s_movk_i32 s27, 0x140
	s_movk_i32 s28, 0x150
	s_movk_i32 s29, 0x160
	s_movk_i32 s30, 0x170
	s_movk_i32 s31, 0x180
	s_movk_i32 s33, 0x190
	s_movk_i32 s34, 0x1a0
	s_movk_i32 s35, 0x1b0
	s_movk_i32 s36, 0x1c0
	s_movk_i32 s37, 0x1d0
	s_movk_i32 s38, 0x1e0
	s_movk_i32 s39, 0x1f0
	s_movk_i32 s40, 0x200
	s_movk_i32 s41, 0x210
	s_movk_i32 s42, 0x220
	s_movk_i32 s76, 0x230
	s_movk_i32 s77, 0x240
	s_movk_i32 s78, 0x250
	s_movk_i32 s79, 0x260
	s_movk_i32 s80, 0x270
	s_movk_i32 s81, 0x280
	s_movk_i32 s82, 0x2c0
	s_movk_i32 s83, 0x2d0
	s_movk_i32 s84, 0x2e0
	s_movk_i32 s85, 0x2f0
	s_movk_i32 s86, 0x300
	s_movk_i32 s87, 0x310
	s_movk_i32 s88, 0x320
	s_movk_i32 s89, 0x330
	s_movk_i32 s90, 0x340
	s_movk_i32 s91, 0x350
	s_movk_i32 s92, 0x360
	s_movk_i32 s93, 0x370
	s_movk_i32 s94, 0x380
	s_movk_i32 s95, 0x390
	s_movk_i32 s96, 0x3a0
	s_movk_i32 s97, 0x3b0
	s_add_i32 s71, s4, 16
	s_add_i32 s70, s12, 16
	;; [unrolled: 1-line block ×18, first 2 shown]
	s_waitcnt vmcnt(0) lgkmcnt(0)
	scratch_store_dwordx4 off, v[2:5], off offset:16
	flat_load_dwordx4 v[2:5], v[0:1]
	v_lshl_add_u64 v[0:1], v[6:7], 4, s[0:1]
	v_add_u32_e32 v6, s5, v6
	v_accvgpr_write_b32 a5, v1
	v_ashrrev_i32_e32 v7, 31, v6
	v_accvgpr_write_b32 a4, v0
	s_add_i32 s53, s30, 16
	s_add_i32 s52, s31, 16
	;; [unrolled: 1-line block ×34, first 2 shown]
	s_mov_b32 s75, 32
	s_mov_b32 s74, 48
	s_mov_b32 s73, 64
	s_movk_i32 s72, 0x50
	s_waitcnt vmcnt(0) lgkmcnt(0)
	scratch_store_dwordx4 off, v[2:5], off offset:32
	flat_load_dwordx4 v[2:5], v[0:1]
	v_lshl_add_u64 v[0:1], v[6:7], 4, s[0:1]
	v_add_u32_e32 v6, s5, v6
	v_accvgpr_write_b32 a7, v1
	v_ashrrev_i32_e32 v7, 31, v6
	v_accvgpr_write_b32 a6, v0
	s_waitcnt vmcnt(0) lgkmcnt(0)
	scratch_store_dwordx4 off, v[2:5], off offset:48
	flat_load_dwordx4 v[2:5], v[0:1]
	v_lshl_add_u64 v[0:1], v[6:7], 4, s[0:1]
	v_add_u32_e32 v6, s5, v6
	v_accvgpr_write_b32 a9, v1
	v_ashrrev_i32_e32 v7, 31, v6
	v_accvgpr_write_b32 a8, v0
	;; [unrolled: 8-line block ×56, first 2 shown]
	s_movk_i32 s5, 0x2b0
	s_add_i32 s33, s5, 16
	s_mov_b64 s[4:5], -1
	s_waitcnt vmcnt(0) lgkmcnt(0)
	scratch_store_dwordx4 off, v[2:5], off offset:928
	flat_load_dwordx4 v[2:5], v[0:1]
	v_lshl_add_u64 v[0:1], v[6:7], 4, s[0:1]
	s_movk_i32 s0, 0x290
	s_movk_i32 s1, 0x2a0
	v_accvgpr_write_b32 a119, v1
	s_add_i32 s35, s0, 16
	s_add_i32 s34, s1, 16
	v_accvgpr_write_b32 a118, v0
	s_bitcmp0_b32 s14, 0
	s_waitcnt vmcnt(0) lgkmcnt(0)
	scratch_store_dwordx4 off, v[2:5], off offset:944
	flat_load_dwordx4 v[2:5], v[0:1]
	s_waitcnt vmcnt(0) lgkmcnt(0)
	scratch_store_dwordx4 off, v[2:5], off offset:960
	s_cbranch_scc1 .LBB123_252
; %bb.4:
	v_cmp_eq_u32_e64 s[0:1], 0, v240
	s_and_saveexec_b64 s[4:5], s[0:1]
; %bb.5:
	v_mov_b32_e32 v0, 0
	ds_write_b32 v0, v0 offset:1920
; %bb.6:
	s_or_b64 exec, exec, s[4:5]
	s_waitcnt lgkmcnt(0)
	; wave barrier
	scratch_load_dwordx4 v[2:5], v14, off offset:16
	s_waitcnt vmcnt(0)
	v_cmp_eq_f64_e32 vcc, 0, v[2:3]
	v_cmp_eq_f64_e64 s[4:5], 0, v[4:5]
	s_and_b64 s[4:5], vcc, s[4:5]
	s_and_saveexec_b64 s[12:13], s[4:5]
	s_cbranch_execz .LBB123_10
; %bb.7:
	v_mov_b32_e32 v1, 0
	ds_read_b32 v0, v1 offset:1920
	v_add_u32_e32 v2, 1, v240
	s_waitcnt lgkmcnt(0)
	v_readfirstlane_b32 s4, v0
	s_cmp_eq_u32 s4, 0
	s_cselect_b64 s[14:15], -1, 0
	v_cmp_gt_i32_e32 vcc, s4, v2
	s_or_b64 s[14:15], s[14:15], vcc
	s_and_b64 exec, exec, s[14:15]
	s_cbranch_execz .LBB123_10
; %bb.8:
	s_mov_b64 s[14:15], 0
	v_mov_b32_e32 v3, s4
.LBB123_9:                              ; =>This Inner Loop Header: Depth=1
	ds_cmpst_rtn_b32 v3, v1, v3, v2 offset:1920
	s_waitcnt lgkmcnt(0)
	v_cmp_ne_u32_e32 vcc, 0, v3
	v_cmp_le_i32_e64 s[4:5], v3, v2
	s_and_b64 s[4:5], vcc, s[4:5]
	s_and_b64 s[4:5], exec, s[4:5]
	s_or_b64 s[14:15], s[4:5], s[14:15]
	s_andn2_b64 exec, exec, s[14:15]
	s_cbranch_execnz .LBB123_9
.LBB123_10:
	s_or_b64 exec, exec, s[12:13]
	v_mov_b32_e32 v2, 0
	; wave barrier
	ds_read_b32 v1, v2 offset:1920
	s_and_saveexec_b64 s[4:5], s[0:1]
	s_cbranch_execz .LBB123_12
; %bb.11:
	s_lshl_b64 s[12:13], s[2:3], 2
	s_add_u32 s12, s6, s12
	s_addc_u32 s13, s7, s13
	s_waitcnt lgkmcnt(0)
	global_store_dword v2, v1, s[12:13]
.LBB123_12:
	s_or_b64 exec, exec, s[4:5]
	s_waitcnt lgkmcnt(0)
	v_cmp_ne_u32_e32 vcc, 0, v1
	s_mov_b64 s[4:5], 0
	s_cbranch_vccnz .LBB123_252
; %bb.13:
	v_add_u32_e32 v15, 16, v14
	scratch_load_dwordx4 v[2:5], v15, off
                                        ; implicit-def: $vgpr6_vgpr7
                                        ; implicit-def: $vgpr10_vgpr11
	s_waitcnt vmcnt(0)
	v_cmp_ngt_f64_e64 s[4:5], |v[2:3]|, |v[4:5]|
	s_and_saveexec_b64 s[12:13], s[4:5]
	s_xor_b64 s[4:5], exec, s[12:13]
	s_cbranch_execz .LBB123_15
; %bb.14:
	v_div_scale_f64 v[6:7], s[12:13], v[4:5], v[4:5], v[2:3]
	v_rcp_f64_e32 v[8:9], v[6:7]
	v_div_scale_f64 v[10:11], vcc, v[2:3], v[4:5], v[2:3]
	v_fma_f64 v[12:13], -v[6:7], v[8:9], 1.0
	v_fmac_f64_e32 v[8:9], v[8:9], v[12:13]
	v_fma_f64 v[12:13], -v[6:7], v[8:9], 1.0
	v_fmac_f64_e32 v[8:9], v[8:9], v[12:13]
	v_mul_f64 v[12:13], v[10:11], v[8:9]
	v_fma_f64 v[6:7], -v[6:7], v[12:13], v[10:11]
	v_div_fmas_f64 v[6:7], v[6:7], v[8:9], v[12:13]
	v_div_fixup_f64 v[6:7], v[6:7], v[4:5], v[2:3]
	v_fmac_f64_e32 v[4:5], v[2:3], v[6:7]
	v_div_scale_f64 v[2:3], s[12:13], v[4:5], v[4:5], 1.0
	v_rcp_f64_e32 v[8:9], v[2:3]
	s_nop 0
	v_fma_f64 v[10:11], -v[2:3], v[8:9], 1.0
	v_fmac_f64_e32 v[8:9], v[8:9], v[10:11]
	v_fma_f64 v[10:11], -v[2:3], v[8:9], 1.0
	v_fmac_f64_e32 v[8:9], v[8:9], v[10:11]
	v_div_scale_f64 v[10:11], vcc, 1.0, v[4:5], 1.0
	v_mul_f64 v[12:13], v[10:11], v[8:9]
	v_fma_f64 v[2:3], -v[2:3], v[12:13], v[10:11]
	s_nop 1
	v_div_fmas_f64 v[2:3], v[2:3], v[8:9], v[12:13]
	v_div_fixup_f64 v[8:9], v[2:3], v[4:5], 1.0
	v_mul_f64 v[6:7], v[6:7], v[8:9]
	v_xor_b32_e32 v9, 0x80000000, v9
	v_xor_b32_e32 v11, 0x80000000, v7
	v_mov_b32_e32 v10, v6
                                        ; implicit-def: $vgpr2_vgpr3
.LBB123_15:
	s_andn2_saveexec_b64 s[4:5], s[4:5]
	s_cbranch_execz .LBB123_17
; %bb.16:
	v_div_scale_f64 v[6:7], s[12:13], v[2:3], v[2:3], v[4:5]
	v_rcp_f64_e32 v[8:9], v[6:7]
	v_div_scale_f64 v[10:11], vcc, v[4:5], v[2:3], v[4:5]
	v_fma_f64 v[12:13], -v[6:7], v[8:9], 1.0
	v_fmac_f64_e32 v[8:9], v[8:9], v[12:13]
	v_fma_f64 v[12:13], -v[6:7], v[8:9], 1.0
	v_fmac_f64_e32 v[8:9], v[8:9], v[12:13]
	v_mul_f64 v[12:13], v[10:11], v[8:9]
	v_fma_f64 v[6:7], -v[6:7], v[12:13], v[10:11]
	v_div_fmas_f64 v[6:7], v[6:7], v[8:9], v[12:13]
	v_div_fixup_f64 v[8:9], v[6:7], v[2:3], v[4:5]
	v_fmac_f64_e32 v[2:3], v[4:5], v[8:9]
	v_div_scale_f64 v[4:5], s[12:13], v[2:3], v[2:3], 1.0
	v_rcp_f64_e32 v[6:7], v[4:5]
	s_nop 0
	v_fma_f64 v[10:11], -v[4:5], v[6:7], 1.0
	v_fmac_f64_e32 v[6:7], v[6:7], v[10:11]
	v_fma_f64 v[10:11], -v[4:5], v[6:7], 1.0
	v_fmac_f64_e32 v[6:7], v[6:7], v[10:11]
	v_div_scale_f64 v[10:11], vcc, 1.0, v[2:3], 1.0
	v_mul_f64 v[12:13], v[10:11], v[6:7]
	v_fma_f64 v[4:5], -v[4:5], v[12:13], v[10:11]
	s_nop 1
	v_div_fmas_f64 v[4:5], v[4:5], v[6:7], v[12:13]
	v_div_fixup_f64 v[6:7], v[4:5], v[2:3], 1.0
	v_xor_b32_e32 v11, 0x80000000, v7
	v_mov_b32_e32 v10, v6
	v_mul_f64 v[8:9], v[8:9], -v[6:7]
.LBB123_17:
	s_or_b64 exec, exec, s[4:5]
	scratch_store_dwordx4 v15, v[6:9], off
	scratch_load_dwordx4 v[2:5], off, s75
	v_xor_b32_e32 v13, 0x80000000, v9
	v_mov_b32_e32 v12, v8
	v_add_u32_e32 v1, 0x3c0, v14
	ds_write_b128 v14, v[10:13]
	s_waitcnt vmcnt(0)
	ds_write_b128 v14, v[2:5] offset:960
	s_waitcnt lgkmcnt(0)
	; wave barrier
	s_and_saveexec_b64 s[4:5], s[0:1]
	s_cbranch_execz .LBB123_19
; %bb.18:
	scratch_load_dwordx4 v[2:5], v15, off
	ds_read_b128 v[6:9], v1
	v_mov_b32_e32 v0, 0
	ds_read_b128 v[10:13], v0 offset:16
	s_waitcnt vmcnt(0) lgkmcnt(1)
	v_mul_f64 v[16:17], v[8:9], v[4:5]
	v_mul_f64 v[4:5], v[6:7], v[4:5]
	v_fma_f64 v[6:7], v[6:7], v[2:3], -v[16:17]
	v_fmac_f64_e32 v[4:5], v[8:9], v[2:3]
	v_add_f64 v[2:3], v[6:7], 0
	v_add_f64 v[6:7], v[4:5], 0
	s_waitcnt lgkmcnt(0)
	v_mul_f64 v[8:9], v[6:7], v[12:13]
	v_mul_f64 v[4:5], v[2:3], v[12:13]
	v_fma_f64 v[2:3], v[2:3], v[10:11], -v[8:9]
	v_fmac_f64_e32 v[4:5], v[6:7], v[10:11]
	scratch_store_dwordx4 off, v[2:5], off offset:32
.LBB123_19:
	s_or_b64 exec, exec, s[4:5]
	; wave barrier
	scratch_load_dwordx4 v[2:5], off, s74
	v_cmp_gt_u32_e32 vcc, 2, v240
	s_waitcnt vmcnt(0)
	ds_write_b128 v1, v[2:5]
	s_waitcnt lgkmcnt(0)
	; wave barrier
	s_and_saveexec_b64 s[4:5], vcc
	s_cbranch_execz .LBB123_23
; %bb.20:
	scratch_load_dwordx4 v[2:5], v15, off
	ds_read_b128 v[6:9], v1
	s_waitcnt vmcnt(0) lgkmcnt(0)
	v_mul_f64 v[10:11], v[8:9], v[4:5]
	v_mul_f64 v[12:13], v[6:7], v[4:5]
	v_fma_f64 v[4:5], v[6:7], v[2:3], -v[10:11]
	v_fmac_f64_e32 v[12:13], v[8:9], v[2:3]
	v_add_f64 v[4:5], v[4:5], 0
	v_add_f64 v[2:3], v[12:13], 0
	s_and_saveexec_b64 s[12:13], s[0:1]
	s_cbranch_execz .LBB123_22
; %bb.21:
	scratch_load_dwordx4 v[6:9], off, off offset:32
	v_mov_b32_e32 v0, 0
	ds_read_b128 v[10:13], v0 offset:976
	s_waitcnt vmcnt(0) lgkmcnt(0)
	v_mul_f64 v[16:17], v[10:11], v[8:9]
	v_mul_f64 v[8:9], v[12:13], v[8:9]
	v_fmac_f64_e32 v[16:17], v[12:13], v[6:7]
	v_fma_f64 v[6:7], v[10:11], v[6:7], -v[8:9]
	v_add_f64 v[2:3], v[2:3], v[16:17]
	v_add_f64 v[4:5], v[4:5], v[6:7]
.LBB123_22:
	s_or_b64 exec, exec, s[12:13]
	v_mov_b32_e32 v0, 0
	ds_read_b128 v[6:9], v0 offset:32
	s_waitcnt lgkmcnt(0)
	v_mul_f64 v[12:13], v[2:3], v[8:9]
	v_mul_f64 v[10:11], v[4:5], v[8:9]
	v_fma_f64 v[8:9], v[4:5], v[6:7], -v[12:13]
	v_fmac_f64_e32 v[10:11], v[2:3], v[6:7]
	scratch_store_dwordx4 off, v[8:11], off offset:48
.LBB123_23:
	s_or_b64 exec, exec, s[4:5]
	; wave barrier
	scratch_load_dwordx4 v[2:5], off, s73
	v_cmp_gt_u32_e32 vcc, 3, v240
	v_add_u32_e32 v6, -1, v240
	s_waitcnt vmcnt(0)
	ds_write_b128 v1, v[2:5]
	s_waitcnt lgkmcnt(0)
	; wave barrier
	s_and_saveexec_b64 s[0:1], vcc
	s_cbranch_execz .LBB123_27
; %bb.24:
	v_add_u32_e32 v7, -1, v240
	v_add_u32_e32 v8, 0x3c0, v14
	v_add_u32_e32 v9, 16, v14
	v_mov_b64_e32 v[2:3], 0
	s_mov_b64 s[4:5], 0
	v_mov_b64_e32 v[4:5], 0
.LBB123_25:                             ; =>This Inner Loop Header: Depth=1
	scratch_load_dwordx4 v[10:13], v9, off
	ds_read_b128 v[16:19], v8
	v_add_u32_e32 v7, 1, v7
	v_cmp_lt_u32_e32 vcc, 1, v7
	v_add_u32_e32 v8, 16, v8
	v_add_u32_e32 v9, 16, v9
	s_or_b64 s[4:5], vcc, s[4:5]
	s_waitcnt vmcnt(0) lgkmcnt(0)
	v_mul_f64 v[20:21], v[18:19], v[12:13]
	v_mul_f64 v[12:13], v[16:17], v[12:13]
	v_fma_f64 v[16:17], v[16:17], v[10:11], -v[20:21]
	v_fmac_f64_e32 v[12:13], v[18:19], v[10:11]
	v_add_f64 v[4:5], v[4:5], v[16:17]
	v_add_f64 v[2:3], v[2:3], v[12:13]
	s_andn2_b64 exec, exec, s[4:5]
	s_cbranch_execnz .LBB123_25
; %bb.26:
	s_or_b64 exec, exec, s[4:5]
	v_mov_b32_e32 v0, 0
	ds_read_b128 v[8:11], v0 offset:48
	s_waitcnt lgkmcnt(0)
	v_mul_f64 v[16:17], v[2:3], v[10:11]
	v_mul_f64 v[12:13], v[4:5], v[10:11]
	v_fma_f64 v[10:11], v[4:5], v[8:9], -v[16:17]
	v_fmac_f64_e32 v[12:13], v[2:3], v[8:9]
	scratch_store_dwordx4 off, v[10:13], off offset:64
.LBB123_27:
	s_or_b64 exec, exec, s[0:1]
	; wave barrier
	scratch_load_dwordx4 v[2:5], off, s72
	v_cmp_gt_u32_e32 vcc, 4, v240
	s_waitcnt vmcnt(0)
	ds_write_b128 v1, v[2:5]
	s_waitcnt lgkmcnt(0)
	; wave barrier
	s_and_saveexec_b64 s[0:1], vcc
	s_cbranch_execz .LBB123_31
; %bb.28:
	v_add_u32_e32 v7, -1, v240
	v_add_u32_e32 v8, 0x3c0, v14
	v_add_u32_e32 v9, 16, v14
	v_mov_b64_e32 v[2:3], 0
	s_mov_b64 s[4:5], 0
	v_mov_b64_e32 v[4:5], 0
.LBB123_29:                             ; =>This Inner Loop Header: Depth=1
	scratch_load_dwordx4 v[10:13], v9, off
	ds_read_b128 v[16:19], v8
	v_add_u32_e32 v7, 1, v7
	v_cmp_lt_u32_e32 vcc, 2, v7
	v_add_u32_e32 v8, 16, v8
	v_add_u32_e32 v9, 16, v9
	s_or_b64 s[4:5], vcc, s[4:5]
	s_waitcnt vmcnt(0) lgkmcnt(0)
	v_mul_f64 v[20:21], v[18:19], v[12:13]
	v_mul_f64 v[12:13], v[16:17], v[12:13]
	v_fma_f64 v[16:17], v[16:17], v[10:11], -v[20:21]
	v_fmac_f64_e32 v[12:13], v[18:19], v[10:11]
	v_add_f64 v[4:5], v[4:5], v[16:17]
	v_add_f64 v[2:3], v[2:3], v[12:13]
	s_andn2_b64 exec, exec, s[4:5]
	s_cbranch_execnz .LBB123_29
; %bb.30:
	s_or_b64 exec, exec, s[4:5]
	v_mov_b32_e32 v0, 0
	ds_read_b128 v[8:11], v0 offset:64
	s_waitcnt lgkmcnt(0)
	v_mul_f64 v[16:17], v[2:3], v[10:11]
	v_mul_f64 v[12:13], v[4:5], v[10:11]
	v_fma_f64 v[10:11], v[4:5], v[8:9], -v[16:17]
	v_fmac_f64_e32 v[12:13], v[2:3], v[8:9]
	scratch_store_dwordx4 off, v[10:13], off offset:80
.LBB123_31:
	s_or_b64 exec, exec, s[0:1]
	; wave barrier
	scratch_load_dwordx4 v[2:5], off, s71
	v_cmp_gt_u32_e32 vcc, 5, v240
	s_waitcnt vmcnt(0)
	ds_write_b128 v1, v[2:5]
	s_waitcnt lgkmcnt(0)
	; wave barrier
	s_and_saveexec_b64 s[0:1], vcc
	s_cbranch_execz .LBB123_35
; %bb.32:
	v_add_u32_e32 v7, -1, v240
	v_add_u32_e32 v8, 0x3c0, v14
	v_add_u32_e32 v9, 16, v14
	v_mov_b64_e32 v[2:3], 0
	s_mov_b64 s[4:5], 0
	v_mov_b64_e32 v[4:5], 0
.LBB123_33:                             ; =>This Inner Loop Header: Depth=1
	scratch_load_dwordx4 v[10:13], v9, off
	ds_read_b128 v[16:19], v8
	v_add_u32_e32 v7, 1, v7
	v_cmp_lt_u32_e32 vcc, 3, v7
	v_add_u32_e32 v8, 16, v8
	v_add_u32_e32 v9, 16, v9
	s_or_b64 s[4:5], vcc, s[4:5]
	s_waitcnt vmcnt(0) lgkmcnt(0)
	v_mul_f64 v[20:21], v[18:19], v[12:13]
	v_mul_f64 v[12:13], v[16:17], v[12:13]
	v_fma_f64 v[16:17], v[16:17], v[10:11], -v[20:21]
	v_fmac_f64_e32 v[12:13], v[18:19], v[10:11]
	v_add_f64 v[4:5], v[4:5], v[16:17]
	v_add_f64 v[2:3], v[2:3], v[12:13]
	s_andn2_b64 exec, exec, s[4:5]
	s_cbranch_execnz .LBB123_33
; %bb.34:
	s_or_b64 exec, exec, s[4:5]
	v_mov_b32_e32 v0, 0
	ds_read_b128 v[8:11], v0 offset:80
	s_waitcnt lgkmcnt(0)
	v_mul_f64 v[16:17], v[2:3], v[10:11]
	v_mul_f64 v[12:13], v[4:5], v[10:11]
	v_fma_f64 v[10:11], v[4:5], v[8:9], -v[16:17]
	v_fmac_f64_e32 v[12:13], v[2:3], v[8:9]
	scratch_store_dwordx4 off, v[10:13], off offset:96
.LBB123_35:
	s_or_b64 exec, exec, s[0:1]
	; wave barrier
	scratch_load_dwordx4 v[2:5], off, s70
	v_cmp_gt_u32_e32 vcc, 6, v240
	s_waitcnt vmcnt(0)
	ds_write_b128 v1, v[2:5]
	s_waitcnt lgkmcnt(0)
	; wave barrier
	s_and_saveexec_b64 s[0:1], vcc
	s_cbranch_execz .LBB123_39
; %bb.36:
	v_add_u32_e32 v7, -1, v240
	v_add_u32_e32 v8, 0x3c0, v14
	v_add_u32_e32 v9, 16, v14
	v_mov_b64_e32 v[2:3], 0
	s_mov_b64 s[4:5], 0
	v_mov_b64_e32 v[4:5], 0
.LBB123_37:                             ; =>This Inner Loop Header: Depth=1
	scratch_load_dwordx4 v[10:13], v9, off
	ds_read_b128 v[16:19], v8
	v_add_u32_e32 v7, 1, v7
	v_cmp_lt_u32_e32 vcc, 4, v7
	v_add_u32_e32 v8, 16, v8
	v_add_u32_e32 v9, 16, v9
	s_or_b64 s[4:5], vcc, s[4:5]
	s_waitcnt vmcnt(0) lgkmcnt(0)
	v_mul_f64 v[20:21], v[18:19], v[12:13]
	v_mul_f64 v[12:13], v[16:17], v[12:13]
	v_fma_f64 v[16:17], v[16:17], v[10:11], -v[20:21]
	v_fmac_f64_e32 v[12:13], v[18:19], v[10:11]
	v_add_f64 v[4:5], v[4:5], v[16:17]
	v_add_f64 v[2:3], v[2:3], v[12:13]
	s_andn2_b64 exec, exec, s[4:5]
	s_cbranch_execnz .LBB123_37
; %bb.38:
	s_or_b64 exec, exec, s[4:5]
	v_mov_b32_e32 v0, 0
	ds_read_b128 v[8:11], v0 offset:96
	s_waitcnt lgkmcnt(0)
	v_mul_f64 v[16:17], v[2:3], v[10:11]
	v_mul_f64 v[12:13], v[4:5], v[10:11]
	v_fma_f64 v[10:11], v[4:5], v[8:9], -v[16:17]
	v_fmac_f64_e32 v[12:13], v[2:3], v[8:9]
	scratch_store_dwordx4 off, v[10:13], off offset:112
.LBB123_39:
	s_or_b64 exec, exec, s[0:1]
	; wave barrier
	scratch_load_dwordx4 v[2:5], off, s69
	v_cmp_gt_u32_e32 vcc, 7, v240
	s_waitcnt vmcnt(0)
	ds_write_b128 v1, v[2:5]
	s_waitcnt lgkmcnt(0)
	; wave barrier
	s_and_saveexec_b64 s[0:1], vcc
	s_cbranch_execz .LBB123_43
; %bb.40:
	v_add_u32_e32 v7, -1, v240
	v_add_u32_e32 v8, 0x3c0, v14
	v_add_u32_e32 v9, 16, v14
	v_mov_b64_e32 v[2:3], 0
	s_mov_b64 s[4:5], 0
	v_mov_b64_e32 v[4:5], 0
.LBB123_41:                             ; =>This Inner Loop Header: Depth=1
	scratch_load_dwordx4 v[10:13], v9, off
	ds_read_b128 v[16:19], v8
	v_add_u32_e32 v7, 1, v7
	v_cmp_lt_u32_e32 vcc, 5, v7
	v_add_u32_e32 v8, 16, v8
	v_add_u32_e32 v9, 16, v9
	s_or_b64 s[4:5], vcc, s[4:5]
	s_waitcnt vmcnt(0) lgkmcnt(0)
	v_mul_f64 v[20:21], v[18:19], v[12:13]
	v_mul_f64 v[12:13], v[16:17], v[12:13]
	v_fma_f64 v[16:17], v[16:17], v[10:11], -v[20:21]
	v_fmac_f64_e32 v[12:13], v[18:19], v[10:11]
	v_add_f64 v[4:5], v[4:5], v[16:17]
	v_add_f64 v[2:3], v[2:3], v[12:13]
	s_andn2_b64 exec, exec, s[4:5]
	s_cbranch_execnz .LBB123_41
; %bb.42:
	s_or_b64 exec, exec, s[4:5]
	v_mov_b32_e32 v0, 0
	ds_read_b128 v[8:11], v0 offset:112
	s_waitcnt lgkmcnt(0)
	v_mul_f64 v[16:17], v[2:3], v[10:11]
	v_mul_f64 v[12:13], v[4:5], v[10:11]
	v_fma_f64 v[10:11], v[4:5], v[8:9], -v[16:17]
	v_fmac_f64_e32 v[12:13], v[2:3], v[8:9]
	scratch_store_dwordx4 off, v[10:13], off offset:128
.LBB123_43:
	s_or_b64 exec, exec, s[0:1]
	; wave barrier
	scratch_load_dwordx4 v[2:5], off, s68
	v_cmp_gt_u32_e32 vcc, 8, v240
	s_waitcnt vmcnt(0)
	ds_write_b128 v1, v[2:5]
	s_waitcnt lgkmcnt(0)
	; wave barrier
	s_and_saveexec_b64 s[0:1], vcc
	s_cbranch_execz .LBB123_47
; %bb.44:
	v_add_u32_e32 v7, -1, v240
	v_add_u32_e32 v8, 0x3c0, v14
	v_add_u32_e32 v9, 16, v14
	v_mov_b64_e32 v[2:3], 0
	s_mov_b64 s[4:5], 0
	v_mov_b64_e32 v[4:5], 0
.LBB123_45:                             ; =>This Inner Loop Header: Depth=1
	scratch_load_dwordx4 v[10:13], v9, off
	ds_read_b128 v[16:19], v8
	v_add_u32_e32 v7, 1, v7
	v_cmp_lt_u32_e32 vcc, 6, v7
	v_add_u32_e32 v8, 16, v8
	v_add_u32_e32 v9, 16, v9
	s_or_b64 s[4:5], vcc, s[4:5]
	s_waitcnt vmcnt(0) lgkmcnt(0)
	v_mul_f64 v[20:21], v[18:19], v[12:13]
	v_mul_f64 v[12:13], v[16:17], v[12:13]
	v_fma_f64 v[16:17], v[16:17], v[10:11], -v[20:21]
	v_fmac_f64_e32 v[12:13], v[18:19], v[10:11]
	v_add_f64 v[4:5], v[4:5], v[16:17]
	v_add_f64 v[2:3], v[2:3], v[12:13]
	s_andn2_b64 exec, exec, s[4:5]
	s_cbranch_execnz .LBB123_45
; %bb.46:
	s_or_b64 exec, exec, s[4:5]
	v_mov_b32_e32 v0, 0
	ds_read_b128 v[8:11], v0 offset:128
	s_waitcnt lgkmcnt(0)
	v_mul_f64 v[16:17], v[2:3], v[10:11]
	v_mul_f64 v[12:13], v[4:5], v[10:11]
	v_fma_f64 v[10:11], v[4:5], v[8:9], -v[16:17]
	v_fmac_f64_e32 v[12:13], v[2:3], v[8:9]
	scratch_store_dwordx4 off, v[10:13], off offset:144
.LBB123_47:
	s_or_b64 exec, exec, s[0:1]
	; wave barrier
	scratch_load_dwordx4 v[2:5], off, s67
	v_cmp_gt_u32_e32 vcc, 9, v240
	s_waitcnt vmcnt(0)
	ds_write_b128 v1, v[2:5]
	s_waitcnt lgkmcnt(0)
	; wave barrier
	s_and_saveexec_b64 s[0:1], vcc
	s_cbranch_execz .LBB123_51
; %bb.48:
	v_add_u32_e32 v7, -1, v240
	v_add_u32_e32 v8, 0x3c0, v14
	v_add_u32_e32 v9, 16, v14
	v_mov_b64_e32 v[2:3], 0
	s_mov_b64 s[4:5], 0
	v_mov_b64_e32 v[4:5], 0
.LBB123_49:                             ; =>This Inner Loop Header: Depth=1
	scratch_load_dwordx4 v[10:13], v9, off
	ds_read_b128 v[16:19], v8
	v_add_u32_e32 v7, 1, v7
	v_cmp_lt_u32_e32 vcc, 7, v7
	v_add_u32_e32 v8, 16, v8
	v_add_u32_e32 v9, 16, v9
	s_or_b64 s[4:5], vcc, s[4:5]
	s_waitcnt vmcnt(0) lgkmcnt(0)
	v_mul_f64 v[20:21], v[18:19], v[12:13]
	v_mul_f64 v[12:13], v[16:17], v[12:13]
	v_fma_f64 v[16:17], v[16:17], v[10:11], -v[20:21]
	v_fmac_f64_e32 v[12:13], v[18:19], v[10:11]
	v_add_f64 v[4:5], v[4:5], v[16:17]
	v_add_f64 v[2:3], v[2:3], v[12:13]
	s_andn2_b64 exec, exec, s[4:5]
	s_cbranch_execnz .LBB123_49
; %bb.50:
	s_or_b64 exec, exec, s[4:5]
	v_mov_b32_e32 v0, 0
	ds_read_b128 v[8:11], v0 offset:144
	s_waitcnt lgkmcnt(0)
	v_mul_f64 v[16:17], v[2:3], v[10:11]
	v_mul_f64 v[12:13], v[4:5], v[10:11]
	v_fma_f64 v[10:11], v[4:5], v[8:9], -v[16:17]
	v_fmac_f64_e32 v[12:13], v[2:3], v[8:9]
	scratch_store_dwordx4 off, v[10:13], off offset:160
.LBB123_51:
	s_or_b64 exec, exec, s[0:1]
	; wave barrier
	scratch_load_dwordx4 v[2:5], off, s66
	v_cmp_gt_u32_e32 vcc, 10, v240
	s_waitcnt vmcnt(0)
	ds_write_b128 v1, v[2:5]
	s_waitcnt lgkmcnt(0)
	; wave barrier
	s_and_saveexec_b64 s[0:1], vcc
	s_cbranch_execz .LBB123_55
; %bb.52:
	v_add_u32_e32 v7, -1, v240
	v_add_u32_e32 v8, 0x3c0, v14
	v_add_u32_e32 v9, 16, v14
	v_mov_b64_e32 v[2:3], 0
	s_mov_b64 s[4:5], 0
	v_mov_b64_e32 v[4:5], 0
.LBB123_53:                             ; =>This Inner Loop Header: Depth=1
	scratch_load_dwordx4 v[10:13], v9, off
	ds_read_b128 v[16:19], v8
	v_add_u32_e32 v7, 1, v7
	v_cmp_lt_u32_e32 vcc, 8, v7
	v_add_u32_e32 v8, 16, v8
	v_add_u32_e32 v9, 16, v9
	s_or_b64 s[4:5], vcc, s[4:5]
	s_waitcnt vmcnt(0) lgkmcnt(0)
	v_mul_f64 v[20:21], v[18:19], v[12:13]
	v_mul_f64 v[12:13], v[16:17], v[12:13]
	v_fma_f64 v[16:17], v[16:17], v[10:11], -v[20:21]
	v_fmac_f64_e32 v[12:13], v[18:19], v[10:11]
	v_add_f64 v[4:5], v[4:5], v[16:17]
	v_add_f64 v[2:3], v[2:3], v[12:13]
	s_andn2_b64 exec, exec, s[4:5]
	s_cbranch_execnz .LBB123_53
; %bb.54:
	s_or_b64 exec, exec, s[4:5]
	v_mov_b32_e32 v0, 0
	ds_read_b128 v[8:11], v0 offset:160
	s_waitcnt lgkmcnt(0)
	v_mul_f64 v[16:17], v[2:3], v[10:11]
	v_mul_f64 v[12:13], v[4:5], v[10:11]
	v_fma_f64 v[10:11], v[4:5], v[8:9], -v[16:17]
	v_fmac_f64_e32 v[12:13], v[2:3], v[8:9]
	scratch_store_dwordx4 off, v[10:13], off offset:176
.LBB123_55:
	s_or_b64 exec, exec, s[0:1]
	; wave barrier
	scratch_load_dwordx4 v[2:5], off, s65
	v_cmp_gt_u32_e32 vcc, 11, v240
	s_waitcnt vmcnt(0)
	ds_write_b128 v1, v[2:5]
	s_waitcnt lgkmcnt(0)
	; wave barrier
	s_and_saveexec_b64 s[0:1], vcc
	s_cbranch_execz .LBB123_59
; %bb.56:
	v_add_u32_e32 v7, -1, v240
	v_add_u32_e32 v8, 0x3c0, v14
	v_add_u32_e32 v9, 16, v14
	v_mov_b64_e32 v[2:3], 0
	s_mov_b64 s[4:5], 0
	v_mov_b64_e32 v[4:5], 0
.LBB123_57:                             ; =>This Inner Loop Header: Depth=1
	scratch_load_dwordx4 v[10:13], v9, off
	ds_read_b128 v[16:19], v8
	v_add_u32_e32 v7, 1, v7
	v_cmp_lt_u32_e32 vcc, 9, v7
	v_add_u32_e32 v8, 16, v8
	v_add_u32_e32 v9, 16, v9
	s_or_b64 s[4:5], vcc, s[4:5]
	s_waitcnt vmcnt(0) lgkmcnt(0)
	v_mul_f64 v[20:21], v[18:19], v[12:13]
	v_mul_f64 v[12:13], v[16:17], v[12:13]
	v_fma_f64 v[16:17], v[16:17], v[10:11], -v[20:21]
	v_fmac_f64_e32 v[12:13], v[18:19], v[10:11]
	v_add_f64 v[4:5], v[4:5], v[16:17]
	v_add_f64 v[2:3], v[2:3], v[12:13]
	s_andn2_b64 exec, exec, s[4:5]
	s_cbranch_execnz .LBB123_57
; %bb.58:
	s_or_b64 exec, exec, s[4:5]
	v_mov_b32_e32 v0, 0
	ds_read_b128 v[8:11], v0 offset:176
	s_waitcnt lgkmcnt(0)
	v_mul_f64 v[16:17], v[2:3], v[10:11]
	v_mul_f64 v[12:13], v[4:5], v[10:11]
	v_fma_f64 v[10:11], v[4:5], v[8:9], -v[16:17]
	v_fmac_f64_e32 v[12:13], v[2:3], v[8:9]
	scratch_store_dwordx4 off, v[10:13], off offset:192
.LBB123_59:
	s_or_b64 exec, exec, s[0:1]
	; wave barrier
	scratch_load_dwordx4 v[2:5], off, s64
	v_cmp_gt_u32_e32 vcc, 12, v240
	s_waitcnt vmcnt(0)
	ds_write_b128 v1, v[2:5]
	s_waitcnt lgkmcnt(0)
	; wave barrier
	s_and_saveexec_b64 s[0:1], vcc
	s_cbranch_execz .LBB123_63
; %bb.60:
	v_add_u32_e32 v7, -1, v240
	v_add_u32_e32 v8, 0x3c0, v14
	v_add_u32_e32 v9, 16, v14
	v_mov_b64_e32 v[2:3], 0
	s_mov_b64 s[4:5], 0
	v_mov_b64_e32 v[4:5], 0
.LBB123_61:                             ; =>This Inner Loop Header: Depth=1
	scratch_load_dwordx4 v[10:13], v9, off
	ds_read_b128 v[16:19], v8
	v_add_u32_e32 v7, 1, v7
	v_cmp_lt_u32_e32 vcc, 10, v7
	v_add_u32_e32 v8, 16, v8
	v_add_u32_e32 v9, 16, v9
	s_or_b64 s[4:5], vcc, s[4:5]
	s_waitcnt vmcnt(0) lgkmcnt(0)
	v_mul_f64 v[20:21], v[18:19], v[12:13]
	v_mul_f64 v[12:13], v[16:17], v[12:13]
	v_fma_f64 v[16:17], v[16:17], v[10:11], -v[20:21]
	v_fmac_f64_e32 v[12:13], v[18:19], v[10:11]
	v_add_f64 v[4:5], v[4:5], v[16:17]
	v_add_f64 v[2:3], v[2:3], v[12:13]
	s_andn2_b64 exec, exec, s[4:5]
	s_cbranch_execnz .LBB123_61
; %bb.62:
	s_or_b64 exec, exec, s[4:5]
	v_mov_b32_e32 v0, 0
	ds_read_b128 v[8:11], v0 offset:192
	s_waitcnt lgkmcnt(0)
	v_mul_f64 v[16:17], v[2:3], v[10:11]
	v_mul_f64 v[12:13], v[4:5], v[10:11]
	v_fma_f64 v[10:11], v[4:5], v[8:9], -v[16:17]
	v_fmac_f64_e32 v[12:13], v[2:3], v[8:9]
	scratch_store_dwordx4 off, v[10:13], off offset:208
.LBB123_63:
	s_or_b64 exec, exec, s[0:1]
	; wave barrier
	scratch_load_dwordx4 v[2:5], off, s63
	v_cmp_gt_u32_e32 vcc, 13, v240
	s_waitcnt vmcnt(0)
	ds_write_b128 v1, v[2:5]
	s_waitcnt lgkmcnt(0)
	; wave barrier
	s_and_saveexec_b64 s[0:1], vcc
	s_cbranch_execz .LBB123_67
; %bb.64:
	v_add_u32_e32 v7, -1, v240
	v_add_u32_e32 v8, 0x3c0, v14
	v_add_u32_e32 v9, 16, v14
	v_mov_b64_e32 v[2:3], 0
	s_mov_b64 s[4:5], 0
	v_mov_b64_e32 v[4:5], 0
.LBB123_65:                             ; =>This Inner Loop Header: Depth=1
	scratch_load_dwordx4 v[10:13], v9, off
	ds_read_b128 v[16:19], v8
	v_add_u32_e32 v7, 1, v7
	v_cmp_lt_u32_e32 vcc, 11, v7
	v_add_u32_e32 v8, 16, v8
	v_add_u32_e32 v9, 16, v9
	s_or_b64 s[4:5], vcc, s[4:5]
	s_waitcnt vmcnt(0) lgkmcnt(0)
	v_mul_f64 v[20:21], v[18:19], v[12:13]
	v_mul_f64 v[12:13], v[16:17], v[12:13]
	v_fma_f64 v[16:17], v[16:17], v[10:11], -v[20:21]
	v_fmac_f64_e32 v[12:13], v[18:19], v[10:11]
	v_add_f64 v[4:5], v[4:5], v[16:17]
	v_add_f64 v[2:3], v[2:3], v[12:13]
	s_andn2_b64 exec, exec, s[4:5]
	s_cbranch_execnz .LBB123_65
; %bb.66:
	s_or_b64 exec, exec, s[4:5]
	v_mov_b32_e32 v0, 0
	ds_read_b128 v[8:11], v0 offset:208
	s_waitcnt lgkmcnt(0)
	v_mul_f64 v[16:17], v[2:3], v[10:11]
	v_mul_f64 v[12:13], v[4:5], v[10:11]
	v_fma_f64 v[10:11], v[4:5], v[8:9], -v[16:17]
	v_fmac_f64_e32 v[12:13], v[2:3], v[8:9]
	scratch_store_dwordx4 off, v[10:13], off offset:224
.LBB123_67:
	s_or_b64 exec, exec, s[0:1]
	; wave barrier
	scratch_load_dwordx4 v[2:5], off, s62
	v_cmp_gt_u32_e32 vcc, 14, v240
	s_waitcnt vmcnt(0)
	ds_write_b128 v1, v[2:5]
	s_waitcnt lgkmcnt(0)
	; wave barrier
	s_and_saveexec_b64 s[0:1], vcc
	s_cbranch_execz .LBB123_71
; %bb.68:
	v_add_u32_e32 v7, -1, v240
	v_add_u32_e32 v8, 0x3c0, v14
	v_add_u32_e32 v9, 16, v14
	v_mov_b64_e32 v[2:3], 0
	s_mov_b64 s[4:5], 0
	v_mov_b64_e32 v[4:5], 0
.LBB123_69:                             ; =>This Inner Loop Header: Depth=1
	scratch_load_dwordx4 v[10:13], v9, off
	ds_read_b128 v[16:19], v8
	v_add_u32_e32 v7, 1, v7
	v_cmp_lt_u32_e32 vcc, 12, v7
	v_add_u32_e32 v8, 16, v8
	v_add_u32_e32 v9, 16, v9
	s_or_b64 s[4:5], vcc, s[4:5]
	s_waitcnt vmcnt(0) lgkmcnt(0)
	v_mul_f64 v[20:21], v[18:19], v[12:13]
	v_mul_f64 v[12:13], v[16:17], v[12:13]
	v_fma_f64 v[16:17], v[16:17], v[10:11], -v[20:21]
	v_fmac_f64_e32 v[12:13], v[18:19], v[10:11]
	v_add_f64 v[4:5], v[4:5], v[16:17]
	v_add_f64 v[2:3], v[2:3], v[12:13]
	s_andn2_b64 exec, exec, s[4:5]
	s_cbranch_execnz .LBB123_69
; %bb.70:
	s_or_b64 exec, exec, s[4:5]
	v_mov_b32_e32 v0, 0
	ds_read_b128 v[8:11], v0 offset:224
	s_waitcnt lgkmcnt(0)
	v_mul_f64 v[16:17], v[2:3], v[10:11]
	v_mul_f64 v[12:13], v[4:5], v[10:11]
	v_fma_f64 v[10:11], v[4:5], v[8:9], -v[16:17]
	v_fmac_f64_e32 v[12:13], v[2:3], v[8:9]
	scratch_store_dwordx4 off, v[10:13], off offset:240
.LBB123_71:
	s_or_b64 exec, exec, s[0:1]
	; wave barrier
	scratch_load_dwordx4 v[2:5], off, s61
	v_cmp_gt_u32_e32 vcc, 15, v240
	s_waitcnt vmcnt(0)
	ds_write_b128 v1, v[2:5]
	s_waitcnt lgkmcnt(0)
	; wave barrier
	s_and_saveexec_b64 s[0:1], vcc
	s_cbranch_execz .LBB123_75
; %bb.72:
	v_add_u32_e32 v7, -1, v240
	v_add_u32_e32 v8, 0x3c0, v14
	v_add_u32_e32 v9, 16, v14
	v_mov_b64_e32 v[2:3], 0
	s_mov_b64 s[4:5], 0
	v_mov_b64_e32 v[4:5], 0
.LBB123_73:                             ; =>This Inner Loop Header: Depth=1
	scratch_load_dwordx4 v[10:13], v9, off
	ds_read_b128 v[16:19], v8
	v_add_u32_e32 v7, 1, v7
	v_cmp_lt_u32_e32 vcc, 13, v7
	v_add_u32_e32 v8, 16, v8
	v_add_u32_e32 v9, 16, v9
	s_or_b64 s[4:5], vcc, s[4:5]
	s_waitcnt vmcnt(0) lgkmcnt(0)
	v_mul_f64 v[20:21], v[18:19], v[12:13]
	v_mul_f64 v[12:13], v[16:17], v[12:13]
	v_fma_f64 v[16:17], v[16:17], v[10:11], -v[20:21]
	v_fmac_f64_e32 v[12:13], v[18:19], v[10:11]
	v_add_f64 v[4:5], v[4:5], v[16:17]
	v_add_f64 v[2:3], v[2:3], v[12:13]
	s_andn2_b64 exec, exec, s[4:5]
	s_cbranch_execnz .LBB123_73
; %bb.74:
	s_or_b64 exec, exec, s[4:5]
	v_mov_b32_e32 v0, 0
	ds_read_b128 v[8:11], v0 offset:240
	s_waitcnt lgkmcnt(0)
	v_mul_f64 v[16:17], v[2:3], v[10:11]
	v_mul_f64 v[12:13], v[4:5], v[10:11]
	v_fma_f64 v[10:11], v[4:5], v[8:9], -v[16:17]
	v_fmac_f64_e32 v[12:13], v[2:3], v[8:9]
	scratch_store_dwordx4 off, v[10:13], off offset:256
.LBB123_75:
	s_or_b64 exec, exec, s[0:1]
	; wave barrier
	scratch_load_dwordx4 v[2:5], off, s60
	v_cmp_gt_u32_e32 vcc, 16, v240
	s_waitcnt vmcnt(0)
	ds_write_b128 v1, v[2:5]
	s_waitcnt lgkmcnt(0)
	; wave barrier
	s_and_saveexec_b64 s[0:1], vcc
	s_cbranch_execz .LBB123_79
; %bb.76:
	v_add_u32_e32 v7, -1, v240
	v_add_u32_e32 v8, 0x3c0, v14
	v_add_u32_e32 v9, 16, v14
	v_mov_b64_e32 v[2:3], 0
	s_mov_b64 s[4:5], 0
	v_mov_b64_e32 v[4:5], 0
.LBB123_77:                             ; =>This Inner Loop Header: Depth=1
	scratch_load_dwordx4 v[10:13], v9, off
	ds_read_b128 v[16:19], v8
	v_add_u32_e32 v7, 1, v7
	v_cmp_lt_u32_e32 vcc, 14, v7
	v_add_u32_e32 v8, 16, v8
	v_add_u32_e32 v9, 16, v9
	s_or_b64 s[4:5], vcc, s[4:5]
	s_waitcnt vmcnt(0) lgkmcnt(0)
	v_mul_f64 v[20:21], v[18:19], v[12:13]
	v_mul_f64 v[12:13], v[16:17], v[12:13]
	v_fma_f64 v[16:17], v[16:17], v[10:11], -v[20:21]
	v_fmac_f64_e32 v[12:13], v[18:19], v[10:11]
	v_add_f64 v[4:5], v[4:5], v[16:17]
	v_add_f64 v[2:3], v[2:3], v[12:13]
	s_andn2_b64 exec, exec, s[4:5]
	s_cbranch_execnz .LBB123_77
; %bb.78:
	s_or_b64 exec, exec, s[4:5]
	v_mov_b32_e32 v0, 0
	ds_read_b128 v[8:11], v0 offset:256
	s_waitcnt lgkmcnt(0)
	v_mul_f64 v[16:17], v[2:3], v[10:11]
	v_mul_f64 v[12:13], v[4:5], v[10:11]
	v_fma_f64 v[10:11], v[4:5], v[8:9], -v[16:17]
	v_fmac_f64_e32 v[12:13], v[2:3], v[8:9]
	scratch_store_dwordx4 off, v[10:13], off offset:272
.LBB123_79:
	s_or_b64 exec, exec, s[0:1]
	; wave barrier
	scratch_load_dwordx4 v[2:5], off, s59
	v_cmp_gt_u32_e32 vcc, 17, v240
	s_waitcnt vmcnt(0)
	ds_write_b128 v1, v[2:5]
	s_waitcnt lgkmcnt(0)
	; wave barrier
	s_and_saveexec_b64 s[0:1], vcc
	s_cbranch_execz .LBB123_83
; %bb.80:
	v_add_u32_e32 v7, -1, v240
	v_add_u32_e32 v8, 0x3c0, v14
	v_add_u32_e32 v9, 16, v14
	v_mov_b64_e32 v[2:3], 0
	s_mov_b64 s[4:5], 0
	v_mov_b64_e32 v[4:5], 0
.LBB123_81:                             ; =>This Inner Loop Header: Depth=1
	scratch_load_dwordx4 v[10:13], v9, off
	ds_read_b128 v[16:19], v8
	v_add_u32_e32 v7, 1, v7
	v_cmp_lt_u32_e32 vcc, 15, v7
	v_add_u32_e32 v8, 16, v8
	v_add_u32_e32 v9, 16, v9
	s_or_b64 s[4:5], vcc, s[4:5]
	s_waitcnt vmcnt(0) lgkmcnt(0)
	v_mul_f64 v[20:21], v[18:19], v[12:13]
	v_mul_f64 v[12:13], v[16:17], v[12:13]
	v_fma_f64 v[16:17], v[16:17], v[10:11], -v[20:21]
	v_fmac_f64_e32 v[12:13], v[18:19], v[10:11]
	v_add_f64 v[4:5], v[4:5], v[16:17]
	v_add_f64 v[2:3], v[2:3], v[12:13]
	s_andn2_b64 exec, exec, s[4:5]
	s_cbranch_execnz .LBB123_81
; %bb.82:
	s_or_b64 exec, exec, s[4:5]
	v_mov_b32_e32 v0, 0
	ds_read_b128 v[8:11], v0 offset:272
	s_waitcnt lgkmcnt(0)
	v_mul_f64 v[16:17], v[2:3], v[10:11]
	v_mul_f64 v[12:13], v[4:5], v[10:11]
	v_fma_f64 v[10:11], v[4:5], v[8:9], -v[16:17]
	v_fmac_f64_e32 v[12:13], v[2:3], v[8:9]
	scratch_store_dwordx4 off, v[10:13], off offset:288
.LBB123_83:
	s_or_b64 exec, exec, s[0:1]
	; wave barrier
	scratch_load_dwordx4 v[2:5], off, s58
	v_cmp_gt_u32_e32 vcc, 18, v240
	s_waitcnt vmcnt(0)
	ds_write_b128 v1, v[2:5]
	s_waitcnt lgkmcnt(0)
	; wave barrier
	s_and_saveexec_b64 s[0:1], vcc
	s_cbranch_execz .LBB123_87
; %bb.84:
	v_add_u32_e32 v7, -1, v240
	v_add_u32_e32 v8, 0x3c0, v14
	v_add_u32_e32 v9, 16, v14
	v_mov_b64_e32 v[2:3], 0
	s_mov_b64 s[4:5], 0
	v_mov_b64_e32 v[4:5], 0
.LBB123_85:                             ; =>This Inner Loop Header: Depth=1
	scratch_load_dwordx4 v[10:13], v9, off
	ds_read_b128 v[16:19], v8
	v_add_u32_e32 v7, 1, v7
	v_cmp_lt_u32_e32 vcc, 16, v7
	v_add_u32_e32 v8, 16, v8
	v_add_u32_e32 v9, 16, v9
	s_or_b64 s[4:5], vcc, s[4:5]
	s_waitcnt vmcnt(0) lgkmcnt(0)
	v_mul_f64 v[20:21], v[18:19], v[12:13]
	v_mul_f64 v[12:13], v[16:17], v[12:13]
	v_fma_f64 v[16:17], v[16:17], v[10:11], -v[20:21]
	v_fmac_f64_e32 v[12:13], v[18:19], v[10:11]
	v_add_f64 v[4:5], v[4:5], v[16:17]
	v_add_f64 v[2:3], v[2:3], v[12:13]
	s_andn2_b64 exec, exec, s[4:5]
	s_cbranch_execnz .LBB123_85
; %bb.86:
	s_or_b64 exec, exec, s[4:5]
	v_mov_b32_e32 v0, 0
	ds_read_b128 v[8:11], v0 offset:288
	s_waitcnt lgkmcnt(0)
	v_mul_f64 v[16:17], v[2:3], v[10:11]
	v_mul_f64 v[12:13], v[4:5], v[10:11]
	v_fma_f64 v[10:11], v[4:5], v[8:9], -v[16:17]
	v_fmac_f64_e32 v[12:13], v[2:3], v[8:9]
	scratch_store_dwordx4 off, v[10:13], off offset:304
.LBB123_87:
	s_or_b64 exec, exec, s[0:1]
	; wave barrier
	scratch_load_dwordx4 v[2:5], off, s57
	v_cmp_gt_u32_e32 vcc, 19, v240
	s_waitcnt vmcnt(0)
	ds_write_b128 v1, v[2:5]
	s_waitcnt lgkmcnt(0)
	; wave barrier
	s_and_saveexec_b64 s[0:1], vcc
	s_cbranch_execz .LBB123_91
; %bb.88:
	v_add_u32_e32 v7, -1, v240
	v_add_u32_e32 v8, 0x3c0, v14
	v_add_u32_e32 v9, 16, v14
	v_mov_b64_e32 v[2:3], 0
	s_mov_b64 s[4:5], 0
	v_mov_b64_e32 v[4:5], 0
.LBB123_89:                             ; =>This Inner Loop Header: Depth=1
	scratch_load_dwordx4 v[10:13], v9, off
	ds_read_b128 v[16:19], v8
	v_add_u32_e32 v7, 1, v7
	v_cmp_lt_u32_e32 vcc, 17, v7
	v_add_u32_e32 v8, 16, v8
	v_add_u32_e32 v9, 16, v9
	s_or_b64 s[4:5], vcc, s[4:5]
	s_waitcnt vmcnt(0) lgkmcnt(0)
	v_mul_f64 v[20:21], v[18:19], v[12:13]
	v_mul_f64 v[12:13], v[16:17], v[12:13]
	v_fma_f64 v[16:17], v[16:17], v[10:11], -v[20:21]
	v_fmac_f64_e32 v[12:13], v[18:19], v[10:11]
	v_add_f64 v[4:5], v[4:5], v[16:17]
	v_add_f64 v[2:3], v[2:3], v[12:13]
	s_andn2_b64 exec, exec, s[4:5]
	s_cbranch_execnz .LBB123_89
; %bb.90:
	s_or_b64 exec, exec, s[4:5]
	v_mov_b32_e32 v0, 0
	ds_read_b128 v[8:11], v0 offset:304
	s_waitcnt lgkmcnt(0)
	v_mul_f64 v[16:17], v[2:3], v[10:11]
	v_mul_f64 v[12:13], v[4:5], v[10:11]
	v_fma_f64 v[10:11], v[4:5], v[8:9], -v[16:17]
	v_fmac_f64_e32 v[12:13], v[2:3], v[8:9]
	scratch_store_dwordx4 off, v[10:13], off offset:320
.LBB123_91:
	s_or_b64 exec, exec, s[0:1]
	; wave barrier
	scratch_load_dwordx4 v[2:5], off, s56
	v_cmp_gt_u32_e32 vcc, 20, v240
	s_waitcnt vmcnt(0)
	ds_write_b128 v1, v[2:5]
	s_waitcnt lgkmcnt(0)
	; wave barrier
	s_and_saveexec_b64 s[0:1], vcc
	s_cbranch_execz .LBB123_95
; %bb.92:
	v_add_u32_e32 v7, -1, v240
	v_add_u32_e32 v8, 0x3c0, v14
	v_add_u32_e32 v9, 16, v14
	v_mov_b64_e32 v[2:3], 0
	s_mov_b64 s[4:5], 0
	v_mov_b64_e32 v[4:5], 0
.LBB123_93:                             ; =>This Inner Loop Header: Depth=1
	scratch_load_dwordx4 v[10:13], v9, off
	ds_read_b128 v[16:19], v8
	v_add_u32_e32 v7, 1, v7
	v_cmp_lt_u32_e32 vcc, 18, v7
	v_add_u32_e32 v8, 16, v8
	v_add_u32_e32 v9, 16, v9
	s_or_b64 s[4:5], vcc, s[4:5]
	s_waitcnt vmcnt(0) lgkmcnt(0)
	v_mul_f64 v[20:21], v[18:19], v[12:13]
	v_mul_f64 v[12:13], v[16:17], v[12:13]
	v_fma_f64 v[16:17], v[16:17], v[10:11], -v[20:21]
	v_fmac_f64_e32 v[12:13], v[18:19], v[10:11]
	v_add_f64 v[4:5], v[4:5], v[16:17]
	v_add_f64 v[2:3], v[2:3], v[12:13]
	s_andn2_b64 exec, exec, s[4:5]
	s_cbranch_execnz .LBB123_93
; %bb.94:
	s_or_b64 exec, exec, s[4:5]
	v_mov_b32_e32 v0, 0
	ds_read_b128 v[8:11], v0 offset:320
	s_waitcnt lgkmcnt(0)
	v_mul_f64 v[16:17], v[2:3], v[10:11]
	v_mul_f64 v[12:13], v[4:5], v[10:11]
	v_fma_f64 v[10:11], v[4:5], v[8:9], -v[16:17]
	v_fmac_f64_e32 v[12:13], v[2:3], v[8:9]
	scratch_store_dwordx4 off, v[10:13], off offset:336
.LBB123_95:
	s_or_b64 exec, exec, s[0:1]
	; wave barrier
	scratch_load_dwordx4 v[2:5], off, s55
	v_cmp_gt_u32_e32 vcc, 21, v240
	s_waitcnt vmcnt(0)
	ds_write_b128 v1, v[2:5]
	s_waitcnt lgkmcnt(0)
	; wave barrier
	s_and_saveexec_b64 s[0:1], vcc
	s_cbranch_execz .LBB123_99
; %bb.96:
	v_add_u32_e32 v7, -1, v240
	v_add_u32_e32 v8, 0x3c0, v14
	v_add_u32_e32 v9, 16, v14
	v_mov_b64_e32 v[2:3], 0
	s_mov_b64 s[4:5], 0
	v_mov_b64_e32 v[4:5], 0
.LBB123_97:                             ; =>This Inner Loop Header: Depth=1
	scratch_load_dwordx4 v[10:13], v9, off
	ds_read_b128 v[16:19], v8
	v_add_u32_e32 v7, 1, v7
	v_cmp_lt_u32_e32 vcc, 19, v7
	v_add_u32_e32 v8, 16, v8
	v_add_u32_e32 v9, 16, v9
	s_or_b64 s[4:5], vcc, s[4:5]
	s_waitcnt vmcnt(0) lgkmcnt(0)
	v_mul_f64 v[20:21], v[18:19], v[12:13]
	v_mul_f64 v[12:13], v[16:17], v[12:13]
	v_fma_f64 v[16:17], v[16:17], v[10:11], -v[20:21]
	v_fmac_f64_e32 v[12:13], v[18:19], v[10:11]
	v_add_f64 v[4:5], v[4:5], v[16:17]
	v_add_f64 v[2:3], v[2:3], v[12:13]
	s_andn2_b64 exec, exec, s[4:5]
	s_cbranch_execnz .LBB123_97
; %bb.98:
	s_or_b64 exec, exec, s[4:5]
	v_mov_b32_e32 v0, 0
	ds_read_b128 v[8:11], v0 offset:336
	s_waitcnt lgkmcnt(0)
	v_mul_f64 v[16:17], v[2:3], v[10:11]
	v_mul_f64 v[12:13], v[4:5], v[10:11]
	v_fma_f64 v[10:11], v[4:5], v[8:9], -v[16:17]
	v_fmac_f64_e32 v[12:13], v[2:3], v[8:9]
	scratch_store_dwordx4 off, v[10:13], off offset:352
.LBB123_99:
	s_or_b64 exec, exec, s[0:1]
	; wave barrier
	scratch_load_dwordx4 v[2:5], off, s54
	v_cmp_gt_u32_e32 vcc, 22, v240
	s_waitcnt vmcnt(0)
	ds_write_b128 v1, v[2:5]
	s_waitcnt lgkmcnt(0)
	; wave barrier
	s_and_saveexec_b64 s[0:1], vcc
	s_cbranch_execz .LBB123_103
; %bb.100:
	v_add_u32_e32 v7, -1, v240
	v_add_u32_e32 v8, 0x3c0, v14
	v_add_u32_e32 v9, 16, v14
	v_mov_b64_e32 v[2:3], 0
	s_mov_b64 s[4:5], 0
	v_mov_b64_e32 v[4:5], 0
.LBB123_101:                            ; =>This Inner Loop Header: Depth=1
	scratch_load_dwordx4 v[10:13], v9, off
	ds_read_b128 v[16:19], v8
	v_add_u32_e32 v7, 1, v7
	v_cmp_lt_u32_e32 vcc, 20, v7
	v_add_u32_e32 v8, 16, v8
	v_add_u32_e32 v9, 16, v9
	s_or_b64 s[4:5], vcc, s[4:5]
	s_waitcnt vmcnt(0) lgkmcnt(0)
	v_mul_f64 v[20:21], v[18:19], v[12:13]
	v_mul_f64 v[12:13], v[16:17], v[12:13]
	v_fma_f64 v[16:17], v[16:17], v[10:11], -v[20:21]
	v_fmac_f64_e32 v[12:13], v[18:19], v[10:11]
	v_add_f64 v[4:5], v[4:5], v[16:17]
	v_add_f64 v[2:3], v[2:3], v[12:13]
	s_andn2_b64 exec, exec, s[4:5]
	s_cbranch_execnz .LBB123_101
; %bb.102:
	s_or_b64 exec, exec, s[4:5]
	v_mov_b32_e32 v0, 0
	ds_read_b128 v[8:11], v0 offset:352
	s_waitcnt lgkmcnt(0)
	v_mul_f64 v[16:17], v[2:3], v[10:11]
	v_mul_f64 v[12:13], v[4:5], v[10:11]
	v_fma_f64 v[10:11], v[4:5], v[8:9], -v[16:17]
	v_fmac_f64_e32 v[12:13], v[2:3], v[8:9]
	scratch_store_dwordx4 off, v[10:13], off offset:368
.LBB123_103:
	s_or_b64 exec, exec, s[0:1]
	; wave barrier
	scratch_load_dwordx4 v[2:5], off, s53
	v_cmp_gt_u32_e32 vcc, 23, v240
	s_waitcnt vmcnt(0)
	ds_write_b128 v1, v[2:5]
	s_waitcnt lgkmcnt(0)
	; wave barrier
	s_and_saveexec_b64 s[0:1], vcc
	s_cbranch_execz .LBB123_107
; %bb.104:
	v_add_u32_e32 v7, -1, v240
	v_add_u32_e32 v8, 0x3c0, v14
	v_add_u32_e32 v9, 16, v14
	v_mov_b64_e32 v[2:3], 0
	s_mov_b64 s[4:5], 0
	v_mov_b64_e32 v[4:5], 0
.LBB123_105:                            ; =>This Inner Loop Header: Depth=1
	scratch_load_dwordx4 v[10:13], v9, off
	ds_read_b128 v[16:19], v8
	v_add_u32_e32 v7, 1, v7
	v_cmp_lt_u32_e32 vcc, 21, v7
	v_add_u32_e32 v8, 16, v8
	v_add_u32_e32 v9, 16, v9
	s_or_b64 s[4:5], vcc, s[4:5]
	s_waitcnt vmcnt(0) lgkmcnt(0)
	v_mul_f64 v[20:21], v[18:19], v[12:13]
	v_mul_f64 v[12:13], v[16:17], v[12:13]
	v_fma_f64 v[16:17], v[16:17], v[10:11], -v[20:21]
	v_fmac_f64_e32 v[12:13], v[18:19], v[10:11]
	v_add_f64 v[4:5], v[4:5], v[16:17]
	v_add_f64 v[2:3], v[2:3], v[12:13]
	s_andn2_b64 exec, exec, s[4:5]
	s_cbranch_execnz .LBB123_105
; %bb.106:
	s_or_b64 exec, exec, s[4:5]
	v_mov_b32_e32 v0, 0
	ds_read_b128 v[8:11], v0 offset:368
	s_waitcnt lgkmcnt(0)
	v_mul_f64 v[16:17], v[2:3], v[10:11]
	v_mul_f64 v[12:13], v[4:5], v[10:11]
	v_fma_f64 v[10:11], v[4:5], v[8:9], -v[16:17]
	v_fmac_f64_e32 v[12:13], v[2:3], v[8:9]
	scratch_store_dwordx4 off, v[10:13], off offset:384
.LBB123_107:
	s_or_b64 exec, exec, s[0:1]
	; wave barrier
	scratch_load_dwordx4 v[2:5], off, s52
	v_cmp_gt_u32_e32 vcc, 24, v240
	;; [unrolled: 45-line block ×36, first 2 shown]
	s_waitcnt vmcnt(0)
	ds_write_b128 v1, v[2:5]
	s_waitcnt lgkmcnt(0)
	; wave barrier
	s_and_saveexec_b64 s[0:1], vcc
	s_cbranch_execz .LBB123_247
; %bb.244:
	v_add_u32_e32 v7, -1, v240
	v_add_u32_e32 v8, 0x3c0, v14
	v_add_u32_e32 v9, 16, v14
	v_mov_b64_e32 v[2:3], 0
	s_mov_b64 s[4:5], 0
	v_mov_b64_e32 v[4:5], 0
.LBB123_245:                            ; =>This Inner Loop Header: Depth=1
	scratch_load_dwordx4 v[10:13], v9, off
	ds_read_b128 v[16:19], v8
	v_add_u32_e32 v7, 1, v7
	v_cmp_lt_u32_e32 vcc, 56, v7
	v_add_u32_e32 v8, 16, v8
	v_add_u32_e32 v9, 16, v9
	s_or_b64 s[4:5], vcc, s[4:5]
	s_waitcnt vmcnt(0) lgkmcnt(0)
	v_mul_f64 v[20:21], v[18:19], v[12:13]
	v_mul_f64 v[12:13], v[16:17], v[12:13]
	v_fma_f64 v[16:17], v[16:17], v[10:11], -v[20:21]
	v_fmac_f64_e32 v[12:13], v[18:19], v[10:11]
	v_add_f64 v[4:5], v[4:5], v[16:17]
	v_add_f64 v[2:3], v[2:3], v[12:13]
	s_andn2_b64 exec, exec, s[4:5]
	s_cbranch_execnz .LBB123_245
; %bb.246:
	s_or_b64 exec, exec, s[4:5]
	v_mov_b32_e32 v0, 0
	ds_read_b128 v[8:11], v0 offset:928
	s_waitcnt lgkmcnt(0)
	v_mul_f64 v[16:17], v[2:3], v[10:11]
	v_mul_f64 v[12:13], v[4:5], v[10:11]
	v_fma_f64 v[10:11], v[4:5], v[8:9], -v[16:17]
	v_fmac_f64_e32 v[12:13], v[2:3], v[8:9]
	scratch_store_dwordx4 off, v[10:13], off offset:944
.LBB123_247:
	s_or_b64 exec, exec, s[0:1]
	; wave barrier
	scratch_load_dwordx4 v[2:5], off, s16
	v_cmp_ne_u32_e32 vcc, 59, v240
	s_waitcnt vmcnt(0)
	ds_write_b128 v1, v[2:5]
	s_waitcnt lgkmcnt(0)
	; wave barrier
	s_and_saveexec_b64 s[0:1], vcc
	s_cbranch_execz .LBB123_251
; %bb.248:
	v_add_u32_e32 v1, 0x3c0, v14
	v_add_u32_e32 v7, 16, v14
	v_mov_b64_e32 v[2:3], 0
	s_mov_b64 s[4:5], 0
	v_mov_b64_e32 v[4:5], 0
.LBB123_249:                            ; =>This Inner Loop Header: Depth=1
	scratch_load_dwordx4 v[8:11], v7, off
	ds_read_b128 v[12:15], v1
	v_add_u32_e32 v6, 1, v6
	v_cmp_lt_u32_e32 vcc, 57, v6
	v_add_u32_e32 v1, 16, v1
	v_add_u32_e32 v7, 16, v7
	s_or_b64 s[4:5], vcc, s[4:5]
	s_waitcnt vmcnt(0) lgkmcnt(0)
	v_mul_f64 v[16:17], v[14:15], v[10:11]
	v_mul_f64 v[10:11], v[12:13], v[10:11]
	v_fma_f64 v[12:13], v[12:13], v[8:9], -v[16:17]
	v_fmac_f64_e32 v[10:11], v[14:15], v[8:9]
	v_add_f64 v[4:5], v[4:5], v[12:13]
	v_add_f64 v[2:3], v[2:3], v[10:11]
	s_andn2_b64 exec, exec, s[4:5]
	s_cbranch_execnz .LBB123_249
; %bb.250:
	s_or_b64 exec, exec, s[4:5]
	v_mov_b32_e32 v0, 0
	ds_read_b128 v[6:9], v0 offset:944
	s_waitcnt lgkmcnt(0)
	v_mul_f64 v[12:13], v[2:3], v[8:9]
	v_mul_f64 v[10:11], v[4:5], v[8:9]
	v_fma_f64 v[8:9], v[4:5], v[6:7], -v[12:13]
	v_fmac_f64_e32 v[10:11], v[2:3], v[6:7]
	scratch_store_dwordx4 off, v[8:11], off offset:960
.LBB123_251:
	s_or_b64 exec, exec, s[0:1]
	s_mov_b64 s[4:5], -1
	; wave barrier
.LBB123_252:
	s_and_b64 vcc, exec, s[4:5]
	s_cbranch_vccz .LBB123_254
; %bb.253:
	s_lshl_b64 s[0:1], s[2:3], 2
	s_add_u32 s0, s6, s0
	s_addc_u32 s1, s7, s1
	v_mov_b32_e32 v0, 0
	global_load_dword v0, v0, s[0:1]
	s_waitcnt vmcnt(0)
	v_cmp_ne_u32_e32 vcc, 0, v0
	s_cbranch_vccz .LBB123_255
.LBB123_254:
	s_endpgm
.LBB123_255:
	v_mov_b32_e32 v0, 0x3c0
	v_lshl_add_u32 v0, v240, 4, v0
	v_accvgpr_write_b32 a121, v0
	v_cmp_eq_u32_e32 vcc, 59, v240
	s_and_saveexec_b64 s[0:1], vcc
	s_cbranch_execz .LBB123_257
; %bb.256:
	scratch_load_dwordx4 v[2:5], off, s17
	v_mov_b32_e32 v6, 0
	v_mov_b32_e32 v7, v6
	;; [unrolled: 1-line block ×4, first 2 shown]
	v_accvgpr_read_b32 v0, a121
	scratch_store_dwordx4 off, v[6:9], off offset:944
	s_waitcnt vmcnt(1)
	ds_write_b128 v0, v[2:5]
.LBB123_257:
	s_or_b64 exec, exec, s[0:1]
	s_waitcnt lgkmcnt(0)
	; wave barrier
	scratch_load_dwordx4 v[4:7], off, off offset:960
	scratch_load_dwordx4 v[8:11], off, off offset:944
	v_mov_b32_e32 v2, 0
	ds_read_b128 v[12:15], v2 offset:1904
	v_cmp_lt_u32_e32 vcc, 57, v240
	s_waitcnt vmcnt(1) lgkmcnt(0)
	v_mul_f64 v[16:17], v[12:13], v[6:7]
	v_mul_f64 v[6:7], v[14:15], v[6:7]
	v_fmac_f64_e32 v[16:17], v[14:15], v[4:5]
	v_fma_f64 v[4:5], v[12:13], v[4:5], -v[6:7]
	v_add_f64 v[6:7], v[16:17], 0
	v_add_f64 v[4:5], v[4:5], 0
	s_waitcnt vmcnt(0)
	v_add_f64 v[4:5], v[8:9], -v[4:5]
	v_add_f64 v[6:7], v[10:11], -v[6:7]
	scratch_store_dwordx4 off, v[4:7], off offset:944
	s_and_saveexec_b64 s[0:1], vcc
	s_cbranch_execz .LBB123_259
; %bb.258:
	scratch_load_dwordx4 v[6:9], off, s18
	v_mov_b32_e32 v3, v2
	v_mov_b32_e32 v4, v2
	;; [unrolled: 1-line block ×3, first 2 shown]
	v_accvgpr_read_b32 v0, a121
	scratch_store_dwordx4 off, v[2:5], off offset:928
	s_waitcnt vmcnt(1)
	ds_write_b128 v0, v[6:9]
.LBB123_259:
	s_or_b64 exec, exec, s[0:1]
	s_waitcnt lgkmcnt(0)
	; wave barrier
	scratch_load_dwordx4 v[4:7], off, off offset:944
	scratch_load_dwordx4 v[8:11], off, off offset:960
	;; [unrolled: 1-line block ×3, first 2 shown]
	ds_read_b128 v[16:19], v2 offset:1888
	ds_read_b128 v[20:23], v2 offset:1904
	v_cmp_lt_u32_e32 vcc, 56, v240
	s_waitcnt vmcnt(2) lgkmcnt(1)
	v_mul_f64 v[2:3], v[16:17], v[6:7]
	v_mul_f64 v[6:7], v[18:19], v[6:7]
	s_waitcnt vmcnt(1) lgkmcnt(0)
	v_mul_f64 v[24:25], v[20:21], v[10:11]
	v_mul_f64 v[10:11], v[22:23], v[10:11]
	v_fmac_f64_e32 v[2:3], v[18:19], v[4:5]
	v_fma_f64 v[4:5], v[16:17], v[4:5], -v[6:7]
	v_fmac_f64_e32 v[24:25], v[22:23], v[8:9]
	v_fma_f64 v[6:7], v[20:21], v[8:9], -v[10:11]
	v_add_f64 v[2:3], v[2:3], 0
	v_add_f64 v[4:5], v[4:5], 0
	;; [unrolled: 1-line block ×4, first 2 shown]
	s_waitcnt vmcnt(0)
	v_add_f64 v[2:3], v[12:13], -v[2:3]
	v_add_f64 v[4:5], v[14:15], -v[8:9]
	scratch_store_dwordx4 off, v[2:5], off offset:928
	s_and_saveexec_b64 s[0:1], vcc
	s_cbranch_execz .LBB123_261
; %bb.260:
	scratch_load_dwordx4 v[2:5], off, s19
	v_mov_b32_e32 v6, 0
	v_mov_b32_e32 v7, v6
	;; [unrolled: 1-line block ×4, first 2 shown]
	v_accvgpr_read_b32 v0, a121
	scratch_store_dwordx4 off, v[6:9], off offset:912
	s_waitcnt vmcnt(1)
	ds_write_b128 v0, v[2:5]
.LBB123_261:
	s_or_b64 exec, exec, s[0:1]
	s_waitcnt lgkmcnt(0)
	; wave barrier
	scratch_load_dwordx4 v[4:7], off, off offset:928
	scratch_load_dwordx4 v[8:11], off, off offset:944
	;; [unrolled: 1-line block ×4, first 2 shown]
	v_mov_b32_e32 v2, 0
	ds_read_b128 v[20:23], v2 offset:1872
	ds_read_b128 v[24:27], v2 offset:1888
	;; [unrolled: 1-line block ×3, first 2 shown]
	v_cmp_lt_u32_e32 vcc, 55, v240
	s_waitcnt vmcnt(3) lgkmcnt(2)
	v_mul_f64 v[32:33], v[20:21], v[6:7]
	v_mul_f64 v[6:7], v[22:23], v[6:7]
	s_waitcnt vmcnt(2) lgkmcnt(1)
	v_mul_f64 v[34:35], v[24:25], v[10:11]
	v_mul_f64 v[10:11], v[26:27], v[10:11]
	v_fmac_f64_e32 v[32:33], v[22:23], v[4:5]
	v_fma_f64 v[4:5], v[20:21], v[4:5], -v[6:7]
	s_waitcnt vmcnt(1) lgkmcnt(0)
	v_mul_f64 v[36:37], v[28:29], v[14:15]
	v_mul_f64 v[14:15], v[30:31], v[14:15]
	v_fmac_f64_e32 v[34:35], v[26:27], v[8:9]
	v_fma_f64 v[6:7], v[24:25], v[8:9], -v[10:11]
	v_add_f64 v[10:11], v[32:33], 0
	v_add_f64 v[4:5], v[4:5], 0
	v_fmac_f64_e32 v[36:37], v[30:31], v[12:13]
	v_fma_f64 v[8:9], v[28:29], v[12:13], -v[14:15]
	v_add_f64 v[10:11], v[10:11], v[34:35]
	v_add_f64 v[4:5], v[4:5], v[6:7]
	;; [unrolled: 1-line block ×4, first 2 shown]
	s_waitcnt vmcnt(0)
	v_add_f64 v[4:5], v[16:17], -v[4:5]
	v_add_f64 v[6:7], v[18:19], -v[6:7]
	scratch_store_dwordx4 off, v[4:7], off offset:912
	s_and_saveexec_b64 s[0:1], vcc
	s_cbranch_execz .LBB123_263
; %bb.262:
	scratch_load_dwordx4 v[6:9], off, s20
	v_mov_b32_e32 v3, v2
	v_mov_b32_e32 v4, v2
	;; [unrolled: 1-line block ×3, first 2 shown]
	v_accvgpr_read_b32 v0, a121
	scratch_store_dwordx4 off, v[2:5], off offset:896
	s_waitcnt vmcnt(1)
	ds_write_b128 v0, v[6:9]
.LBB123_263:
	s_or_b64 exec, exec, s[0:1]
	s_waitcnt lgkmcnt(0)
	; wave barrier
	scratch_load_dwordx4 v[4:7], off, off offset:912
	scratch_load_dwordx4 v[8:11], off, off offset:928
	;; [unrolled: 1-line block ×5, first 2 shown]
	ds_read_b128 v[24:27], v2 offset:1856
	ds_read_b128 v[28:31], v2 offset:1872
	;; [unrolled: 1-line block ×4, first 2 shown]
	v_cmp_lt_u32_e32 vcc, 54, v240
	s_waitcnt vmcnt(4) lgkmcnt(3)
	v_mul_f64 v[2:3], v[24:25], v[6:7]
	v_mul_f64 v[6:7], v[26:27], v[6:7]
	s_waitcnt vmcnt(3) lgkmcnt(2)
	v_mul_f64 v[40:41], v[28:29], v[10:11]
	v_mul_f64 v[10:11], v[30:31], v[10:11]
	v_fmac_f64_e32 v[2:3], v[26:27], v[4:5]
	v_fma_f64 v[4:5], v[24:25], v[4:5], -v[6:7]
	s_waitcnt vmcnt(2) lgkmcnt(1)
	v_mul_f64 v[42:43], v[32:33], v[14:15]
	v_mul_f64 v[14:15], v[34:35], v[14:15]
	v_fmac_f64_e32 v[40:41], v[30:31], v[8:9]
	v_fma_f64 v[6:7], v[28:29], v[8:9], -v[10:11]
	v_add_f64 v[2:3], v[2:3], 0
	v_add_f64 v[4:5], v[4:5], 0
	s_waitcnt vmcnt(1) lgkmcnt(0)
	v_mul_f64 v[44:45], v[36:37], v[18:19]
	v_mul_f64 v[18:19], v[38:39], v[18:19]
	v_fmac_f64_e32 v[42:43], v[34:35], v[12:13]
	v_fma_f64 v[8:9], v[32:33], v[12:13], -v[14:15]
	v_add_f64 v[2:3], v[2:3], v[40:41]
	v_add_f64 v[4:5], v[4:5], v[6:7]
	v_fmac_f64_e32 v[44:45], v[38:39], v[16:17]
	v_fma_f64 v[10:11], v[36:37], v[16:17], -v[18:19]
	v_add_f64 v[2:3], v[2:3], v[42:43]
	v_add_f64 v[4:5], v[4:5], v[8:9]
	;; [unrolled: 1-line block ×4, first 2 shown]
	s_waitcnt vmcnt(0)
	v_add_f64 v[2:3], v[20:21], -v[2:3]
	v_add_f64 v[4:5], v[22:23], -v[6:7]
	scratch_store_dwordx4 off, v[2:5], off offset:896
	s_and_saveexec_b64 s[0:1], vcc
	s_cbranch_execz .LBB123_265
; %bb.264:
	scratch_load_dwordx4 v[2:5], off, s21
	v_mov_b32_e32 v6, 0
	v_mov_b32_e32 v7, v6
	;; [unrolled: 1-line block ×4, first 2 shown]
	v_accvgpr_read_b32 v0, a121
	scratch_store_dwordx4 off, v[6:9], off offset:880
	s_waitcnt vmcnt(1)
	ds_write_b128 v0, v[2:5]
.LBB123_265:
	s_or_b64 exec, exec, s[0:1]
	s_waitcnt lgkmcnt(0)
	; wave barrier
	scratch_load_dwordx4 v[4:7], off, off offset:896
	scratch_load_dwordx4 v[8:11], off, off offset:912
	;; [unrolled: 1-line block ×6, first 2 shown]
	v_mov_b32_e32 v2, 0
	ds_read_b128 v[28:31], v2 offset:1840
	ds_read_b128 v[32:35], v2 offset:1856
	;; [unrolled: 1-line block ×5, first 2 shown]
	v_cmp_lt_u32_e32 vcc, 53, v240
	s_waitcnt vmcnt(5) lgkmcnt(4)
	v_mul_f64 v[48:49], v[28:29], v[6:7]
	v_mul_f64 v[6:7], v[30:31], v[6:7]
	s_waitcnt vmcnt(4) lgkmcnt(3)
	v_mul_f64 v[50:51], v[32:33], v[10:11]
	s_waitcnt vmcnt(3) lgkmcnt(2)
	v_mul_f64 v[52:53], v[36:37], v[14:15]
	v_mul_f64 v[10:11], v[34:35], v[10:11]
	;; [unrolled: 1-line block ×3, first 2 shown]
	v_fmac_f64_e32 v[48:49], v[30:31], v[4:5]
	v_fma_f64 v[4:5], v[28:29], v[4:5], -v[6:7]
	v_fmac_f64_e32 v[50:51], v[34:35], v[8:9]
	v_fma_f64 v[6:7], v[32:33], v[8:9], -v[10:11]
	v_fma_f64 v[8:9], v[36:37], v[12:13], -v[14:15]
	v_add_f64 v[14:15], v[48:49], 0
	v_add_f64 v[4:5], v[4:5], 0
	s_waitcnt vmcnt(2) lgkmcnt(1)
	v_mul_f64 v[54:55], v[40:41], v[18:19]
	v_mul_f64 v[18:19], v[42:43], v[18:19]
	v_fmac_f64_e32 v[52:53], v[38:39], v[12:13]
	v_add_f64 v[14:15], v[14:15], v[50:51]
	v_add_f64 v[4:5], v[4:5], v[6:7]
	s_waitcnt vmcnt(1) lgkmcnt(0)
	v_mul_f64 v[56:57], v[44:45], v[22:23]
	v_mul_f64 v[22:23], v[46:47], v[22:23]
	v_fmac_f64_e32 v[54:55], v[42:43], v[16:17]
	v_fma_f64 v[10:11], v[40:41], v[16:17], -v[18:19]
	v_add_f64 v[6:7], v[14:15], v[52:53]
	v_add_f64 v[4:5], v[4:5], v[8:9]
	v_fmac_f64_e32 v[56:57], v[46:47], v[20:21]
	v_fma_f64 v[12:13], v[44:45], v[20:21], -v[22:23]
	v_add_f64 v[6:7], v[6:7], v[54:55]
	v_add_f64 v[4:5], v[4:5], v[10:11]
	;; [unrolled: 1-line block ×4, first 2 shown]
	s_waitcnt vmcnt(0)
	v_add_f64 v[4:5], v[24:25], -v[4:5]
	v_add_f64 v[6:7], v[26:27], -v[6:7]
	scratch_store_dwordx4 off, v[4:7], off offset:880
	s_and_saveexec_b64 s[0:1], vcc
	s_cbranch_execz .LBB123_267
; %bb.266:
	scratch_load_dwordx4 v[6:9], off, s22
	v_mov_b32_e32 v3, v2
	v_mov_b32_e32 v4, v2
	;; [unrolled: 1-line block ×3, first 2 shown]
	v_accvgpr_read_b32 v0, a121
	scratch_store_dwordx4 off, v[2:5], off offset:864
	s_waitcnt vmcnt(1)
	ds_write_b128 v0, v[6:9]
.LBB123_267:
	s_or_b64 exec, exec, s[0:1]
	s_waitcnt lgkmcnt(0)
	; wave barrier
	scratch_load_dwordx4 v[4:7], off, off offset:880
	scratch_load_dwordx4 v[8:11], off, off offset:896
	;; [unrolled: 1-line block ×7, first 2 shown]
	ds_read_b128 v[32:35], v2 offset:1824
	ds_read_b128 v[36:39], v2 offset:1840
	;; [unrolled: 1-line block ×6, first 2 shown]
	v_cmp_lt_u32_e32 vcc, 52, v240
	s_waitcnt vmcnt(6) lgkmcnt(5)
	v_mul_f64 v[2:3], v[32:33], v[6:7]
	v_mul_f64 v[6:7], v[34:35], v[6:7]
	s_waitcnt vmcnt(5) lgkmcnt(4)
	v_mul_f64 v[56:57], v[36:37], v[10:11]
	v_mul_f64 v[10:11], v[38:39], v[10:11]
	v_fmac_f64_e32 v[2:3], v[34:35], v[4:5]
	v_fma_f64 v[4:5], v[32:33], v[4:5], -v[6:7]
	s_waitcnt vmcnt(4) lgkmcnt(3)
	v_mul_f64 v[58:59], v[40:41], v[14:15]
	v_mul_f64 v[14:15], v[42:43], v[14:15]
	v_fmac_f64_e32 v[56:57], v[38:39], v[8:9]
	v_fma_f64 v[6:7], v[36:37], v[8:9], -v[10:11]
	v_add_f64 v[2:3], v[2:3], 0
	v_add_f64 v[4:5], v[4:5], 0
	s_waitcnt vmcnt(3) lgkmcnt(2)
	v_mul_f64 v[60:61], v[44:45], v[18:19]
	v_mul_f64 v[18:19], v[46:47], v[18:19]
	v_fmac_f64_e32 v[58:59], v[42:43], v[12:13]
	v_fma_f64 v[8:9], v[40:41], v[12:13], -v[14:15]
	v_add_f64 v[2:3], v[2:3], v[56:57]
	v_add_f64 v[4:5], v[4:5], v[6:7]
	s_waitcnt vmcnt(2) lgkmcnt(1)
	v_mul_f64 v[62:63], v[48:49], v[22:23]
	v_mul_f64 v[22:23], v[50:51], v[22:23]
	v_fmac_f64_e32 v[60:61], v[46:47], v[16:17]
	v_fma_f64 v[10:11], v[44:45], v[16:17], -v[18:19]
	v_add_f64 v[2:3], v[2:3], v[58:59]
	v_add_f64 v[4:5], v[4:5], v[8:9]
	s_waitcnt vmcnt(1) lgkmcnt(0)
	v_mul_f64 v[64:65], v[52:53], v[26:27]
	v_mul_f64 v[26:27], v[54:55], v[26:27]
	v_fmac_f64_e32 v[62:63], v[50:51], v[20:21]
	v_fma_f64 v[12:13], v[48:49], v[20:21], -v[22:23]
	v_add_f64 v[2:3], v[2:3], v[60:61]
	v_add_f64 v[4:5], v[4:5], v[10:11]
	v_fmac_f64_e32 v[64:65], v[54:55], v[24:25]
	v_fma_f64 v[14:15], v[52:53], v[24:25], -v[26:27]
	v_add_f64 v[2:3], v[2:3], v[62:63]
	v_add_f64 v[4:5], v[4:5], v[12:13]
	;; [unrolled: 1-line block ×4, first 2 shown]
	s_waitcnt vmcnt(0)
	v_add_f64 v[2:3], v[28:29], -v[2:3]
	v_add_f64 v[4:5], v[30:31], -v[6:7]
	scratch_store_dwordx4 off, v[2:5], off offset:864
	s_and_saveexec_b64 s[0:1], vcc
	s_cbranch_execz .LBB123_269
; %bb.268:
	scratch_load_dwordx4 v[2:5], off, s23
	v_mov_b32_e32 v6, 0
	v_mov_b32_e32 v7, v6
	v_mov_b32_e32 v8, v6
	v_mov_b32_e32 v9, v6
	v_accvgpr_read_b32 v0, a121
	scratch_store_dwordx4 off, v[6:9], off offset:848
	s_waitcnt vmcnt(1)
	ds_write_b128 v0, v[2:5]
.LBB123_269:
	s_or_b64 exec, exec, s[0:1]
	s_waitcnt lgkmcnt(0)
	; wave barrier
	scratch_load_dwordx4 v[4:7], off, off offset:864
	scratch_load_dwordx4 v[8:11], off, off offset:880
	scratch_load_dwordx4 v[12:15], off, off offset:896
	scratch_load_dwordx4 v[16:19], off, off offset:912
	scratch_load_dwordx4 v[20:23], off, off offset:928
	scratch_load_dwordx4 v[24:27], off, off offset:944
	scratch_load_dwordx4 v[28:31], off, off offset:960
	scratch_load_dwordx4 v[32:35], off, off offset:848
	v_mov_b32_e32 v2, 0
	ds_read_b128 v[36:39], v2 offset:1808
	ds_read_b128 v[40:43], v2 offset:1824
	;; [unrolled: 1-line block ×7, first 2 shown]
	v_cmp_lt_u32_e32 vcc, 51, v240
	s_waitcnt vmcnt(7) lgkmcnt(6)
	v_mul_f64 v[64:65], v[36:37], v[6:7]
	v_mul_f64 v[6:7], v[38:39], v[6:7]
	s_waitcnt vmcnt(6) lgkmcnt(5)
	v_mul_f64 v[66:67], v[40:41], v[10:11]
	s_waitcnt vmcnt(4) lgkmcnt(3)
	v_mul_f64 v[70:71], v[48:49], v[18:19]
	v_mul_f64 v[10:11], v[42:43], v[10:11]
	;; [unrolled: 1-line block ×3, first 2 shown]
	v_fmac_f64_e32 v[64:65], v[38:39], v[4:5]
	v_fma_f64 v[4:5], v[36:37], v[4:5], -v[6:7]
	v_mul_f64 v[68:69], v[44:45], v[14:15]
	v_mul_f64 v[14:15], v[46:47], v[14:15]
	v_fmac_f64_e32 v[66:67], v[42:43], v[8:9]
	v_fma_f64 v[6:7], v[40:41], v[8:9], -v[10:11]
	v_fma_f64 v[10:11], v[48:49], v[16:17], -v[18:19]
	v_add_f64 v[18:19], v[64:65], 0
	v_add_f64 v[4:5], v[4:5], 0
	v_fmac_f64_e32 v[68:69], v[46:47], v[12:13]
	v_fma_f64 v[8:9], v[44:45], v[12:13], -v[14:15]
	v_add_f64 v[18:19], v[18:19], v[66:67]
	v_add_f64 v[4:5], v[4:5], v[6:7]
	s_waitcnt vmcnt(3) lgkmcnt(2)
	v_mul_f64 v[72:73], v[52:53], v[22:23]
	v_mul_f64 v[22:23], v[54:55], v[22:23]
	v_fmac_f64_e32 v[70:71], v[50:51], v[16:17]
	v_add_f64 v[6:7], v[18:19], v[68:69]
	v_add_f64 v[4:5], v[4:5], v[8:9]
	s_waitcnt vmcnt(2) lgkmcnt(1)
	v_mul_f64 v[74:75], v[56:57], v[26:27]
	v_mul_f64 v[26:27], v[58:59], v[26:27]
	v_fmac_f64_e32 v[72:73], v[54:55], v[20:21]
	v_fma_f64 v[12:13], v[52:53], v[20:21], -v[22:23]
	v_add_f64 v[6:7], v[6:7], v[70:71]
	v_add_f64 v[4:5], v[4:5], v[10:11]
	s_waitcnt vmcnt(1) lgkmcnt(0)
	v_mul_f64 v[76:77], v[60:61], v[30:31]
	v_mul_f64 v[30:31], v[62:63], v[30:31]
	v_fmac_f64_e32 v[74:75], v[58:59], v[24:25]
	v_fma_f64 v[14:15], v[56:57], v[24:25], -v[26:27]
	v_add_f64 v[6:7], v[6:7], v[72:73]
	v_add_f64 v[4:5], v[4:5], v[12:13]
	v_fmac_f64_e32 v[76:77], v[62:63], v[28:29]
	v_fma_f64 v[16:17], v[60:61], v[28:29], -v[30:31]
	v_add_f64 v[6:7], v[6:7], v[74:75]
	v_add_f64 v[4:5], v[4:5], v[14:15]
	;; [unrolled: 1-line block ×4, first 2 shown]
	s_waitcnt vmcnt(0)
	v_add_f64 v[4:5], v[32:33], -v[4:5]
	v_add_f64 v[6:7], v[34:35], -v[6:7]
	scratch_store_dwordx4 off, v[4:7], off offset:848
	s_and_saveexec_b64 s[0:1], vcc
	s_cbranch_execz .LBB123_271
; %bb.270:
	scratch_load_dwordx4 v[6:9], off, s24
	v_mov_b32_e32 v3, v2
	v_mov_b32_e32 v4, v2
	;; [unrolled: 1-line block ×3, first 2 shown]
	v_accvgpr_read_b32 v0, a121
	scratch_store_dwordx4 off, v[2:5], off offset:832
	s_waitcnt vmcnt(1)
	ds_write_b128 v0, v[6:9]
.LBB123_271:
	s_or_b64 exec, exec, s[0:1]
	s_waitcnt lgkmcnt(0)
	; wave barrier
	scratch_load_dwordx4 v[4:7], off, off offset:848
	scratch_load_dwordx4 v[8:11], off, off offset:864
	;; [unrolled: 1-line block ×9, first 2 shown]
	ds_read_b128 v[40:43], v2 offset:1792
	ds_read_b128 v[44:47], v2 offset:1808
	;; [unrolled: 1-line block ×8, first 2 shown]
	v_cmp_lt_u32_e32 vcc, 50, v240
	s_waitcnt vmcnt(8) lgkmcnt(7)
	v_mul_f64 v[2:3], v[40:41], v[6:7]
	v_mul_f64 v[6:7], v[42:43], v[6:7]
	s_waitcnt vmcnt(7) lgkmcnt(6)
	v_mul_f64 v[72:73], v[44:45], v[10:11]
	v_mul_f64 v[10:11], v[46:47], v[10:11]
	v_fmac_f64_e32 v[2:3], v[42:43], v[4:5]
	v_fma_f64 v[4:5], v[40:41], v[4:5], -v[6:7]
	s_waitcnt vmcnt(6) lgkmcnt(5)
	v_mul_f64 v[74:75], v[48:49], v[14:15]
	v_mul_f64 v[14:15], v[50:51], v[14:15]
	v_fmac_f64_e32 v[72:73], v[46:47], v[8:9]
	v_fma_f64 v[6:7], v[44:45], v[8:9], -v[10:11]
	v_add_f64 v[2:3], v[2:3], 0
	v_add_f64 v[4:5], v[4:5], 0
	s_waitcnt vmcnt(5) lgkmcnt(4)
	v_mul_f64 v[76:77], v[52:53], v[18:19]
	v_mul_f64 v[18:19], v[54:55], v[18:19]
	v_fmac_f64_e32 v[74:75], v[50:51], v[12:13]
	v_fma_f64 v[8:9], v[48:49], v[12:13], -v[14:15]
	v_add_f64 v[2:3], v[2:3], v[72:73]
	v_add_f64 v[4:5], v[4:5], v[6:7]
	s_waitcnt vmcnt(4) lgkmcnt(3)
	v_mul_f64 v[78:79], v[56:57], v[22:23]
	v_mul_f64 v[22:23], v[58:59], v[22:23]
	v_fmac_f64_e32 v[76:77], v[54:55], v[16:17]
	v_fma_f64 v[10:11], v[52:53], v[16:17], -v[18:19]
	v_add_f64 v[2:3], v[2:3], v[74:75]
	v_add_f64 v[4:5], v[4:5], v[8:9]
	s_waitcnt vmcnt(3) lgkmcnt(2)
	v_mul_f64 v[80:81], v[60:61], v[26:27]
	v_mul_f64 v[26:27], v[62:63], v[26:27]
	v_fmac_f64_e32 v[78:79], v[58:59], v[20:21]
	v_fma_f64 v[12:13], v[56:57], v[20:21], -v[22:23]
	v_add_f64 v[2:3], v[2:3], v[76:77]
	v_add_f64 v[4:5], v[4:5], v[10:11]
	s_waitcnt vmcnt(2) lgkmcnt(1)
	v_mul_f64 v[82:83], v[64:65], v[30:31]
	v_mul_f64 v[30:31], v[66:67], v[30:31]
	v_fmac_f64_e32 v[80:81], v[62:63], v[24:25]
	v_fma_f64 v[14:15], v[60:61], v[24:25], -v[26:27]
	v_add_f64 v[2:3], v[2:3], v[78:79]
	v_add_f64 v[4:5], v[4:5], v[12:13]
	s_waitcnt vmcnt(1) lgkmcnt(0)
	v_mul_f64 v[84:85], v[68:69], v[34:35]
	v_mul_f64 v[34:35], v[70:71], v[34:35]
	v_fmac_f64_e32 v[82:83], v[66:67], v[28:29]
	v_fma_f64 v[16:17], v[64:65], v[28:29], -v[30:31]
	v_add_f64 v[2:3], v[2:3], v[80:81]
	v_add_f64 v[4:5], v[4:5], v[14:15]
	v_fmac_f64_e32 v[84:85], v[70:71], v[32:33]
	v_fma_f64 v[18:19], v[68:69], v[32:33], -v[34:35]
	v_add_f64 v[2:3], v[2:3], v[82:83]
	v_add_f64 v[4:5], v[4:5], v[16:17]
	;; [unrolled: 1-line block ×4, first 2 shown]
	s_waitcnt vmcnt(0)
	v_add_f64 v[2:3], v[36:37], -v[2:3]
	v_add_f64 v[4:5], v[38:39], -v[6:7]
	scratch_store_dwordx4 off, v[2:5], off offset:832
	s_and_saveexec_b64 s[0:1], vcc
	s_cbranch_execz .LBB123_273
; %bb.272:
	scratch_load_dwordx4 v[2:5], off, s25
	v_mov_b32_e32 v6, 0
	v_mov_b32_e32 v7, v6
	;; [unrolled: 1-line block ×4, first 2 shown]
	v_accvgpr_read_b32 v0, a121
	scratch_store_dwordx4 off, v[6:9], off offset:816
	s_waitcnt vmcnt(1)
	ds_write_b128 v0, v[2:5]
.LBB123_273:
	s_or_b64 exec, exec, s[0:1]
	s_waitcnt lgkmcnt(0)
	; wave barrier
	scratch_load_dwordx4 v[4:7], off, off offset:832
	scratch_load_dwordx4 v[8:11], off, off offset:848
	;; [unrolled: 1-line block ×10, first 2 shown]
	v_mov_b32_e32 v2, 0
	ds_read_b128 v[44:47], v2 offset:1776
	ds_read_b128 v[48:51], v2 offset:1792
	;; [unrolled: 1-line block ×9, first 2 shown]
	v_cmp_lt_u32_e32 vcc, 49, v240
	s_waitcnt vmcnt(9) lgkmcnt(8)
	v_mul_f64 v[80:81], v[44:45], v[6:7]
	v_mul_f64 v[6:7], v[46:47], v[6:7]
	s_waitcnt vmcnt(8) lgkmcnt(7)
	v_mul_f64 v[82:83], v[48:49], v[10:11]
	s_waitcnt vmcnt(7) lgkmcnt(6)
	;; [unrolled: 2-line block ×3, first 2 shown]
	v_mul_f64 v[88:89], v[60:61], v[22:23]
	v_mul_f64 v[10:11], v[50:51], v[10:11]
	;; [unrolled: 1-line block ×4, first 2 shown]
	v_fmac_f64_e32 v[80:81], v[46:47], v[4:5]
	v_fma_f64 v[4:5], v[44:45], v[4:5], -v[6:7]
	v_fmac_f64_e32 v[82:83], v[50:51], v[8:9]
	v_fmac_f64_e32 v[84:85], v[54:55], v[12:13]
	v_fma_f64 v[6:7], v[48:49], v[8:9], -v[10:11]
	v_fma_f64 v[8:9], v[52:53], v[12:13], -v[14:15]
	;; [unrolled: 1-line block ×3, first 2 shown]
	v_add_f64 v[22:23], v[80:81], 0
	v_add_f64 v[4:5], v[4:5], 0
	v_mul_f64 v[86:87], v[56:57], v[18:19]
	v_mul_f64 v[18:19], v[58:59], v[18:19]
	v_add_f64 v[22:23], v[22:23], v[82:83]
	v_add_f64 v[4:5], v[4:5], v[6:7]
	v_fmac_f64_e32 v[86:87], v[58:59], v[16:17]
	v_fma_f64 v[10:11], v[56:57], v[16:17], -v[18:19]
	v_add_f64 v[6:7], v[22:23], v[84:85]
	v_add_f64 v[4:5], v[4:5], v[8:9]
	s_waitcnt vmcnt(4) lgkmcnt(3)
	v_mul_f64 v[90:91], v[64:65], v[26:27]
	v_mul_f64 v[26:27], v[66:67], v[26:27]
	v_fmac_f64_e32 v[88:89], v[62:63], v[20:21]
	v_add_f64 v[6:7], v[6:7], v[86:87]
	v_add_f64 v[4:5], v[4:5], v[10:11]
	s_waitcnt vmcnt(3) lgkmcnt(2)
	v_mul_f64 v[92:93], v[68:69], v[30:31]
	v_mul_f64 v[30:31], v[70:71], v[30:31]
	v_fmac_f64_e32 v[90:91], v[66:67], v[24:25]
	v_fma_f64 v[14:15], v[64:65], v[24:25], -v[26:27]
	v_add_f64 v[6:7], v[6:7], v[88:89]
	v_add_f64 v[4:5], v[4:5], v[12:13]
	s_waitcnt vmcnt(2) lgkmcnt(1)
	v_mul_f64 v[94:95], v[72:73], v[34:35]
	v_mul_f64 v[34:35], v[74:75], v[34:35]
	v_fmac_f64_e32 v[92:93], v[70:71], v[28:29]
	v_fma_f64 v[16:17], v[68:69], v[28:29], -v[30:31]
	;; [unrolled: 7-line block ×3, first 2 shown]
	v_add_f64 v[6:7], v[6:7], v[92:93]
	v_add_f64 v[4:5], v[4:5], v[16:17]
	v_fmac_f64_e32 v[96:97], v[78:79], v[36:37]
	v_fma_f64 v[20:21], v[76:77], v[36:37], -v[38:39]
	v_add_f64 v[6:7], v[6:7], v[94:95]
	v_add_f64 v[4:5], v[4:5], v[18:19]
	v_add_f64 v[6:7], v[6:7], v[96:97]
	v_add_f64 v[4:5], v[4:5], v[20:21]
	s_waitcnt vmcnt(0)
	v_add_f64 v[4:5], v[40:41], -v[4:5]
	v_add_f64 v[6:7], v[42:43], -v[6:7]
	scratch_store_dwordx4 off, v[4:7], off offset:816
	s_and_saveexec_b64 s[0:1], vcc
	s_cbranch_execz .LBB123_275
; %bb.274:
	scratch_load_dwordx4 v[6:9], off, s26
	v_mov_b32_e32 v3, v2
	v_mov_b32_e32 v4, v2
	;; [unrolled: 1-line block ×3, first 2 shown]
	v_accvgpr_read_b32 v0, a121
	scratch_store_dwordx4 off, v[2:5], off offset:800
	s_waitcnt vmcnt(1)
	ds_write_b128 v0, v[6:9]
.LBB123_275:
	s_or_b64 exec, exec, s[0:1]
	s_waitcnt lgkmcnt(0)
	; wave barrier
	scratch_load_dwordx4 v[4:7], off, off offset:816
	scratch_load_dwordx4 v[8:11], off, off offset:832
	;; [unrolled: 1-line block ×11, first 2 shown]
	ds_read_b128 v[48:51], v2 offset:1760
	ds_read_b128 v[52:55], v2 offset:1776
	;; [unrolled: 1-line block ×10, first 2 shown]
	v_cmp_lt_u32_e32 vcc, 48, v240
	s_waitcnt vmcnt(10) lgkmcnt(9)
	v_mul_f64 v[2:3], v[48:49], v[6:7]
	v_mul_f64 v[6:7], v[50:51], v[6:7]
	s_waitcnt vmcnt(9) lgkmcnt(8)
	v_mul_f64 v[88:89], v[52:53], v[10:11]
	v_mul_f64 v[10:11], v[54:55], v[10:11]
	v_fmac_f64_e32 v[2:3], v[50:51], v[4:5]
	v_fma_f64 v[4:5], v[48:49], v[4:5], -v[6:7]
	s_waitcnt vmcnt(8) lgkmcnt(7)
	v_mul_f64 v[90:91], v[56:57], v[14:15]
	v_mul_f64 v[14:15], v[58:59], v[14:15]
	v_fmac_f64_e32 v[88:89], v[54:55], v[8:9]
	v_fma_f64 v[6:7], v[52:53], v[8:9], -v[10:11]
	v_add_f64 v[2:3], v[2:3], 0
	v_add_f64 v[4:5], v[4:5], 0
	s_waitcnt vmcnt(7) lgkmcnt(6)
	v_mul_f64 v[92:93], v[60:61], v[18:19]
	v_mul_f64 v[18:19], v[62:63], v[18:19]
	v_fmac_f64_e32 v[90:91], v[58:59], v[12:13]
	v_fma_f64 v[8:9], v[56:57], v[12:13], -v[14:15]
	v_add_f64 v[2:3], v[2:3], v[88:89]
	v_add_f64 v[4:5], v[4:5], v[6:7]
	;; [unrolled: 7-line block ×8, first 2 shown]
	v_fmac_f64_e32 v[104:105], v[86:87], v[40:41]
	v_fma_f64 v[22:23], v[84:85], v[40:41], -v[42:43]
	v_add_f64 v[2:3], v[2:3], v[102:103]
	v_add_f64 v[4:5], v[4:5], v[20:21]
	;; [unrolled: 1-line block ×4, first 2 shown]
	s_waitcnt vmcnt(0)
	v_add_f64 v[2:3], v[44:45], -v[2:3]
	v_add_f64 v[4:5], v[46:47], -v[6:7]
	scratch_store_dwordx4 off, v[2:5], off offset:800
	s_and_saveexec_b64 s[0:1], vcc
	s_cbranch_execz .LBB123_277
; %bb.276:
	scratch_load_dwordx4 v[2:5], off, s27
	v_mov_b32_e32 v6, 0
	v_mov_b32_e32 v7, v6
	;; [unrolled: 1-line block ×4, first 2 shown]
	v_accvgpr_read_b32 v0, a121
	scratch_store_dwordx4 off, v[6:9], off offset:784
	s_waitcnt vmcnt(1)
	ds_write_b128 v0, v[2:5]
.LBB123_277:
	s_or_b64 exec, exec, s[0:1]
	s_waitcnt lgkmcnt(0)
	; wave barrier
	scratch_load_dwordx4 v[4:7], off, off offset:800
	scratch_load_dwordx4 v[8:11], off, off offset:816
	;; [unrolled: 1-line block ×12, first 2 shown]
	v_mov_b32_e32 v2, 0
	ds_read_b128 v[52:55], v2 offset:1744
	ds_read_b128 v[56:59], v2 offset:1760
	;; [unrolled: 1-line block ×11, first 2 shown]
	v_cmp_lt_u32_e32 vcc, 47, v240
	s_waitcnt vmcnt(11) lgkmcnt(10)
	v_mul_f64 v[96:97], v[52:53], v[6:7]
	v_mul_f64 v[6:7], v[54:55], v[6:7]
	s_waitcnt vmcnt(10) lgkmcnt(9)
	v_mul_f64 v[98:99], v[56:57], v[10:11]
	s_waitcnt vmcnt(9) lgkmcnt(8)
	v_mul_f64 v[100:101], v[60:61], v[14:15]
	v_mul_f64 v[10:11], v[58:59], v[10:11]
	s_waitcnt vmcnt(6) lgkmcnt(5)
	v_mul_f64 v[106:107], v[72:73], v[26:27]
	v_mul_f64 v[14:15], v[62:63], v[14:15]
	;; [unrolled: 1-line block ×3, first 2 shown]
	v_fmac_f64_e32 v[96:97], v[54:55], v[4:5]
	v_fma_f64 v[4:5], v[52:53], v[4:5], -v[6:7]
	v_fmac_f64_e32 v[98:99], v[58:59], v[8:9]
	v_fma_f64 v[6:7], v[56:57], v[8:9], -v[10:11]
	v_fma_f64 v[8:9], v[60:61], v[12:13], -v[14:15]
	;; [unrolled: 1-line block ×3, first 2 shown]
	v_add_f64 v[26:27], v[96:97], 0
	v_add_f64 v[4:5], v[4:5], 0
	v_mul_f64 v[102:103], v[64:65], v[18:19]
	v_mul_f64 v[18:19], v[66:67], v[18:19]
	v_fmac_f64_e32 v[100:101], v[62:63], v[12:13]
	v_add_f64 v[26:27], v[26:27], v[98:99]
	v_add_f64 v[4:5], v[4:5], v[6:7]
	v_mul_f64 v[104:105], v[68:69], v[22:23]
	v_mul_f64 v[22:23], v[70:71], v[22:23]
	v_fmac_f64_e32 v[102:103], v[66:67], v[16:17]
	v_fma_f64 v[10:11], v[64:65], v[16:17], -v[18:19]
	v_add_f64 v[6:7], v[26:27], v[100:101]
	v_add_f64 v[4:5], v[4:5], v[8:9]
	v_fmac_f64_e32 v[104:105], v[70:71], v[20:21]
	v_fma_f64 v[12:13], v[68:69], v[20:21], -v[22:23]
	v_add_f64 v[6:7], v[6:7], v[102:103]
	v_add_f64 v[4:5], v[4:5], v[10:11]
	s_waitcnt vmcnt(5) lgkmcnt(4)
	v_mul_f64 v[108:109], v[76:77], v[30:31]
	v_mul_f64 v[30:31], v[78:79], v[30:31]
	v_fmac_f64_e32 v[106:107], v[74:75], v[24:25]
	v_add_f64 v[6:7], v[6:7], v[104:105]
	v_add_f64 v[4:5], v[4:5], v[12:13]
	s_waitcnt vmcnt(4) lgkmcnt(3)
	v_mul_f64 v[110:111], v[80:81], v[34:35]
	v_mul_f64 v[34:35], v[82:83], v[34:35]
	v_fmac_f64_e32 v[108:109], v[78:79], v[28:29]
	v_fma_f64 v[16:17], v[76:77], v[28:29], -v[30:31]
	v_add_f64 v[6:7], v[6:7], v[106:107]
	v_add_f64 v[4:5], v[4:5], v[14:15]
	s_waitcnt vmcnt(3) lgkmcnt(2)
	v_mul_f64 v[112:113], v[84:85], v[38:39]
	v_mul_f64 v[38:39], v[86:87], v[38:39]
	v_fmac_f64_e32 v[110:111], v[82:83], v[32:33]
	v_fma_f64 v[18:19], v[80:81], v[32:33], -v[34:35]
	v_add_f64 v[6:7], v[6:7], v[108:109]
	v_add_f64 v[4:5], v[4:5], v[16:17]
	s_waitcnt vmcnt(2) lgkmcnt(1)
	v_mul_f64 v[114:115], v[88:89], v[42:43]
	v_mul_f64 v[42:43], v[90:91], v[42:43]
	v_fmac_f64_e32 v[112:113], v[86:87], v[36:37]
	v_fma_f64 v[20:21], v[84:85], v[36:37], -v[38:39]
	v_add_f64 v[6:7], v[6:7], v[110:111]
	v_add_f64 v[4:5], v[4:5], v[18:19]
	s_waitcnt vmcnt(1) lgkmcnt(0)
	v_mul_f64 v[116:117], v[92:93], v[46:47]
	v_mul_f64 v[46:47], v[94:95], v[46:47]
	v_fmac_f64_e32 v[114:115], v[90:91], v[40:41]
	v_fma_f64 v[22:23], v[88:89], v[40:41], -v[42:43]
	v_add_f64 v[6:7], v[6:7], v[112:113]
	v_add_f64 v[4:5], v[4:5], v[20:21]
	v_fmac_f64_e32 v[116:117], v[94:95], v[44:45]
	v_fma_f64 v[24:25], v[92:93], v[44:45], -v[46:47]
	v_add_f64 v[6:7], v[6:7], v[114:115]
	v_add_f64 v[4:5], v[4:5], v[22:23]
	;; [unrolled: 1-line block ×4, first 2 shown]
	s_waitcnt vmcnt(0)
	v_add_f64 v[4:5], v[48:49], -v[4:5]
	v_add_f64 v[6:7], v[50:51], -v[6:7]
	scratch_store_dwordx4 off, v[4:7], off offset:784
	s_and_saveexec_b64 s[0:1], vcc
	s_cbranch_execz .LBB123_279
; %bb.278:
	scratch_load_dwordx4 v[6:9], off, s28
	v_mov_b32_e32 v3, v2
	v_mov_b32_e32 v4, v2
	;; [unrolled: 1-line block ×3, first 2 shown]
	v_accvgpr_read_b32 v0, a121
	scratch_store_dwordx4 off, v[2:5], off offset:768
	s_waitcnt vmcnt(1)
	ds_write_b128 v0, v[6:9]
.LBB123_279:
	s_or_b64 exec, exec, s[0:1]
	s_waitcnt lgkmcnt(0)
	; wave barrier
	scratch_load_dwordx4 v[4:7], off, off offset:784
	scratch_load_dwordx4 v[8:11], off, off offset:800
	;; [unrolled: 1-line block ×12, first 2 shown]
	ds_read_b128 v[52:55], v2 offset:1728
	ds_read_b128 v[56:59], v2 offset:1744
	ds_read_b128 v[60:63], v2 offset:1760
	ds_read_b128 v[64:67], v2 offset:1776
	scratch_load_dwordx4 v[68:71], off, off offset:768
	ds_read_b128 v[72:75], v2 offset:1792
	ds_read_b128 v[76:79], v2 offset:1808
	;; [unrolled: 1-line block ×8, first 2 shown]
	v_cmp_lt_u32_e32 vcc, 46, v240
	s_waitcnt vmcnt(12) lgkmcnt(11)
	v_mul_f64 v[2:3], v[52:53], v[6:7]
	s_waitcnt vmcnt(11) lgkmcnt(10)
	v_mul_f64 v[104:105], v[56:57], v[10:11]
	v_fmac_f64_e32 v[2:3], v[54:55], v[4:5]
	s_waitcnt vmcnt(10) lgkmcnt(9)
	v_mul_f64 v[106:107], v[60:61], v[14:15]
	v_mul_f64 v[6:7], v[54:55], v[6:7]
	v_fmac_f64_e32 v[104:105], v[58:59], v[8:9]
	v_add_f64 v[2:3], v[2:3], 0
	s_waitcnt vmcnt(9) lgkmcnt(8)
	v_mul_f64 v[108:109], v[64:65], v[18:19]
	v_mul_f64 v[10:11], v[58:59], v[10:11]
	v_fmac_f64_e32 v[106:107], v[62:63], v[12:13]
	v_fma_f64 v[4:5], v[52:53], v[4:5], -v[6:7]
	v_add_f64 v[2:3], v[2:3], v[104:105]
	s_waitcnt vmcnt(8) lgkmcnt(7)
	v_mul_f64 v[110:111], v[72:73], v[22:23]
	v_mul_f64 v[14:15], v[62:63], v[14:15]
	v_fmac_f64_e32 v[108:109], v[66:67], v[16:17]
	v_fma_f64 v[6:7], v[56:57], v[8:9], -v[10:11]
	v_add_f64 v[4:5], v[4:5], 0
	v_add_f64 v[2:3], v[2:3], v[106:107]
	s_waitcnt vmcnt(7) lgkmcnt(6)
	v_mul_f64 v[112:113], v[76:77], v[26:27]
	v_mul_f64 v[18:19], v[66:67], v[18:19]
	v_fmac_f64_e32 v[110:111], v[74:75], v[20:21]
	v_fma_f64 v[8:9], v[60:61], v[12:13], -v[14:15]
	v_add_f64 v[4:5], v[4:5], v[6:7]
	;; [unrolled: 7-line block ×8, first 2 shown]
	v_add_f64 v[2:3], v[2:3], v[120:121]
	v_mul_f64 v[46:47], v[98:99], v[46:47]
	v_fmac_f64_e32 v[124:125], v[102:103], v[48:49]
	v_fma_f64 v[22:23], v[92:93], v[40:41], -v[42:43]
	v_add_f64 v[4:5], v[4:5], v[20:21]
	v_add_f64 v[2:3], v[2:3], v[122:123]
	;; [unrolled: 1-line block ×4, first 2 shown]
	v_fma_f64 v[2:3], v[96:97], v[44:45], -v[46:47]
	v_add_f64 v[2:3], v[4:5], v[2:3]
	v_mul_f64 v[4:5], v[102:103], v[50:51]
	v_fma_f64 v[4:5], v[100:101], v[48:49], -v[4:5]
	v_add_f64 v[2:3], v[2:3], v[4:5]
	s_waitcnt vmcnt(0)
	v_add_f64 v[2:3], v[68:69], -v[2:3]
	v_add_f64 v[4:5], v[70:71], -v[6:7]
	scratch_store_dwordx4 off, v[2:5], off offset:768
	s_and_saveexec_b64 s[0:1], vcc
	s_cbranch_execz .LBB123_281
; %bb.280:
	scratch_load_dwordx4 v[2:5], off, s29
	v_mov_b32_e32 v6, 0
	v_mov_b32_e32 v7, v6
	;; [unrolled: 1-line block ×4, first 2 shown]
	v_accvgpr_read_b32 v0, a121
	scratch_store_dwordx4 off, v[6:9], off offset:752
	s_waitcnt vmcnt(1)
	ds_write_b128 v0, v[2:5]
.LBB123_281:
	s_or_b64 exec, exec, s[0:1]
	v_mov_b32_e32 v2, 0
	s_waitcnt lgkmcnt(0)
	; wave barrier
	ds_read_b128 v[16:19], v2 offset:1712
	ds_read_b128 v[12:15], v2 offset:1728
	;; [unrolled: 1-line block ×4, first 2 shown]
	scratch_load_dwordx4 v[20:23], off, off offset:768
	scratch_load_dwordx4 v[42:45], off, off offset:832
	;; [unrolled: 1-line block ×7, first 2 shown]
	v_cmp_lt_u32_e32 vcc, 45, v240
	scratch_load_dwordx4 v[50:53], off, off offset:848
	scratch_load_dwordx4 v[58:61], off, off offset:864
	;; [unrolled: 1-line block ×3, first 2 shown]
	s_waitcnt vmcnt(9) lgkmcnt(3)
	v_mul_f64 v[24:25], v[16:17], v[22:23]
	v_fmac_f64_e32 v[24:25], v[18:19], v[20:21]
	v_add_f64 v[28:29], v[24:25], 0
	scratch_load_dwordx4 v[24:27], off, off offset:784
	v_mul_f64 v[18:19], v[18:19], v[22:23]
	v_fma_f64 v[16:17], v[16:17], v[20:21], -v[18:19]
	v_add_f64 v[16:17], v[16:17], 0
	s_waitcnt vmcnt(0) lgkmcnt(2)
	v_mul_f64 v[30:31], v[12:13], v[26:27]
	v_fmac_f64_e32 v[30:31], v[14:15], v[24:25]
	v_add_f64 v[32:33], v[28:29], v[30:31]
	scratch_load_dwordx4 v[28:31], off, off offset:800
	v_mul_f64 v[14:15], v[14:15], v[26:27]
	v_fma_f64 v[12:13], v[12:13], v[24:25], -v[14:15]
	v_add_f64 v[12:13], v[16:17], v[12:13]
	;; [unrolled: 8-line block ×3, first 2 shown]
	s_waitcnt vmcnt(0) lgkmcnt(0)
	v_mul_f64 v[38:39], v[4:5], v[36:37]
	v_fmac_f64_e32 v[38:39], v[6:7], v[34:35]
	v_add_f64 v[32:33], v[32:33], v[38:39]
	ds_read_b128 v[38:41], v2 offset:1776
	v_mul_f64 v[6:7], v[6:7], v[36:37]
	v_fma_f64 v[4:5], v[4:5], v[34:35], -v[6:7]
	v_add_f64 v[4:5], v[8:9], v[4:5]
	s_waitcnt lgkmcnt(0)
	v_mul_f64 v[46:47], v[38:39], v[44:45]
	v_fmac_f64_e32 v[46:47], v[40:41], v[42:43]
	v_add_f64 v[32:33], v[32:33], v[46:47]
	ds_read_b128 v[46:49], v2 offset:1792
	v_mul_f64 v[6:7], v[40:41], v[44:45]
	v_fma_f64 v[6:7], v[38:39], v[42:43], -v[6:7]
	v_add_f64 v[4:5], v[4:5], v[6:7]
	s_waitcnt lgkmcnt(0)
	;; [unrolled: 8-line block ×9, first 2 shown]
	v_mul_f64 v[6:7], v[104:105], v[108:109]
	v_fma_f64 v[6:7], v[102:103], v[106:107], -v[6:7]
	v_add_f64 v[8:9], v[4:5], v[6:7]
	scratch_load_dwordx4 v[4:7], off, off offset:752
	v_mul_f64 v[110:111], v[102:103], v[108:109]
	v_fmac_f64_e32 v[110:111], v[104:105], v[106:107]
	v_add_f64 v[32:33], v[32:33], v[110:111]
	s_waitcnt vmcnt(0)
	v_add_f64 v[4:5], v[4:5], -v[8:9]
	v_add_f64 v[6:7], v[6:7], -v[32:33]
	scratch_store_dwordx4 off, v[4:7], off offset:752
	s_and_saveexec_b64 s[0:1], vcc
	s_cbranch_execz .LBB123_283
; %bb.282:
	scratch_load_dwordx4 v[6:9], off, s30
	v_mov_b32_e32 v3, v2
	v_mov_b32_e32 v4, v2
	;; [unrolled: 1-line block ×3, first 2 shown]
	v_accvgpr_read_b32 v0, a121
	scratch_store_dwordx4 off, v[2:5], off offset:736
	s_waitcnt vmcnt(1)
	ds_write_b128 v0, v[6:9]
.LBB123_283:
	s_or_b64 exec, exec, s[0:1]
	s_waitcnt lgkmcnt(0)
	; wave barrier
	ds_read_b128 v[16:19], v2 offset:1696
	ds_read_b128 v[12:15], v2 offset:1712
	;; [unrolled: 1-line block ×4, first 2 shown]
	scratch_load_dwordx4 v[20:23], off, off offset:752
	scratch_load_dwordx4 v[42:45], off, off offset:816
	;; [unrolled: 1-line block ×8, first 2 shown]
	v_cmp_lt_u32_e32 vcc, 44, v240
	scratch_load_dwordx4 v[50:53], off, off offset:832
	scratch_load_dwordx4 v[58:61], off, off offset:848
	;; [unrolled: 1-line block ×3, first 2 shown]
	s_waitcnt vmcnt(10) lgkmcnt(3)
	v_mul_f64 v[24:25], v[16:17], v[22:23]
	v_fmac_f64_e32 v[24:25], v[18:19], v[20:21]
	v_add_f64 v[28:29], v[24:25], 0
	scratch_load_dwordx4 v[24:27], off, off offset:768
	s_waitcnt vmcnt(0) lgkmcnt(2)
	v_mul_f64 v[30:31], v[12:13], v[26:27]
	v_fmac_f64_e32 v[30:31], v[14:15], v[24:25]
	v_add_f64 v[32:33], v[28:29], v[30:31]
	scratch_load_dwordx4 v[28:31], off, off offset:784
	v_mul_f64 v[14:15], v[14:15], v[26:27]
	v_fma_f64 v[12:13], v[12:13], v[24:25], -v[14:15]
	s_waitcnt vmcnt(0) lgkmcnt(1)
	v_mul_f64 v[34:35], v[8:9], v[30:31]
	v_fmac_f64_e32 v[34:35], v[10:11], v[28:29]
	v_add_f64 v[36:37], v[32:33], v[34:35]
	scratch_load_dwordx4 v[32:35], off, off offset:800
	v_mul_f64 v[10:11], v[10:11], v[30:31]
	v_fma_f64 v[8:9], v[8:9], v[28:29], -v[10:11]
	s_waitcnt vmcnt(0) lgkmcnt(0)
	v_mul_f64 v[38:39], v[4:5], v[34:35]
	v_fmac_f64_e32 v[38:39], v[6:7], v[32:33]
	v_add_f64 v[40:41], v[36:37], v[38:39]
	ds_read_b128 v[36:39], v2 offset:1760
	v_mul_f64 v[6:7], v[6:7], v[34:35]
	v_fma_f64 v[4:5], v[4:5], v[32:33], -v[6:7]
	s_waitcnt lgkmcnt(0)
	v_mul_f64 v[46:47], v[36:37], v[44:45]
	v_fmac_f64_e32 v[46:47], v[38:39], v[42:43]
	v_add_f64 v[40:41], v[40:41], v[46:47]
	ds_read_b128 v[46:49], v2 offset:1776
	s_waitcnt lgkmcnt(0)
	v_mul_f64 v[54:55], v[46:47], v[52:53]
	v_fmac_f64_e32 v[54:55], v[48:49], v[50:51]
	v_add_f64 v[40:41], v[40:41], v[54:55]
	ds_read_b128 v[54:57], v2 offset:1792
	;; [unrolled: 5-line block ×9, first 2 shown]
	s_waitcnt lgkmcnt(0)
	v_mul_f64 v[2:3], v[110:111], v[116:117]
	v_fmac_f64_e32 v[2:3], v[112:113], v[114:115]
	v_add_f64 v[40:41], v[40:41], v[2:3]
	v_mul_f64 v[2:3], v[18:19], v[22:23]
	v_fma_f64 v[2:3], v[16:17], v[20:21], -v[2:3]
	v_add_f64 v[2:3], v[2:3], 0
	v_add_f64 v[2:3], v[2:3], v[12:13]
	;; [unrolled: 1-line block ×4, first 2 shown]
	v_mul_f64 v[4:5], v[38:39], v[44:45]
	v_fma_f64 v[4:5], v[36:37], v[42:43], -v[4:5]
	v_add_f64 v[2:3], v[2:3], v[4:5]
	v_mul_f64 v[4:5], v[48:49], v[52:53]
	v_fma_f64 v[4:5], v[46:47], v[50:51], -v[4:5]
	v_add_f64 v[2:3], v[2:3], v[4:5]
	;; [unrolled: 3-line block ×10, first 2 shown]
	scratch_load_dwordx4 v[2:5], off, off offset:736
	s_waitcnt vmcnt(0)
	v_add_f64 v[2:3], v[2:3], -v[6:7]
	v_add_f64 v[4:5], v[4:5], -v[40:41]
	scratch_store_dwordx4 off, v[2:5], off offset:736
	s_and_saveexec_b64 s[0:1], vcc
	s_cbranch_execz .LBB123_285
; %bb.284:
	scratch_load_dwordx4 v[2:5], off, s31
	v_mov_b32_e32 v6, 0
	v_mov_b32_e32 v7, v6
	;; [unrolled: 1-line block ×4, first 2 shown]
	v_accvgpr_read_b32 v0, a121
	scratch_store_dwordx4 off, v[6:9], off offset:720
	s_waitcnt vmcnt(1)
	ds_write_b128 v0, v[2:5]
.LBB123_285:
	s_or_b64 exec, exec, s[0:1]
	v_mov_b32_e32 v2, 0
	s_waitcnt lgkmcnt(0)
	; wave barrier
	ds_read_b128 v[16:19], v2 offset:1680
	ds_read_b128 v[12:15], v2 offset:1696
	;; [unrolled: 1-line block ×4, first 2 shown]
	scratch_load_dwordx4 v[20:23], off, off offset:736
	scratch_load_dwordx4 v[40:43], off, off offset:800
	;; [unrolled: 1-line block ×9, first 2 shown]
	v_cmp_lt_u32_e32 vcc, 43, v240
	scratch_load_dwordx4 v[50:53], off, off offset:816
	scratch_load_dwordx4 v[58:61], off, off offset:832
	;; [unrolled: 1-line block ×3, first 2 shown]
	s_waitcnt vmcnt(11) lgkmcnt(3)
	v_mul_f64 v[24:25], v[16:17], v[22:23]
	v_fmac_f64_e32 v[24:25], v[18:19], v[20:21]
	v_add_f64 v[28:29], v[24:25], 0
	scratch_load_dwordx4 v[24:27], off, off offset:752
	v_mul_f64 v[18:19], v[18:19], v[22:23]
	v_fma_f64 v[16:17], v[16:17], v[20:21], -v[18:19]
	v_add_f64 v[16:17], v[16:17], 0
	s_waitcnt vmcnt(0) lgkmcnt(2)
	v_mul_f64 v[30:31], v[12:13], v[26:27]
	v_fmac_f64_e32 v[30:31], v[14:15], v[24:25]
	v_add_f64 v[32:33], v[28:29], v[30:31]
	scratch_load_dwordx4 v[28:31], off, off offset:768
	v_mul_f64 v[14:15], v[14:15], v[26:27]
	v_fma_f64 v[12:13], v[12:13], v[24:25], -v[14:15]
	v_add_f64 v[12:13], v[16:17], v[12:13]
	;; [unrolled: 8-line block ×3, first 2 shown]
	s_waitcnt vmcnt(0) lgkmcnt(0)
	v_mul_f64 v[38:39], v[4:5], v[34:35]
	v_fmac_f64_e32 v[38:39], v[6:7], v[32:33]
	v_add_f64 v[44:45], v[36:37], v[38:39]
	ds_read_b128 v[36:39], v2 offset:1744
	v_mul_f64 v[6:7], v[6:7], v[34:35]
	v_fma_f64 v[4:5], v[4:5], v[32:33], -v[6:7]
	v_add_f64 v[4:5], v[8:9], v[4:5]
	s_waitcnt lgkmcnt(0)
	v_mul_f64 v[46:47], v[36:37], v[42:43]
	v_fmac_f64_e32 v[46:47], v[38:39], v[40:41]
	v_add_f64 v[48:49], v[44:45], v[46:47]
	ds_read_b128 v[44:47], v2 offset:1760
	v_mul_f64 v[6:7], v[38:39], v[42:43]
	v_fma_f64 v[6:7], v[36:37], v[40:41], -v[6:7]
	v_add_f64 v[4:5], v[4:5], v[6:7]
	s_waitcnt lgkmcnt(0)
	;; [unrolled: 8-line block ×11, first 2 shown]
	v_mul_f64 v[6:7], v[120:121], v[124:125]
	v_fma_f64 v[6:7], v[118:119], v[122:123], -v[6:7]
	v_add_f64 v[8:9], v[4:5], v[6:7]
	scratch_load_dwordx4 v[4:7], off, off offset:720
	v_mul_f64 v[126:127], v[118:119], v[124:125]
	v_fmac_f64_e32 v[126:127], v[120:121], v[122:123]
	v_add_f64 v[48:49], v[48:49], v[126:127]
	s_waitcnt vmcnt(0)
	v_add_f64 v[4:5], v[4:5], -v[8:9]
	v_add_f64 v[6:7], v[6:7], -v[48:49]
	scratch_store_dwordx4 off, v[4:7], off offset:720
	s_and_saveexec_b64 s[0:1], vcc
	s_cbranch_execz .LBB123_287
; %bb.286:
	scratch_load_dwordx4 v[6:9], off, s33
	v_mov_b32_e32 v3, v2
	v_mov_b32_e32 v4, v2
	;; [unrolled: 1-line block ×3, first 2 shown]
	v_accvgpr_read_b32 v0, a121
	scratch_store_dwordx4 off, v[2:5], off offset:704
	s_waitcnt vmcnt(1)
	ds_write_b128 v0, v[6:9]
.LBB123_287:
	s_or_b64 exec, exec, s[0:1]
	s_waitcnt lgkmcnt(0)
	; wave barrier
	ds_read_b128 v[16:19], v2 offset:1664
	ds_read_b128 v[12:15], v2 offset:1680
	;; [unrolled: 1-line block ×4, first 2 shown]
	scratch_load_dwordx4 v[20:23], off, off offset:720
	scratch_load_dwordx4 v[40:43], off, off offset:784
	;; [unrolled: 1-line block ×10, first 2 shown]
	v_cmp_lt_u32_e32 vcc, 42, v240
	scratch_load_dwordx4 v[48:51], off, off offset:800
	scratch_load_dwordx4 v[56:59], off, off offset:816
	;; [unrolled: 1-line block ×3, first 2 shown]
	s_waitcnt vmcnt(12) lgkmcnt(3)
	v_mul_f64 v[24:25], v[16:17], v[22:23]
	v_fmac_f64_e32 v[24:25], v[18:19], v[20:21]
	v_add_f64 v[28:29], v[24:25], 0
	scratch_load_dwordx4 v[24:27], off, off offset:736
	s_waitcnt vmcnt(0) lgkmcnt(2)
	v_mul_f64 v[30:31], v[12:13], v[26:27]
	v_fmac_f64_e32 v[30:31], v[14:15], v[24:25]
	v_add_f64 v[32:33], v[28:29], v[30:31]
	scratch_load_dwordx4 v[28:31], off, off offset:752
	v_mul_f64 v[14:15], v[14:15], v[26:27]
	v_fma_f64 v[12:13], v[12:13], v[24:25], -v[14:15]
	s_waitcnt vmcnt(0) lgkmcnt(1)
	v_mul_f64 v[34:35], v[8:9], v[30:31]
	v_fmac_f64_e32 v[34:35], v[10:11], v[28:29]
	v_add_f64 v[36:37], v[32:33], v[34:35]
	scratch_load_dwordx4 v[32:35], off, off offset:768
	v_mul_f64 v[10:11], v[10:11], v[30:31]
	v_fma_f64 v[8:9], v[8:9], v[28:29], -v[10:11]
	s_waitcnt vmcnt(0) lgkmcnt(0)
	v_mul_f64 v[38:39], v[4:5], v[34:35]
	v_fmac_f64_e32 v[38:39], v[6:7], v[32:33]
	v_add_f64 v[44:45], v[36:37], v[38:39]
	ds_read_b128 v[36:39], v2 offset:1728
	v_mul_f64 v[6:7], v[6:7], v[34:35]
	v_fma_f64 v[4:5], v[4:5], v[32:33], -v[6:7]
	s_waitcnt lgkmcnt(0)
	v_mul_f64 v[46:47], v[36:37], v[42:43]
	v_fmac_f64_e32 v[46:47], v[38:39], v[40:41]
	v_add_f64 v[52:53], v[44:45], v[46:47]
	ds_read_b128 v[44:47], v2 offset:1744
	s_waitcnt lgkmcnt(0)
	v_mul_f64 v[54:55], v[44:45], v[50:51]
	v_fmac_f64_e32 v[54:55], v[46:47], v[48:49]
	v_add_f64 v[60:61], v[52:53], v[54:55]
	ds_read_b128 v[52:55], v2 offset:1760
	;; [unrolled: 5-line block ×11, first 2 shown]
	s_waitcnt lgkmcnt(0)
	v_mul_f64 v[2:3], v[126:127], v[132:133]
	v_fmac_f64_e32 v[2:3], v[128:129], v[130:131]
	v_add_f64 v[64:65], v[64:65], v[2:3]
	v_mul_f64 v[2:3], v[18:19], v[22:23]
	v_fma_f64 v[2:3], v[16:17], v[20:21], -v[2:3]
	v_add_f64 v[2:3], v[2:3], 0
	v_add_f64 v[2:3], v[2:3], v[12:13]
	;; [unrolled: 1-line block ×4, first 2 shown]
	v_mul_f64 v[4:5], v[38:39], v[42:43]
	v_fma_f64 v[4:5], v[36:37], v[40:41], -v[4:5]
	v_add_f64 v[2:3], v[2:3], v[4:5]
	v_mul_f64 v[4:5], v[46:47], v[50:51]
	v_fma_f64 v[4:5], v[44:45], v[48:49], -v[4:5]
	v_add_f64 v[2:3], v[2:3], v[4:5]
	;; [unrolled: 3-line block ×12, first 2 shown]
	scratch_load_dwordx4 v[2:5], off, off offset:704
	s_waitcnt vmcnt(0)
	v_add_f64 v[2:3], v[2:3], -v[6:7]
	v_add_f64 v[4:5], v[4:5], -v[64:65]
	scratch_store_dwordx4 off, v[2:5], off offset:704
	s_and_saveexec_b64 s[0:1], vcc
	s_cbranch_execz .LBB123_289
; %bb.288:
	scratch_load_dwordx4 v[2:5], off, s34
	v_mov_b32_e32 v6, 0
	v_mov_b32_e32 v7, v6
	;; [unrolled: 1-line block ×4, first 2 shown]
	v_accvgpr_read_b32 v0, a121
	scratch_store_dwordx4 off, v[6:9], off offset:688
	s_waitcnt vmcnt(1)
	ds_write_b128 v0, v[2:5]
.LBB123_289:
	s_or_b64 exec, exec, s[0:1]
	v_mov_b32_e32 v2, 0
	s_waitcnt lgkmcnt(0)
	; wave barrier
	ds_read_b128 v[16:19], v2 offset:1648
	ds_read_b128 v[12:15], v2 offset:1664
	;; [unrolled: 1-line block ×4, first 2 shown]
	scratch_load_dwordx4 v[20:23], off, off offset:704
	scratch_load_dwordx4 v[40:43], off, off offset:768
	;; [unrolled: 1-line block ×11, first 2 shown]
	v_cmp_lt_u32_e32 vcc, 41, v240
	scratch_load_dwordx4 v[48:51], off, off offset:784
	scratch_load_dwordx4 v[56:59], off, off offset:800
	;; [unrolled: 1-line block ×3, first 2 shown]
	s_waitcnt vmcnt(13) lgkmcnt(3)
	v_mul_f64 v[24:25], v[16:17], v[22:23]
	v_fmac_f64_e32 v[24:25], v[18:19], v[20:21]
	v_add_f64 v[28:29], v[24:25], 0
	scratch_load_dwordx4 v[24:27], off, off offset:720
	v_mul_f64 v[18:19], v[18:19], v[22:23]
	v_fma_f64 v[16:17], v[16:17], v[20:21], -v[18:19]
	v_add_f64 v[16:17], v[16:17], 0
	s_waitcnt vmcnt(0) lgkmcnt(2)
	v_mul_f64 v[30:31], v[12:13], v[26:27]
	v_fmac_f64_e32 v[30:31], v[14:15], v[24:25]
	v_add_f64 v[32:33], v[28:29], v[30:31]
	scratch_load_dwordx4 v[28:31], off, off offset:736
	v_mul_f64 v[14:15], v[14:15], v[26:27]
	v_fma_f64 v[12:13], v[12:13], v[24:25], -v[14:15]
	v_add_f64 v[12:13], v[16:17], v[12:13]
	;; [unrolled: 8-line block ×3, first 2 shown]
	s_waitcnt vmcnt(0) lgkmcnt(0)
	v_mul_f64 v[38:39], v[4:5], v[34:35]
	v_fmac_f64_e32 v[38:39], v[6:7], v[32:33]
	v_add_f64 v[44:45], v[36:37], v[38:39]
	ds_read_b128 v[36:39], v2 offset:1712
	v_mul_f64 v[6:7], v[6:7], v[34:35]
	v_fma_f64 v[4:5], v[4:5], v[32:33], -v[6:7]
	v_add_f64 v[4:5], v[8:9], v[4:5]
	s_waitcnt lgkmcnt(0)
	v_mul_f64 v[46:47], v[36:37], v[42:43]
	v_fmac_f64_e32 v[46:47], v[38:39], v[40:41]
	v_add_f64 v[52:53], v[44:45], v[46:47]
	ds_read_b128 v[44:47], v2 offset:1728
	v_mul_f64 v[6:7], v[38:39], v[42:43]
	v_fma_f64 v[6:7], v[36:37], v[40:41], -v[6:7]
	v_add_f64 v[4:5], v[4:5], v[6:7]
	s_waitcnt lgkmcnt(0)
	;; [unrolled: 8-line block ×13, first 2 shown]
	v_mul_f64 v[6:7], v[136:137], v[140:141]
	v_fma_f64 v[6:7], v[134:135], v[138:139], -v[6:7]
	v_add_f64 v[8:9], v[4:5], v[6:7]
	scratch_load_dwordx4 v[4:7], off, off offset:688
	v_mul_f64 v[142:143], v[134:135], v[140:141]
	v_fmac_f64_e32 v[142:143], v[136:137], v[138:139]
	v_add_f64 v[72:73], v[72:73], v[142:143]
	s_waitcnt vmcnt(0)
	v_add_f64 v[4:5], v[4:5], -v[8:9]
	v_add_f64 v[6:7], v[6:7], -v[72:73]
	scratch_store_dwordx4 off, v[4:7], off offset:688
	s_and_saveexec_b64 s[0:1], vcc
	s_cbranch_execz .LBB123_291
; %bb.290:
	scratch_load_dwordx4 v[6:9], off, s35
	v_mov_b32_e32 v3, v2
	v_mov_b32_e32 v4, v2
	;; [unrolled: 1-line block ×3, first 2 shown]
	v_accvgpr_read_b32 v0, a121
	scratch_store_dwordx4 off, v[2:5], off offset:672
	s_waitcnt vmcnt(1)
	ds_write_b128 v0, v[6:9]
.LBB123_291:
	s_or_b64 exec, exec, s[0:1]
	s_waitcnt lgkmcnt(0)
	; wave barrier
	ds_read_b128 v[16:19], v2 offset:1632
	ds_read_b128 v[12:15], v2 offset:1648
	;; [unrolled: 1-line block ×4, first 2 shown]
	scratch_load_dwordx4 v[20:23], off, off offset:688
	scratch_load_dwordx4 v[40:43], off, off offset:752
	;; [unrolled: 1-line block ×12, first 2 shown]
	v_cmp_lt_u32_e32 vcc, 40, v240
	scratch_load_dwordx4 v[48:51], off, off offset:768
	scratch_load_dwordx4 v[56:59], off, off offset:784
	;; [unrolled: 1-line block ×3, first 2 shown]
	s_waitcnt vmcnt(14) lgkmcnt(3)
	v_mul_f64 v[24:25], v[16:17], v[22:23]
	v_fmac_f64_e32 v[24:25], v[18:19], v[20:21]
	v_add_f64 v[28:29], v[24:25], 0
	scratch_load_dwordx4 v[24:27], off, off offset:704
	s_waitcnt vmcnt(0) lgkmcnt(2)
	v_mul_f64 v[30:31], v[12:13], v[26:27]
	v_fmac_f64_e32 v[30:31], v[14:15], v[24:25]
	v_add_f64 v[32:33], v[28:29], v[30:31]
	scratch_load_dwordx4 v[28:31], off, off offset:720
	v_mul_f64 v[14:15], v[14:15], v[26:27]
	v_fma_f64 v[12:13], v[12:13], v[24:25], -v[14:15]
	s_waitcnt vmcnt(0) lgkmcnt(1)
	v_mul_f64 v[34:35], v[8:9], v[30:31]
	v_fmac_f64_e32 v[34:35], v[10:11], v[28:29]
	v_add_f64 v[36:37], v[32:33], v[34:35]
	scratch_load_dwordx4 v[32:35], off, off offset:736
	v_mul_f64 v[10:11], v[10:11], v[30:31]
	v_fma_f64 v[8:9], v[8:9], v[28:29], -v[10:11]
	s_waitcnt vmcnt(0) lgkmcnt(0)
	v_mul_f64 v[38:39], v[4:5], v[34:35]
	v_fmac_f64_e32 v[38:39], v[6:7], v[32:33]
	v_add_f64 v[44:45], v[36:37], v[38:39]
	ds_read_b128 v[36:39], v2 offset:1696
	v_mul_f64 v[6:7], v[6:7], v[34:35]
	v_fma_f64 v[4:5], v[4:5], v[32:33], -v[6:7]
	s_waitcnt lgkmcnt(0)
	v_mul_f64 v[46:47], v[36:37], v[42:43]
	v_fmac_f64_e32 v[46:47], v[38:39], v[40:41]
	v_add_f64 v[52:53], v[44:45], v[46:47]
	ds_read_b128 v[44:47], v2 offset:1712
	s_waitcnt lgkmcnt(0)
	v_mul_f64 v[54:55], v[44:45], v[50:51]
	v_fmac_f64_e32 v[54:55], v[46:47], v[48:49]
	v_add_f64 v[60:61], v[52:53], v[54:55]
	ds_read_b128 v[52:55], v2 offset:1728
	;; [unrolled: 5-line block ×13, first 2 shown]
	s_waitcnt lgkmcnt(0)
	v_mul_f64 v[2:3], v[142:143], v[148:149]
	v_fmac_f64_e32 v[2:3], v[144:145], v[146:147]
	v_add_f64 v[80:81], v[80:81], v[2:3]
	v_mul_f64 v[2:3], v[18:19], v[22:23]
	v_fma_f64 v[2:3], v[16:17], v[20:21], -v[2:3]
	v_add_f64 v[2:3], v[2:3], 0
	v_add_f64 v[2:3], v[2:3], v[12:13]
	;; [unrolled: 1-line block ×4, first 2 shown]
	v_mul_f64 v[4:5], v[38:39], v[42:43]
	v_fma_f64 v[4:5], v[36:37], v[40:41], -v[4:5]
	v_add_f64 v[2:3], v[2:3], v[4:5]
	v_mul_f64 v[4:5], v[46:47], v[50:51]
	v_fma_f64 v[4:5], v[44:45], v[48:49], -v[4:5]
	v_add_f64 v[2:3], v[2:3], v[4:5]
	;; [unrolled: 3-line block ×14, first 2 shown]
	scratch_load_dwordx4 v[2:5], off, off offset:672
	s_waitcnt vmcnt(0)
	v_add_f64 v[2:3], v[2:3], -v[6:7]
	v_add_f64 v[4:5], v[4:5], -v[80:81]
	scratch_store_dwordx4 off, v[2:5], off offset:672
	s_and_saveexec_b64 s[0:1], vcc
	s_cbranch_execz .LBB123_293
; %bb.292:
	scratch_load_dwordx4 v[2:5], off, s36
	v_mov_b32_e32 v6, 0
	v_mov_b32_e32 v7, v6
	;; [unrolled: 1-line block ×4, first 2 shown]
	v_accvgpr_read_b32 v0, a121
	scratch_store_dwordx4 off, v[6:9], off offset:656
	s_waitcnt vmcnt(1)
	ds_write_b128 v0, v[2:5]
.LBB123_293:
	s_or_b64 exec, exec, s[0:1]
	v_mov_b32_e32 v2, 0
	s_waitcnt lgkmcnt(0)
	; wave barrier
	ds_read_b128 v[16:19], v2 offset:1616
	ds_read_b128 v[12:15], v2 offset:1632
	;; [unrolled: 1-line block ×4, first 2 shown]
	scratch_load_dwordx4 v[20:23], off, off offset:672
	scratch_load_dwordx4 v[40:43], off, off offset:736
	;; [unrolled: 1-line block ×13, first 2 shown]
	v_cmp_lt_u32_e32 vcc, 39, v240
	scratch_load_dwordx4 v[48:51], off, off offset:752
	scratch_load_dwordx4 v[56:59], off, off offset:768
	;; [unrolled: 1-line block ×3, first 2 shown]
	s_waitcnt vmcnt(15) lgkmcnt(3)
	v_mul_f64 v[24:25], v[16:17], v[22:23]
	v_fmac_f64_e32 v[24:25], v[18:19], v[20:21]
	v_add_f64 v[28:29], v[24:25], 0
	scratch_load_dwordx4 v[24:27], off, off offset:688
	v_mul_f64 v[18:19], v[18:19], v[22:23]
	v_fma_f64 v[16:17], v[16:17], v[20:21], -v[18:19]
	v_add_f64 v[16:17], v[16:17], 0
	s_waitcnt vmcnt(0) lgkmcnt(2)
	v_mul_f64 v[30:31], v[12:13], v[26:27]
	v_fmac_f64_e32 v[30:31], v[14:15], v[24:25]
	v_add_f64 v[32:33], v[28:29], v[30:31]
	scratch_load_dwordx4 v[28:31], off, off offset:704
	v_mul_f64 v[14:15], v[14:15], v[26:27]
	v_fma_f64 v[12:13], v[12:13], v[24:25], -v[14:15]
	v_add_f64 v[12:13], v[16:17], v[12:13]
	;; [unrolled: 8-line block ×3, first 2 shown]
	s_waitcnt vmcnt(0) lgkmcnt(0)
	v_mul_f64 v[38:39], v[4:5], v[34:35]
	v_fmac_f64_e32 v[38:39], v[6:7], v[32:33]
	v_add_f64 v[44:45], v[36:37], v[38:39]
	ds_read_b128 v[36:39], v2 offset:1680
	v_mul_f64 v[6:7], v[6:7], v[34:35]
	v_fma_f64 v[4:5], v[4:5], v[32:33], -v[6:7]
	v_add_f64 v[4:5], v[8:9], v[4:5]
	s_waitcnt lgkmcnt(0)
	v_mul_f64 v[46:47], v[36:37], v[42:43]
	v_fmac_f64_e32 v[46:47], v[38:39], v[40:41]
	v_add_f64 v[52:53], v[44:45], v[46:47]
	ds_read_b128 v[44:47], v2 offset:1696
	v_mul_f64 v[6:7], v[38:39], v[42:43]
	v_fma_f64 v[6:7], v[36:37], v[40:41], -v[6:7]
	v_add_f64 v[4:5], v[4:5], v[6:7]
	s_waitcnt lgkmcnt(0)
	;; [unrolled: 8-line block ×15, first 2 shown]
	v_mul_f64 v[6:7], v[152:153], v[156:157]
	v_fma_f64 v[6:7], v[150:151], v[154:155], -v[6:7]
	v_add_f64 v[8:9], v[4:5], v[6:7]
	scratch_load_dwordx4 v[4:7], off, off offset:656
	v_mul_f64 v[158:159], v[150:151], v[156:157]
	v_fmac_f64_e32 v[158:159], v[152:153], v[154:155]
	v_add_f64 v[88:89], v[88:89], v[158:159]
	s_waitcnt vmcnt(0)
	v_add_f64 v[4:5], v[4:5], -v[8:9]
	v_add_f64 v[6:7], v[6:7], -v[88:89]
	scratch_store_dwordx4 off, v[4:7], off offset:656
	s_and_saveexec_b64 s[0:1], vcc
	s_cbranch_execz .LBB123_295
; %bb.294:
	scratch_load_dwordx4 v[6:9], off, s37
	v_mov_b32_e32 v3, v2
	v_mov_b32_e32 v4, v2
	;; [unrolled: 1-line block ×3, first 2 shown]
	v_accvgpr_read_b32 v0, a121
	scratch_store_dwordx4 off, v[2:5], off offset:640
	s_waitcnt vmcnt(1)
	ds_write_b128 v0, v[6:9]
.LBB123_295:
	s_or_b64 exec, exec, s[0:1]
	s_waitcnt lgkmcnt(0)
	; wave barrier
	ds_read_b128 v[16:19], v2 offset:1600
	ds_read_b128 v[12:15], v2 offset:1616
	ds_read_b128 v[8:11], v2 offset:1632
	ds_read_b128 v[4:7], v2 offset:1648
	scratch_load_dwordx4 v[20:23], off, off offset:656
	scratch_load_dwordx4 v[40:43], off, off offset:720
	;; [unrolled: 1-line block ×14, first 2 shown]
	v_cmp_lt_u32_e32 vcc, 38, v240
	scratch_load_dwordx4 v[48:51], off, off offset:736
	scratch_load_dwordx4 v[56:59], off, off offset:752
	;; [unrolled: 1-line block ×3, first 2 shown]
	s_waitcnt vmcnt(16) lgkmcnt(3)
	v_mul_f64 v[24:25], v[16:17], v[22:23]
	v_fmac_f64_e32 v[24:25], v[18:19], v[20:21]
	v_add_f64 v[28:29], v[24:25], 0
	scratch_load_dwordx4 v[24:27], off, off offset:672
	s_waitcnt vmcnt(0) lgkmcnt(2)
	v_mul_f64 v[30:31], v[12:13], v[26:27]
	v_fmac_f64_e32 v[30:31], v[14:15], v[24:25]
	v_add_f64 v[32:33], v[28:29], v[30:31]
	scratch_load_dwordx4 v[28:31], off, off offset:688
	v_mul_f64 v[14:15], v[14:15], v[26:27]
	v_fma_f64 v[12:13], v[12:13], v[24:25], -v[14:15]
	s_waitcnt vmcnt(0) lgkmcnt(1)
	v_mul_f64 v[34:35], v[8:9], v[30:31]
	v_fmac_f64_e32 v[34:35], v[10:11], v[28:29]
	v_add_f64 v[36:37], v[32:33], v[34:35]
	scratch_load_dwordx4 v[32:35], off, off offset:704
	v_mul_f64 v[10:11], v[10:11], v[30:31]
	v_fma_f64 v[8:9], v[8:9], v[28:29], -v[10:11]
	s_waitcnt vmcnt(0) lgkmcnt(0)
	v_mul_f64 v[38:39], v[4:5], v[34:35]
	v_fmac_f64_e32 v[38:39], v[6:7], v[32:33]
	v_add_f64 v[44:45], v[36:37], v[38:39]
	ds_read_b128 v[36:39], v2 offset:1664
	v_mul_f64 v[6:7], v[6:7], v[34:35]
	v_fma_f64 v[4:5], v[4:5], v[32:33], -v[6:7]
	s_waitcnt lgkmcnt(0)
	v_mul_f64 v[46:47], v[36:37], v[42:43]
	v_fmac_f64_e32 v[46:47], v[38:39], v[40:41]
	v_add_f64 v[52:53], v[44:45], v[46:47]
	ds_read_b128 v[44:47], v2 offset:1680
	s_waitcnt lgkmcnt(0)
	v_mul_f64 v[54:55], v[44:45], v[50:51]
	v_fmac_f64_e32 v[54:55], v[46:47], v[48:49]
	v_add_f64 v[60:61], v[52:53], v[54:55]
	ds_read_b128 v[52:55], v2 offset:1696
	;; [unrolled: 5-line block ×15, first 2 shown]
	s_waitcnt lgkmcnt(0)
	v_mul_f64 v[2:3], v[158:159], v[164:165]
	v_fmac_f64_e32 v[2:3], v[160:161], v[162:163]
	v_add_f64 v[96:97], v[96:97], v[2:3]
	v_mul_f64 v[2:3], v[18:19], v[22:23]
	v_fma_f64 v[2:3], v[16:17], v[20:21], -v[2:3]
	v_add_f64 v[2:3], v[2:3], 0
	v_add_f64 v[2:3], v[2:3], v[12:13]
	;; [unrolled: 1-line block ×4, first 2 shown]
	v_mul_f64 v[4:5], v[38:39], v[42:43]
	v_fma_f64 v[4:5], v[36:37], v[40:41], -v[4:5]
	v_add_f64 v[2:3], v[2:3], v[4:5]
	v_mul_f64 v[4:5], v[46:47], v[50:51]
	v_fma_f64 v[4:5], v[44:45], v[48:49], -v[4:5]
	v_add_f64 v[2:3], v[2:3], v[4:5]
	;; [unrolled: 3-line block ×16, first 2 shown]
	scratch_load_dwordx4 v[2:5], off, off offset:640
	s_waitcnt vmcnt(0)
	v_add_f64 v[2:3], v[2:3], -v[6:7]
	v_add_f64 v[4:5], v[4:5], -v[96:97]
	scratch_store_dwordx4 off, v[2:5], off offset:640
	s_and_saveexec_b64 s[0:1], vcc
	s_cbranch_execz .LBB123_297
; %bb.296:
	scratch_load_dwordx4 v[2:5], off, s38
	v_mov_b32_e32 v6, 0
	v_mov_b32_e32 v7, v6
	;; [unrolled: 1-line block ×4, first 2 shown]
	v_accvgpr_read_b32 v0, a121
	scratch_store_dwordx4 off, v[6:9], off offset:624
	s_waitcnt vmcnt(1)
	ds_write_b128 v0, v[2:5]
.LBB123_297:
	s_or_b64 exec, exec, s[0:1]
	v_mov_b32_e32 v2, 0
	s_waitcnt lgkmcnt(0)
	; wave barrier
	ds_read_b128 v[16:19], v2 offset:1584
	ds_read_b128 v[12:15], v2 offset:1600
	ds_read_b128 v[8:11], v2 offset:1616
	ds_read_b128 v[4:7], v2 offset:1632
	scratch_load_dwordx4 v[20:23], off, off offset:640
	scratch_load_dwordx4 v[40:43], off, off offset:704
	;; [unrolled: 1-line block ×15, first 2 shown]
	v_cmp_lt_u32_e32 vcc, 37, v240
	scratch_load_dwordx4 v[48:51], off, off offset:720
	scratch_load_dwordx4 v[56:59], off, off offset:736
	scratch_load_dwordx4 v[64:67], off, off offset:752
	s_waitcnt vmcnt(17) lgkmcnt(3)
	v_mul_f64 v[24:25], v[16:17], v[22:23]
	v_fmac_f64_e32 v[24:25], v[18:19], v[20:21]
	v_add_f64 v[28:29], v[24:25], 0
	scratch_load_dwordx4 v[24:27], off, off offset:656
	v_mul_f64 v[18:19], v[18:19], v[22:23]
	v_fma_f64 v[16:17], v[16:17], v[20:21], -v[18:19]
	v_add_f64 v[16:17], v[16:17], 0
	s_waitcnt vmcnt(0) lgkmcnt(2)
	v_mul_f64 v[30:31], v[12:13], v[26:27]
	v_fmac_f64_e32 v[30:31], v[14:15], v[24:25]
	v_add_f64 v[32:33], v[28:29], v[30:31]
	scratch_load_dwordx4 v[28:31], off, off offset:672
	v_mul_f64 v[14:15], v[14:15], v[26:27]
	v_fma_f64 v[12:13], v[12:13], v[24:25], -v[14:15]
	v_add_f64 v[12:13], v[16:17], v[12:13]
	;; [unrolled: 8-line block ×3, first 2 shown]
	s_waitcnt vmcnt(0) lgkmcnt(0)
	v_mul_f64 v[38:39], v[4:5], v[34:35]
	v_fmac_f64_e32 v[38:39], v[6:7], v[32:33]
	v_add_f64 v[44:45], v[36:37], v[38:39]
	ds_read_b128 v[36:39], v2 offset:1648
	v_mul_f64 v[6:7], v[6:7], v[34:35]
	v_fma_f64 v[4:5], v[4:5], v[32:33], -v[6:7]
	v_add_f64 v[4:5], v[8:9], v[4:5]
	s_waitcnt lgkmcnt(0)
	v_mul_f64 v[46:47], v[36:37], v[42:43]
	v_fmac_f64_e32 v[46:47], v[38:39], v[40:41]
	v_add_f64 v[52:53], v[44:45], v[46:47]
	ds_read_b128 v[44:47], v2 offset:1664
	v_mul_f64 v[6:7], v[38:39], v[42:43]
	v_fma_f64 v[6:7], v[36:37], v[40:41], -v[6:7]
	v_add_f64 v[4:5], v[4:5], v[6:7]
	s_waitcnt lgkmcnt(0)
	;; [unrolled: 8-line block ×17, first 2 shown]
	v_mul_f64 v[6:7], v[168:169], v[172:173]
	v_fma_f64 v[6:7], v[166:167], v[170:171], -v[6:7]
	v_add_f64 v[8:9], v[4:5], v[6:7]
	scratch_load_dwordx4 v[4:7], off, off offset:624
	v_mul_f64 v[174:175], v[166:167], v[172:173]
	v_fmac_f64_e32 v[174:175], v[168:169], v[170:171]
	v_add_f64 v[104:105], v[104:105], v[174:175]
	s_waitcnt vmcnt(0)
	v_add_f64 v[4:5], v[4:5], -v[8:9]
	v_add_f64 v[6:7], v[6:7], -v[104:105]
	scratch_store_dwordx4 off, v[4:7], off offset:624
	s_and_saveexec_b64 s[0:1], vcc
	s_cbranch_execz .LBB123_299
; %bb.298:
	scratch_load_dwordx4 v[6:9], off, s39
	v_mov_b32_e32 v3, v2
	v_mov_b32_e32 v4, v2
	;; [unrolled: 1-line block ×3, first 2 shown]
	v_accvgpr_read_b32 v0, a121
	scratch_store_dwordx4 off, v[2:5], off offset:608
	s_waitcnt vmcnt(1)
	ds_write_b128 v0, v[6:9]
.LBB123_299:
	s_or_b64 exec, exec, s[0:1]
	s_waitcnt lgkmcnt(0)
	; wave barrier
	ds_read_b128 v[16:19], v2 offset:1568
	ds_read_b128 v[12:15], v2 offset:1584
	ds_read_b128 v[8:11], v2 offset:1600
	ds_read_b128 v[4:7], v2 offset:1616
	scratch_load_dwordx4 v[20:23], off, off offset:624
	scratch_load_dwordx4 v[40:43], off, off offset:688
	scratch_load_dwordx4 v[72:75], off, off offset:752
	scratch_load_dwordx4 v[80:83], off, off offset:768
	scratch_load_dwordx4 v[88:91], off, off offset:784
	scratch_load_dwordx4 v[96:99], off, off offset:800
	scratch_load_dwordx4 v[104:107], off, off offset:816
	scratch_load_dwordx4 v[112:115], off, off offset:832
	scratch_load_dwordx4 v[122:125], off, off offset:848
	scratch_load_dwordx4 v[130:133], off, off offset:864
	scratch_load_dwordx4 v[138:141], off, off offset:880
	scratch_load_dwordx4 v[146:149], off, off offset:896
	scratch_load_dwordx4 v[154:157], off, off offset:912
	scratch_load_dwordx4 v[162:165], off, off offset:928
	scratch_load_dwordx4 v[170:173], off, off offset:944
	scratch_load_dwordx4 v[178:181], off, off offset:960
	v_cmp_lt_u32_e32 vcc, 36, v240
	scratch_load_dwordx4 v[48:51], off, off offset:704
	scratch_load_dwordx4 v[56:59], off, off offset:720
	;; [unrolled: 1-line block ×3, first 2 shown]
	s_waitcnt vmcnt(18) lgkmcnt(3)
	v_mul_f64 v[24:25], v[16:17], v[22:23]
	v_fmac_f64_e32 v[24:25], v[18:19], v[20:21]
	v_add_f64 v[28:29], v[24:25], 0
	scratch_load_dwordx4 v[24:27], off, off offset:640
	s_waitcnt vmcnt(0) lgkmcnt(2)
	v_mul_f64 v[30:31], v[12:13], v[26:27]
	v_fmac_f64_e32 v[30:31], v[14:15], v[24:25]
	v_add_f64 v[32:33], v[28:29], v[30:31]
	scratch_load_dwordx4 v[28:31], off, off offset:656
	v_mul_f64 v[14:15], v[14:15], v[26:27]
	v_fma_f64 v[12:13], v[12:13], v[24:25], -v[14:15]
	s_waitcnt vmcnt(0) lgkmcnt(1)
	v_mul_f64 v[34:35], v[8:9], v[30:31]
	v_fmac_f64_e32 v[34:35], v[10:11], v[28:29]
	v_add_f64 v[36:37], v[32:33], v[34:35]
	scratch_load_dwordx4 v[32:35], off, off offset:672
	v_mul_f64 v[10:11], v[10:11], v[30:31]
	v_fma_f64 v[8:9], v[8:9], v[28:29], -v[10:11]
	s_waitcnt vmcnt(0) lgkmcnt(0)
	v_mul_f64 v[38:39], v[4:5], v[34:35]
	v_fmac_f64_e32 v[38:39], v[6:7], v[32:33]
	v_add_f64 v[44:45], v[36:37], v[38:39]
	ds_read_b128 v[36:39], v2 offset:1632
	v_mul_f64 v[6:7], v[6:7], v[34:35]
	v_fma_f64 v[4:5], v[4:5], v[32:33], -v[6:7]
	s_waitcnt lgkmcnt(0)
	v_mul_f64 v[46:47], v[36:37], v[42:43]
	v_fmac_f64_e32 v[46:47], v[38:39], v[40:41]
	v_add_f64 v[52:53], v[44:45], v[46:47]
	ds_read_b128 v[44:47], v2 offset:1648
	s_waitcnt lgkmcnt(0)
	v_mul_f64 v[54:55], v[44:45], v[50:51]
	v_fmac_f64_e32 v[54:55], v[46:47], v[48:49]
	v_add_f64 v[60:61], v[52:53], v[54:55]
	ds_read_b128 v[52:55], v2 offset:1664
	;; [unrolled: 5-line block ×17, first 2 shown]
	s_waitcnt lgkmcnt(0)
	v_mul_f64 v[2:3], v[174:175], v[180:181]
	v_fmac_f64_e32 v[2:3], v[176:177], v[178:179]
	v_add_f64 v[120:121], v[120:121], v[2:3]
	v_mul_f64 v[2:3], v[18:19], v[22:23]
	v_fma_f64 v[2:3], v[16:17], v[20:21], -v[2:3]
	v_add_f64 v[2:3], v[2:3], 0
	v_add_f64 v[2:3], v[2:3], v[12:13]
	;; [unrolled: 1-line block ×4, first 2 shown]
	v_mul_f64 v[4:5], v[38:39], v[42:43]
	v_fma_f64 v[4:5], v[36:37], v[40:41], -v[4:5]
	v_add_f64 v[2:3], v[2:3], v[4:5]
	v_mul_f64 v[4:5], v[46:47], v[50:51]
	v_fma_f64 v[4:5], v[44:45], v[48:49], -v[4:5]
	v_add_f64 v[2:3], v[2:3], v[4:5]
	;; [unrolled: 3-line block ×18, first 2 shown]
	scratch_load_dwordx4 v[2:5], off, off offset:608
	s_waitcnt vmcnt(0)
	v_add_f64 v[2:3], v[2:3], -v[6:7]
	v_add_f64 v[4:5], v[4:5], -v[120:121]
	scratch_store_dwordx4 off, v[2:5], off offset:608
	s_and_saveexec_b64 s[0:1], vcc
	s_cbranch_execz .LBB123_301
; %bb.300:
	scratch_load_dwordx4 v[2:5], off, s40
	v_mov_b32_e32 v6, 0
	v_mov_b32_e32 v7, v6
	;; [unrolled: 1-line block ×4, first 2 shown]
	v_accvgpr_read_b32 v0, a121
	scratch_store_dwordx4 off, v[6:9], off offset:592
	s_waitcnt vmcnt(1)
	ds_write_b128 v0, v[2:5]
.LBB123_301:
	s_or_b64 exec, exec, s[0:1]
	v_mov_b32_e32 v2, 0
	s_waitcnt lgkmcnt(0)
	; wave barrier
	ds_read_b128 v[16:19], v2 offset:1552
	ds_read_b128 v[12:15], v2 offset:1568
	;; [unrolled: 1-line block ×4, first 2 shown]
	scratch_load_dwordx4 v[20:23], off, off offset:608
	scratch_load_dwordx4 v[40:43], off, off offset:672
	;; [unrolled: 1-line block ×17, first 2 shown]
	v_cmp_lt_u32_e32 vcc, 35, v240
	scratch_load_dwordx4 v[48:51], off, off offset:688
	scratch_load_dwordx4 v[56:59], off, off offset:704
	;; [unrolled: 1-line block ×3, first 2 shown]
	s_waitcnt vmcnt(19) lgkmcnt(3)
	v_mul_f64 v[24:25], v[16:17], v[22:23]
	v_fmac_f64_e32 v[24:25], v[18:19], v[20:21]
	v_add_f64 v[28:29], v[24:25], 0
	scratch_load_dwordx4 v[24:27], off, off offset:624
	v_mul_f64 v[18:19], v[18:19], v[22:23]
	v_fma_f64 v[16:17], v[16:17], v[20:21], -v[18:19]
	v_add_f64 v[16:17], v[16:17], 0
	s_waitcnt vmcnt(0) lgkmcnt(2)
	v_mul_f64 v[30:31], v[12:13], v[26:27]
	v_fmac_f64_e32 v[30:31], v[14:15], v[24:25]
	v_add_f64 v[32:33], v[28:29], v[30:31]
	scratch_load_dwordx4 v[28:31], off, off offset:640
	v_mul_f64 v[14:15], v[14:15], v[26:27]
	v_fma_f64 v[12:13], v[12:13], v[24:25], -v[14:15]
	v_add_f64 v[12:13], v[16:17], v[12:13]
	;; [unrolled: 8-line block ×3, first 2 shown]
	s_waitcnt vmcnt(0) lgkmcnt(0)
	v_mul_f64 v[38:39], v[4:5], v[34:35]
	v_fmac_f64_e32 v[38:39], v[6:7], v[32:33]
	v_add_f64 v[44:45], v[36:37], v[38:39]
	ds_read_b128 v[36:39], v2 offset:1616
	v_mul_f64 v[6:7], v[6:7], v[34:35]
	v_fma_f64 v[4:5], v[4:5], v[32:33], -v[6:7]
	v_add_f64 v[4:5], v[8:9], v[4:5]
	s_waitcnt lgkmcnt(0)
	v_mul_f64 v[46:47], v[36:37], v[42:43]
	v_fmac_f64_e32 v[46:47], v[38:39], v[40:41]
	v_add_f64 v[52:53], v[44:45], v[46:47]
	ds_read_b128 v[44:47], v2 offset:1632
	v_mul_f64 v[6:7], v[38:39], v[42:43]
	v_fma_f64 v[6:7], v[36:37], v[40:41], -v[6:7]
	v_add_f64 v[4:5], v[4:5], v[6:7]
	s_waitcnt lgkmcnt(0)
	;; [unrolled: 8-line block ×19, first 2 shown]
	v_mul_f64 v[6:7], v[184:185], v[188:189]
	v_fma_f64 v[6:7], v[182:183], v[186:187], -v[6:7]
	v_add_f64 v[8:9], v[4:5], v[6:7]
	scratch_load_dwordx4 v[4:7], off, off offset:592
	v_mul_f64 v[190:191], v[182:183], v[188:189]
	v_fmac_f64_e32 v[190:191], v[184:185], v[186:187]
	v_add_f64 v[128:129], v[128:129], v[190:191]
	s_waitcnt vmcnt(0)
	v_add_f64 v[4:5], v[4:5], -v[8:9]
	v_add_f64 v[6:7], v[6:7], -v[128:129]
	scratch_store_dwordx4 off, v[4:7], off offset:592
	s_and_saveexec_b64 s[0:1], vcc
	s_cbranch_execz .LBB123_303
; %bb.302:
	scratch_load_dwordx4 v[6:9], off, s41
	v_mov_b32_e32 v3, v2
	v_mov_b32_e32 v4, v2
	v_mov_b32_e32 v5, v2
	v_accvgpr_read_b32 v0, a121
	scratch_store_dwordx4 off, v[2:5], off offset:576
	s_waitcnt vmcnt(1)
	ds_write_b128 v0, v[6:9]
.LBB123_303:
	s_or_b64 exec, exec, s[0:1]
	s_waitcnt lgkmcnt(0)
	; wave barrier
	ds_read_b128 v[16:19], v2 offset:1536
	ds_read_b128 v[12:15], v2 offset:1552
	;; [unrolled: 1-line block ×4, first 2 shown]
	scratch_load_dwordx4 v[20:23], off, off offset:592
	scratch_load_dwordx4 v[40:43], off, off offset:656
	scratch_load_dwordx4 v[72:75], off, off offset:720
	scratch_load_dwordx4 v[80:83], off, off offset:736
	scratch_load_dwordx4 v[88:91], off, off offset:752
	scratch_load_dwordx4 v[96:99], off, off offset:768
	scratch_load_dwordx4 v[104:107], off, off offset:784
	scratch_load_dwordx4 v[112:115], off, off offset:800
	scratch_load_dwordx4 v[120:123], off, off offset:816
	scratch_load_dwordx4 v[128:131], off, off offset:832
	scratch_load_dwordx4 v[136:139], off, off offset:848
	scratch_load_dwordx4 v[144:147], off, off offset:864
	scratch_load_dwordx4 v[154:157], off, off offset:880
	scratch_load_dwordx4 v[162:165], off, off offset:896
	scratch_load_dwordx4 v[170:173], off, off offset:912
	scratch_load_dwordx4 v[178:181], off, off offset:928
	scratch_load_dwordx4 v[186:189], off, off offset:944
	scratch_load_dwordx4 v[194:197], off, off offset:960
	v_cmp_lt_u32_e32 vcc, 34, v240
	scratch_load_dwordx4 v[48:51], off, off offset:672
	scratch_load_dwordx4 v[56:59], off, off offset:688
	;; [unrolled: 1-line block ×3, first 2 shown]
	s_waitcnt vmcnt(20) lgkmcnt(3)
	v_mul_f64 v[24:25], v[16:17], v[22:23]
	v_fmac_f64_e32 v[24:25], v[18:19], v[20:21]
	v_add_f64 v[28:29], v[24:25], 0
	scratch_load_dwordx4 v[24:27], off, off offset:608
	s_waitcnt vmcnt(0) lgkmcnt(2)
	v_mul_f64 v[30:31], v[12:13], v[26:27]
	v_fmac_f64_e32 v[30:31], v[14:15], v[24:25]
	v_add_f64 v[32:33], v[28:29], v[30:31]
	scratch_load_dwordx4 v[28:31], off, off offset:624
	v_mul_f64 v[14:15], v[14:15], v[26:27]
	v_fma_f64 v[12:13], v[12:13], v[24:25], -v[14:15]
	s_waitcnt vmcnt(0) lgkmcnt(1)
	v_mul_f64 v[34:35], v[8:9], v[30:31]
	v_fmac_f64_e32 v[34:35], v[10:11], v[28:29]
	v_add_f64 v[36:37], v[32:33], v[34:35]
	scratch_load_dwordx4 v[32:35], off, off offset:640
	v_mul_f64 v[10:11], v[10:11], v[30:31]
	v_fma_f64 v[8:9], v[8:9], v[28:29], -v[10:11]
	s_waitcnt vmcnt(0) lgkmcnt(0)
	v_mul_f64 v[38:39], v[4:5], v[34:35]
	v_fmac_f64_e32 v[38:39], v[6:7], v[32:33]
	v_add_f64 v[44:45], v[36:37], v[38:39]
	ds_read_b128 v[36:39], v2 offset:1600
	v_mul_f64 v[6:7], v[6:7], v[34:35]
	v_fma_f64 v[4:5], v[4:5], v[32:33], -v[6:7]
	s_waitcnt lgkmcnt(0)
	v_mul_f64 v[46:47], v[36:37], v[42:43]
	v_fmac_f64_e32 v[46:47], v[38:39], v[40:41]
	v_add_f64 v[52:53], v[44:45], v[46:47]
	ds_read_b128 v[44:47], v2 offset:1616
	s_waitcnt lgkmcnt(0)
	v_mul_f64 v[54:55], v[44:45], v[50:51]
	v_fmac_f64_e32 v[54:55], v[46:47], v[48:49]
	v_add_f64 v[60:61], v[52:53], v[54:55]
	ds_read_b128 v[52:55], v2 offset:1632
	s_waitcnt lgkmcnt(0)
	v_mul_f64 v[62:63], v[52:53], v[58:59]
	v_fmac_f64_e32 v[62:63], v[54:55], v[56:57]
	v_add_f64 v[68:69], v[60:61], v[62:63]
	ds_read_b128 v[60:63], v2 offset:1648
	s_waitcnt lgkmcnt(0)
	v_mul_f64 v[70:71], v[60:61], v[66:67]
	v_fmac_f64_e32 v[70:71], v[62:63], v[64:65]
	v_add_f64 v[76:77], v[68:69], v[70:71]
	ds_read_b128 v[68:71], v2 offset:1664
	s_waitcnt lgkmcnt(0)
	v_mul_f64 v[78:79], v[68:69], v[74:75]
	v_fmac_f64_e32 v[78:79], v[70:71], v[72:73]
	v_add_f64 v[84:85], v[76:77], v[78:79]
	ds_read_b128 v[76:79], v2 offset:1680
	s_waitcnt lgkmcnt(0)
	v_mul_f64 v[86:87], v[76:77], v[82:83]
	v_fmac_f64_e32 v[86:87], v[78:79], v[80:81]
	v_add_f64 v[92:93], v[84:85], v[86:87]
	ds_read_b128 v[84:87], v2 offset:1696
	s_waitcnt lgkmcnt(0)
	v_mul_f64 v[94:95], v[84:85], v[90:91]
	v_fmac_f64_e32 v[94:95], v[86:87], v[88:89]
	v_add_f64 v[100:101], v[92:93], v[94:95]
	ds_read_b128 v[92:95], v2 offset:1712
	s_waitcnt lgkmcnt(0)
	v_mul_f64 v[102:103], v[92:93], v[98:99]
	v_fmac_f64_e32 v[102:103], v[94:95], v[96:97]
	v_add_f64 v[108:109], v[100:101], v[102:103]
	ds_read_b128 v[100:103], v2 offset:1728
	s_waitcnt lgkmcnt(0)
	v_mul_f64 v[110:111], v[100:101], v[106:107]
	v_fmac_f64_e32 v[110:111], v[102:103], v[104:105]
	v_add_f64 v[116:117], v[108:109], v[110:111]
	ds_read_b128 v[108:111], v2 offset:1744
	s_waitcnt lgkmcnt(0)
	v_mul_f64 v[118:119], v[108:109], v[114:115]
	v_fmac_f64_e32 v[118:119], v[110:111], v[112:113]
	v_add_f64 v[124:125], v[116:117], v[118:119]
	ds_read_b128 v[116:119], v2 offset:1760
	s_waitcnt lgkmcnt(0)
	v_mul_f64 v[126:127], v[116:117], v[122:123]
	v_fmac_f64_e32 v[126:127], v[118:119], v[120:121]
	v_add_f64 v[132:133], v[124:125], v[126:127]
	ds_read_b128 v[124:127], v2 offset:1776
	s_waitcnt lgkmcnt(0)
	v_mul_f64 v[134:135], v[124:125], v[130:131]
	v_fmac_f64_e32 v[134:135], v[126:127], v[128:129]
	v_add_f64 v[140:141], v[132:133], v[134:135]
	ds_read_b128 v[132:135], v2 offset:1792
	s_waitcnt lgkmcnt(0)
	v_mul_f64 v[142:143], v[132:133], v[138:139]
	v_fmac_f64_e32 v[142:143], v[134:135], v[136:137]
	v_add_f64 v[148:149], v[140:141], v[142:143]
	ds_read_b128 v[140:143], v2 offset:1808
	s_waitcnt lgkmcnt(0)
	v_mul_f64 v[150:151], v[140:141], v[146:147]
	v_fmac_f64_e32 v[150:151], v[142:143], v[144:145]
	v_add_f64 v[148:149], v[148:149], v[150:151]
	ds_read_b128 v[150:153], v2 offset:1824
	s_waitcnt lgkmcnt(0)
	v_mul_f64 v[158:159], v[150:151], v[156:157]
	v_fmac_f64_e32 v[158:159], v[152:153], v[154:155]
	v_add_f64 v[148:149], v[148:149], v[158:159]
	ds_read_b128 v[158:161], v2 offset:1840
	s_waitcnt lgkmcnt(0)
	v_mul_f64 v[166:167], v[158:159], v[164:165]
	v_fmac_f64_e32 v[166:167], v[160:161], v[162:163]
	v_add_f64 v[148:149], v[148:149], v[166:167]
	ds_read_b128 v[166:169], v2 offset:1856
	s_waitcnt lgkmcnt(0)
	v_mul_f64 v[174:175], v[166:167], v[172:173]
	v_fmac_f64_e32 v[174:175], v[168:169], v[170:171]
	v_add_f64 v[148:149], v[148:149], v[174:175]
	ds_read_b128 v[174:177], v2 offset:1872
	s_waitcnt lgkmcnt(0)
	v_mul_f64 v[182:183], v[174:175], v[180:181]
	v_fmac_f64_e32 v[182:183], v[176:177], v[178:179]
	v_add_f64 v[148:149], v[148:149], v[182:183]
	ds_read_b128 v[182:185], v2 offset:1888
	s_waitcnt lgkmcnt(0)
	v_mul_f64 v[190:191], v[182:183], v[188:189]
	v_fmac_f64_e32 v[190:191], v[184:185], v[186:187]
	v_add_f64 v[148:149], v[148:149], v[190:191]
	ds_read_b128 v[190:193], v2 offset:1904
	s_waitcnt lgkmcnt(0)
	v_mul_f64 v[2:3], v[190:191], v[196:197]
	v_fmac_f64_e32 v[2:3], v[192:193], v[194:195]
	v_add_f64 v[148:149], v[148:149], v[2:3]
	v_mul_f64 v[2:3], v[18:19], v[22:23]
	v_fma_f64 v[2:3], v[16:17], v[20:21], -v[2:3]
	v_add_f64 v[2:3], v[2:3], 0
	v_add_f64 v[2:3], v[2:3], v[12:13]
	;; [unrolled: 1-line block ×4, first 2 shown]
	v_mul_f64 v[4:5], v[38:39], v[42:43]
	v_fma_f64 v[4:5], v[36:37], v[40:41], -v[4:5]
	v_add_f64 v[2:3], v[2:3], v[4:5]
	v_mul_f64 v[4:5], v[46:47], v[50:51]
	v_fma_f64 v[4:5], v[44:45], v[48:49], -v[4:5]
	v_add_f64 v[2:3], v[2:3], v[4:5]
	;; [unrolled: 3-line block ×20, first 2 shown]
	scratch_load_dwordx4 v[2:5], off, off offset:576
	s_waitcnt vmcnt(0)
	v_add_f64 v[2:3], v[2:3], -v[6:7]
	v_add_f64 v[4:5], v[4:5], -v[148:149]
	scratch_store_dwordx4 off, v[2:5], off offset:576
	s_and_saveexec_b64 s[0:1], vcc
	s_cbranch_execz .LBB123_305
; %bb.304:
	scratch_load_dwordx4 v[2:5], off, s42
	v_mov_b32_e32 v6, 0
	v_mov_b32_e32 v7, v6
	;; [unrolled: 1-line block ×4, first 2 shown]
	v_accvgpr_read_b32 v0, a121
	scratch_store_dwordx4 off, v[6:9], off offset:560
	s_waitcnt vmcnt(1)
	ds_write_b128 v0, v[2:5]
.LBB123_305:
	s_or_b64 exec, exec, s[0:1]
	v_mov_b32_e32 v2, 0
	s_waitcnt lgkmcnt(0)
	; wave barrier
	ds_read_b128 v[16:19], v2 offset:1520
	ds_read_b128 v[12:15], v2 offset:1536
	;; [unrolled: 1-line block ×4, first 2 shown]
	scratch_load_dwordx4 v[20:23], off, off offset:576
	scratch_load_dwordx4 v[40:43], off, off offset:640
	;; [unrolled: 1-line block ×19, first 2 shown]
	v_cmp_lt_u32_e32 vcc, 33, v240
	scratch_load_dwordx4 v[48:51], off, off offset:656
	scratch_load_dwordx4 v[56:59], off, off offset:672
	;; [unrolled: 1-line block ×3, first 2 shown]
	s_waitcnt vmcnt(21) lgkmcnt(3)
	v_mul_f64 v[24:25], v[16:17], v[22:23]
	v_fmac_f64_e32 v[24:25], v[18:19], v[20:21]
	v_add_f64 v[28:29], v[24:25], 0
	scratch_load_dwordx4 v[24:27], off, off offset:592
	v_mul_f64 v[18:19], v[18:19], v[22:23]
	v_fma_f64 v[16:17], v[16:17], v[20:21], -v[18:19]
	v_add_f64 v[16:17], v[16:17], 0
	s_waitcnt vmcnt(0) lgkmcnt(2)
	v_mul_f64 v[30:31], v[12:13], v[26:27]
	v_fmac_f64_e32 v[30:31], v[14:15], v[24:25]
	v_add_f64 v[32:33], v[28:29], v[30:31]
	scratch_load_dwordx4 v[28:31], off, off offset:608
	v_mul_f64 v[14:15], v[14:15], v[26:27]
	v_fma_f64 v[12:13], v[12:13], v[24:25], -v[14:15]
	v_add_f64 v[12:13], v[16:17], v[12:13]
	;; [unrolled: 8-line block ×3, first 2 shown]
	s_waitcnt vmcnt(0) lgkmcnt(0)
	v_mul_f64 v[38:39], v[4:5], v[34:35]
	v_fmac_f64_e32 v[38:39], v[6:7], v[32:33]
	v_add_f64 v[44:45], v[36:37], v[38:39]
	ds_read_b128 v[36:39], v2 offset:1584
	v_mul_f64 v[6:7], v[6:7], v[34:35]
	v_fma_f64 v[4:5], v[4:5], v[32:33], -v[6:7]
	v_add_f64 v[4:5], v[8:9], v[4:5]
	s_waitcnt lgkmcnt(0)
	v_mul_f64 v[46:47], v[36:37], v[42:43]
	v_fmac_f64_e32 v[46:47], v[38:39], v[40:41]
	v_add_f64 v[52:53], v[44:45], v[46:47]
	ds_read_b128 v[44:47], v2 offset:1600
	v_mul_f64 v[6:7], v[38:39], v[42:43]
	v_fma_f64 v[6:7], v[36:37], v[40:41], -v[6:7]
	v_add_f64 v[4:5], v[4:5], v[6:7]
	s_waitcnt lgkmcnt(0)
	;; [unrolled: 8-line block ×21, first 2 shown]
	v_mul_f64 v[6:7], v[200:201], v[204:205]
	v_fma_f64 v[6:7], v[198:199], v[202:203], -v[6:7]
	v_add_f64 v[8:9], v[4:5], v[6:7]
	scratch_load_dwordx4 v[4:7], off, off offset:560
	v_mul_f64 v[206:207], v[198:199], v[204:205]
	v_fmac_f64_e32 v[206:207], v[200:201], v[202:203]
	v_add_f64 v[144:145], v[144:145], v[206:207]
	s_waitcnt vmcnt(0)
	v_add_f64 v[4:5], v[4:5], -v[8:9]
	v_add_f64 v[6:7], v[6:7], -v[144:145]
	scratch_store_dwordx4 off, v[4:7], off offset:560
	s_and_saveexec_b64 s[0:1], vcc
	s_cbranch_execz .LBB123_307
; %bb.306:
	scratch_load_dwordx4 v[6:9], off, s43
	v_mov_b32_e32 v3, v2
	v_mov_b32_e32 v4, v2
	;; [unrolled: 1-line block ×3, first 2 shown]
	v_accvgpr_read_b32 v0, a121
	scratch_store_dwordx4 off, v[2:5], off offset:544
	s_waitcnt vmcnt(1)
	ds_write_b128 v0, v[6:9]
.LBB123_307:
	s_or_b64 exec, exec, s[0:1]
	s_waitcnt lgkmcnt(0)
	; wave barrier
	ds_read_b128 v[16:19], v2 offset:1504
	ds_read_b128 v[12:15], v2 offset:1520
	;; [unrolled: 1-line block ×4, first 2 shown]
	scratch_load_dwordx4 v[20:23], off, off offset:560
	scratch_load_dwordx4 v[40:43], off, off offset:624
	;; [unrolled: 1-line block ×20, first 2 shown]
	v_cmp_lt_u32_e32 vcc, 32, v240
	scratch_load_dwordx4 v[48:51], off, off offset:640
	scratch_load_dwordx4 v[56:59], off, off offset:656
	;; [unrolled: 1-line block ×3, first 2 shown]
	s_waitcnt vmcnt(22) lgkmcnt(3)
	v_mul_f64 v[24:25], v[16:17], v[22:23]
	v_fmac_f64_e32 v[24:25], v[18:19], v[20:21]
	v_add_f64 v[28:29], v[24:25], 0
	scratch_load_dwordx4 v[24:27], off, off offset:576
	s_waitcnt vmcnt(0) lgkmcnt(2)
	v_mul_f64 v[30:31], v[12:13], v[26:27]
	v_fmac_f64_e32 v[30:31], v[14:15], v[24:25]
	v_add_f64 v[32:33], v[28:29], v[30:31]
	scratch_load_dwordx4 v[28:31], off, off offset:592
	v_mul_f64 v[14:15], v[14:15], v[26:27]
	v_fma_f64 v[12:13], v[12:13], v[24:25], -v[14:15]
	s_waitcnt vmcnt(0) lgkmcnt(1)
	v_mul_f64 v[34:35], v[8:9], v[30:31]
	v_fmac_f64_e32 v[34:35], v[10:11], v[28:29]
	v_add_f64 v[36:37], v[32:33], v[34:35]
	scratch_load_dwordx4 v[32:35], off, off offset:608
	v_mul_f64 v[10:11], v[10:11], v[30:31]
	v_fma_f64 v[8:9], v[8:9], v[28:29], -v[10:11]
	s_waitcnt vmcnt(0) lgkmcnt(0)
	v_mul_f64 v[38:39], v[4:5], v[34:35]
	v_fmac_f64_e32 v[38:39], v[6:7], v[32:33]
	v_add_f64 v[44:45], v[36:37], v[38:39]
	ds_read_b128 v[36:39], v2 offset:1568
	v_mul_f64 v[6:7], v[6:7], v[34:35]
	v_fma_f64 v[4:5], v[4:5], v[32:33], -v[6:7]
	s_waitcnt lgkmcnt(0)
	v_mul_f64 v[46:47], v[36:37], v[42:43]
	v_fmac_f64_e32 v[46:47], v[38:39], v[40:41]
	v_add_f64 v[52:53], v[44:45], v[46:47]
	ds_read_b128 v[44:47], v2 offset:1584
	s_waitcnt lgkmcnt(0)
	v_mul_f64 v[54:55], v[44:45], v[50:51]
	v_fmac_f64_e32 v[54:55], v[46:47], v[48:49]
	v_add_f64 v[60:61], v[52:53], v[54:55]
	ds_read_b128 v[52:55], v2 offset:1600
	;; [unrolled: 5-line block ×21, first 2 shown]
	s_waitcnt lgkmcnt(0)
	v_mul_f64 v[2:3], v[206:207], v[212:213]
	v_fmac_f64_e32 v[2:3], v[208:209], v[210:211]
	v_add_f64 v[168:169], v[168:169], v[2:3]
	v_mul_f64 v[2:3], v[18:19], v[22:23]
	v_fma_f64 v[2:3], v[16:17], v[20:21], -v[2:3]
	v_add_f64 v[2:3], v[2:3], 0
	v_add_f64 v[2:3], v[2:3], v[12:13]
	v_add_f64 v[2:3], v[2:3], v[8:9]
	v_add_f64 v[2:3], v[2:3], v[4:5]
	v_mul_f64 v[4:5], v[38:39], v[42:43]
	v_fma_f64 v[4:5], v[36:37], v[40:41], -v[4:5]
	v_add_f64 v[2:3], v[2:3], v[4:5]
	v_mul_f64 v[4:5], v[46:47], v[50:51]
	v_fma_f64 v[4:5], v[44:45], v[48:49], -v[4:5]
	v_add_f64 v[2:3], v[2:3], v[4:5]
	;; [unrolled: 3-line block ×22, first 2 shown]
	scratch_load_dwordx4 v[2:5], off, off offset:544
	s_waitcnt vmcnt(0)
	v_add_f64 v[2:3], v[2:3], -v[6:7]
	v_add_f64 v[4:5], v[4:5], -v[168:169]
	scratch_store_dwordx4 off, v[2:5], off offset:544
	s_and_saveexec_b64 s[0:1], vcc
	s_cbranch_execz .LBB123_309
; %bb.308:
	scratch_load_dwordx4 v[2:5], off, s44
	v_mov_b32_e32 v6, 0
	v_mov_b32_e32 v7, v6
	;; [unrolled: 1-line block ×4, first 2 shown]
	v_accvgpr_read_b32 v0, a121
	scratch_store_dwordx4 off, v[6:9], off offset:528
	s_waitcnt vmcnt(1)
	ds_write_b128 v0, v[2:5]
.LBB123_309:
	s_or_b64 exec, exec, s[0:1]
	v_mov_b32_e32 v2, 0
	s_waitcnt lgkmcnt(0)
	; wave barrier
	ds_read_b128 v[16:19], v2 offset:1488
	ds_read_b128 v[12:15], v2 offset:1504
	;; [unrolled: 1-line block ×4, first 2 shown]
	scratch_load_dwordx4 v[20:23], off, off offset:544
	scratch_load_dwordx4 v[40:43], off, off offset:608
	;; [unrolled: 1-line block ×21, first 2 shown]
	v_cmp_lt_u32_e32 vcc, 31, v240
	scratch_load_dwordx4 v[48:51], off, off offset:624
	scratch_load_dwordx4 v[56:59], off, off offset:640
	scratch_load_dwordx4 v[64:67], off, off offset:656
	s_waitcnt vmcnt(23) lgkmcnt(3)
	v_mul_f64 v[24:25], v[16:17], v[22:23]
	v_fmac_f64_e32 v[24:25], v[18:19], v[20:21]
	v_add_f64 v[28:29], v[24:25], 0
	scratch_load_dwordx4 v[24:27], off, off offset:560
	v_mul_f64 v[18:19], v[18:19], v[22:23]
	v_fma_f64 v[16:17], v[16:17], v[20:21], -v[18:19]
	v_add_f64 v[16:17], v[16:17], 0
	s_waitcnt vmcnt(0) lgkmcnt(2)
	v_mul_f64 v[30:31], v[12:13], v[26:27]
	v_fmac_f64_e32 v[30:31], v[14:15], v[24:25]
	v_add_f64 v[32:33], v[28:29], v[30:31]
	scratch_load_dwordx4 v[28:31], off, off offset:576
	v_mul_f64 v[14:15], v[14:15], v[26:27]
	v_fma_f64 v[12:13], v[12:13], v[24:25], -v[14:15]
	v_add_f64 v[12:13], v[16:17], v[12:13]
	s_waitcnt vmcnt(0) lgkmcnt(1)
	v_mul_f64 v[34:35], v[8:9], v[30:31]
	v_fmac_f64_e32 v[34:35], v[10:11], v[28:29]
	v_add_f64 v[36:37], v[32:33], v[34:35]
	scratch_load_dwordx4 v[32:35], off, off offset:592
	v_mul_f64 v[10:11], v[10:11], v[30:31]
	v_fma_f64 v[8:9], v[8:9], v[28:29], -v[10:11]
	v_add_f64 v[8:9], v[12:13], v[8:9]
	s_waitcnt vmcnt(0) lgkmcnt(0)
	v_mul_f64 v[38:39], v[4:5], v[34:35]
	v_fmac_f64_e32 v[38:39], v[6:7], v[32:33]
	v_add_f64 v[44:45], v[36:37], v[38:39]
	ds_read_b128 v[36:39], v2 offset:1552
	v_mul_f64 v[6:7], v[6:7], v[34:35]
	v_fma_f64 v[4:5], v[4:5], v[32:33], -v[6:7]
	v_add_f64 v[4:5], v[8:9], v[4:5]
	s_waitcnt lgkmcnt(0)
	v_mul_f64 v[46:47], v[36:37], v[42:43]
	v_fmac_f64_e32 v[46:47], v[38:39], v[40:41]
	v_add_f64 v[52:53], v[44:45], v[46:47]
	ds_read_b128 v[44:47], v2 offset:1568
	v_mul_f64 v[6:7], v[38:39], v[42:43]
	v_fma_f64 v[6:7], v[36:37], v[40:41], -v[6:7]
	v_add_f64 v[4:5], v[4:5], v[6:7]
	s_waitcnt lgkmcnt(0)
	;; [unrolled: 8-line block ×23, first 2 shown]
	v_mul_f64 v[6:7], v[216:217], v[220:221]
	v_fma_f64 v[6:7], v[214:215], v[218:219], -v[6:7]
	v_add_f64 v[8:9], v[4:5], v[6:7]
	scratch_load_dwordx4 v[4:7], off, off offset:528
	v_mul_f64 v[222:223], v[214:215], v[220:221]
	v_fmac_f64_e32 v[222:223], v[216:217], v[218:219]
	v_add_f64 v[160:161], v[160:161], v[222:223]
	s_waitcnt vmcnt(0)
	v_add_f64 v[4:5], v[4:5], -v[8:9]
	v_add_f64 v[6:7], v[6:7], -v[160:161]
	scratch_store_dwordx4 off, v[4:7], off offset:528
	s_and_saveexec_b64 s[0:1], vcc
	s_cbranch_execz .LBB123_311
; %bb.310:
	scratch_load_dwordx4 v[6:9], off, s45
	v_mov_b32_e32 v3, v2
	v_mov_b32_e32 v4, v2
	;; [unrolled: 1-line block ×3, first 2 shown]
	v_accvgpr_read_b32 v0, a121
	scratch_store_dwordx4 off, v[2:5], off offset:512
	s_waitcnt vmcnt(1)
	ds_write_b128 v0, v[6:9]
.LBB123_311:
	s_or_b64 exec, exec, s[0:1]
	s_waitcnt lgkmcnt(0)
	; wave barrier
	ds_read_b128 v[16:19], v2 offset:1472
	ds_read_b128 v[12:15], v2 offset:1488
	;; [unrolled: 1-line block ×4, first 2 shown]
	scratch_load_dwordx4 v[20:23], off, off offset:528
	scratch_load_dwordx4 v[40:43], off, off offset:592
	scratch_load_dwordx4 v[72:75], off, off offset:656
	scratch_load_dwordx4 v[80:83], off, off offset:672
	scratch_load_dwordx4 v[88:91], off, off offset:688
	scratch_load_dwordx4 v[96:99], off, off offset:704
	scratch_load_dwordx4 v[104:107], off, off offset:720
	scratch_load_dwordx4 v[112:115], off, off offset:736
	scratch_load_dwordx4 v[120:123], off, off offset:752
	scratch_load_dwordx4 v[128:131], off, off offset:768
	scratch_load_dwordx4 v[136:139], off, off offset:784
	scratch_load_dwordx4 v[144:147], off, off offset:800
	scratch_load_dwordx4 v[152:155], off, off offset:816
	scratch_load_dwordx4 v[160:163], off, off offset:832
	scratch_load_dwordx4 v[168:171], off, off offset:848
	scratch_load_dwordx4 v[178:181], off, off offset:864
	scratch_load_dwordx4 v[186:189], off, off offset:880
	scratch_load_dwordx4 v[194:197], off, off offset:896
	scratch_load_dwordx4 v[202:205], off, off offset:912
	scratch_load_dwordx4 v[210:213], off, off offset:928
	scratch_load_dwordx4 v[218:221], off, off offset:944
	scratch_load_dwordx4 v[226:229], off, off offset:960
	v_cmp_lt_u32_e32 vcc, 30, v240
	scratch_load_dwordx4 v[48:51], off, off offset:608
	scratch_load_dwordx4 v[56:59], off, off offset:624
	;; [unrolled: 1-line block ×3, first 2 shown]
	s_waitcnt vmcnt(24) lgkmcnt(3)
	v_mul_f64 v[24:25], v[16:17], v[22:23]
	v_fmac_f64_e32 v[24:25], v[18:19], v[20:21]
	v_add_f64 v[28:29], v[24:25], 0
	scratch_load_dwordx4 v[24:27], off, off offset:544
	s_waitcnt vmcnt(0) lgkmcnt(2)
	v_mul_f64 v[30:31], v[12:13], v[26:27]
	v_fmac_f64_e32 v[30:31], v[14:15], v[24:25]
	v_add_f64 v[32:33], v[28:29], v[30:31]
	scratch_load_dwordx4 v[28:31], off, off offset:560
	v_mul_f64 v[14:15], v[14:15], v[26:27]
	v_fma_f64 v[12:13], v[12:13], v[24:25], -v[14:15]
	s_waitcnt vmcnt(0) lgkmcnt(1)
	v_mul_f64 v[34:35], v[8:9], v[30:31]
	v_fmac_f64_e32 v[34:35], v[10:11], v[28:29]
	v_add_f64 v[36:37], v[32:33], v[34:35]
	scratch_load_dwordx4 v[32:35], off, off offset:576
	v_mul_f64 v[10:11], v[10:11], v[30:31]
	v_fma_f64 v[8:9], v[8:9], v[28:29], -v[10:11]
	s_waitcnt vmcnt(0) lgkmcnt(0)
	v_mul_f64 v[38:39], v[4:5], v[34:35]
	v_fmac_f64_e32 v[38:39], v[6:7], v[32:33]
	v_add_f64 v[44:45], v[36:37], v[38:39]
	ds_read_b128 v[36:39], v2 offset:1536
	v_mul_f64 v[6:7], v[6:7], v[34:35]
	v_fma_f64 v[4:5], v[4:5], v[32:33], -v[6:7]
	s_waitcnt lgkmcnt(0)
	v_mul_f64 v[46:47], v[36:37], v[42:43]
	v_fmac_f64_e32 v[46:47], v[38:39], v[40:41]
	v_add_f64 v[52:53], v[44:45], v[46:47]
	ds_read_b128 v[44:47], v2 offset:1552
	s_waitcnt lgkmcnt(0)
	v_mul_f64 v[54:55], v[44:45], v[50:51]
	v_fmac_f64_e32 v[54:55], v[46:47], v[48:49]
	v_add_f64 v[60:61], v[52:53], v[54:55]
	ds_read_b128 v[52:55], v2 offset:1568
	;; [unrolled: 5-line block ×23, first 2 shown]
	s_waitcnt lgkmcnt(0)
	v_mul_f64 v[2:3], v[222:223], v[228:229]
	v_fmac_f64_e32 v[2:3], v[224:225], v[226:227]
	v_add_f64 v[176:177], v[176:177], v[2:3]
	v_mul_f64 v[2:3], v[18:19], v[22:23]
	v_fma_f64 v[2:3], v[16:17], v[20:21], -v[2:3]
	v_add_f64 v[2:3], v[2:3], 0
	v_add_f64 v[2:3], v[2:3], v[12:13]
	;; [unrolled: 1-line block ×4, first 2 shown]
	v_mul_f64 v[4:5], v[38:39], v[42:43]
	v_fma_f64 v[4:5], v[36:37], v[40:41], -v[4:5]
	v_add_f64 v[2:3], v[2:3], v[4:5]
	v_mul_f64 v[4:5], v[46:47], v[50:51]
	v_fma_f64 v[4:5], v[44:45], v[48:49], -v[4:5]
	v_add_f64 v[2:3], v[2:3], v[4:5]
	;; [unrolled: 3-line block ×24, first 2 shown]
	scratch_load_dwordx4 v[2:5], off, off offset:512
	s_waitcnt vmcnt(0)
	v_add_f64 v[2:3], v[2:3], -v[6:7]
	v_add_f64 v[4:5], v[4:5], -v[176:177]
	scratch_store_dwordx4 off, v[2:5], off offset:512
	s_and_saveexec_b64 s[0:1], vcc
	s_cbranch_execz .LBB123_313
; %bb.312:
	scratch_load_dwordx4 v[2:5], off, s46
	v_mov_b32_e32 v6, 0
	v_mov_b32_e32 v7, v6
	;; [unrolled: 1-line block ×4, first 2 shown]
	v_accvgpr_read_b32 v0, a121
	scratch_store_dwordx4 off, v[6:9], off offset:496
	s_waitcnt vmcnt(1)
	ds_write_b128 v0, v[2:5]
.LBB123_313:
	s_or_b64 exec, exec, s[0:1]
	v_mov_b32_e32 v2, 0
	s_waitcnt lgkmcnt(0)
	; wave barrier
	ds_read_b128 v[16:19], v2 offset:1456
	ds_read_b128 v[12:15], v2 offset:1472
	;; [unrolled: 1-line block ×4, first 2 shown]
	scratch_load_dwordx4 v[20:23], off, off offset:512
	scratch_load_dwordx4 v[40:43], off, off offset:576
	;; [unrolled: 1-line block ×23, first 2 shown]
	v_cmp_lt_u32_e32 vcc, 29, v240
	scratch_load_dwordx4 v[48:51], off, off offset:592
	scratch_load_dwordx4 v[56:59], off, off offset:608
	scratch_load_dwordx4 v[64:67], off, off offset:624
	s_waitcnt vmcnt(25) lgkmcnt(3)
	v_mul_f64 v[24:25], v[16:17], v[22:23]
	v_fmac_f64_e32 v[24:25], v[18:19], v[20:21]
	v_add_f64 v[28:29], v[24:25], 0
	scratch_load_dwordx4 v[24:27], off, off offset:528
	v_mul_f64 v[18:19], v[18:19], v[22:23]
	v_fma_f64 v[16:17], v[16:17], v[20:21], -v[18:19]
	v_add_f64 v[16:17], v[16:17], 0
	s_waitcnt vmcnt(0) lgkmcnt(2)
	v_mul_f64 v[30:31], v[12:13], v[26:27]
	v_fmac_f64_e32 v[30:31], v[14:15], v[24:25]
	v_add_f64 v[32:33], v[28:29], v[30:31]
	scratch_load_dwordx4 v[28:31], off, off offset:544
	v_mul_f64 v[14:15], v[14:15], v[26:27]
	v_fma_f64 v[12:13], v[12:13], v[24:25], -v[14:15]
	v_add_f64 v[12:13], v[16:17], v[12:13]
	;; [unrolled: 8-line block ×3, first 2 shown]
	s_waitcnt vmcnt(0) lgkmcnt(0)
	v_mul_f64 v[38:39], v[4:5], v[34:35]
	v_fmac_f64_e32 v[38:39], v[6:7], v[32:33]
	v_add_f64 v[44:45], v[36:37], v[38:39]
	ds_read_b128 v[36:39], v2 offset:1520
	v_mul_f64 v[6:7], v[6:7], v[34:35]
	v_fma_f64 v[4:5], v[4:5], v[32:33], -v[6:7]
	v_add_f64 v[4:5], v[8:9], v[4:5]
	s_waitcnt lgkmcnt(0)
	v_mul_f64 v[46:47], v[36:37], v[42:43]
	v_fmac_f64_e32 v[46:47], v[38:39], v[40:41]
	v_add_f64 v[52:53], v[44:45], v[46:47]
	ds_read_b128 v[44:47], v2 offset:1536
	v_mul_f64 v[6:7], v[38:39], v[42:43]
	v_fma_f64 v[6:7], v[36:37], v[40:41], -v[6:7]
	v_add_f64 v[4:5], v[4:5], v[6:7]
	s_waitcnt lgkmcnt(0)
	;; [unrolled: 8-line block ×25, first 2 shown]
	v_mul_f64 v[6:7], v[232:233], v[236:237]
	v_fma_f64 v[6:7], v[230:231], v[234:235], -v[6:7]
	v_add_f64 v[8:9], v[4:5], v[6:7]
	scratch_load_dwordx4 v[4:7], off, off offset:496
	v_mul_f64 v[238:239], v[230:231], v[236:237]
	v_fmac_f64_e32 v[238:239], v[232:233], v[234:235]
	v_add_f64 v[176:177], v[176:177], v[238:239]
	s_waitcnt vmcnt(0)
	v_add_f64 v[4:5], v[4:5], -v[8:9]
	v_add_f64 v[6:7], v[6:7], -v[176:177]
	scratch_store_dwordx4 off, v[4:7], off offset:496
	s_and_saveexec_b64 s[0:1], vcc
	s_cbranch_execz .LBB123_315
; %bb.314:
	scratch_load_dwordx4 v[6:9], off, s47
	v_mov_b32_e32 v3, v2
	v_mov_b32_e32 v4, v2
	;; [unrolled: 1-line block ×3, first 2 shown]
	v_accvgpr_read_b32 v0, a121
	scratch_store_dwordx4 off, v[2:5], off offset:480
	s_waitcnt vmcnt(1)
	ds_write_b128 v0, v[6:9]
.LBB123_315:
	s_or_b64 exec, exec, s[0:1]
	s_waitcnt lgkmcnt(0)
	; wave barrier
	ds_read_b128 v[16:19], v2 offset:1440
	ds_read_b128 v[12:15], v2 offset:1456
	;; [unrolled: 1-line block ×4, first 2 shown]
	scratch_load_dwordx4 v[20:23], off, off offset:496
	scratch_load_dwordx4 v[40:43], off, off offset:560
	;; [unrolled: 1-line block ×24, first 2 shown]
	v_cmp_lt_u32_e32 vcc, 28, v240
	scratch_load_dwordx4 v[48:51], off, off offset:576
	scratch_load_dwordx4 v[56:59], off, off offset:592
	;; [unrolled: 1-line block ×3, first 2 shown]
	ds_read_b128 v[248:251], v2 offset:1904
	s_waitcnt vmcnt(26) lgkmcnt(4)
	v_mul_f64 v[24:25], v[16:17], v[22:23]
	v_fmac_f64_e32 v[24:25], v[18:19], v[20:21]
	v_add_f64 v[28:29], v[24:25], 0
	scratch_load_dwordx4 v[24:27], off, off offset:512
	s_waitcnt vmcnt(0) lgkmcnt(3)
	v_mul_f64 v[30:31], v[12:13], v[26:27]
	v_fmac_f64_e32 v[30:31], v[14:15], v[24:25]
	v_add_f64 v[32:33], v[28:29], v[30:31]
	scratch_load_dwordx4 v[28:31], off, off offset:528
	v_mul_f64 v[14:15], v[14:15], v[26:27]
	v_fma_f64 v[12:13], v[12:13], v[24:25], -v[14:15]
	s_waitcnt vmcnt(0) lgkmcnt(2)
	v_mul_f64 v[34:35], v[8:9], v[30:31]
	v_fmac_f64_e32 v[34:35], v[10:11], v[28:29]
	v_add_f64 v[36:37], v[32:33], v[34:35]
	scratch_load_dwordx4 v[32:35], off, off offset:544
	v_mul_f64 v[10:11], v[10:11], v[30:31]
	v_fma_f64 v[8:9], v[8:9], v[28:29], -v[10:11]
	s_waitcnt vmcnt(0) lgkmcnt(1)
	v_mul_f64 v[38:39], v[4:5], v[34:35]
	v_fmac_f64_e32 v[38:39], v[6:7], v[32:33]
	v_add_f64 v[44:45], v[36:37], v[38:39]
	ds_read_b128 v[36:39], v2 offset:1504
	v_mul_f64 v[6:7], v[6:7], v[34:35]
	v_fma_f64 v[4:5], v[4:5], v[32:33], -v[6:7]
	s_waitcnt lgkmcnt(0)
	v_mul_f64 v[46:47], v[36:37], v[42:43]
	v_fmac_f64_e32 v[46:47], v[38:39], v[40:41]
	v_add_f64 v[52:53], v[44:45], v[46:47]
	ds_read_b128 v[44:47], v2 offset:1520
	s_waitcnt lgkmcnt(0)
	v_mul_f64 v[54:55], v[44:45], v[50:51]
	v_fmac_f64_e32 v[54:55], v[46:47], v[48:49]
	v_add_f64 v[60:61], v[52:53], v[54:55]
	ds_read_b128 v[52:55], v2 offset:1536
	;; [unrolled: 5-line block ×24, first 2 shown]
	v_mul_f64 v[2:3], v[248:249], v[254:255]
	v_fmac_f64_e32 v[2:3], v[250:251], v[252:253]
	s_waitcnt lgkmcnt(0)
	v_mul_f64 v[238:239], v[230:231], v[236:237]
	v_fmac_f64_e32 v[238:239], v[232:233], v[234:235]
	v_add_f64 v[184:185], v[184:185], v[238:239]
	v_add_f64 v[184:185], v[184:185], v[2:3]
	v_mul_f64 v[2:3], v[18:19], v[22:23]
	v_fma_f64 v[2:3], v[16:17], v[20:21], -v[2:3]
	v_add_f64 v[2:3], v[2:3], 0
	v_add_f64 v[2:3], v[2:3], v[12:13]
	;; [unrolled: 1-line block ×4, first 2 shown]
	v_mul_f64 v[4:5], v[38:39], v[42:43]
	v_fma_f64 v[4:5], v[36:37], v[40:41], -v[4:5]
	v_add_f64 v[2:3], v[2:3], v[4:5]
	v_mul_f64 v[4:5], v[46:47], v[50:51]
	v_fma_f64 v[4:5], v[44:45], v[48:49], -v[4:5]
	v_add_f64 v[2:3], v[2:3], v[4:5]
	;; [unrolled: 3-line block ×26, first 2 shown]
	scratch_load_dwordx4 v[2:5], off, off offset:480
	s_waitcnt vmcnt(0)
	v_add_f64 v[2:3], v[2:3], -v[6:7]
	v_add_f64 v[4:5], v[4:5], -v[184:185]
	scratch_store_dwordx4 off, v[2:5], off offset:480
	s_and_saveexec_b64 s[0:1], vcc
	s_cbranch_execz .LBB123_317
; %bb.316:
	scratch_load_dwordx4 v[2:5], off, s48
	v_mov_b32_e32 v6, 0
	v_mov_b32_e32 v7, v6
	;; [unrolled: 1-line block ×4, first 2 shown]
	v_accvgpr_read_b32 v0, a121
	scratch_store_dwordx4 off, v[6:9], off offset:464
	s_waitcnt vmcnt(1)
	ds_write_b128 v0, v[2:5]
.LBB123_317:
	s_or_b64 exec, exec, s[0:1]
	s_waitcnt lgkmcnt(0)
	; wave barrier
	scratch_load_dwordx4 v[16:19], off, off offset:480
	scratch_load_dwordx4 v[12:15], off, off offset:496
	;; [unrolled: 1-line block ×32, first 2 shown]
	v_mov_b32_e32 v2, 0
	ds_read_b128 v[132:135], v2 offset:1424
	ds_read_b128 v[136:139], v2 offset:1440
	;; [unrolled: 1-line block ×17, first 2 shown]
	v_cmp_lt_u32_e32 vcc, 27, v240
	s_waitcnt vmcnt(31) lgkmcnt(14)
	v_mul_f64 v[200:201], v[132:133], v[18:19]
	s_waitcnt vmcnt(30)
	v_mul_f64 v[202:203], v[136:137], v[14:15]
	v_fmac_f64_e32 v[200:201], v[134:135], v[16:17]
	s_waitcnt vmcnt(29)
	v_mul_f64 v[204:205], v[140:141], v[10:11]
	v_fmac_f64_e32 v[202:203], v[138:139], v[12:13]
	v_add_f64 v[200:201], v[200:201], 0
	s_waitcnt vmcnt(28) lgkmcnt(13)
	v_mul_f64 v[206:207], v[144:145], v[6:7]
	v_fmac_f64_e32 v[204:205], v[142:143], v[8:9]
	v_add_f64 v[200:201], v[200:201], v[202:203]
	s_waitcnt vmcnt(27) lgkmcnt(12)
	;; [unrolled: 4-line block ×12, first 2 shown]
	v_mul_f64 v[228:229], v[188:189], v[62:63]
	v_fmac_f64_e32 v[226:227], v[186:187], v[56:57]
	v_add_f64 v[200:201], v[200:201], v[224:225]
	v_fmac_f64_e32 v[228:229], v[190:191], v[60:61]
	v_add_f64 v[200:201], v[200:201], v[226:227]
	s_waitcnt vmcnt(16) lgkmcnt(1)
	v_mul_f64 v[202:203], v[192:193], v[66:67]
	v_add_f64 v[200:201], v[200:201], v[228:229]
	v_fmac_f64_e32 v[202:203], v[194:195], v[64:65]
	s_waitcnt vmcnt(15) lgkmcnt(0)
	v_mul_f64 v[206:207], v[196:197], v[70:71]
	v_add_f64 v[204:205], v[200:201], v[202:203]
	ds_read_b128 v[200:203], v2 offset:1696
	v_fmac_f64_e32 v[206:207], v[198:199], v[68:69]
	v_add_f64 v[208:209], v[204:205], v[206:207]
	ds_read_b128 v[204:207], v2 offset:1712
	v_mul_f64 v[18:19], v[134:135], v[18:19]
	s_waitcnt vmcnt(14) lgkmcnt(1)
	v_mul_f64 v[210:211], v[200:201], v[74:75]
	v_fmac_f64_e32 v[210:211], v[202:203], v[72:73]
	v_add_f64 v[212:213], v[208:209], v[210:211]
	s_waitcnt vmcnt(13) lgkmcnt(0)
	v_mul_f64 v[214:215], v[204:205], v[78:79]
	ds_read_b128 v[208:211], v2 offset:1728
	v_fmac_f64_e32 v[214:215], v[206:207], v[76:77]
	v_add_f64 v[216:217], v[212:213], v[214:215]
	ds_read_b128 v[212:215], v2 offset:1744
	v_fma_f64 v[244:245], v[132:133], v[16:17], -v[18:19]
	s_waitcnt vmcnt(12) lgkmcnt(1)
	v_mul_f64 v[218:219], v[208:209], v[82:83]
	v_fmac_f64_e32 v[218:219], v[210:211], v[80:81]
	v_add_f64 v[220:221], v[216:217], v[218:219]
	s_waitcnt vmcnt(11) lgkmcnt(0)
	v_mul_f64 v[222:223], v[212:213], v[86:87]
	ds_read_b128 v[216:219], v2 offset:1760
	v_fmac_f64_e32 v[222:223], v[214:215], v[84:85]
	v_add_f64 v[224:225], v[220:221], v[222:223]
	ds_read_b128 v[220:223], v2 offset:1776
	ds_read_b128 v[16:19], v2 offset:1856
	s_waitcnt vmcnt(10) lgkmcnt(2)
	v_mul_f64 v[226:227], v[216:217], v[90:91]
	v_fmac_f64_e32 v[226:227], v[218:219], v[88:89]
	v_add_f64 v[228:229], v[224:225], v[226:227]
	s_waitcnt vmcnt(9) lgkmcnt(1)
	v_mul_f64 v[230:231], v[220:221], v[94:95]
	ds_read_b128 v[224:227], v2 offset:1792
	v_fmac_f64_e32 v[230:231], v[222:223], v[92:93]
	v_add_f64 v[232:233], v[228:229], v[230:231]
	ds_read_b128 v[228:231], v2 offset:1808
	v_mul_f64 v[14:15], v[138:139], v[14:15]
	s_waitcnt vmcnt(8) lgkmcnt(1)
	v_mul_f64 v[234:235], v[224:225], v[98:99]
	v_fmac_f64_e32 v[234:235], v[226:227], v[96:97]
	v_add_f64 v[236:237], v[232:233], v[234:235]
	s_waitcnt vmcnt(7) lgkmcnt(0)
	v_mul_f64 v[238:239], v[228:229], v[102:103]
	ds_read_b128 v[232:235], v2 offset:1824
	v_fmac_f64_e32 v[238:239], v[230:231], v[100:101]
	v_add_f64 v[242:243], v[236:237], v[238:239]
	ds_read_b128 v[236:239], v2 offset:1840
	v_fma_f64 v[136:137], v[136:137], v[12:13], -v[14:15]
	s_waitcnt vmcnt(6) lgkmcnt(1)
	v_mul_f64 v[132:133], v[232:233], v[106:107]
	v_fmac_f64_e32 v[132:133], v[234:235], v[104:105]
	v_add_f64 v[132:133], v[242:243], v[132:133]
	s_waitcnt vmcnt(5) lgkmcnt(0)
	v_mul_f64 v[134:135], v[236:237], v[110:111]
	v_fmac_f64_e32 v[134:135], v[238:239], v[108:109]
	v_add_f64 v[132:133], v[132:133], v[134:135]
	ds_read_b128 v[12:15], v2 offset:1872
	s_waitcnt vmcnt(4)
	v_mul_f64 v[134:135], v[16:17], v[114:115]
	v_fmac_f64_e32 v[134:135], v[18:19], v[112:113]
	v_add_f64 v[138:139], v[132:133], v[134:135]
	ds_read_b128 v[132:135], v2 offset:1888
	v_mul_f64 v[10:11], v[142:143], v[10:11]
	v_fma_f64 v[140:141], v[140:141], v[8:9], -v[10:11]
	ds_read_b128 v[8:11], v2 offset:1904
	s_waitcnt vmcnt(3) lgkmcnt(2)
	v_mul_f64 v[142:143], v[12:13], v[118:119]
	v_fmac_f64_e32 v[142:143], v[14:15], v[116:117]
	v_add_f64 v[138:139], v[138:139], v[142:143]
	s_waitcnt vmcnt(2) lgkmcnt(1)
	v_mul_f64 v[142:143], v[132:133], v[122:123]
	v_fmac_f64_e32 v[142:143], v[134:135], v[120:121]
	v_add_f64 v[138:139], v[138:139], v[142:143]
	;; [unrolled: 4-line block ×3, first 2 shown]
	v_add_f64 v[142:143], v[244:245], 0
	v_add_f64 v[136:137], v[142:143], v[136:137]
	v_mul_f64 v[6:7], v[146:147], v[6:7]
	v_add_f64 v[136:137], v[136:137], v[140:141]
	v_fma_f64 v[4:5], v[144:145], v[4:5], -v[6:7]
	v_mul_f64 v[6:7], v[150:151], v[22:23]
	v_add_f64 v[4:5], v[136:137], v[4:5]
	v_fma_f64 v[6:7], v[148:149], v[20:21], -v[6:7]
	v_add_f64 v[4:5], v[4:5], v[6:7]
	v_mul_f64 v[6:7], v[154:155], v[26:27]
	v_fma_f64 v[6:7], v[152:153], v[24:25], -v[6:7]
	v_add_f64 v[4:5], v[4:5], v[6:7]
	v_mul_f64 v[6:7], v[158:159], v[30:31]
	;; [unrolled: 3-line block ×26, first 2 shown]
	v_fma_f64 v[6:7], v[8:9], v[124:125], -v[6:7]
	v_add_f64 v[4:5], v[4:5], v[6:7]
	s_waitcnt vmcnt(0)
	v_add_f64 v[4:5], v[128:129], -v[4:5]
	v_add_f64 v[6:7], v[130:131], -v[138:139]
	scratch_store_dwordx4 off, v[4:7], off offset:464
	s_and_saveexec_b64 s[0:1], vcc
	s_cbranch_execz .LBB123_319
; %bb.318:
	scratch_load_dwordx4 v[6:9], off, s49
	v_mov_b32_e32 v3, v2
	v_mov_b32_e32 v4, v2
	;; [unrolled: 1-line block ×3, first 2 shown]
	v_accvgpr_read_b32 v0, a121
	scratch_store_dwordx4 off, v[2:5], off offset:448
	s_waitcnt vmcnt(1)
	ds_write_b128 v0, v[6:9]
.LBB123_319:
	s_or_b64 exec, exec, s[0:1]
	s_waitcnt lgkmcnt(0)
	; wave barrier
	scratch_load_dwordx4 v[140:143], off, off offset:464
	scratch_load_dwordx4 v[148:151], off, off offset:480
	;; [unrolled: 1-line block ×16, first 2 shown]
	ds_read_b128 v[188:191], v2 offset:1408
	ds_read_b128 v[184:187], v2 offset:1424
	scratch_load_dwordx4 v[56:59], off, off offset:720
	ds_read_b128 v[192:195], v2 offset:1440
	ds_read_b128 v[68:71], v2 offset:1456
	scratch_load_dwordx4 v[60:63], off, off offset:736
	ds_read_b128 v[88:91], v2 offset:1472
	ds_read_b128 v[84:87], v2 offset:1488
	;; [unrolled: 1-line block ×4, first 2 shown]
	scratch_load_dwordx4 v[64:67], off, off offset:752
	ds_read_b128 v[100:103], v2 offset:1536
	ds_read_b128 v[96:99], v2 offset:1552
	scratch_load_dwordx4 v[72:75], off, off offset:768
	ds_read_b128 v[116:119], v2 offset:1568
	ds_read_b128 v[112:115], v2 offset:1584
	;; [unrolled: 1-line block ×4, first 2 shown]
	scratch_load_dwordx4 v[92:95], off, off offset:784
	ds_read_b128 v[132:135], v2 offset:1632
	ds_read_b128 v[128:131], v2 offset:1648
	ds_read_b128 v[124:127], v2 offset:1664
	scratch_load_dwordx4 v[120:123], off, off offset:800
	scratch_load_dwordx4 v[136:139], off, off offset:816
	;; [unrolled: 1-line block ×11, first 2 shown]
	v_cmp_lt_u32_e32 vcc, 26, v240
	s_waitcnt vmcnt(31) lgkmcnt(14)
	v_mul_f64 v[200:201], v[188:189], v[142:143]
	s_waitcnt vmcnt(30)
	v_mul_f64 v[202:203], v[184:185], v[150:151]
	v_fmac_f64_e32 v[200:201], v[190:191], v[140:141]
	s_waitcnt vmcnt(29)
	v_mul_f64 v[204:205], v[192:193], v[154:155]
	v_fmac_f64_e32 v[202:203], v[186:187], v[148:149]
	v_add_f64 v[200:201], v[200:201], 0
	s_waitcnt vmcnt(28) lgkmcnt(13)
	v_mul_f64 v[206:207], v[68:69], v[6:7]
	v_fmac_f64_e32 v[204:205], v[194:195], v[152:153]
	v_add_f64 v[200:201], v[200:201], v[202:203]
	s_waitcnt vmcnt(27) lgkmcnt(12)
	;; [unrolled: 4-line block ×13, first 2 shown]
	v_mul_f64 v[230:231], v[128:129], v[54:55]
	v_fmac_f64_e32 v[228:229], v[134:135], v[48:49]
	v_add_f64 v[200:201], v[200:201], v[226:227]
	v_add_f64 v[200:201], v[200:201], v[228:229]
	v_fmac_f64_e32 v[230:231], v[130:131], v[52:53]
	s_waitcnt vmcnt(15) lgkmcnt(0)
	v_mul_f64 v[206:207], v[124:125], v[58:59]
	v_add_f64 v[204:205], v[200:201], v[230:231]
	ds_read_b128 v[200:203], v2 offset:1680
	v_fmac_f64_e32 v[206:207], v[126:127], v[56:57]
	v_add_f64 v[208:209], v[204:205], v[206:207]
	ds_read_b128 v[204:207], v2 offset:1696
	v_mul_f64 v[142:143], v[190:191], v[142:143]
	s_waitcnt vmcnt(14) lgkmcnt(1)
	v_mul_f64 v[210:211], v[200:201], v[62:63]
	v_fmac_f64_e32 v[210:211], v[202:203], v[60:61]
	v_add_f64 v[212:213], v[208:209], v[210:211]
	s_waitcnt vmcnt(13) lgkmcnt(0)
	v_mul_f64 v[214:215], v[204:205], v[66:67]
	ds_read_b128 v[208:211], v2 offset:1712
	v_fmac_f64_e32 v[214:215], v[206:207], v[64:65]
	v_add_f64 v[216:217], v[212:213], v[214:215]
	ds_read_b128 v[212:215], v2 offset:1728
	v_fma_f64 v[248:249], v[188:189], v[140:141], -v[142:143]
	s_waitcnt vmcnt(12) lgkmcnt(1)
	v_mul_f64 v[218:219], v[208:209], v[74:75]
	v_fmac_f64_e32 v[218:219], v[210:211], v[72:73]
	v_add_f64 v[220:221], v[216:217], v[218:219]
	s_waitcnt vmcnt(11) lgkmcnt(0)
	v_mul_f64 v[222:223], v[212:213], v[94:95]
	ds_read_b128 v[216:219], v2 offset:1744
	v_fmac_f64_e32 v[222:223], v[214:215], v[92:93]
	v_add_f64 v[224:225], v[220:221], v[222:223]
	ds_read_b128 v[220:223], v2 offset:1760
	ds_read_b128 v[140:143], v2 offset:1840
	s_waitcnt vmcnt(10) lgkmcnt(2)
	v_mul_f64 v[226:227], v[216:217], v[122:123]
	v_fmac_f64_e32 v[226:227], v[218:219], v[120:121]
	v_add_f64 v[228:229], v[224:225], v[226:227]
	s_waitcnt vmcnt(9) lgkmcnt(1)
	v_mul_f64 v[230:231], v[220:221], v[138:139]
	ds_read_b128 v[224:227], v2 offset:1776
	v_fmac_f64_e32 v[230:231], v[222:223], v[136:137]
	v_add_f64 v[232:233], v[228:229], v[230:231]
	ds_read_b128 v[228:231], v2 offset:1792
	v_mul_f64 v[150:151], v[186:187], v[150:151]
	s_waitcnt vmcnt(8) lgkmcnt(1)
	v_mul_f64 v[234:235], v[224:225], v[146:147]
	v_fmac_f64_e32 v[234:235], v[226:227], v[144:145]
	v_add_f64 v[236:237], v[232:233], v[234:235]
	s_waitcnt vmcnt(7) lgkmcnt(0)
	v_mul_f64 v[238:239], v[228:229], v[158:159]
	ds_read_b128 v[232:235], v2 offset:1808
	v_fmac_f64_e32 v[238:239], v[230:231], v[156:157]
	v_add_f64 v[242:243], v[236:237], v[238:239]
	ds_read_b128 v[236:239], v2 offset:1824
	v_fma_f64 v[250:251], v[184:185], v[148:149], -v[150:151]
	s_waitcnt vmcnt(6) lgkmcnt(1)
	v_mul_f64 v[244:245], v[232:233], v[162:163]
	v_fmac_f64_e32 v[244:245], v[234:235], v[160:161]
	ds_read_b128 v[148:151], v2 offset:1856
	s_waitcnt vmcnt(5) lgkmcnt(1)
	v_mul_f64 v[188:189], v[236:237], v[166:167]
	v_add_f64 v[242:243], v[242:243], v[244:245]
	v_fmac_f64_e32 v[188:189], v[238:239], v[164:165]
	s_waitcnt vmcnt(4)
	v_mul_f64 v[184:185], v[140:141], v[170:171]
	v_add_f64 v[188:189], v[242:243], v[188:189]
	v_fmac_f64_e32 v[184:185], v[142:143], v[168:169]
	v_add_f64 v[188:189], v[188:189], v[184:185]
	ds_read_b128 v[184:187], v2 offset:1872
	v_mul_f64 v[154:155], v[194:195], v[154:155]
	s_waitcnt vmcnt(3) lgkmcnt(1)
	v_mul_f64 v[190:191], v[148:149], v[174:175]
	v_fma_f64 v[244:245], v[192:193], v[152:153], -v[154:155]
	ds_read_b128 v[152:155], v2 offset:1888
	v_fmac_f64_e32 v[190:191], v[150:151], v[172:173]
	v_add_f64 v[242:243], v[188:189], v[190:191]
	ds_read_b128 v[188:191], v2 offset:1904
	s_waitcnt vmcnt(2) lgkmcnt(2)
	v_mul_f64 v[192:193], v[184:185], v[178:179]
	v_fmac_f64_e32 v[192:193], v[186:187], v[176:177]
	v_add_f64 v[2:3], v[242:243], v[192:193]
	s_waitcnt vmcnt(1) lgkmcnt(1)
	v_mul_f64 v[192:193], v[152:153], v[182:183]
	v_fmac_f64_e32 v[192:193], v[154:155], v[180:181]
	v_add_f64 v[2:3], v[2:3], v[192:193]
	;; [unrolled: 4-line block ×3, first 2 shown]
	scratch_load_dwordx4 v[192:195], off, off offset:448
	v_add_f64 v[242:243], v[248:249], 0
	v_add_f64 v[242:243], v[242:243], v[250:251]
	v_mul_f64 v[6:7], v[70:71], v[6:7]
	v_add_f64 v[242:243], v[242:243], v[244:245]
	v_fma_f64 v[4:5], v[68:69], v[4:5], -v[6:7]
	v_mul_f64 v[6:7], v[90:91], v[10:11]
	v_add_f64 v[4:5], v[242:243], v[4:5]
	v_fma_f64 v[6:7], v[88:89], v[8:9], -v[6:7]
	v_add_f64 v[4:5], v[4:5], v[6:7]
	v_mul_f64 v[6:7], v[86:87], v[14:15]
	v_fma_f64 v[6:7], v[84:85], v[12:13], -v[6:7]
	v_add_f64 v[4:5], v[4:5], v[6:7]
	v_mul_f64 v[6:7], v[82:83], v[18:19]
	;; [unrolled: 3-line block ×27, first 2 shown]
	v_fma_f64 v[6:7], v[188:189], v[196:197], -v[6:7]
	v_add_f64 v[4:5], v[4:5], v[6:7]
	s_waitcnt vmcnt(0)
	v_add_f64 v[4:5], v[192:193], -v[4:5]
	v_add_f64 v[6:7], v[194:195], -v[2:3]
	scratch_store_dwordx4 off, v[4:7], off offset:448
	s_and_saveexec_b64 s[0:1], vcc
	s_cbranch_execz .LBB123_321
; %bb.320:
	scratch_load_dwordx4 v[2:5], off, s50
	v_mov_b32_e32 v6, 0
	v_mov_b32_e32 v7, v6
	;; [unrolled: 1-line block ×4, first 2 shown]
	v_accvgpr_read_b32 v0, a121
	scratch_store_dwordx4 off, v[6:9], off offset:432
	s_waitcnt vmcnt(1)
	ds_write_b128 v0, v[2:5]
.LBB123_321:
	s_or_b64 exec, exec, s[0:1]
	s_waitcnt lgkmcnt(0)
	; wave barrier
	scratch_load_dwordx4 v[108:111], off, off offset:448
	scratch_load_dwordx4 v[116:119], off, off offset:464
	;; [unrolled: 1-line block ×33, first 2 shown]
	v_mov_b32_e32 v2, 0
	ds_read_b128 v[220:223], v2 offset:1392
	ds_read_b128 v[224:227], v2 offset:1408
	;; [unrolled: 1-line block ×16, first 2 shown]
	v_cmp_lt_u32_e32 vcc, 25, v240
	s_waitcnt vmcnt(32) lgkmcnt(14)
	v_mul_f64 v[180:181], v[220:221], v[110:111]
	s_waitcnt vmcnt(31)
	v_mul_f64 v[182:183], v[224:225], v[118:119]
	v_fmac_f64_e32 v[180:181], v[222:223], v[108:109]
	s_waitcnt vmcnt(30) lgkmcnt(13)
	v_mul_f64 v[184:185], v[234:235], v[122:123]
	v_fmac_f64_e32 v[182:183], v[226:227], v[116:117]
	v_add_f64 v[180:181], v[180:181], 0
	s_waitcnt vmcnt(29) lgkmcnt(12)
	v_mul_f64 v[186:187], v[248:249], v[126:127]
	v_fmac_f64_e32 v[184:185], v[236:237], v[120:121]
	v_add_f64 v[180:181], v[180:181], v[182:183]
	;; [unrolled: 4-line block ×13, first 2 shown]
	v_fmac_f64_e32 v[208:209], v[142:143], v[40:41]
	v_add_f64 v[180:181], v[180:181], v[206:207]
	v_add_f64 v[184:185], v[180:181], v[208:209]
	ds_read_b128 v[180:183], v2 offset:1648
	s_waitcnt vmcnt(17) lgkmcnt(1)
	v_mul_f64 v[186:187], v[136:137], v[46:47]
	v_fmac_f64_e32 v[186:187], v[138:139], v[44:45]
	v_add_f64 v[188:189], v[184:185], v[186:187]
	ds_read_b128 v[184:187], v2 offset:1664
	s_waitcnt vmcnt(16) lgkmcnt(1)
	v_mul_f64 v[190:191], v[180:181], v[50:51]
	v_fmac_f64_e32 v[190:191], v[182:183], v[48:49]
	;; [unrolled: 5-line block ×7, first 2 shown]
	v_mul_f64 v[126:127], v[250:251], v[126:127]
	v_add_f64 v[212:213], v[208:209], v[210:211]
	ds_read_b128 v[208:211], v2 offset:1760
	s_waitcnt vmcnt(10) lgkmcnt(1)
	v_mul_f64 v[214:215], v[204:205], v[74:75]
	v_mul_f64 v[122:123], v[236:237], v[122:123]
	v_fma_f64 v[236:237], v[248:249], v[124:125], -v[126:127]
	scratch_load_dwordx4 v[248:251], off, off offset:432
	v_fmac_f64_e32 v[214:215], v[206:207], v[72:73]
	v_add_f64 v[216:217], v[212:213], v[214:215]
	ds_read_b128 v[212:215], v2 offset:1776
	s_waitcnt vmcnt(10) lgkmcnt(1)
	v_mul_f64 v[218:219], v[208:209], v[78:79]
	v_fmac_f64_e32 v[218:219], v[210:211], v[76:77]
	v_add_f64 v[228:229], v[216:217], v[218:219]
	ds_read_b128 v[216:219], v2 offset:1792
	s_waitcnt vmcnt(9) lgkmcnt(1)
	v_mul_f64 v[230:231], v[212:213], v[82:83]
	v_fmac_f64_e32 v[230:231], v[214:215], v[80:81]
	v_mul_f64 v[110:111], v[222:223], v[110:111]
	v_add_f64 v[228:229], v[228:229], v[230:231]
	v_fma_f64 v[230:231], v[220:221], v[108:109], -v[110:111]
	ds_read_b128 v[108:111], v2 offset:1808
	s_waitcnt vmcnt(8) lgkmcnt(1)
	v_mul_f64 v[220:221], v[216:217], v[86:87]
	v_mul_f64 v[118:119], v[226:227], v[118:119]
	v_fmac_f64_e32 v[220:221], v[218:219], v[84:85]
	v_fma_f64 v[232:233], v[224:225], v[116:117], -v[118:119]
	ds_read_b128 v[116:119], v2 offset:1824
	s_waitcnt vmcnt(7) lgkmcnt(1)
	v_mul_f64 v[222:223], v[108:109], v[90:91]
	v_add_f64 v[220:221], v[228:229], v[220:221]
	v_fmac_f64_e32 v[222:223], v[110:111], v[88:89]
	v_add_f64 v[224:225], v[220:221], v[222:223]
	ds_read_b128 v[220:223], v2 offset:1840
	v_fma_f64 v[234:235], v[234:235], v[120:121], -v[122:123]
	ds_read_b128 v[120:123], v2 offset:1856
	s_waitcnt vmcnt(6) lgkmcnt(2)
	v_mul_f64 v[226:227], v[116:117], v[94:95]
	v_fmac_f64_e32 v[226:227], v[118:119], v[92:93]
	v_add_f64 v[224:225], v[224:225], v[226:227]
	s_waitcnt vmcnt(5) lgkmcnt(1)
	v_mul_f64 v[226:227], v[220:221], v[98:99]
	v_add_f64 v[230:231], v[230:231], 0
	v_fmac_f64_e32 v[226:227], v[222:223], v[96:97]
	s_waitcnt vmcnt(4) lgkmcnt(0)
	v_mul_f64 v[238:239], v[120:121], v[102:103]
	v_add_f64 v[230:231], v[230:231], v[232:233]
	v_add_f64 v[228:229], v[224:225], v[226:227]
	v_fmac_f64_e32 v[238:239], v[122:123], v[100:101]
	v_mul_f64 v[130:131], v[254:255], v[130:131]
	v_add_f64 v[230:231], v[230:231], v[234:235]
	v_add_f64 v[228:229], v[228:229], v[238:239]
	v_fma_f64 v[238:239], v[252:253], v[128:129], -v[130:131]
	v_add_f64 v[230:231], v[230:231], v[236:237]
	v_mul_f64 v[6:7], v[178:179], v[6:7]
	v_add_f64 v[230:231], v[230:231], v[238:239]
	v_fma_f64 v[4:5], v[176:177], v[4:5], -v[6:7]
	v_mul_f64 v[6:7], v[174:175], v[10:11]
	v_add_f64 v[4:5], v[230:231], v[4:5]
	v_fma_f64 v[6:7], v[172:173], v[8:9], -v[6:7]
	v_add_f64 v[4:5], v[4:5], v[6:7]
	v_mul_f64 v[6:7], v[170:171], v[14:15]
	v_fma_f64 v[6:7], v[168:169], v[12:13], -v[6:7]
	v_add_f64 v[4:5], v[4:5], v[6:7]
	v_mul_f64 v[6:7], v[166:167], v[18:19]
	;; [unrolled: 3-line block ×21, first 2 shown]
	ds_read_b128 v[124:127], v2 offset:1872
	ds_read_b128 v[224:227], v2 offset:1888
	v_fma_f64 v[6:7], v[116:117], v[92:93], -v[6:7]
	v_add_f64 v[4:5], v[4:5], v[6:7]
	v_mul_f64 v[6:7], v[222:223], v[98:99]
	v_fma_f64 v[6:7], v[220:221], v[96:97], -v[6:7]
	v_add_f64 v[4:5], v[4:5], v[6:7]
	v_mul_f64 v[6:7], v[122:123], v[102:103]
	ds_read_b128 v[128:131], v2 offset:1904
	v_fma_f64 v[6:7], v[120:121], v[100:101], -v[6:7]
	s_waitcnt vmcnt(3) lgkmcnt(2)
	v_mul_f64 v[242:243], v[124:125], v[106:107]
	v_add_f64 v[4:5], v[4:5], v[6:7]
	v_mul_f64 v[6:7], v[126:127], v[106:107]
	v_fmac_f64_e32 v[242:243], v[126:127], v[104:105]
	v_fma_f64 v[6:7], v[124:125], v[104:105], -v[6:7]
	v_add_f64 v[228:229], v[228:229], v[242:243]
	s_waitcnt vmcnt(2) lgkmcnt(1)
	v_mul_f64 v[242:243], v[224:225], v[114:115]
	v_add_f64 v[4:5], v[4:5], v[6:7]
	v_mul_f64 v[6:7], v[226:227], v[114:115]
	v_fmac_f64_e32 v[242:243], v[226:227], v[112:113]
	v_fma_f64 v[6:7], v[224:225], v[112:113], -v[6:7]
	v_add_f64 v[228:229], v[228:229], v[242:243]
	;; [unrolled: 7-line block ×3, first 2 shown]
	v_add_f64 v[4:5], v[4:5], v[6:7]
	s_waitcnt vmcnt(0)
	v_add_f64 v[4:5], v[248:249], -v[4:5]
	v_add_f64 v[6:7], v[250:251], -v[228:229]
	scratch_store_dwordx4 off, v[4:7], off offset:432
	s_and_saveexec_b64 s[0:1], vcc
	s_cbranch_execz .LBB123_323
; %bb.322:
	scratch_load_dwordx4 v[6:9], off, s51
	v_mov_b32_e32 v3, v2
	v_mov_b32_e32 v4, v2
	;; [unrolled: 1-line block ×3, first 2 shown]
	v_accvgpr_read_b32 v0, a121
	scratch_store_dwordx4 off, v[2:5], off offset:416
	s_waitcnt vmcnt(1)
	ds_write_b128 v0, v[6:9]
.LBB123_323:
	s_or_b64 exec, exec, s[0:1]
	s_waitcnt lgkmcnt(0)
	; wave barrier
	scratch_load_dwordx4 v[144:147], off, off offset:432
	scratch_load_dwordx4 v[152:155], off, off offset:448
	;; [unrolled: 1-line block ×16, first 2 shown]
	ds_read_b128 v[196:199], v2 offset:1376
	ds_read_b128 v[188:191], v2 offset:1392
	ds_read_b128 v[180:183], v2 offset:1408
	scratch_load_dwordx4 v[48:51], off, off offset:688
	ds_read_b128 v[192:195], v2 offset:1424
	ds_read_b128 v[184:187], v2 offset:1440
	ds_read_b128 v[64:67], v2 offset:1456
	scratch_load_dwordx4 v[52:55], off, off offset:704
	;; [unrolled: 4-line block ×5, first 2 shown]
	ds_read_b128 v[116:119], v2 offset:1616
	ds_read_b128 v[112:115], v2 offset:1632
	scratch_load_dwordx4 v[108:111], off, off offset:768
	scratch_load_dwordx4 v[120:123], off, off offset:784
	;; [unrolled: 1-line block ×12, first 2 shown]
	v_cmp_lt_u32_e32 vcc, 24, v240
	s_waitcnt vmcnt(32) lgkmcnt(14)
	v_mul_f64 v[204:205], v[196:197], v[146:147]
	s_waitcnt vmcnt(31)
	v_mul_f64 v[206:207], v[188:189], v[154:155]
	v_fmac_f64_e32 v[204:205], v[198:199], v[144:145]
	s_waitcnt vmcnt(30)
	v_mul_f64 v[208:209], v[180:181], v[158:159]
	v_fmac_f64_e32 v[206:207], v[190:191], v[152:153]
	v_add_f64 v[204:205], v[204:205], 0
	s_waitcnt vmcnt(29) lgkmcnt(13)
	v_mul_f64 v[210:211], v[192:193], v[162:163]
	v_fmac_f64_e32 v[208:209], v[182:183], v[156:157]
	v_add_f64 v[204:205], v[204:205], v[206:207]
	s_waitcnt vmcnt(28) lgkmcnt(12)
	;; [unrolled: 4-line block ×12, first 2 shown]
	v_mul_f64 v[232:233], v[96:97], v[42:43]
	v_fmac_f64_e32 v[230:231], v[102:103], v[36:37]
	v_add_f64 v[204:205], v[204:205], v[228:229]
	v_fmac_f64_e32 v[232:233], v[98:99], v[40:41]
	v_add_f64 v[204:205], v[204:205], v[230:231]
	s_waitcnt vmcnt(17) lgkmcnt(1)
	v_mul_f64 v[206:207], v[116:117], v[46:47]
	v_add_f64 v[204:205], v[204:205], v[232:233]
	v_fmac_f64_e32 v[206:207], v[118:119], v[44:45]
	s_waitcnt vmcnt(16) lgkmcnt(0)
	v_mul_f64 v[210:211], v[112:113], v[50:51]
	v_add_f64 v[208:209], v[204:205], v[206:207]
	ds_read_b128 v[204:207], v2 offset:1648
	v_fmac_f64_e32 v[210:211], v[114:115], v[48:49]
	v_add_f64 v[212:213], v[208:209], v[210:211]
	ds_read_b128 v[208:211], v2 offset:1664
	v_mul_f64 v[146:147], v[198:199], v[146:147]
	s_waitcnt vmcnt(15) lgkmcnt(1)
	v_mul_f64 v[214:215], v[204:205], v[54:55]
	v_fmac_f64_e32 v[214:215], v[206:207], v[52:53]
	v_add_f64 v[216:217], v[212:213], v[214:215]
	s_waitcnt vmcnt(14) lgkmcnt(0)
	v_mul_f64 v[218:219], v[208:209], v[58:59]
	ds_read_b128 v[212:215], v2 offset:1680
	v_fmac_f64_e32 v[218:219], v[210:211], v[56:57]
	v_add_f64 v[220:221], v[216:217], v[218:219]
	ds_read_b128 v[216:219], v2 offset:1696
	v_mul_f64 v[154:155], v[190:191], v[154:155]
	s_waitcnt vmcnt(13) lgkmcnt(1)
	v_mul_f64 v[222:223], v[212:213], v[62:63]
	v_fmac_f64_e32 v[222:223], v[214:215], v[60:61]
	v_add_f64 v[224:225], v[220:221], v[222:223]
	s_waitcnt vmcnt(12) lgkmcnt(0)
	v_mul_f64 v[226:227], v[216:217], v[94:95]
	ds_read_b128 v[220:223], v2 offset:1712
	v_fmac_f64_e32 v[226:227], v[218:219], v[92:93]
	v_add_f64 v[228:229], v[224:225], v[226:227]
	ds_read_b128 v[224:227], v2 offset:1728
	v_fma_f64 v[248:249], v[188:189], v[152:153], -v[154:155]
	s_waitcnt vmcnt(11) lgkmcnt(1)
	v_mul_f64 v[230:231], v[220:221], v[110:111]
	v_fmac_f64_e32 v[230:231], v[222:223], v[108:109]
	v_add_f64 v[232:233], v[228:229], v[230:231]
	s_waitcnt vmcnt(10) lgkmcnt(0)
	v_mul_f64 v[234:235], v[224:225], v[122:123]
	ds_read_b128 v[228:231], v2 offset:1744
	v_fmac_f64_e32 v[234:235], v[226:227], v[120:121]
	v_add_f64 v[236:237], v[232:233], v[234:235]
	ds_read_b128 v[232:235], v2 offset:1760
	ds_read_b128 v[152:155], v2 offset:1808
	s_waitcnt vmcnt(9) lgkmcnt(2)
	v_mul_f64 v[238:239], v[228:229], v[126:127]
	v_fmac_f64_e32 v[238:239], v[230:231], v[124:125]
	v_add_f64 v[242:243], v[236:237], v[238:239]
	s_waitcnt vmcnt(8) lgkmcnt(1)
	v_mul_f64 v[244:245], v[232:233], v[130:131]
	ds_read_b128 v[236:239], v2 offset:1776
	v_fmac_f64_e32 v[244:245], v[234:235], v[128:129]
	v_add_f64 v[242:243], v[242:243], v[244:245]
	v_fma_f64 v[244:245], v[196:197], v[144:145], -v[146:147]
	ds_read_b128 v[144:147], v2 offset:1792
	s_waitcnt vmcnt(7) lgkmcnt(1)
	v_mul_f64 v[196:197], v[236:237], v[134:135]
	v_fmac_f64_e32 v[196:197], v[238:239], v[132:133]
	v_add_f64 v[188:189], v[242:243], v[196:197]
	v_mul_f64 v[158:159], v[182:183], v[158:159]
	s_waitcnt vmcnt(6) lgkmcnt(0)
	v_mul_f64 v[190:191], v[144:145], v[138:139]
	v_fmac_f64_e32 v[190:191], v[146:147], v[136:137]
	v_add_f64 v[196:197], v[188:189], v[190:191]
	ds_read_b128 v[188:191], v2 offset:1824
	v_fma_f64 v[242:243], v[180:181], v[156:157], -v[158:159]
	ds_read_b128 v[156:159], v2 offset:1840
	s_waitcnt vmcnt(5)
	v_mul_f64 v[198:199], v[152:153], v[142:143]
	v_fmac_f64_e32 v[198:199], v[154:155], v[140:141]
	s_waitcnt vmcnt(4) lgkmcnt(1)
	v_mul_f64 v[180:181], v[188:189], v[150:151]
	v_add_f64 v[196:197], v[196:197], v[198:199]
	v_fmac_f64_e32 v[180:181], v[190:191], v[148:149]
	v_mul_f64 v[162:163], v[194:195], v[162:163]
	v_add_f64 v[198:199], v[196:197], v[180:181]
	v_fma_f64 v[196:197], v[192:193], v[160:161], -v[162:163]
	ds_read_b128 v[160:163], v2 offset:1856
	s_waitcnt vmcnt(3) lgkmcnt(1)
	v_mul_f64 v[192:193], v[156:157], v[166:167]
	ds_read_b128 v[180:183], v2 offset:1872
	v_fmac_f64_e32 v[192:193], v[158:159], v[164:165]
	v_mul_f64 v[170:171], v[186:187], v[170:171]
	v_add_f64 v[192:193], v[198:199], v[192:193]
	v_fma_f64 v[198:199], v[184:185], v[168:169], -v[170:171]
	ds_read_b128 v[168:171], v2 offset:1888
	s_waitcnt vmcnt(2) lgkmcnt(2)
	v_mul_f64 v[184:185], v[160:161], v[174:175]
	v_fmac_f64_e32 v[184:185], v[162:163], v[172:173]
	s_waitcnt vmcnt(1) lgkmcnt(1)
	v_mul_f64 v[186:187], v[180:181], v[178:179]
	v_add_f64 v[184:185], v[192:193], v[184:185]
	v_fmac_f64_e32 v[186:187], v[182:183], v[176:177]
	v_add_f64 v[184:185], v[184:185], v[186:187]
	s_waitcnt vmcnt(0) lgkmcnt(0)
	v_mul_f64 v[186:187], v[168:169], v[202:203]
	v_fmac_f64_e32 v[186:187], v[170:171], v[200:201]
	v_add_f64 v[250:251], v[184:185], v[186:187]
	scratch_load_dwordx4 v[184:187], off, off offset:960
	ds_read_b128 v[192:195], v2 offset:1904
	v_add_f64 v[244:245], v[244:245], 0
	v_add_f64 v[244:245], v[244:245], v[248:249]
	;; [unrolled: 1-line block ×4, first 2 shown]
	v_mul_f64 v[6:7], v[66:67], v[6:7]
	v_add_f64 v[196:197], v[196:197], v[198:199]
	v_fma_f64 v[4:5], v[64:65], v[4:5], -v[6:7]
	v_mul_f64 v[6:7], v[78:79], v[10:11]
	v_add_f64 v[4:5], v[196:197], v[4:5]
	v_fma_f64 v[6:7], v[76:77], v[8:9], -v[6:7]
	v_add_f64 v[4:5], v[4:5], v[6:7]
	v_mul_f64 v[6:7], v[74:75], v[14:15]
	v_fma_f64 v[6:7], v[72:73], v[12:13], -v[6:7]
	v_add_f64 v[4:5], v[4:5], v[6:7]
	v_mul_f64 v[6:7], v[70:71], v[18:19]
	;; [unrolled: 3-line block ×23, first 2 shown]
	s_waitcnt vmcnt(0) lgkmcnt(0)
	v_mul_f64 v[2:3], v[192:193], v[186:187]
	v_fmac_f64_e32 v[2:3], v[194:195], v[184:185]
	v_add_f64 v[2:3], v[250:251], v[2:3]
	scratch_load_dwordx4 v[250:253], off, off offset:416
	v_fma_f64 v[6:7], v[156:157], v[164:165], -v[6:7]
	v_add_f64 v[4:5], v[4:5], v[6:7]
	v_mul_f64 v[6:7], v[162:163], v[174:175]
	v_fma_f64 v[6:7], v[160:161], v[172:173], -v[6:7]
	v_add_f64 v[4:5], v[4:5], v[6:7]
	v_mul_f64 v[6:7], v[182:183], v[178:179]
	;; [unrolled: 3-line block ×4, first 2 shown]
	v_fma_f64 v[6:7], v[192:193], v[184:185], -v[6:7]
	v_add_f64 v[4:5], v[4:5], v[6:7]
	s_waitcnt vmcnt(0)
	v_add_f64 v[4:5], v[250:251], -v[4:5]
	v_add_f64 v[6:7], v[252:253], -v[2:3]
	scratch_store_dwordx4 off, v[4:7], off offset:416
	s_and_saveexec_b64 s[0:1], vcc
	s_cbranch_execz .LBB123_325
; %bb.324:
	scratch_load_dwordx4 v[2:5], off, s52
	v_mov_b32_e32 v6, 0
	v_mov_b32_e32 v7, v6
	;; [unrolled: 1-line block ×4, first 2 shown]
	v_accvgpr_read_b32 v0, a121
	scratch_store_dwordx4 off, v[6:9], off offset:400
	s_waitcnt vmcnt(1)
	ds_write_b128 v0, v[2:5]
.LBB123_325:
	s_or_b64 exec, exec, s[0:1]
	s_waitcnt lgkmcnt(0)
	; wave barrier
	scratch_load_dwordx4 v[184:187], off, off offset:416
	scratch_load_dwordx4 v[188:191], off, off offset:432
	;; [unrolled: 1-line block ×32, first 2 shown]
	v_mov_b32_e32 v2, 0
	ds_read_b128 v[192:195], v2 offset:1360
	ds_read_b128 v[204:207], v2 offset:1376
	ds_read_b128 v[216:219], v2 offset:1392
	ds_read_b128 v[224:227], v2 offset:1408
	ds_read_b128 v[228:231], v2 offset:1424
	ds_read_b128 v[248:251], v2 offset:1440
	ds_read_b128 v[252:255], v2 offset:1456
	ds_read_b128 v[148:151], v2 offset:1472
	ds_read_b128 v[144:147], v2 offset:1488
	ds_read_b128 v[140:143], v2 offset:1504
	ds_read_b128 v[136:139], v2 offset:1520
	ds_read_b128 v[132:135], v2 offset:1536
	ds_read_b128 v[124:127], v2 offset:1552
	ds_read_b128 v[120:123], v2 offset:1568
	ds_read_b128 v[116:119], v2 offset:1584
	ds_read_b128 v[108:111], v2 offset:1600
	v_cmp_lt_u32_e32 vcc, 23, v240
	s_waitcnt vmcnt(31) lgkmcnt(14)
	v_mul_f64 v[104:105], v[192:193], v[186:187]
	s_waitcnt vmcnt(30)
	v_mul_f64 v[106:107], v[204:205], v[190:191]
	v_fmac_f64_e32 v[104:105], v[194:195], v[184:185]
	s_waitcnt vmcnt(29) lgkmcnt(13)
	v_mul_f64 v[112:113], v[216:217], v[198:199]
	v_fmac_f64_e32 v[106:107], v[206:207], v[188:189]
	v_add_f64 v[104:105], v[104:105], 0
	s_waitcnt vmcnt(28) lgkmcnt(12)
	v_mul_f64 v[114:115], v[224:225], v[202:203]
	v_fmac_f64_e32 v[112:113], v[218:219], v[196:197]
	v_add_f64 v[104:105], v[104:105], v[106:107]
	;; [unrolled: 4-line block ×10, first 2 shown]
	ds_read_b128 v[152:155], v2 offset:1616
	ds_read_b128 v[156:159], v2 offset:1632
	s_waitcnt vmcnt(19) lgkmcnt(5)
	v_mul_f64 v[164:165], v[124:125], v[26:27]
	v_fmac_f64_e32 v[162:163], v[134:135], v[20:21]
	v_add_f64 v[104:105], v[104:105], v[160:161]
	s_waitcnt vmcnt(18) lgkmcnt(4)
	v_mul_f64 v[166:167], v[120:121], v[30:31]
	v_fmac_f64_e32 v[164:165], v[126:127], v[24:25]
	v_add_f64 v[104:105], v[104:105], v[162:163]
	s_waitcnt vmcnt(17) lgkmcnt(3)
	v_mul_f64 v[168:169], v[116:117], v[34:35]
	v_fmac_f64_e32 v[166:167], v[122:123], v[28:29]
	v_add_f64 v[104:105], v[104:105], v[164:165]
	s_waitcnt vmcnt(16) lgkmcnt(2)
	v_mul_f64 v[170:171], v[108:109], v[38:39]
	v_fmac_f64_e32 v[168:169], v[118:119], v[32:33]
	v_add_f64 v[104:105], v[104:105], v[166:167]
	v_add_f64 v[112:113], v[104:105], v[168:169]
	v_fmac_f64_e32 v[170:171], v[110:111], v[36:37]
	scratch_load_dwordx4 v[104:107], off, off offset:928
	s_waitcnt vmcnt(16) lgkmcnt(1)
	v_mul_f64 v[114:115], v[152:153], v[42:43]
	v_add_f64 v[112:113], v[112:113], v[170:171]
	v_fmac_f64_e32 v[114:115], v[154:155], v[40:41]
	v_add_f64 v[128:129], v[112:113], v[114:115]
	scratch_load_dwordx4 v[112:115], off, off offset:944
	s_waitcnt vmcnt(16) lgkmcnt(0)
	v_mul_f64 v[130:131], v[156:157], v[46:47]
	v_fmac_f64_e32 v[130:131], v[158:159], v[44:45]
	v_add_f64 v[168:169], v[128:129], v[130:131]
	scratch_load_dwordx4 v[128:131], off, off offset:960
	ds_read_b128 v[160:163], v2 offset:1648
	ds_read_b128 v[164:167], v2 offset:1664
	v_mul_f64 v[186:187], v[194:195], v[186:187]
	v_fma_f64 v[242:243], v[192:193], v[184:185], -v[186:187]
	ds_read_b128 v[184:187], v2 offset:1744
	s_waitcnt vmcnt(16) lgkmcnt(2)
	v_mul_f64 v[170:171], v[160:161], v[50:51]
	v_fmac_f64_e32 v[170:171], v[162:163], v[48:49]
	s_waitcnt vmcnt(15) lgkmcnt(1)
	v_mul_f64 v[174:175], v[164:165], v[54:55]
	v_add_f64 v[172:173], v[168:169], v[170:171]
	ds_read_b128 v[168:171], v2 offset:1680
	v_fmac_f64_e32 v[174:175], v[166:167], v[52:53]
	v_add_f64 v[176:177], v[172:173], v[174:175]
	ds_read_b128 v[172:175], v2 offset:1696
	v_mul_f64 v[190:191], v[206:207], v[190:191]
	s_waitcnt vmcnt(14) lgkmcnt(1)
	v_mul_f64 v[178:179], v[168:169], v[58:59]
	v_fmac_f64_e32 v[178:179], v[170:171], v[56:57]
	v_add_f64 v[180:181], v[176:177], v[178:179]
	s_waitcnt vmcnt(13) lgkmcnt(0)
	v_mul_f64 v[182:183], v[172:173], v[62:63]
	ds_read_b128 v[176:179], v2 offset:1712
	v_fmac_f64_e32 v[182:183], v[174:175], v[60:61]
	v_add_f64 v[232:233], v[180:181], v[182:183]
	ds_read_b128 v[180:183], v2 offset:1728
	v_fma_f64 v[244:245], v[204:205], v[188:189], -v[190:191]
	s_waitcnt vmcnt(12) lgkmcnt(1)
	v_mul_f64 v[234:235], v[176:177], v[66:67]
	v_fmac_f64_e32 v[234:235], v[178:179], v[64:65]
	v_add_f64 v[232:233], v[232:233], v[234:235]
	s_waitcnt vmcnt(11) lgkmcnt(0)
	v_mul_f64 v[192:193], v[180:181], v[70:71]
	v_fmac_f64_e32 v[192:193], v[182:183], v[68:69]
	ds_read_b128 v[188:191], v2 offset:1760
	s_waitcnt vmcnt(10)
	v_mul_f64 v[194:195], v[184:185], v[74:75]
	v_add_f64 v[192:193], v[232:233], v[192:193]
	v_fmac_f64_e32 v[194:195], v[186:187], v[72:73]
	v_add_f64 v[204:205], v[192:193], v[194:195]
	ds_read_b128 v[192:195], v2 offset:1776
	v_mul_f64 v[198:199], v[218:219], v[198:199]
	v_fma_f64 v[246:247], v[216:217], v[196:197], -v[198:199]
	ds_read_b128 v[196:199], v2 offset:1792
	s_waitcnt vmcnt(9) lgkmcnt(2)
	v_mul_f64 v[206:207], v[188:189], v[78:79]
	v_fmac_f64_e32 v[206:207], v[190:191], v[76:77]
	v_add_f64 v[204:205], v[204:205], v[206:207]
	s_waitcnt vmcnt(8) lgkmcnt(1)
	v_mul_f64 v[206:207], v[192:193], v[82:83]
	v_fmac_f64_e32 v[206:207], v[194:195], v[80:81]
	v_mul_f64 v[202:203], v[226:227], v[202:203]
	v_add_f64 v[204:205], v[204:205], v[206:207]
	v_fma_f64 v[234:235], v[224:225], v[200:201], -v[202:203]
	ds_read_b128 v[200:203], v2 offset:1808
	s_waitcnt vmcnt(7) lgkmcnt(1)
	v_mul_f64 v[206:207], v[196:197], v[86:87]
	v_fmac_f64_e32 v[206:207], v[198:199], v[84:85]
	v_add_f64 v[216:217], v[204:205], v[206:207]
	ds_read_b128 v[204:207], v2 offset:1824
	v_mul_f64 v[210:211], v[230:231], v[210:211]
	v_fma_f64 v[236:237], v[228:229], v[208:209], -v[210:211]
	ds_read_b128 v[208:211], v2 offset:1840
	s_waitcnt vmcnt(6) lgkmcnt(2)
	v_mul_f64 v[218:219], v[200:201], v[90:91]
	v_fmac_f64_e32 v[218:219], v[202:203], v[88:89]
	v_add_f64 v[216:217], v[216:217], v[218:219]
	s_waitcnt vmcnt(5) lgkmcnt(1)
	v_mul_f64 v[218:219], v[204:205], v[94:95]
	v_fmac_f64_e32 v[218:219], v[206:207], v[92:93]
	v_mul_f64 v[214:215], v[250:251], v[214:215]
	v_fma_f64 v[238:239], v[248:249], v[212:213], -v[214:215]
	ds_read_b128 v[212:215], v2 offset:1856
	v_add_f64 v[216:217], v[216:217], v[218:219]
	s_waitcnt vmcnt(4) lgkmcnt(1)
	v_mul_f64 v[218:219], v[208:209], v[102:103]
	v_fmac_f64_e32 v[218:219], v[210:211], v[100:101]
	v_add_f64 v[224:225], v[216:217], v[218:219]
	ds_read_b128 v[216:219], v2 offset:1872
	v_mul_f64 v[222:223], v[254:255], v[222:223]
	v_fma_f64 v[248:249], v[252:253], v[220:221], -v[222:223]
	ds_read_b128 v[220:223], v2 offset:1888
	s_waitcnt vmcnt(3) lgkmcnt(2)
	v_mul_f64 v[226:227], v[212:213], v[98:99]
	v_fmac_f64_e32 v[226:227], v[214:215], v[96:97]
	v_add_f64 v[224:225], v[224:225], v[226:227]
	s_waitcnt vmcnt(2) lgkmcnt(1)
	v_mul_f64 v[226:227], v[216:217], v[106:107]
	v_fmac_f64_e32 v[226:227], v[218:219], v[104:105]
	v_add_f64 v[224:225], v[224:225], v[226:227]
	;; [unrolled: 4-line block ×3, first 2 shown]
	ds_read_b128 v[224:227], v2 offset:1904
	v_mul_f64 v[6:7], v[150:151], v[6:7]
	v_fma_f64 v[4:5], v[148:149], v[4:5], -v[6:7]
	v_mul_f64 v[6:7], v[146:147], v[10:11]
	v_fma_f64 v[6:7], v[144:145], v[8:9], -v[6:7]
	s_waitcnt vmcnt(0) lgkmcnt(0)
	v_mul_f64 v[230:231], v[224:225], v[130:131]
	v_fmac_f64_e32 v[230:231], v[226:227], v[128:129]
	v_add_f64 v[232:233], v[228:229], v[230:231]
	v_add_f64 v[228:229], v[242:243], 0
	;; [unrolled: 1-line block ×4, first 2 shown]
	scratch_load_dwordx4 v[228:231], off, off offset:400
	v_add_f64 v[234:235], v[250:251], v[234:235]
	v_add_f64 v[234:235], v[234:235], v[236:237]
	;; [unrolled: 1-line block ×6, first 2 shown]
	v_mul_f64 v[6:7], v[142:143], v[14:15]
	v_fma_f64 v[6:7], v[140:141], v[12:13], -v[6:7]
	v_add_f64 v[4:5], v[4:5], v[6:7]
	v_mul_f64 v[6:7], v[138:139], v[18:19]
	v_fma_f64 v[6:7], v[136:137], v[16:17], -v[6:7]
	v_add_f64 v[4:5], v[4:5], v[6:7]
	v_mul_f64 v[6:7], v[134:135], v[22:23]
	v_fma_f64 v[6:7], v[132:133], v[20:21], -v[6:7]
	v_add_f64 v[4:5], v[4:5], v[6:7]
	v_mul_f64 v[6:7], v[126:127], v[26:27]
	v_fma_f64 v[6:7], v[124:125], v[24:25], -v[6:7]
	v_add_f64 v[4:5], v[4:5], v[6:7]
	v_mul_f64 v[6:7], v[122:123], v[30:31]
	v_fma_f64 v[6:7], v[120:121], v[28:29], -v[6:7]
	v_add_f64 v[4:5], v[4:5], v[6:7]
	v_mul_f64 v[6:7], v[118:119], v[34:35]
	v_fma_f64 v[6:7], v[116:117], v[32:33], -v[6:7]
	v_add_f64 v[4:5], v[4:5], v[6:7]
	v_mul_f64 v[6:7], v[110:111], v[38:39]
	v_fma_f64 v[6:7], v[108:109], v[36:37], -v[6:7]
	v_add_f64 v[4:5], v[4:5], v[6:7]
	v_mul_f64 v[6:7], v[154:155], v[42:43]
	v_fma_f64 v[6:7], v[152:153], v[40:41], -v[6:7]
	v_add_f64 v[4:5], v[4:5], v[6:7]
	v_mul_f64 v[6:7], v[158:159], v[46:47]
	v_fma_f64 v[6:7], v[156:157], v[44:45], -v[6:7]
	v_add_f64 v[4:5], v[4:5], v[6:7]
	v_mul_f64 v[6:7], v[162:163], v[50:51]
	v_fma_f64 v[6:7], v[160:161], v[48:49], -v[6:7]
	v_add_f64 v[4:5], v[4:5], v[6:7]
	v_mul_f64 v[6:7], v[166:167], v[54:55]
	v_fma_f64 v[6:7], v[164:165], v[52:53], -v[6:7]
	v_add_f64 v[4:5], v[4:5], v[6:7]
	v_mul_f64 v[6:7], v[170:171], v[58:59]
	v_fma_f64 v[6:7], v[168:169], v[56:57], -v[6:7]
	v_add_f64 v[4:5], v[4:5], v[6:7]
	v_mul_f64 v[6:7], v[174:175], v[62:63]
	v_fma_f64 v[6:7], v[172:173], v[60:61], -v[6:7]
	v_add_f64 v[4:5], v[4:5], v[6:7]
	v_mul_f64 v[6:7], v[178:179], v[66:67]
	v_fma_f64 v[6:7], v[176:177], v[64:65], -v[6:7]
	v_add_f64 v[4:5], v[4:5], v[6:7]
	v_mul_f64 v[6:7], v[182:183], v[70:71]
	v_fma_f64 v[6:7], v[180:181], v[68:69], -v[6:7]
	v_add_f64 v[4:5], v[4:5], v[6:7]
	v_mul_f64 v[6:7], v[186:187], v[74:75]
	v_fma_f64 v[6:7], v[184:185], v[72:73], -v[6:7]
	v_add_f64 v[4:5], v[4:5], v[6:7]
	v_mul_f64 v[6:7], v[190:191], v[78:79]
	v_fma_f64 v[6:7], v[188:189], v[76:77], -v[6:7]
	v_add_f64 v[4:5], v[4:5], v[6:7]
	v_mul_f64 v[6:7], v[194:195], v[82:83]
	v_fma_f64 v[6:7], v[192:193], v[80:81], -v[6:7]
	v_add_f64 v[4:5], v[4:5], v[6:7]
	v_mul_f64 v[6:7], v[198:199], v[86:87]
	v_fma_f64 v[6:7], v[196:197], v[84:85], -v[6:7]
	v_add_f64 v[4:5], v[4:5], v[6:7]
	v_mul_f64 v[6:7], v[202:203], v[90:91]
	v_fma_f64 v[6:7], v[200:201], v[88:89], -v[6:7]
	v_add_f64 v[4:5], v[4:5], v[6:7]
	v_mul_f64 v[6:7], v[206:207], v[94:95]
	v_fma_f64 v[6:7], v[204:205], v[92:93], -v[6:7]
	v_add_f64 v[4:5], v[4:5], v[6:7]
	v_mul_f64 v[6:7], v[210:211], v[102:103]
	v_fma_f64 v[6:7], v[208:209], v[100:101], -v[6:7]
	v_add_f64 v[4:5], v[4:5], v[6:7]
	v_mul_f64 v[6:7], v[214:215], v[98:99]
	v_fma_f64 v[6:7], v[212:213], v[96:97], -v[6:7]
	v_add_f64 v[4:5], v[4:5], v[6:7]
	v_mul_f64 v[6:7], v[218:219], v[106:107]
	v_fma_f64 v[6:7], v[216:217], v[104:105], -v[6:7]
	v_add_f64 v[4:5], v[4:5], v[6:7]
	v_mul_f64 v[6:7], v[222:223], v[114:115]
	v_fma_f64 v[6:7], v[220:221], v[112:113], -v[6:7]
	v_add_f64 v[4:5], v[4:5], v[6:7]
	v_mul_f64 v[6:7], v[226:227], v[130:131]
	v_fma_f64 v[6:7], v[224:225], v[128:129], -v[6:7]
	v_add_f64 v[4:5], v[4:5], v[6:7]
	s_waitcnt vmcnt(0)
	v_add_f64 v[4:5], v[228:229], -v[4:5]
	v_add_f64 v[6:7], v[230:231], -v[232:233]
	scratch_store_dwordx4 off, v[4:7], off offset:400
	s_and_saveexec_b64 s[0:1], vcc
	s_cbranch_execz .LBB123_327
; %bb.326:
	scratch_load_dwordx4 v[6:9], off, s53
	v_mov_b32_e32 v3, v2
	v_mov_b32_e32 v4, v2
	;; [unrolled: 1-line block ×3, first 2 shown]
	v_accvgpr_read_b32 v0, a121
	scratch_store_dwordx4 off, v[2:5], off offset:384
	s_waitcnt vmcnt(1)
	ds_write_b128 v0, v[6:9]
.LBB123_327:
	s_or_b64 exec, exec, s[0:1]
	s_waitcnt lgkmcnt(0)
	; wave barrier
	scratch_load_dwordx4 v[140:143], off, off offset:400
	scratch_load_dwordx4 v[144:147], off, off offset:416
	;; [unrolled: 1-line block ×16, first 2 shown]
	ds_read_b128 v[208:211], v2 offset:1344
	ds_read_b128 v[200:203], v2 offset:1360
	;; [unrolled: 1-line block ×3, first 2 shown]
	scratch_load_dwordx4 v[40:43], off, off offset:656
	ds_read_b128 v[204:207], v2 offset:1392
	ds_read_b128 v[192:195], v2 offset:1408
	;; [unrolled: 1-line block ×3, first 2 shown]
	scratch_load_dwordx4 v[44:47], off, off offset:672
	ds_read_b128 v[196:199], v2 offset:1440
	ds_read_b128 v[64:67], v2 offset:1456
	;; [unrolled: 1-line block ×4, first 2 shown]
	scratch_load_dwordx4 v[48:51], off, off offset:688
	ds_read_b128 v[72:75], v2 offset:1504
	ds_read_b128 v[68:71], v2 offset:1520
	scratch_load_dwordx4 v[56:59], off, off offset:704
	ds_read_b128 v[92:95], v2 offset:1536
	ds_read_b128 v[88:91], v2 offset:1552
	;; [unrolled: 1-line block ×4, first 2 shown]
	scratch_load_dwordx4 v[76:79], off, off offset:720
	scratch_load_dwordx4 v[96:99], off, off offset:736
	;; [unrolled: 1-line block ×12, first 2 shown]
	ds_read_b128 v[168:171], v2 offset:1600
	v_accvgpr_write_b32 a120, v240
	v_cmp_lt_u32_e32 vcc, 22, v240
	s_waitcnt vmcnt(31) lgkmcnt(14)
	v_mul_f64 v[172:173], v[208:209], v[142:143]
	s_waitcnt vmcnt(30)
	v_mul_f64 v[174:175], v[200:201], v[146:147]
	v_fmac_f64_e32 v[172:173], v[210:211], v[140:141]
	s_waitcnt vmcnt(29)
	v_mul_f64 v[176:177], v[188:189], v[150:151]
	v_fmac_f64_e32 v[174:175], v[202:203], v[144:145]
	v_add_f64 v[172:173], v[172:173], 0
	s_waitcnt vmcnt(28) lgkmcnt(13)
	v_mul_f64 v[178:179], v[204:205], v[154:155]
	v_fmac_f64_e32 v[176:177], v[190:191], v[148:149]
	v_add_f64 v[172:173], v[172:173], v[174:175]
	s_waitcnt vmcnt(27) lgkmcnt(12)
	;; [unrolled: 4-line block ×10, first 2 shown]
	v_mul_f64 v[224:225], v[92:93], v[26:27]
	v_fmac_f64_e32 v[222:223], v[70:71], v[20:21]
	v_add_f64 v[172:173], v[172:173], v[220:221]
	ds_read_b128 v[212:215], v2 offset:1616
	s_waitcnt vmcnt(18) lgkmcnt(4)
	v_mul_f64 v[226:227], v[88:89], v[30:31]
	v_fmac_f64_e32 v[224:225], v[94:95], v[24:25]
	v_add_f64 v[172:173], v[172:173], v[222:223]
	ds_read_b128 v[216:219], v2 offset:1632
	ds_read_b128 v[220:223], v2 offset:1648
	s_waitcnt vmcnt(17) lgkmcnt(5)
	v_mul_f64 v[228:229], v[84:85], v[34:35]
	v_fmac_f64_e32 v[226:227], v[90:91], v[28:29]
	v_add_f64 v[172:173], v[172:173], v[224:225]
	s_waitcnt vmcnt(16) lgkmcnt(4)
	v_mul_f64 v[230:231], v[80:81], v[38:39]
	v_fmac_f64_e32 v[228:229], v[86:87], v[32:33]
	v_add_f64 v[172:173], v[172:173], v[226:227]
	v_add_f64 v[176:177], v[172:173], v[228:229]
	v_fmac_f64_e32 v[230:231], v[82:83], v[36:37]
	s_waitcnt vmcnt(15) lgkmcnt(3)
	v_mul_f64 v[178:179], v[168:169], v[42:43]
	v_add_f64 v[176:177], v[176:177], v[230:231]
	v_fmac_f64_e32 v[178:179], v[170:171], v[40:41]
	s_waitcnt vmcnt(14) lgkmcnt(2)
	v_mul_f64 v[182:183], v[212:213], v[46:47]
	;; [unrolled: 4-line block ×3, first 2 shown]
	v_add_f64 v[224:225], v[180:181], v[182:183]
	v_fmac_f64_e32 v[226:227], v[218:219], v[48:49]
	v_add_f64 v[228:229], v[224:225], v[226:227]
	ds_read_b128 v[224:227], v2 offset:1664
	s_waitcnt vmcnt(12) lgkmcnt(1)
	v_mul_f64 v[230:231], v[220:221], v[58:59]
	v_fmac_f64_e32 v[230:231], v[222:223], v[56:57]
	v_add_f64 v[232:233], v[228:229], v[230:231]
	ds_read_b128 v[228:231], v2 offset:1680
	s_waitcnt vmcnt(11) lgkmcnt(1)
	v_mul_f64 v[234:235], v[224:225], v[78:79]
	;; [unrolled: 5-line block ×4, first 2 shown]
	v_fmac_f64_e32 v[244:245], v[234:235], v[100:101]
	v_mul_f64 v[142:143], v[210:211], v[142:143]
	v_add_f64 v[242:243], v[242:243], v[244:245]
	v_fma_f64 v[244:245], v[208:209], v[140:141], -v[142:143]
	ds_read_b128 v[140:143], v2 offset:1728
	s_waitcnt vmcnt(8) lgkmcnt(1)
	v_mul_f64 v[208:209], v[236:237], v[106:107]
	v_fmac_f64_e32 v[208:209], v[238:239], v[104:105]
	v_mul_f64 v[146:147], v[202:203], v[146:147]
	v_add_f64 v[208:209], v[242:243], v[208:209]
	v_fma_f64 v[242:243], v[200:201], v[144:145], -v[146:147]
	ds_read_b128 v[144:147], v2 offset:1744
	s_waitcnt vmcnt(7) lgkmcnt(1)
	v_mul_f64 v[200:201], v[140:141], v[110:111]
	scratch_load_dwordx4 v[172:175], off, off offset:912
	scratch_load_dwordx4 v[176:179], off, off offset:928
	v_fmac_f64_e32 v[200:201], v[142:143], v[108:109]
	v_add_f64 v[208:209], v[208:209], v[200:201]
	ds_read_b128 v[200:203], v2 offset:1760
	v_mul_f64 v[150:151], v[190:191], v[150:151]
	v_fma_f64 v[246:247], v[188:189], v[148:149], -v[150:151]
	ds_read_b128 v[148:151], v2 offset:1776
	s_waitcnt vmcnt(8) lgkmcnt(2)
	v_mul_f64 v[210:211], v[144:145], v[114:115]
	v_fmac_f64_e32 v[210:211], v[146:147], v[112:113]
	s_waitcnt vmcnt(7) lgkmcnt(1)
	v_mul_f64 v[188:189], v[200:201], v[118:119]
	v_add_f64 v[208:209], v[208:209], v[210:211]
	v_fmac_f64_e32 v[188:189], v[202:203], v[116:117]
	v_mul_f64 v[154:155], v[206:207], v[154:155]
	s_waitcnt vmcnt(6) lgkmcnt(0)
	v_mul_f64 v[190:191], v[148:149], v[122:123]
	v_add_f64 v[188:189], v[208:209], v[188:189]
	v_fma_f64 v[248:249], v[204:205], v[152:153], -v[154:155]
	ds_read_b128 v[152:155], v2 offset:1792
	v_fmac_f64_e32 v[190:191], v[150:151], v[120:121]
	scratch_load_dwordx4 v[180:183], off, off offset:944
	v_add_f64 v[204:205], v[188:189], v[190:191]
	ds_read_b128 v[188:191], v2 offset:1808
	s_waitcnt vmcnt(6) lgkmcnt(1)
	v_mul_f64 v[206:207], v[152:153], v[126:127]
	v_mul_f64 v[158:159], v[194:195], v[158:159]
	v_fmac_f64_e32 v[206:207], v[154:155], v[124:125]
	v_fma_f64 v[250:251], v[192:193], v[156:157], -v[158:159]
	s_waitcnt vmcnt(5) lgkmcnt(0)
	v_mul_f64 v[192:193], v[188:189], v[130:131]
	v_add_f64 v[204:205], v[204:205], v[206:207]
	v_fmac_f64_e32 v[192:193], v[190:191], v[128:129]
	v_mul_f64 v[162:163], v[186:187], v[162:163]
	v_fma_f64 v[208:209], v[184:185], v[160:161], -v[162:163]
	v_add_f64 v[184:185], v[204:205], v[192:193]
	scratch_load_dwordx4 v[204:207], off, off offset:960
	ds_read_b128 v[156:159], v2 offset:1824
	ds_read_b128 v[160:163], v2 offset:1840
	v_mul_f64 v[166:167], v[198:199], v[166:167]
	v_fma_f64 v[210:211], v[196:197], v[164:165], -v[166:167]
	ds_read_b128 v[164:167], v2 offset:1872
	s_waitcnt vmcnt(5) lgkmcnt(2)
	v_mul_f64 v[186:187], v[156:157], v[138:139]
	v_fmac_f64_e32 v[186:187], v[158:159], v[136:137]
	v_add_f64 v[192:193], v[184:185], v[186:187]
	ds_read_b128 v[184:187], v2 offset:1856
	s_waitcnt vmcnt(4) lgkmcnt(2)
	v_mul_f64 v[194:195], v[160:161], v[134:135]
	v_fmac_f64_e32 v[194:195], v[162:163], v[132:133]
	v_add_f64 v[192:193], v[192:193], v[194:195]
	v_add_f64 v[244:245], v[244:245], 0
	v_add_f64 v[242:243], v[244:245], v[242:243]
	v_add_f64 v[242:243], v[242:243], v[246:247]
	v_add_f64 v[242:243], v[242:243], v[248:249]
	v_add_f64 v[248:249], v[242:243], v[250:251]
	v_add_f64 v[208:209], v[248:249], v[208:209]
	v_mul_f64 v[6:7], v[66:67], v[6:7]
	v_add_f64 v[208:209], v[208:209], v[210:211]
	v_fma_f64 v[4:5], v[64:65], v[4:5], -v[6:7]
	v_mul_f64 v[6:7], v[62:63], v[10:11]
	v_add_f64 v[4:5], v[208:209], v[4:5]
	v_fma_f64 v[6:7], v[60:61], v[8:9], -v[6:7]
	v_add_f64 v[4:5], v[4:5], v[6:7]
	v_mul_f64 v[6:7], v[54:55], v[14:15]
	v_fma_f64 v[6:7], v[52:53], v[12:13], -v[6:7]
	v_add_f64 v[4:5], v[4:5], v[6:7]
	v_mul_f64 v[6:7], v[74:75], v[18:19]
	;; [unrolled: 3-line block ×8, first 2 shown]
	s_waitcnt vmcnt(3) lgkmcnt(0)
	v_mul_f64 v[194:195], v[184:185], v[174:175]
	v_fmac_f64_e32 v[194:195], v[186:187], v[172:173]
	v_add_f64 v[192:193], v[192:193], v[194:195]
	s_waitcnt vmcnt(2)
	v_mul_f64 v[194:195], v[164:165], v[178:179]
	v_fmac_f64_e32 v[194:195], v[166:167], v[176:177]
	v_add_f64 v[196:197], v[192:193], v[194:195]
	ds_read_b128 v[192:195], v2 offset:1888
	v_fma_f64 v[6:7], v[168:169], v[40:41], -v[6:7]
	v_add_f64 v[4:5], v[4:5], v[6:7]
	v_mul_f64 v[6:7], v[214:215], v[46:47]
	v_fma_f64 v[6:7], v[212:213], v[44:45], -v[6:7]
	v_add_f64 v[4:5], v[4:5], v[6:7]
	v_mul_f64 v[6:7], v[218:219], v[50:51]
	v_fma_f64 v[6:7], v[216:217], v[48:49], -v[6:7]
	v_add_f64 v[4:5], v[4:5], v[6:7]
	v_mul_f64 v[6:7], v[222:223], v[58:59]
	v_fma_f64 v[6:7], v[220:221], v[56:57], -v[6:7]
	v_add_f64 v[4:5], v[4:5], v[6:7]
	v_mul_f64 v[6:7], v[226:227], v[78:79]
	s_waitcnt vmcnt(1) lgkmcnt(0)
	v_mul_f64 v[198:199], v[192:193], v[182:183]
	v_fmac_f64_e32 v[198:199], v[194:195], v[180:181]
	v_add_f64 v[252:253], v[196:197], v[198:199]
	ds_read_b128 v[196:199], v2 offset:1904
	v_fma_f64 v[6:7], v[224:225], v[76:77], -v[6:7]
	v_add_f64 v[4:5], v[4:5], v[6:7]
	v_mul_f64 v[6:7], v[230:231], v[98:99]
	v_fma_f64 v[6:7], v[228:229], v[96:97], -v[6:7]
	v_add_f64 v[4:5], v[4:5], v[6:7]
	v_mul_f64 v[6:7], v[234:235], v[102:103]
	;; [unrolled: 3-line block ×3, first 2 shown]
	s_waitcnt vmcnt(0) lgkmcnt(0)
	v_mul_f64 v[2:3], v[196:197], v[206:207]
	v_fmac_f64_e32 v[2:3], v[198:199], v[204:205]
	v_add_f64 v[2:3], v[252:253], v[2:3]
	scratch_load_dwordx4 v[250:253], off, off offset:384
	v_fma_f64 v[6:7], v[236:237], v[104:105], -v[6:7]
	v_add_f64 v[4:5], v[4:5], v[6:7]
	v_mul_f64 v[6:7], v[142:143], v[110:111]
	v_fma_f64 v[6:7], v[140:141], v[108:109], -v[6:7]
	v_add_f64 v[4:5], v[4:5], v[6:7]
	v_mul_f64 v[6:7], v[146:147], v[114:115]
	;; [unrolled: 3-line block ×12, first 2 shown]
	v_fma_f64 v[6:7], v[196:197], v[204:205], -v[6:7]
	v_add_f64 v[4:5], v[4:5], v[6:7]
	s_waitcnt vmcnt(0)
	v_add_f64 v[4:5], v[250:251], -v[4:5]
	v_add_f64 v[6:7], v[252:253], -v[2:3]
	scratch_store_dwordx4 off, v[4:7], off offset:384
	s_and_saveexec_b64 s[0:1], vcc
	s_cbranch_execz .LBB123_329
; %bb.328:
	scratch_load_dwordx4 v[2:5], off, s54
	v_mov_b32_e32 v6, 0
	v_mov_b32_e32 v7, v6
	;; [unrolled: 1-line block ×4, first 2 shown]
	v_accvgpr_read_b32 v0, a121
	scratch_store_dwordx4 off, v[6:9], off offset:368
	s_waitcnt vmcnt(1)
	ds_write_b128 v0, v[2:5]
.LBB123_329:
	s_or_b64 exec, exec, s[0:1]
	s_waitcnt lgkmcnt(0)
	; wave barrier
	scratch_load_dwordx4 v[168:171], off, off offset:384
	scratch_load_dwordx4 v[172:175], off, off offset:400
	;; [unrolled: 1-line block ×32, first 2 shown]
	v_mov_b32_e32 v2, 0
	ds_read_b128 v[176:179], v2 offset:1328
	ds_read_b128 v[188:191], v2 offset:1344
	ds_read_b128 v[200:203], v2 offset:1360
	ds_read_b128 v[212:215], v2 offset:1376
	ds_read_b128 v[220:223], v2 offset:1392
	ds_read_b128 v[224:227], v2 offset:1408
	ds_read_b128 v[228:231], v2 offset:1424
	ds_read_b128 v[248:251], v2 offset:1440
	ds_read_b128 v[252:255], v2 offset:1456
	ds_read_b128 v[140:143], v2 offset:1472
	ds_read_b128 v[136:139], v2 offset:1488
	ds_read_b128 v[128:131], v2 offset:1504
	ds_read_b128 v[124:127], v2 offset:1520
	ds_read_b128 v[116:119], v2 offset:1536
	ds_read_b128 v[112:115], v2 offset:1552
	ds_read_b128 v[100:103], v2 offset:1568
	ds_read_b128 v[96:99], v2 offset:1584
	v_accvgpr_read_b32 v0, a120
	v_cmp_lt_u32_e32 vcc, 21, v0
	s_waitcnt vmcnt(31) lgkmcnt(14)
	v_mul_f64 v[104:105], v[176:177], v[170:171]
	s_waitcnt vmcnt(30)
	v_mul_f64 v[106:107], v[188:189], v[174:175]
	v_fmac_f64_e32 v[104:105], v[178:179], v[168:169]
	s_waitcnt vmcnt(29)
	v_mul_f64 v[108:109], v[200:201], v[182:183]
	v_fmac_f64_e32 v[106:107], v[190:191], v[172:173]
	v_add_f64 v[104:105], v[104:105], 0
	s_waitcnt vmcnt(28) lgkmcnt(13)
	v_mul_f64 v[110:111], v[212:213], v[186:187]
	v_fmac_f64_e32 v[108:109], v[202:203], v[180:181]
	v_add_f64 v[104:105], v[104:105], v[106:107]
	s_waitcnt vmcnt(27) lgkmcnt(12)
	;; [unrolled: 4-line block ×12, first 2 shown]
	v_mul_f64 v[156:157], v[112:113], v[26:27]
	v_fmac_f64_e32 v[154:155], v[118:119], v[20:21]
	v_add_f64 v[104:105], v[104:105], v[152:153]
	v_fmac_f64_e32 v[156:157], v[114:115], v[24:25]
	v_add_f64 v[104:105], v[104:105], v[154:155]
	s_waitcnt vmcnt(16) lgkmcnt(1)
	v_mul_f64 v[106:107], v[100:101], v[30:31]
	v_add_f64 v[104:105], v[104:105], v[156:157]
	v_fmac_f64_e32 v[106:107], v[102:103], v[28:29]
	v_add_f64 v[108:109], v[104:105], v[106:107]
	ds_read_b128 v[144:147], v2 offset:1600
	ds_read_b128 v[148:151], v2 offset:1616
	scratch_load_dwordx4 v[104:107], off, off offset:896
	s_waitcnt vmcnt(16) lgkmcnt(2)
	v_mul_f64 v[110:111], v[96:97], v[34:35]
	v_fmac_f64_e32 v[110:111], v[98:99], v[32:33]
	v_add_f64 v[120:121], v[108:109], v[110:111]
	scratch_load_dwordx4 v[108:111], off, off offset:912
	s_waitcnt vmcnt(16) lgkmcnt(1)
	v_mul_f64 v[122:123], v[144:145], v[38:39]
	v_fmac_f64_e32 v[122:123], v[146:147], v[36:37]
	v_add_f64 v[132:133], v[120:121], v[122:123]
	s_waitcnt vmcnt(15) lgkmcnt(0)
	v_mul_f64 v[134:135], v[148:149], v[42:43]
	scratch_load_dwordx4 v[120:123], off, off offset:928
	v_fmac_f64_e32 v[134:135], v[150:151], v[40:41]
	v_add_f64 v[160:161], v[132:133], v[134:135]
	scratch_load_dwordx4 v[132:135], off, off offset:944
	ds_read_b128 v[152:155], v2 offset:1632
	ds_read_b128 v[156:159], v2 offset:1648
	v_mul_f64 v[170:171], v[178:179], v[170:171]
	v_fma_f64 v[242:243], v[176:177], v[168:169], -v[170:171]
	ds_read_b128 v[168:171], v2 offset:1696
	s_waitcnt vmcnt(16) lgkmcnt(2)
	v_mul_f64 v[162:163], v[152:153], v[46:47]
	v_fmac_f64_e32 v[162:163], v[154:155], v[44:45]
	s_waitcnt vmcnt(15) lgkmcnt(1)
	v_mul_f64 v[166:167], v[156:157], v[50:51]
	v_add_f64 v[164:165], v[160:161], v[162:163]
	ds_read_b128 v[160:163], v2 offset:1664
	v_fmac_f64_e32 v[166:167], v[158:159], v[48:49]
	v_add_f64 v[232:233], v[164:165], v[166:167]
	ds_read_b128 v[164:167], v2 offset:1680
	v_mul_f64 v[174:175], v[190:191], v[174:175]
	s_waitcnt vmcnt(14) lgkmcnt(1)
	v_mul_f64 v[234:235], v[160:161], v[54:55]
	v_fmac_f64_e32 v[234:235], v[162:163], v[52:53]
	v_add_f64 v[232:233], v[232:233], v[234:235]
	s_waitcnt vmcnt(13) lgkmcnt(0)
	v_mul_f64 v[176:177], v[164:165], v[58:59]
	v_fmac_f64_e32 v[176:177], v[166:167], v[56:57]
	v_fma_f64 v[244:245], v[188:189], v[172:173], -v[174:175]
	ds_read_b128 v[172:175], v2 offset:1712
	s_waitcnt vmcnt(12)
	v_mul_f64 v[178:179], v[168:169], v[62:63]
	v_add_f64 v[176:177], v[232:233], v[176:177]
	v_fmac_f64_e32 v[178:179], v[170:171], v[60:61]
	v_add_f64 v[188:189], v[176:177], v[178:179]
	ds_read_b128 v[176:179], v2 offset:1728
	v_mul_f64 v[182:183], v[202:203], v[182:183]
	v_fma_f64 v[246:247], v[200:201], v[180:181], -v[182:183]
	ds_read_b128 v[180:183], v2 offset:1744
	s_waitcnt vmcnt(11) lgkmcnt(2)
	v_mul_f64 v[190:191], v[172:173], v[66:67]
	v_fmac_f64_e32 v[190:191], v[174:175], v[64:65]
	v_add_f64 v[188:189], v[188:189], v[190:191]
	s_waitcnt vmcnt(10) lgkmcnt(1)
	v_mul_f64 v[190:191], v[176:177], v[70:71]
	v_fmac_f64_e32 v[190:191], v[178:179], v[68:69]
	v_mul_f64 v[186:187], v[214:215], v[186:187]
	v_fma_f64 v[240:241], v[212:213], v[184:185], -v[186:187]
	ds_read_b128 v[184:187], v2 offset:1760
	v_add_f64 v[188:189], v[188:189], v[190:191]
	s_waitcnt vmcnt(9) lgkmcnt(1)
	v_mul_f64 v[190:191], v[180:181], v[74:75]
	v_fmac_f64_e32 v[190:191], v[182:183], v[72:73]
	v_add_f64 v[200:201], v[188:189], v[190:191]
	ds_read_b128 v[188:191], v2 offset:1776
	v_mul_f64 v[194:195], v[222:223], v[194:195]
	v_fma_f64 v[232:233], v[220:221], v[192:193], -v[194:195]
	ds_read_b128 v[192:195], v2 offset:1792
	s_waitcnt vmcnt(8) lgkmcnt(2)
	v_mul_f64 v[202:203], v[184:185], v[78:79]
	v_fmac_f64_e32 v[202:203], v[186:187], v[76:77]
	v_add_f64 v[200:201], v[200:201], v[202:203]
	s_waitcnt vmcnt(7) lgkmcnt(1)
	v_mul_f64 v[202:203], v[188:189], v[82:83]
	v_fmac_f64_e32 v[202:203], v[190:191], v[80:81]
	v_mul_f64 v[198:199], v[226:227], v[198:199]
	v_add_f64 v[200:201], v[200:201], v[202:203]
	v_fma_f64 v[234:235], v[224:225], v[196:197], -v[198:199]
	ds_read_b128 v[196:199], v2 offset:1808
	s_waitcnt vmcnt(6) lgkmcnt(1)
	v_mul_f64 v[202:203], v[192:193], v[86:87]
	v_fmac_f64_e32 v[202:203], v[194:195], v[84:85]
	v_add_f64 v[212:213], v[200:201], v[202:203]
	ds_read_b128 v[200:203], v2 offset:1824
	v_mul_f64 v[206:207], v[230:231], v[206:207]
	v_fma_f64 v[236:237], v[228:229], v[204:205], -v[206:207]
	ds_read_b128 v[204:207], v2 offset:1840
	s_waitcnt vmcnt(5) lgkmcnt(2)
	v_mul_f64 v[214:215], v[196:197], v[94:95]
	v_fmac_f64_e32 v[214:215], v[198:199], v[92:93]
	v_add_f64 v[212:213], v[212:213], v[214:215]
	s_waitcnt vmcnt(4) lgkmcnt(1)
	v_mul_f64 v[214:215], v[200:201], v[90:91]
	v_fmac_f64_e32 v[214:215], v[202:203], v[88:89]
	v_mul_f64 v[210:211], v[250:251], v[210:211]
	v_fma_f64 v[238:239], v[248:249], v[208:209], -v[210:211]
	ds_read_b128 v[208:211], v2 offset:1856
	v_add_f64 v[212:213], v[212:213], v[214:215]
	s_waitcnt vmcnt(3) lgkmcnt(1)
	v_mul_f64 v[214:215], v[204:205], v[106:107]
	v_fmac_f64_e32 v[214:215], v[206:207], v[104:105]
	v_add_f64 v[220:221], v[212:213], v[214:215]
	ds_read_b128 v[212:215], v2 offset:1872
	v_mul_f64 v[218:219], v[254:255], v[218:219]
	v_fma_f64 v[248:249], v[252:253], v[216:217], -v[218:219]
	ds_read_b128 v[216:219], v2 offset:1888
	ds_read_b128 v[224:227], v2 offset:1904
	s_waitcnt vmcnt(2) lgkmcnt(3)
	v_mul_f64 v[222:223], v[208:209], v[110:111]
	v_fmac_f64_e32 v[222:223], v[210:211], v[108:109]
	v_add_f64 v[220:221], v[220:221], v[222:223]
	s_waitcnt vmcnt(1) lgkmcnt(2)
	v_mul_f64 v[222:223], v[212:213], v[122:123]
	v_fmac_f64_e32 v[222:223], v[214:215], v[120:121]
	v_add_f64 v[220:221], v[220:221], v[222:223]
	;; [unrolled: 4-line block ×3, first 2 shown]
	scratch_load_dwordx4 v[220:223], off, off offset:960
	v_mul_f64 v[6:7], v[142:143], v[6:7]
	v_fma_f64 v[4:5], v[140:141], v[4:5], -v[6:7]
	v_mul_f64 v[6:7], v[138:139], v[10:11]
	v_fma_f64 v[6:7], v[136:137], v[8:9], -v[6:7]
	s_waitcnt vmcnt(0) lgkmcnt(0)
	v_mul_f64 v[230:231], v[224:225], v[222:223]
	v_fmac_f64_e32 v[230:231], v[226:227], v[220:221]
	v_add_f64 v[252:253], v[228:229], v[230:231]
	v_add_f64 v[228:229], v[242:243], 0
	;; [unrolled: 1-line block ×6, first 2 shown]
	scratch_load_dwordx4 v[228:231], off, off offset:368
	v_add_f64 v[232:233], v[250:251], v[234:235]
	v_add_f64 v[232:233], v[232:233], v[236:237]
	;; [unrolled: 1-line block ×6, first 2 shown]
	v_mul_f64 v[6:7], v[130:131], v[14:15]
	v_fma_f64 v[6:7], v[128:129], v[12:13], -v[6:7]
	v_add_f64 v[4:5], v[4:5], v[6:7]
	v_mul_f64 v[6:7], v[126:127], v[18:19]
	v_fma_f64 v[6:7], v[124:125], v[16:17], -v[6:7]
	v_add_f64 v[4:5], v[4:5], v[6:7]
	;; [unrolled: 3-line block ×26, first 2 shown]
	s_waitcnt vmcnt(0)
	v_add_f64 v[4:5], v[228:229], -v[4:5]
	v_add_f64 v[6:7], v[230:231], -v[252:253]
	scratch_store_dwordx4 off, v[4:7], off offset:368
	s_and_saveexec_b64 s[0:1], vcc
	s_cbranch_execz .LBB123_331
; %bb.330:
	scratch_load_dwordx4 v[6:9], off, s55
	v_mov_b32_e32 v3, v2
	v_mov_b32_e32 v4, v2
	;; [unrolled: 1-line block ×3, first 2 shown]
	v_accvgpr_read_b32 v0, a121
	scratch_store_dwordx4 off, v[2:5], off offset:352
	s_waitcnt vmcnt(1)
	ds_write_b128 v0, v[6:9]
.LBB123_331:
	s_or_b64 exec, exec, s[0:1]
	s_waitcnt lgkmcnt(0)
	; wave barrier
	scratch_load_dwordx4 v[168:171], off, off offset:368
	scratch_load_dwordx4 v[172:175], off, off offset:384
	;; [unrolled: 1-line block ×16, first 2 shown]
	ds_read_b128 v[232:235], v2 offset:1312
	ds_read_b128 v[176:179], v2 offset:1328
	scratch_load_dwordx4 v[32:35], off, off offset:624
	ds_read_b128 v[236:239], v2 offset:1344
	ds_read_b128 v[188:191], v2 offset:1360
	;; [unrolled: 1-line block ×5, first 2 shown]
	scratch_load_dwordx4 v[36:39], off, off offset:640
	ds_read_b128 v[224:227], v2 offset:1424
	ds_read_b128 v[220:223], v2 offset:1440
	;; [unrolled: 1-line block ×3, first 2 shown]
	scratch_load_dwordx4 v[40:43], off, off offset:656
	ds_read_b128 v[64:67], v2 offset:1472
	ds_read_b128 v[60:63], v2 offset:1488
	ds_read_b128 v[56:59], v2 offset:1504
	ds_read_b128 v[52:55], v2 offset:1520
	scratch_load_dwordx4 v[48:51], off, off offset:672
	ds_read_b128 v[80:83], v2 offset:1536
	ds_read_b128 v[72:75], v2 offset:1552
	;; [unrolled: 1-line block ×3, first 2 shown]
	scratch_load_dwordx4 v[76:79], off, off offset:688
	scratch_load_dwordx4 v[84:87], off, off offset:704
	;; [unrolled: 1-line block ×12, first 2 shown]
	v_accvgpr_read_b32 v0, a120
	v_cmp_lt_u32_e32 vcc, 20, v0
	s_waitcnt vmcnt(31) lgkmcnt(14)
	v_mul_f64 v[128:129], v[232:233], v[170:171]
	s_waitcnt vmcnt(30)
	v_mul_f64 v[130:131], v[176:177], v[174:175]
	v_fmac_f64_e32 v[128:129], v[234:235], v[168:169]
	s_waitcnt vmcnt(29)
	v_mul_f64 v[132:133], v[236:237], v[182:183]
	v_fmac_f64_e32 v[130:131], v[178:179], v[172:173]
	v_add_f64 v[128:129], v[128:129], 0
	s_waitcnt vmcnt(28) lgkmcnt(13)
	v_mul_f64 v[134:135], v[188:189], v[186:187]
	v_fmac_f64_e32 v[132:133], v[238:239], v[180:181]
	v_add_f64 v[128:129], v[128:129], v[130:131]
	s_waitcnt vmcnt(27) lgkmcnt(12)
	;; [unrolled: 4-line block ×13, first 2 shown]
	v_mul_f64 v[158:159], v[72:73], v[30:31]
	v_fmac_f64_e32 v[156:157], v[82:83], v[24:25]
	v_add_f64 v[128:129], v[128:129], v[154:155]
	v_add_f64 v[128:129], v[128:129], v[156:157]
	v_fmac_f64_e32 v[158:159], v[74:75], v[28:29]
	v_add_f64 v[132:133], v[128:129], v[158:159]
	ds_read_b128 v[144:147], v2 offset:1584
	ds_read_b128 v[148:151], v2 offset:1600
	scratch_load_dwordx4 v[128:131], off, off offset:880
	s_waitcnt vmcnt(16) lgkmcnt(2)
	v_mul_f64 v[134:135], v[68:69], v[34:35]
	v_fmac_f64_e32 v[134:135], v[70:71], v[32:33]
	s_waitcnt vmcnt(15) lgkmcnt(1)
	v_mul_f64 v[138:139], v[144:145], v[38:39]
	v_add_f64 v[136:137], v[132:133], v[134:135]
	scratch_load_dwordx4 v[132:135], off, off offset:896
	v_fmac_f64_e32 v[138:139], v[146:147], v[36:37]
	v_add_f64 v[140:141], v[136:137], v[138:139]
	s_waitcnt vmcnt(15) lgkmcnt(0)
	v_mul_f64 v[142:143], v[148:149], v[42:43]
	scratch_load_dwordx4 v[136:139], off, off offset:912
	v_fmac_f64_e32 v[142:143], v[150:151], v[40:41]
	v_add_f64 v[160:161], v[140:141], v[142:143]
	scratch_load_dwordx4 v[140:143], off, off offset:928
	ds_read_b128 v[152:155], v2 offset:1616
	ds_read_b128 v[156:159], v2 offset:1632
	v_mul_f64 v[170:171], v[234:235], v[170:171]
	v_mul_f64 v[174:175], v[178:179], v[174:175]
	;; [unrolled: 1-line block ×3, first 2 shown]
	s_waitcnt vmcnt(16) lgkmcnt(1)
	v_mul_f64 v[162:163], v[152:153], v[50:51]
	v_fmac_f64_e32 v[162:163], v[154:155], v[48:49]
	v_add_f64 v[164:165], v[160:161], v[162:163]
	ds_read_b128 v[160:163], v2 offset:1648
	s_waitcnt vmcnt(15) lgkmcnt(1)
	v_mul_f64 v[166:167], v[156:157], v[78:79]
	v_fmac_f64_e32 v[166:167], v[158:159], v[76:77]
	v_add_f64 v[240:241], v[164:165], v[166:167]
	ds_read_b128 v[164:167], v2 offset:1664
	s_waitcnt vmcnt(14) lgkmcnt(1)
	v_mul_f64 v[242:243], v[160:161], v[86:87]
	v_fmac_f64_e32 v[242:243], v[162:163], v[84:85]
	v_add_f64 v[240:241], v[240:241], v[242:243]
	v_fma_f64 v[242:243], v[232:233], v[168:169], -v[170:171]
	ds_read_b128 v[168:171], v2 offset:1680
	s_waitcnt vmcnt(13) lgkmcnt(1)
	v_mul_f64 v[232:233], v[164:165], v[90:91]
	v_fmac_f64_e32 v[232:233], v[166:167], v[88:89]
	v_add_f64 v[232:233], v[240:241], v[232:233]
	v_fma_f64 v[240:241], v[176:177], v[172:173], -v[174:175]
	ds_read_b128 v[172:175], v2 offset:1696
	s_waitcnt vmcnt(12) lgkmcnt(1)
	v_mul_f64 v[176:177], v[168:169], v[94:95]
	v_fmac_f64_e32 v[176:177], v[170:171], v[92:93]
	v_add_f64 v[232:233], v[232:233], v[176:177]
	ds_read_b128 v[176:179], v2 offset:1712
	v_fma_f64 v[236:237], v[236:237], v[180:181], -v[182:183]
	ds_read_b128 v[180:183], v2 offset:1728
	s_waitcnt vmcnt(11) lgkmcnt(2)
	v_mul_f64 v[234:235], v[172:173], v[98:99]
	v_fmac_f64_e32 v[234:235], v[174:175], v[96:97]
	v_add_f64 v[232:233], v[232:233], v[234:235]
	s_waitcnt vmcnt(10) lgkmcnt(1)
	v_mul_f64 v[234:235], v[176:177], v[102:103]
	v_fmac_f64_e32 v[234:235], v[178:179], v[100:101]
	v_mul_f64 v[186:187], v[190:191], v[186:187]
	s_waitcnt vmcnt(9) lgkmcnt(0)
	v_mul_f64 v[190:191], v[180:181], v[106:107]
	v_fma_f64 v[238:239], v[188:189], v[184:185], -v[186:187]
	ds_read_b128 v[184:187], v2 offset:1744
	v_add_f64 v[188:189], v[232:233], v[234:235]
	v_fmac_f64_e32 v[190:191], v[182:183], v[104:105]
	v_add_f64 v[232:233], v[188:189], v[190:191]
	ds_read_b128 v[188:191], v2 offset:1760
	v_mul_f64 v[194:195], v[230:231], v[194:195]
	v_fma_f64 v[244:245], v[228:229], v[192:193], -v[194:195]
	ds_read_b128 v[192:195], v2 offset:1776
	s_waitcnt vmcnt(8) lgkmcnt(2)
	v_mul_f64 v[234:235], v[184:185], v[110:111]
	v_fmac_f64_e32 v[234:235], v[186:187], v[108:109]
	s_waitcnt vmcnt(7) lgkmcnt(1)
	v_mul_f64 v[228:229], v[188:189], v[114:115]
	v_mul_f64 v[198:199], v[202:203], v[198:199]
	v_add_f64 v[232:233], v[232:233], v[234:235]
	v_fmac_f64_e32 v[228:229], v[190:191], v[112:113]
	v_fma_f64 v[246:247], v[200:201], v[196:197], -v[198:199]
	ds_read_b128 v[196:199], v2 offset:1792
	s_waitcnt vmcnt(6) lgkmcnt(1)
	v_mul_f64 v[200:201], v[192:193], v[118:119]
	v_add_f64 v[228:229], v[232:233], v[228:229]
	v_fmac_f64_e32 v[200:201], v[194:195], v[116:117]
	v_add_f64 v[228:229], v[228:229], v[200:201]
	ds_read_b128 v[200:203], v2 offset:1808
	v_mul_f64 v[206:207], v[214:215], v[206:207]
	v_add_f64 v[242:243], v[242:243], 0
	v_fma_f64 v[252:253], v[212:213], v[204:205], -v[206:207]
	ds_read_b128 v[204:207], v2 offset:1824
	v_add_f64 v[240:241], v[242:243], v[240:241]
	v_add_f64 v[236:237], v[240:241], v[236:237]
	;; [unrolled: 1-line block ×3, first 2 shown]
	s_waitcnt vmcnt(5) lgkmcnt(2)
	v_mul_f64 v[230:231], v[196:197], v[126:127]
	v_add_f64 v[236:237], v[236:237], v[244:245]
	v_fmac_f64_e32 v[230:231], v[198:199], v[124:125]
	s_waitcnt vmcnt(4) lgkmcnt(1)
	v_mul_f64 v[212:213], v[200:201], v[122:123]
	v_add_f64 v[236:237], v[236:237], v[246:247]
	v_add_f64 v[228:229], v[228:229], v[230:231]
	v_fmac_f64_e32 v[212:213], v[202:203], v[120:121]
	v_mul_f64 v[210:211], v[226:227], v[210:211]
	v_add_f64 v[252:253], v[236:237], v[252:253]
	scratch_load_dwordx4 v[236:239], off, off offset:352
	s_waitcnt vmcnt(4) lgkmcnt(0)
	v_mul_f64 v[214:215], v[204:205], v[130:131]
	v_fma_f64 v[248:249], v[224:225], v[208:209], -v[210:211]
	ds_read_b128 v[208:211], v2 offset:1840
	v_add_f64 v[212:213], v[228:229], v[212:213]
	v_fmac_f64_e32 v[214:215], v[206:207], v[128:129]
	v_add_f64 v[224:225], v[212:213], v[214:215]
	ds_read_b128 v[212:215], v2 offset:1856
	v_mul_f64 v[218:219], v[222:223], v[218:219]
	v_fma_f64 v[250:251], v[220:221], v[216:217], -v[218:219]
	ds_read_b128 v[216:219], v2 offset:1872
	s_waitcnt vmcnt(3) lgkmcnt(2)
	v_mul_f64 v[220:221], v[208:209], v[134:135]
	v_fmac_f64_e32 v[220:221], v[210:211], v[132:133]
	s_waitcnt vmcnt(2) lgkmcnt(1)
	v_mul_f64 v[222:223], v[212:213], v[138:139]
	v_add_f64 v[220:221], v[224:225], v[220:221]
	v_fmac_f64_e32 v[222:223], v[214:215], v[136:137]
	v_add_f64 v[220:221], v[220:221], v[222:223]
	ds_read_b128 v[224:227], v2 offset:1888
	scratch_load_dwordx4 v[232:235], off, off offset:960
	s_waitcnt vmcnt(2) lgkmcnt(1)
	v_mul_f64 v[222:223], v[216:217], v[142:143]
	v_fmac_f64_e32 v[222:223], v[218:219], v[140:141]
	v_add_f64 v[228:229], v[220:221], v[222:223]
	scratch_load_dwordx4 v[220:223], off, off offset:944
	v_add_f64 v[240:241], v[252:253], v[248:249]
	v_mul_f64 v[6:7], v[46:47], v[6:7]
	v_add_f64 v[240:241], v[240:241], v[250:251]
	v_fma_f64 v[4:5], v[44:45], v[4:5], -v[6:7]
	v_mul_f64 v[6:7], v[66:67], v[10:11]
	v_add_f64 v[4:5], v[240:241], v[4:5]
	v_fma_f64 v[6:7], v[64:65], v[8:9], -v[6:7]
	v_add_f64 v[4:5], v[4:5], v[6:7]
	v_mul_f64 v[6:7], v[62:63], v[14:15]
	v_fma_f64 v[6:7], v[60:61], v[12:13], -v[6:7]
	v_add_f64 v[4:5], v[4:5], v[6:7]
	v_mul_f64 v[6:7], v[58:59], v[18:19]
	;; [unrolled: 3-line block ×24, first 2 shown]
	v_fma_f64 v[6:7], v[212:213], v[136:137], -v[6:7]
	s_waitcnt vmcnt(0) lgkmcnt(0)
	v_mul_f64 v[230:231], v[224:225], v[222:223]
	v_fmac_f64_e32 v[230:231], v[226:227], v[220:221]
	v_add_f64 v[254:255], v[228:229], v[230:231]
	ds_read_b128 v[228:231], v2 offset:1904
	v_add_f64 v[4:5], v[4:5], v[6:7]
	v_mul_f64 v[6:7], v[218:219], v[142:143]
	v_fma_f64 v[6:7], v[216:217], v[140:141], -v[6:7]
	v_add_f64 v[4:5], v[4:5], v[6:7]
	v_mul_f64 v[6:7], v[226:227], v[222:223]
	v_fma_f64 v[6:7], v[224:225], v[220:221], -v[6:7]
	s_waitcnt lgkmcnt(0)
	v_mul_f64 v[2:3], v[228:229], v[234:235]
	v_add_f64 v[4:5], v[4:5], v[6:7]
	v_mul_f64 v[6:7], v[230:231], v[234:235]
	v_fmac_f64_e32 v[2:3], v[230:231], v[232:233]
	v_fma_f64 v[6:7], v[228:229], v[232:233], -v[6:7]
	v_add_f64 v[2:3], v[254:255], v[2:3]
	v_add_f64 v[4:5], v[4:5], v[6:7]
	v_add_f64 v[4:5], v[236:237], -v[4:5]
	v_add_f64 v[6:7], v[238:239], -v[2:3]
	scratch_store_dwordx4 off, v[4:7], off offset:352
	s_and_saveexec_b64 s[0:1], vcc
	s_cbranch_execz .LBB123_333
; %bb.332:
	scratch_load_dwordx4 v[2:5], off, s56
	v_mov_b32_e32 v6, 0
	v_mov_b32_e32 v7, v6
	;; [unrolled: 1-line block ×4, first 2 shown]
	v_accvgpr_read_b32 v0, a121
	scratch_store_dwordx4 off, v[6:9], off offset:336
	s_waitcnt vmcnt(1)
	ds_write_b128 v0, v[2:5]
.LBB123_333:
	s_or_b64 exec, exec, s[0:1]
	s_waitcnt lgkmcnt(0)
	; wave barrier
	scratch_load_dwordx4 v[80:83], off, off offset:352
	scratch_load_dwordx4 v[84:87], off, off offset:368
	;; [unrolled: 1-line block ×31, first 2 shown]
	v_mov_b32_e32 v2, 0
	ds_read_b128 v[196:199], v2 offset:1296
	ds_read_b128 v[200:203], v2 offset:1312
	;; [unrolled: 1-line block ×20, first 2 shown]
	s_waitcnt vmcnt(30) lgkmcnt(14)
	v_mul_f64 v[140:141], v[196:197], v[82:83]
	s_waitcnt vmcnt(29)
	v_mul_f64 v[142:143], v[200:201], v[86:87]
	v_fmac_f64_e32 v[140:141], v[198:199], v[80:81]
	s_waitcnt vmcnt(28)
	v_mul_f64 v[152:153], v[204:205], v[90:91]
	v_fmac_f64_e32 v[142:143], v[202:203], v[84:85]
	v_add_f64 v[140:141], v[140:141], 0
	s_waitcnt vmcnt(27)
	v_mul_f64 v[154:155], v[208:209], v[94:95]
	v_fmac_f64_e32 v[152:153], v[206:207], v[88:89]
	v_add_f64 v[140:141], v[140:141], v[142:143]
	;; [unrolled: 4-line block ×4, first 2 shown]
	s_waitcnt vmcnt(24) lgkmcnt(13)
	v_mul_f64 v[164:165], v[220:221], v[106:107]
	v_fmac_f64_e32 v[162:163], v[218:219], v[100:101]
	v_add_f64 v[140:141], v[140:141], v[160:161]
	s_waitcnt vmcnt(23) lgkmcnt(12)
	v_mul_f64 v[166:167], v[224:225], v[110:111]
	v_fmac_f64_e32 v[164:165], v[222:223], v[104:105]
	v_add_f64 v[140:141], v[140:141], v[162:163]
	;; [unrolled: 4-line block ×8, first 2 shown]
	v_fmac_f64_e32 v[178:179], v[146:147], v[12:13]
	v_add_f64 v[140:141], v[140:141], v[176:177]
	v_add_f64 v[140:141], v[140:141], v[178:179]
	ds_read_b128 v[176:179], v2 offset:1568
	s_waitcnt vmcnt(16) lgkmcnt(6)
	v_mul_f64 v[180:181], v[136:137], v[18:19]
	s_waitcnt vmcnt(15) lgkmcnt(5)
	v_mul_f64 v[182:183], v[132:133], v[22:23]
	v_fmac_f64_e32 v[180:181], v[138:139], v[16:17]
	v_add_f64 v[152:153], v[140:141], v[180:181]
	v_fmac_f64_e32 v[182:183], v[134:135], v[20:21]
	scratch_load_dwordx4 v[140:143], off, off offset:848
	s_waitcnt vmcnt(15) lgkmcnt(4)
	v_mul_f64 v[154:155], v[128:129], v[26:27]
	v_add_f64 v[152:153], v[152:153], v[182:183]
	v_fmac_f64_e32 v[154:155], v[130:131], v[24:25]
	v_add_f64 v[160:161], v[152:153], v[154:155]
	ds_read_b128 v[180:183], v2 offset:1584
	s_waitcnt vmcnt(14) lgkmcnt(1)
	v_mul_f64 v[162:163], v[176:177], v[30:31]
	scratch_load_dwordx4 v[152:155], off, off offset:864
	v_fmac_f64_e32 v[162:163], v[178:179], v[28:29]
	v_add_f64 v[164:165], v[160:161], v[162:163]
	scratch_load_dwordx4 v[160:163], off, off offset:880
	s_waitcnt vmcnt(15) lgkmcnt(0)
	v_mul_f64 v[166:167], v[180:181], v[34:35]
	v_fmac_f64_e32 v[166:167], v[182:183], v[32:33]
	v_add_f64 v[168:169], v[164:165], v[166:167]
	s_waitcnt vmcnt(14)
	v_mul_f64 v[170:171], v[184:185], v[38:39]
	scratch_load_dwordx4 v[164:167], off, off offset:896
	v_fmac_f64_e32 v[170:171], v[186:187], v[36:37]
	v_add_f64 v[168:169], v[168:169], v[170:171]
	s_waitcnt vmcnt(14)
	v_mul_f64 v[170:171], v[188:189], v[42:43]
	scratch_load_dwordx4 v[172:175], off, off offset:912
	v_fmac_f64_e32 v[170:171], v[190:191], v[40:41]
	v_add_f64 v[232:233], v[168:169], v[170:171]
	scratch_load_dwordx4 v[168:171], off, off offset:928
	v_mul_f64 v[82:83], v[198:199], v[82:83]
	v_fma_f64 v[240:241], v[196:197], v[80:81], -v[82:83]
	ds_read_b128 v[196:199], v2 offset:1648
	s_waitcnt vmcnt(15)
	v_mul_f64 v[80:81], v[192:193], v[46:47]
	v_fmac_f64_e32 v[80:81], v[194:195], v[44:45]
	v_add_f64 v[232:233], v[232:233], v[80:81]
	v_mul_f64 v[80:81], v[202:203], v[86:87]
	v_fma_f64 v[242:243], v[200:201], v[84:85], -v[80:81]
	scratch_load_dwordx4 v[80:83], off, off offset:944
	ds_read_b128 v[84:87], v2 offset:1664
	v_mul_f64 v[90:91], v[206:207], v[90:91]
	v_fma_f64 v[244:245], v[204:205], v[88:89], -v[90:91]
	ds_read_b128 v[88:91], v2 offset:1680
	s_waitcnt vmcnt(15) lgkmcnt(2)
	v_mul_f64 v[200:201], v[196:197], v[50:51]
	v_fmac_f64_e32 v[200:201], v[198:199], v[48:49]
	s_waitcnt vmcnt(14) lgkmcnt(1)
	v_mul_f64 v[202:203], v[84:85], v[54:55]
	v_add_f64 v[200:201], v[232:233], v[200:201]
	v_fmac_f64_e32 v[202:203], v[86:87], v[52:53]
	v_mul_f64 v[94:95], v[210:211], v[94:95]
	v_fma_f64 v[246:247], v[208:209], v[92:93], -v[94:95]
	ds_read_b128 v[92:95], v2 offset:1696
	v_add_f64 v[200:201], v[200:201], v[202:203]
	s_waitcnt vmcnt(13) lgkmcnt(1)
	v_mul_f64 v[202:203], v[88:89], v[58:59]
	v_fmac_f64_e32 v[202:203], v[90:91], v[56:57]
	v_add_f64 v[204:205], v[200:201], v[202:203]
	ds_read_b128 v[200:203], v2 offset:1712
	v_mul_f64 v[98:99], v[214:215], v[98:99]
	v_fma_f64 v[232:233], v[212:213], v[96:97], -v[98:99]
	ds_read_b128 v[96:99], v2 offset:1728
	s_waitcnt vmcnt(12) lgkmcnt(2)
	v_mul_f64 v[206:207], v[92:93], v[62:63]
	v_fmac_f64_e32 v[206:207], v[94:95], v[60:61]
	v_add_f64 v[204:205], v[204:205], v[206:207]
	s_waitcnt vmcnt(11) lgkmcnt(1)
	v_mul_f64 v[206:207], v[200:201], v[66:67]
	v_fmac_f64_e32 v[206:207], v[202:203], v[64:65]
	v_mul_f64 v[102:103], v[218:219], v[102:103]
	v_add_f64 v[204:205], v[204:205], v[206:207]
	v_fma_f64 v[4:5], v[216:217], v[100:101], -v[102:103]
	ds_read_b128 v[100:103], v2 offset:1744
	s_waitcnt vmcnt(10) lgkmcnt(1)
	v_mul_f64 v[206:207], v[96:97], v[70:71]
	v_fmac_f64_e32 v[206:207], v[98:99], v[68:69]
	v_add_f64 v[208:209], v[204:205], v[206:207]
	ds_read_b128 v[204:207], v2 offset:1760
	v_mul_f64 v[106:107], v[222:223], v[106:107]
	v_fma_f64 v[0:1], v[220:221], v[104:105], -v[106:107]
	ds_read_b128 v[104:107], v2 offset:1776
	s_waitcnt vmcnt(9) lgkmcnt(2)
	v_mul_f64 v[210:211], v[100:101], v[74:75]
	v_fmac_f64_e32 v[210:211], v[102:103], v[72:73]
	v_add_f64 v[208:209], v[208:209], v[210:211]
	s_waitcnt vmcnt(8) lgkmcnt(1)
	v_mul_f64 v[210:211], v[204:205], v[78:79]
	v_fmac_f64_e32 v[210:211], v[206:207], v[76:77]
	v_mul_f64 v[6:7], v[226:227], v[110:111]
	v_fma_f64 v[6:7], v[224:225], v[108:109], -v[6:7]
	ds_read_b128 v[108:111], v2 offset:1792
	v_add_f64 v[208:209], v[208:209], v[210:211]
	s_waitcnt vmcnt(7) lgkmcnt(1)
	v_mul_f64 v[210:211], v[104:105], v[126:127]
	v_fmac_f64_e32 v[210:211], v[106:107], v[124:125]
	v_mul_f64 v[114:115], v[230:231], v[114:115]
	v_add_f64 v[212:213], v[208:209], v[210:211]
	ds_read_b128 v[208:211], v2 offset:1808
	v_fma_f64 v[112:113], v[228:229], v[112:113], -v[114:115]
	v_accvgpr_write_b32 a123, v113
	v_accvgpr_write_b32 a122, v112
	ds_read_b128 v[112:115], v2 offset:1824
	s_waitcnt vmcnt(6) lgkmcnt(2)
	v_mul_f64 v[214:215], v[108:109], v[142:143]
	v_fmac_f64_e32 v[214:215], v[110:111], v[140:141]
	v_add_f64 v[212:213], v[212:213], v[214:215]
	s_waitcnt vmcnt(5) lgkmcnt(1)
	v_mul_f64 v[214:215], v[208:209], v[154:155]
	v_fmac_f64_e32 v[214:215], v[210:211], v[152:153]
	v_mul_f64 v[118:119], v[250:251], v[118:119]
	v_add_f64 v[212:213], v[212:213], v[214:215]
	v_fma_f64 v[238:239], v[248:249], v[116:117], -v[118:119]
	ds_read_b128 v[116:119], v2 offset:1840
	s_waitcnt vmcnt(4) lgkmcnt(1)
	v_mul_f64 v[214:215], v[112:113], v[162:163]
	v_fmac_f64_e32 v[214:215], v[114:115], v[160:161]
	v_add_f64 v[216:217], v[212:213], v[214:215]
	ds_read_b128 v[212:215], v2 offset:1856
	v_mul_f64 v[122:123], v[254:255], v[122:123]
	v_fma_f64 v[248:249], v[252:253], v[120:121], -v[122:123]
	ds_read_b128 v[120:123], v2 offset:1872
	s_waitcnt vmcnt(3) lgkmcnt(2)
	v_mul_f64 v[218:219], v[116:117], v[166:167]
	v_fmac_f64_e32 v[218:219], v[118:119], v[164:165]
	v_add_f64 v[216:217], v[216:217], v[218:219]
	s_waitcnt vmcnt(2) lgkmcnt(1)
	v_mul_f64 v[218:219], v[212:213], v[174:175]
	v_fmac_f64_e32 v[218:219], v[214:215], v[172:173]
	v_add_f64 v[216:217], v[216:217], v[218:219]
	;; [unrolled: 4-line block ×3, first 2 shown]
	ds_read_b128 v[216:219], v2 offset:1888
	ds_read_b128 v[224:227], v2 offset:1904
	s_waitcnt vmcnt(0) lgkmcnt(1)
	v_mul_f64 v[222:223], v[216:217], v[82:83]
	v_fmac_f64_e32 v[222:223], v[218:219], v[80:81]
	v_add_f64 v[228:229], v[220:221], v[222:223]
	scratch_load_dwordx4 v[220:223], off, off offset:960
	s_waitcnt vmcnt(0) lgkmcnt(0)
	v_mul_f64 v[230:231], v[224:225], v[222:223]
	v_fmac_f64_e32 v[230:231], v[226:227], v[220:221]
	v_add_f64 v[252:253], v[228:229], v[230:231]
	v_add_f64 v[228:229], v[240:241], 0
	;; [unrolled: 1-line block ×7, first 2 shown]
	scratch_load_dwordx4 v[228:231], off, off offset:336
	v_add_f64 v[250:251], v[4:5], v[0:1]
	v_accvgpr_read_b32 v4, a122
	v_add_f64 v[0:1], v[250:251], v[6:7]
	v_accvgpr_read_b32 v5, a123
	v_add_f64 v[0:1], v[0:1], v[4:5]
	v_add_f64 v[0:1], v[0:1], v[238:239]
	v_mul_f64 v[4:5], v[158:159], v[236:237]
	v_add_f64 v[0:1], v[0:1], v[248:249]
	v_fma_f64 v[4:5], v[156:157], v[234:235], -v[4:5]
	v_add_f64 v[0:1], v[0:1], v[4:5]
	v_mul_f64 v[4:5], v[150:151], v[10:11]
	v_fma_f64 v[4:5], v[148:149], v[8:9], -v[4:5]
	v_add_f64 v[0:1], v[0:1], v[4:5]
	v_mul_f64 v[4:5], v[146:147], v[14:15]
	;; [unrolled: 3-line block ×27, first 2 shown]
	v_fma_f64 v[4:5], v[224:225], v[220:221], -v[4:5]
	v_add_f64 v[0:1], v[0:1], v[4:5]
	s_waitcnt vmcnt(0)
	v_add_f64 v[4:5], v[228:229], -v[0:1]
	v_accvgpr_read_b32 v0, a120
	v_add_f64 v[6:7], v[230:231], -v[252:253]
	v_cmp_lt_u32_e32 vcc, 19, v0
	scratch_store_dwordx4 off, v[4:7], off offset:336
	s_and_saveexec_b64 s[0:1], vcc
	s_cbranch_execz .LBB123_335
; %bb.334:
	scratch_load_dwordx4 v[6:9], off, s57
	v_mov_b32_e32 v3, v2
	v_mov_b32_e32 v4, v2
	;; [unrolled: 1-line block ×3, first 2 shown]
	v_accvgpr_read_b32 v0, a121
	scratch_store_dwordx4 off, v[2:5], off offset:320
	s_waitcnt vmcnt(1)
	ds_write_b128 v0, v[6:9]
.LBB123_335:
	s_or_b64 exec, exec, s[0:1]
	s_waitcnt lgkmcnt(0)
	; wave barrier
	scratch_load_dwordx4 v[132:135], off, off offset:336
	scratch_load_dwordx4 v[160:163], off, off offset:352
	;; [unrolled: 1-line block ×16, first 2 shown]
	ds_read_b128 v[156:159], v2 offset:1280
	ds_read_b128 v[172:175], v2 offset:1296
	scratch_load_dwordx4 v[24:27], off, off offset:592
	ds_read_b128 v[232:235], v2 offset:1312
	ds_read_b128 v[228:231], v2 offset:1328
	scratch_load_dwordx4 v[28:31], off, off offset:608
	ds_read_b128 v[236:239], v2 offset:1344
	ds_read_b128 v[184:187], v2 offset:1360
	;; [unrolled: 1-line block ×5, first 2 shown]
	scratch_load_dwordx4 v[32:35], off, off offset:624
	ds_read_b128 v[220:223], v2 offset:1424
	ds_read_b128 v[216:219], v2 offset:1440
	;; [unrolled: 1-line block ×3, first 2 shown]
	scratch_load_dwordx4 v[36:39], off, off offset:640
	ds_read_b128 v[64:67], v2 offset:1472
	ds_read_b128 v[60:63], v2 offset:1488
	;; [unrolled: 1-line block ×5, first 2 shown]
	scratch_load_dwordx4 v[52:55], off, off offset:656
	scratch_load_dwordx4 v[68:71], off, off offset:672
	;; [unrolled: 1-line block ×11, first 2 shown]
	ds_read_b128 v[144:147], v2 offset:1584
	ds_read_b128 v[148:151], v2 offset:1600
	;; [unrolled: 1-line block ×3, first 2 shown]
	s_waitcnt vmcnt(30) lgkmcnt(14)
	v_mul_f64 v[0:1], v[156:157], v[134:135]
	s_waitcnt vmcnt(29)
	v_mul_f64 v[108:109], v[172:173], v[162:163]
	v_fmac_f64_e32 v[0:1], v[158:159], v[132:133]
	s_waitcnt vmcnt(28)
	v_mul_f64 v[110:111], v[232:233], v[166:167]
	v_fmac_f64_e32 v[108:109], v[174:175], v[160:161]
	v_add_f64 v[0:1], v[0:1], 0
	s_waitcnt vmcnt(27)
	v_mul_f64 v[112:113], v[228:229], v[170:171]
	v_fmac_f64_e32 v[110:111], v[234:235], v[164:165]
	v_add_f64 v[0:1], v[0:1], v[108:109]
	s_waitcnt vmcnt(26)
	v_mul_f64 v[114:115], v[236:237], v[178:179]
	v_fmac_f64_e32 v[112:113], v[230:231], v[168:169]
	v_add_f64 v[0:1], v[0:1], v[110:111]
	s_waitcnt vmcnt(25)
	v_mul_f64 v[116:117], v[184:185], v[182:183]
	v_fmac_f64_e32 v[114:115], v[238:239], v[176:177]
	v_add_f64 v[0:1], v[0:1], v[112:113]
	s_waitcnt vmcnt(24) lgkmcnt(13)
	v_mul_f64 v[118:119], v[224:225], v[190:191]
	v_fmac_f64_e32 v[116:117], v[186:187], v[180:181]
	v_add_f64 v[0:1], v[0:1], v[114:115]
	s_waitcnt vmcnt(23) lgkmcnt(12)
	v_mul_f64 v[120:121], v[196:197], v[194:195]
	v_fmac_f64_e32 v[118:119], v[226:227], v[188:189]
	v_add_f64 v[0:1], v[0:1], v[116:117]
	;; [unrolled: 4-line block ×9, first 2 shown]
	v_fmac_f64_e32 v[138:139], v[58:59], v[16:17]
	v_add_f64 v[0:1], v[0:1], v[136:137]
	v_add_f64 v[0:1], v[0:1], v[138:139]
	ds_read_b128 v[136:139], v2 offset:1552
	s_waitcnt vmcnt(15) lgkmcnt(5)
	v_mul_f64 v[140:141], v[48:49], v[22:23]
	v_fmac_f64_e32 v[140:141], v[50:51], v[20:21]
	s_waitcnt vmcnt(14) lgkmcnt(4)
	v_mul_f64 v[112:113], v[44:45], v[26:27]
	scratch_load_dwordx4 v[108:111], off, off offset:832
	v_add_f64 v[0:1], v[0:1], v[140:141]
	v_fmac_f64_e32 v[112:113], v[46:47], v[24:25]
	v_add_f64 v[0:1], v[0:1], v[112:113]
	scratch_load_dwordx4 v[112:115], off, off offset:848
	ds_read_b128 v[140:143], v2 offset:1568
	s_waitcnt vmcnt(15) lgkmcnt(1)
	v_mul_f64 v[116:117], v[136:137], v[30:31]
	v_fmac_f64_e32 v[116:117], v[138:139], v[28:29]
	v_add_f64 v[0:1], v[0:1], v[116:117]
	scratch_load_dwordx4 v[116:119], off, off offset:864
	s_waitcnt vmcnt(15) lgkmcnt(0)
	v_mul_f64 v[120:121], v[140:141], v[34:35]
	v_fmac_f64_e32 v[120:121], v[142:143], v[32:33]
	s_waitcnt vmcnt(14)
	v_mul_f64 v[124:125], v[144:145], v[38:39]
	v_add_f64 v[0:1], v[0:1], v[120:121]
	scratch_load_dwordx4 v[120:123], off, off offset:880
	v_fmac_f64_e32 v[124:125], v[146:147], v[36:37]
	v_add_f64 v[0:1], v[0:1], v[124:125]
	s_waitcnt vmcnt(14)
	v_mul_f64 v[124:125], v[148:149], v[54:55]
	scratch_load_dwordx4 v[128:131], off, off offset:896
	v_fmac_f64_e32 v[124:125], v[150:151], v[52:53]
	v_add_f64 v[0:1], v[0:1], v[124:125]
	scratch_load_dwordx4 v[124:127], off, off offset:912
	v_mul_f64 v[134:135], v[158:159], v[134:135]
	v_fma_f64 v[240:241], v[156:157], v[132:133], -v[134:135]
	ds_read_b128 v[156:159], v2 offset:1632
	s_waitcnt vmcnt(15)
	v_mul_f64 v[132:133], v[152:153], v[70:71]
	v_fmac_f64_e32 v[132:133], v[154:155], v[68:69]
	v_add_f64 v[0:1], v[0:1], v[132:133]
	v_mul_f64 v[132:133], v[174:175], v[162:163]
	v_fma_f64 v[242:243], v[172:173], v[160:161], -v[132:133]
	scratch_load_dwordx4 v[132:135], off, off offset:928
	ds_read_b128 v[160:163], v2 offset:1648
	v_mul_f64 v[166:167], v[234:235], v[166:167]
	v_fma_f64 v[244:245], v[232:233], v[164:165], -v[166:167]
	ds_read_b128 v[164:167], v2 offset:1664
	s_waitcnt vmcnt(15) lgkmcnt(2)
	v_mul_f64 v[172:173], v[156:157], v[74:75]
	v_fmac_f64_e32 v[172:173], v[158:159], v[72:73]
	v_add_f64 v[0:1], v[0:1], v[172:173]
	s_waitcnt vmcnt(14) lgkmcnt(1)
	v_mul_f64 v[172:173], v[160:161], v[78:79]
	v_fmac_f64_e32 v[172:173], v[162:163], v[76:77]
	v_mul_f64 v[170:171], v[230:231], v[170:171]
	v_fma_f64 v[246:247], v[228:229], v[168:169], -v[170:171]
	ds_read_b128 v[168:171], v2 offset:1680
	v_add_f64 v[0:1], v[0:1], v[172:173]
	s_waitcnt vmcnt(13) lgkmcnt(1)
	v_mul_f64 v[172:173], v[164:165], v[82:83]
	v_fmac_f64_e32 v[172:173], v[166:167], v[80:81]
	v_add_f64 v[0:1], v[0:1], v[172:173]
	ds_read_b128 v[172:175], v2 offset:1696
	v_mul_f64 v[178:179], v[238:239], v[178:179]
	v_fma_f64 v[236:237], v[236:237], v[176:177], -v[178:179]
	ds_read_b128 v[176:179], v2 offset:1712
	s_waitcnt vmcnt(12) lgkmcnt(2)
	v_mul_f64 v[228:229], v[168:169], v[86:87]
	v_fmac_f64_e32 v[228:229], v[170:171], v[84:85]
	v_add_f64 v[0:1], v[0:1], v[228:229]
	s_waitcnt vmcnt(11) lgkmcnt(1)
	v_mul_f64 v[228:229], v[172:173], v[90:91]
	v_mul_f64 v[182:183], v[186:187], v[182:183]
	v_fmac_f64_e32 v[228:229], v[174:175], v[88:89]
	v_fma_f64 v[238:239], v[184:185], v[180:181], -v[182:183]
	ds_read_b128 v[180:183], v2 offset:1728
	s_waitcnt vmcnt(10) lgkmcnt(1)
	v_mul_f64 v[184:185], v[176:177], v[94:95]
	v_add_f64 v[0:1], v[0:1], v[228:229]
	v_fmac_f64_e32 v[184:185], v[178:179], v[92:93]
	v_add_f64 v[0:1], v[0:1], v[184:185]
	ds_read_b128 v[184:187], v2 offset:1744
	v_mul_f64 v[190:191], v[226:227], v[190:191]
	v_fma_f64 v[252:253], v[224:225], v[188:189], -v[190:191]
	ds_read_b128 v[188:191], v2 offset:1760
	s_waitcnt vmcnt(9) lgkmcnt(2)
	v_mul_f64 v[228:229], v[180:181], v[98:99]
	v_fmac_f64_e32 v[228:229], v[182:183], v[96:97]
	s_waitcnt vmcnt(8) lgkmcnt(1)
	v_mul_f64 v[224:225], v[184:185], v[102:103]
	v_mul_f64 v[194:195], v[198:199], v[194:195]
	v_add_f64 v[0:1], v[0:1], v[228:229]
	v_fmac_f64_e32 v[224:225], v[186:187], v[100:101]
	v_fma_f64 v[254:255], v[196:197], v[192:193], -v[194:195]
	s_waitcnt vmcnt(7) lgkmcnt(0)
	v_mul_f64 v[196:197], v[188:189], v[106:107]
	ds_read_b128 v[192:195], v2 offset:1776
	v_add_f64 v[0:1], v[0:1], v[224:225]
	v_fmac_f64_e32 v[196:197], v[190:191], v[104:105]
	v_add_f64 v[0:1], v[0:1], v[196:197]
	ds_read_b128 v[196:199], v2 offset:1792
	v_mul_f64 v[202:203], v[210:211], v[202:203]
	v_fma_f64 v[248:249], v[208:209], v[200:201], -v[202:203]
	ds_read_b128 v[200:203], v2 offset:1808
	s_waitcnt vmcnt(6) lgkmcnt(2)
	v_mul_f64 v[224:225], v[192:193], v[110:111]
	v_fmac_f64_e32 v[224:225], v[194:195], v[108:109]
	s_waitcnt vmcnt(5) lgkmcnt(1)
	v_mul_f64 v[208:209], v[196:197], v[114:115]
	v_add_f64 v[0:1], v[0:1], v[224:225]
	v_fmac_f64_e32 v[208:209], v[198:199], v[112:113]
	v_add_f64 v[208:209], v[0:1], v[208:209]
	v_mul_f64 v[0:1], v[222:223], v[206:207]
	v_fma_f64 v[0:1], v[220:221], v[204:205], -v[0:1]
	ds_read_b128 v[204:207], v2 offset:1824
	s_waitcnt vmcnt(4) lgkmcnt(1)
	v_mul_f64 v[210:211], v[200:201], v[118:119]
	v_fmac_f64_e32 v[210:211], v[202:203], v[116:117]
	v_add_f64 v[220:221], v[208:209], v[210:211]
	ds_read_b128 v[208:211], v2 offset:1840
	v_mul_f64 v[214:215], v[218:219], v[214:215]
	v_fma_f64 v[250:251], v[216:217], v[212:213], -v[214:215]
	ds_read_b128 v[212:215], v2 offset:1856
	s_waitcnt vmcnt(3) lgkmcnt(2)
	v_mul_f64 v[216:217], v[204:205], v[122:123]
	v_fmac_f64_e32 v[216:217], v[206:207], v[120:121]
	s_waitcnt vmcnt(2) lgkmcnt(1)
	v_mul_f64 v[218:219], v[208:209], v[130:131]
	v_add_f64 v[216:217], v[220:221], v[216:217]
	v_fmac_f64_e32 v[218:219], v[210:211], v[128:129]
	v_add_f64 v[216:217], v[216:217], v[218:219]
	s_waitcnt vmcnt(1) lgkmcnt(0)
	v_mul_f64 v[218:219], v[212:213], v[126:127]
	v_fmac_f64_e32 v[218:219], v[214:215], v[124:125]
	v_add_f64 v[220:221], v[216:217], v[218:219]
	ds_read_b128 v[216:219], v2 offset:1872
	ds_read_b128 v[224:227], v2 offset:1888
	scratch_load_dwordx4 v[232:235], off, off offset:960
	v_accvgpr_write_b32 a123, v1
	v_accvgpr_write_b32 a122, v0
	s_waitcnt vmcnt(1) lgkmcnt(1)
	v_mul_f64 v[222:223], v[216:217], v[134:135]
	v_fmac_f64_e32 v[222:223], v[218:219], v[132:133]
	v_add_f64 v[228:229], v[220:221], v[222:223]
	scratch_load_dwordx4 v[220:223], off, off offset:944
	v_mul_f64 v[6:7], v[42:43], v[6:7]
	v_fma_f64 v[4:5], v[40:41], v[4:5], -v[6:7]
	s_waitcnt vmcnt(0) lgkmcnt(0)
	v_mul_f64 v[230:231], v[224:225], v[222:223]
	v_fmac_f64_e32 v[230:231], v[226:227], v[220:221]
	v_add_f64 v[0:1], v[228:229], v[230:231]
	ds_read_b128 v[228:231], v2 offset:1904
	s_waitcnt lgkmcnt(0)
	v_mul_f64 v[2:3], v[228:229], v[234:235]
	v_fmac_f64_e32 v[2:3], v[230:231], v[232:233]
	v_add_f64 v[2:3], v[0:1], v[2:3]
	v_add_f64 v[0:1], v[240:241], 0
	;; [unrolled: 1-line block ×7, first 2 shown]
	scratch_load_dwordx4 v[236:239], off, off offset:320
	v_add_f64 v[0:1], v[0:1], v[252:253]
	v_add_f64 v[0:1], v[0:1], v[254:255]
	;; [unrolled: 1-line block ×3, first 2 shown]
	v_accvgpr_read_b32 v0, a122
	v_accvgpr_read_b32 v1, a123
	v_add_f64 v[0:1], v[252:253], v[0:1]
	v_add_f64 v[0:1], v[0:1], v[250:251]
	v_add_f64 v[0:1], v[0:1], v[4:5]
	v_mul_f64 v[4:5], v[66:67], v[10:11]
	v_fma_f64 v[4:5], v[64:65], v[8:9], -v[4:5]
	v_add_f64 v[0:1], v[0:1], v[4:5]
	v_mul_f64 v[4:5], v[62:63], v[14:15]
	v_fma_f64 v[4:5], v[60:61], v[12:13], -v[4:5]
	v_add_f64 v[0:1], v[0:1], v[4:5]
	;; [unrolled: 3-line block ×28, first 2 shown]
	s_waitcnt vmcnt(0)
	v_add_f64 v[4:5], v[236:237], -v[0:1]
	v_accvgpr_read_b32 v0, a120
	v_add_f64 v[6:7], v[238:239], -v[2:3]
	v_cmp_lt_u32_e32 vcc, 18, v0
	scratch_store_dwordx4 off, v[4:7], off offset:320
	s_and_saveexec_b64 s[0:1], vcc
	s_cbranch_execz .LBB123_337
; %bb.336:
	scratch_load_dwordx4 v[2:5], off, s58
	v_mov_b32_e32 v6, 0
	v_mov_b32_e32 v7, v6
	;; [unrolled: 1-line block ×4, first 2 shown]
	v_accvgpr_read_b32 v0, a121
	scratch_store_dwordx4 off, v[6:9], off offset:304
	s_waitcnt vmcnt(1)
	ds_write_b128 v0, v[2:5]
.LBB123_337:
	s_or_b64 exec, exec, s[0:1]
	s_waitcnt lgkmcnt(0)
	; wave barrier
	scratch_load_dwordx4 v[112:115], off, off offset:320
	scratch_load_dwordx4 v[116:119], off, off offset:336
	;; [unrolled: 1-line block ×30, first 2 shown]
	v_mov_b32_e32 v2, 0
	ds_read_b128 v[144:147], v2 offset:1264
	ds_read_b128 v[156:159], v2 offset:1280
	;; [unrolled: 1-line block ×20, first 2 shown]
	s_waitcnt vmcnt(29) lgkmcnt(14)
	v_mul_f64 v[0:1], v[144:145], v[114:115]
	s_waitcnt vmcnt(28)
	v_mul_f64 v[88:89], v[156:157], v[118:119]
	v_fmac_f64_e32 v[0:1], v[146:147], v[112:113]
	s_waitcnt vmcnt(27)
	v_mul_f64 v[90:91], v[168:169], v[122:123]
	v_fmac_f64_e32 v[88:89], v[158:159], v[116:117]
	v_add_f64 v[0:1], v[0:1], 0
	s_waitcnt vmcnt(26)
	v_mul_f64 v[92:93], v[180:181], v[154:155]
	v_fmac_f64_e32 v[90:91], v[170:171], v[120:121]
	v_add_f64 v[0:1], v[0:1], v[88:89]
	;; [unrolled: 4-line block ×4, first 2 shown]
	s_waitcnt vmcnt(23) lgkmcnt(13)
	v_mul_f64 v[98:99], v[212:213], v[174:175]
	v_fmac_f64_e32 v[96:97], v[206:207], v[164:165]
	v_add_f64 v[0:1], v[0:1], v[94:95]
	s_waitcnt vmcnt(22) lgkmcnt(12)
	v_mul_f64 v[100:101], v[216:217], v[178:179]
	v_fmac_f64_e32 v[98:99], v[214:215], v[172:173]
	v_add_f64 v[0:1], v[0:1], v[96:97]
	;; [unrolled: 4-line block ×9, first 2 shown]
	v_fmac_f64_e32 v[126:127], v[82:83], v[8:9]
	v_add_f64 v[0:1], v[0:1], v[124:125]
	scratch_load_dwordx4 v[88:91], off, off offset:800
	s_waitcnt vmcnt(15) lgkmcnt(4)
	v_mul_f64 v[128:129], v[76:77], v[236:237]
	v_add_f64 v[0:1], v[0:1], v[126:127]
	ds_read_b128 v[124:127], v2 offset:1536
	v_fmac_f64_e32 v[128:129], v[78:79], v[234:235]
	v_add_f64 v[0:1], v[0:1], v[128:129]
	ds_read_b128 v[128:131], v2 offset:1552
	s_waitcnt vmcnt(14) lgkmcnt(5)
	v_mul_f64 v[92:93], v[72:73], v[18:19]
	v_fmac_f64_e32 v[92:93], v[74:75], v[16:17]
	v_add_f64 v[0:1], v[0:1], v[92:93]
	s_waitcnt vmcnt(13) lgkmcnt(1)
	v_mul_f64 v[96:97], v[124:125], v[22:23]
	scratch_load_dwordx4 v[92:95], off, off offset:816
	v_fmac_f64_e32 v[96:97], v[126:127], v[20:21]
	v_add_f64 v[0:1], v[0:1], v[96:97]
	s_waitcnt vmcnt(13) lgkmcnt(0)
	v_mul_f64 v[100:101], v[128:129], v[26:27]
	scratch_load_dwordx4 v[96:99], off, off offset:832
	v_fmac_f64_e32 v[100:101], v[130:131], v[24:25]
	v_add_f64 v[0:1], v[0:1], v[100:101]
	scratch_load_dwordx4 v[100:103], off, off offset:848
	s_waitcnt vmcnt(14)
	v_mul_f64 v[104:105], v[132:133], v[30:31]
	v_fmac_f64_e32 v[104:105], v[134:135], v[28:29]
	v_add_f64 v[0:1], v[0:1], v[104:105]
	s_waitcnt vmcnt(13)
	v_mul_f64 v[104:105], v[136:137], v[34:35]
	v_fmac_f64_e32 v[104:105], v[138:139], v[32:33]
	v_add_f64 v[0:1], v[0:1], v[104:105]
	scratch_load_dwordx4 v[104:107], off, off offset:864
	s_waitcnt vmcnt(13)
	v_mul_f64 v[108:109], v[140:141], v[38:39]
	v_fmac_f64_e32 v[108:109], v[142:143], v[36:37]
	v_add_f64 v[0:1], v[0:1], v[108:109]
	scratch_load_dwordx4 v[108:111], off, off offset:880
	v_mul_f64 v[114:115], v[146:147], v[114:115]
	v_fma_f64 v[240:241], v[144:145], v[112:113], -v[114:115]
	v_mul_f64 v[112:113], v[158:159], v[118:119]
	ds_read_b128 v[148:151], v2 offset:1616
	ds_read_b128 v[144:147], v2 offset:1632
	v_fma_f64 v[242:243], v[156:157], v[116:117], -v[112:113]
	scratch_load_dwordx4 v[116:119], off, off offset:896
	scratch_load_dwordx4 v[112:115], off, off offset:912
	v_mul_f64 v[122:123], v[170:171], v[122:123]
	v_fma_f64 v[244:245], v[168:169], v[120:121], -v[122:123]
	scratch_load_dwordx4 v[120:123], off, off offset:928
	s_waitcnt vmcnt(16) lgkmcnt(1)
	v_mul_f64 v[156:157], v[148:149], v[42:43]
	v_fmac_f64_e32 v[156:157], v[150:151], v[40:41]
	v_mul_f64 v[154:155], v[182:183], v[154:155]
	v_add_f64 v[0:1], v[0:1], v[156:157]
	v_fma_f64 v[246:247], v[180:181], v[152:153], -v[154:155]
	ds_read_b128 v[152:155], v2 offset:1648
	s_waitcnt vmcnt(15) lgkmcnt(1)
	v_mul_f64 v[156:157], v[144:145], v[46:47]
	v_fmac_f64_e32 v[156:157], v[146:147], v[44:45]
	v_add_f64 v[0:1], v[0:1], v[156:157]
	ds_read_b128 v[156:159], v2 offset:1664
	v_mul_f64 v[162:163], v[194:195], v[162:163]
	v_fma_f64 v[232:233], v[192:193], v[160:161], -v[162:163]
	ds_read_b128 v[160:163], v2 offset:1680
	s_waitcnt vmcnt(14) lgkmcnt(2)
	v_mul_f64 v[168:169], v[152:153], v[50:51]
	v_fmac_f64_e32 v[168:169], v[154:155], v[48:49]
	v_mul_f64 v[166:167], v[206:207], v[166:167]
	v_add_f64 v[0:1], v[0:1], v[168:169]
	s_waitcnt vmcnt(13) lgkmcnt(1)
	v_mul_f64 v[168:169], v[156:157], v[54:55]
	v_fma_f64 v[12:13], v[204:205], v[164:165], -v[166:167]
	ds_read_b128 v[164:167], v2 offset:1696
	v_accvgpr_write_b32 a125, v7
	v_fmac_f64_e32 v[168:169], v[158:159], v[52:53]
	v_accvgpr_write_b32 a124, v6
	v_accvgpr_write_b32 a123, v5
	;; [unrolled: 1-line block ×3, first 2 shown]
	v_add_f64 v[0:1], v[0:1], v[168:169]
	s_waitcnt vmcnt(12) lgkmcnt(1)
	v_mul_f64 v[6:7], v[160:161], v[58:59]
	ds_read_b128 v[168:171], v2 offset:1712
	v_fmac_f64_e32 v[6:7], v[162:163], v[56:57]
	v_accvgpr_write_b32 a129, v11
	v_add_f64 v[0:1], v[0:1], v[6:7]
	v_mul_f64 v[6:7], v[214:215], v[174:175]
	v_accvgpr_write_b32 a128, v10
	v_accvgpr_write_b32 a127, v9
	;; [unrolled: 1-line block ×3, first 2 shown]
	v_fma_f64 v[8:9], v[212:213], v[172:173], -v[6:7]
	s_waitcnt vmcnt(11) lgkmcnt(1)
	v_mul_f64 v[6:7], v[164:165], v[62:63]
	v_fmac_f64_e32 v[6:7], v[166:167], v[60:61]
	ds_read_b128 v[172:175], v2 offset:1728
	v_add_f64 v[0:1], v[0:1], v[6:7]
	s_waitcnt vmcnt(10) lgkmcnt(1)
	v_mul_f64 v[6:7], v[168:169], v[66:67]
	v_fmac_f64_e32 v[6:7], v[170:171], v[64:65]
	v_add_f64 v[0:1], v[0:1], v[6:7]
	v_mul_f64 v[6:7], v[218:219], v[178:179]
	v_fma_f64 v[10:11], v[216:217], v[176:177], -v[6:7]
	ds_read_b128 v[176:179], v2 offset:1744
	ds_read_b128 v[180:183], v2 offset:1760
	s_waitcnt vmcnt(9) lgkmcnt(2)
	v_mul_f64 v[6:7], v[172:173], v[70:71]
	v_fmac_f64_e32 v[6:7], v[174:175], v[68:69]
	v_add_f64 v[0:1], v[0:1], v[6:7]
	s_waitcnt vmcnt(8) lgkmcnt(1)
	v_mul_f64 v[6:7], v[176:177], v[90:91]
	v_fmac_f64_e32 v[6:7], v[178:179], v[88:89]
	v_add_f64 v[0:1], v[0:1], v[6:7]
	v_mul_f64 v[6:7], v[222:223], v[186:187]
	v_fma_f64 v[4:5], v[220:221], v[184:185], -v[6:7]
	ds_read_b128 v[184:187], v2 offset:1776
	v_mul_f64 v[6:7], v[226:227], v[190:191]
	v_fma_f64 v[6:7], v[224:225], v[188:189], -v[6:7]
	ds_read_b128 v[188:191], v2 offset:1792
	s_waitcnt vmcnt(7) lgkmcnt(2)
	v_mul_f64 v[14:15], v[180:181], v[94:95]
	v_fmac_f64_e32 v[14:15], v[182:183], v[92:93]
	v_add_f64 v[0:1], v[0:1], v[14:15]
	s_waitcnt vmcnt(6) lgkmcnt(1)
	v_mul_f64 v[14:15], v[184:185], v[98:99]
	v_fmac_f64_e32 v[14:15], v[186:187], v[96:97]
	v_add_f64 v[0:1], v[0:1], v[14:15]
	s_waitcnt vmcnt(5) lgkmcnt(0)
	v_mul_f64 v[14:15], v[188:189], v[102:103]
	ds_read_b128 v[192:195], v2 offset:1808
	v_fmac_f64_e32 v[14:15], v[190:191], v[100:101]
	v_add_f64 v[14:15], v[0:1], v[14:15]
	v_mul_f64 v[0:1], v[230:231], v[198:199]
	v_fma_f64 v[0:1], v[228:229], v[196:197], -v[0:1]
	ds_read_b128 v[196:199], v2 offset:1824
	v_mul_f64 v[202:203], v[250:251], v[202:203]
	s_waitcnt vmcnt(4) lgkmcnt(1)
	v_mul_f64 v[204:205], v[192:193], v[106:107]
	v_fma_f64 v[238:239], v[248:249], v[200:201], -v[202:203]
	ds_read_b128 v[200:203], v2 offset:1840
	v_fmac_f64_e32 v[204:205], v[194:195], v[104:105]
	v_add_f64 v[14:15], v[14:15], v[204:205]
	ds_read_b128 v[204:207], v2 offset:1856
	s_waitcnt vmcnt(3) lgkmcnt(2)
	v_mul_f64 v[212:213], v[196:197], v[110:111]
	v_mul_f64 v[210:211], v[254:255], v[210:211]
	v_fmac_f64_e32 v[212:213], v[198:199], v[108:109]
	v_fma_f64 v[248:249], v[252:253], v[208:209], -v[210:211]
	ds_read_b128 v[208:211], v2 offset:1872
	ds_read_b128 v[216:219], v2 offset:1888
	v_add_f64 v[14:15], v[14:15], v[212:213]
	s_waitcnt vmcnt(2) lgkmcnt(3)
	v_mul_f64 v[212:213], v[200:201], v[118:119]
	v_fmac_f64_e32 v[212:213], v[202:203], v[116:117]
	v_add_f64 v[14:15], v[14:15], v[212:213]
	s_waitcnt vmcnt(1) lgkmcnt(2)
	v_mul_f64 v[212:213], v[204:205], v[114:115]
	v_fmac_f64_e32 v[212:213], v[206:207], v[112:113]
	;; [unrolled: 4-line block ×3, first 2 shown]
	v_add_f64 v[14:15], v[14:15], v[212:213]
	scratch_load_dwordx4 v[212:215], off, off offset:944
	ds_read_b128 v[224:227], v2 offset:1904
	s_waitcnt vmcnt(0) lgkmcnt(1)
	v_mul_f64 v[220:221], v[216:217], v[214:215]
	v_fmac_f64_e32 v[220:221], v[218:219], v[212:213]
	v_add_f64 v[14:15], v[14:15], v[220:221]
	scratch_load_dwordx4 v[220:223], off, off offset:960
	s_waitcnt vmcnt(0) lgkmcnt(0)
	v_mul_f64 v[228:229], v[224:225], v[222:223]
	v_fmac_f64_e32 v[228:229], v[226:227], v[220:221]
	v_add_f64 v[252:253], v[14:15], v[228:229]
	scratch_load_dwordx4 v[228:231], off, off offset:304
	v_add_f64 v[14:15], v[240:241], 0
	v_add_f64 v[14:15], v[14:15], v[242:243]
	;; [unrolled: 1-line block ×10, first 2 shown]
	v_accvgpr_read_b32 v6, a122
	v_accvgpr_read_b32 v8, a124
	;; [unrolled: 1-line block ×3, first 2 shown]
	v_add_f64 v[0:1], v[4:5], v[0:1]
	v_accvgpr_read_b32 v7, a123
	v_mul_f64 v[4:5], v[86:87], v[8:9]
	v_add_f64 v[0:1], v[0:1], v[238:239]
	v_fma_f64 v[4:5], v[84:85], v[6:7], -v[4:5]
	v_accvgpr_read_b32 v6, a126
	v_add_f64 v[0:1], v[0:1], v[248:249]
	v_accvgpr_read_b32 v8, a128
	v_accvgpr_read_b32 v9, a129
	v_add_f64 v[0:1], v[0:1], v[4:5]
	v_accvgpr_read_b32 v7, a127
	v_mul_f64 v[4:5], v[82:83], v[8:9]
	v_fma_f64 v[4:5], v[80:81], v[6:7], -v[4:5]
	v_add_f64 v[0:1], v[0:1], v[4:5]
	v_mul_f64 v[4:5], v[78:79], v[236:237]
	v_fma_f64 v[4:5], v[76:77], v[234:235], -v[4:5]
	v_add_f64 v[0:1], v[0:1], v[4:5]
	v_mul_f64 v[4:5], v[74:75], v[18:19]
	v_fma_f64 v[4:5], v[72:73], v[16:17], -v[4:5]
	v_add_f64 v[0:1], v[0:1], v[4:5]
	v_mul_f64 v[4:5], v[126:127], v[22:23]
	v_fma_f64 v[4:5], v[124:125], v[20:21], -v[4:5]
	v_add_f64 v[0:1], v[0:1], v[4:5]
	v_mul_f64 v[4:5], v[130:131], v[26:27]
	v_fma_f64 v[4:5], v[128:129], v[24:25], -v[4:5]
	v_add_f64 v[0:1], v[0:1], v[4:5]
	v_mul_f64 v[4:5], v[134:135], v[30:31]
	v_fma_f64 v[4:5], v[132:133], v[28:29], -v[4:5]
	v_add_f64 v[0:1], v[0:1], v[4:5]
	v_mul_f64 v[4:5], v[138:139], v[34:35]
	v_fma_f64 v[4:5], v[136:137], v[32:33], -v[4:5]
	v_add_f64 v[0:1], v[0:1], v[4:5]
	v_mul_f64 v[4:5], v[142:143], v[38:39]
	v_fma_f64 v[4:5], v[140:141], v[36:37], -v[4:5]
	v_add_f64 v[0:1], v[0:1], v[4:5]
	v_mul_f64 v[4:5], v[150:151], v[42:43]
	v_fma_f64 v[4:5], v[148:149], v[40:41], -v[4:5]
	v_add_f64 v[0:1], v[0:1], v[4:5]
	v_mul_f64 v[4:5], v[146:147], v[46:47]
	v_fma_f64 v[4:5], v[144:145], v[44:45], -v[4:5]
	v_add_f64 v[0:1], v[0:1], v[4:5]
	v_mul_f64 v[4:5], v[154:155], v[50:51]
	v_fma_f64 v[4:5], v[152:153], v[48:49], -v[4:5]
	v_add_f64 v[0:1], v[0:1], v[4:5]
	v_mul_f64 v[4:5], v[158:159], v[54:55]
	v_fma_f64 v[4:5], v[156:157], v[52:53], -v[4:5]
	v_add_f64 v[0:1], v[0:1], v[4:5]
	v_mul_f64 v[4:5], v[162:163], v[58:59]
	v_fma_f64 v[4:5], v[160:161], v[56:57], -v[4:5]
	v_add_f64 v[0:1], v[0:1], v[4:5]
	v_mul_f64 v[4:5], v[166:167], v[62:63]
	v_fma_f64 v[4:5], v[164:165], v[60:61], -v[4:5]
	v_add_f64 v[0:1], v[0:1], v[4:5]
	v_mul_f64 v[4:5], v[170:171], v[66:67]
	v_fma_f64 v[4:5], v[168:169], v[64:65], -v[4:5]
	v_add_f64 v[0:1], v[0:1], v[4:5]
	v_mul_f64 v[4:5], v[174:175], v[70:71]
	v_fma_f64 v[4:5], v[172:173], v[68:69], -v[4:5]
	v_add_f64 v[0:1], v[0:1], v[4:5]
	v_mul_f64 v[4:5], v[178:179], v[90:91]
	v_fma_f64 v[4:5], v[176:177], v[88:89], -v[4:5]
	v_add_f64 v[0:1], v[0:1], v[4:5]
	v_mul_f64 v[4:5], v[182:183], v[94:95]
	v_fma_f64 v[4:5], v[180:181], v[92:93], -v[4:5]
	v_add_f64 v[0:1], v[0:1], v[4:5]
	v_mul_f64 v[4:5], v[186:187], v[98:99]
	v_fma_f64 v[4:5], v[184:185], v[96:97], -v[4:5]
	v_add_f64 v[0:1], v[0:1], v[4:5]
	v_mul_f64 v[4:5], v[190:191], v[102:103]
	v_fma_f64 v[4:5], v[188:189], v[100:101], -v[4:5]
	v_add_f64 v[0:1], v[0:1], v[4:5]
	v_mul_f64 v[4:5], v[194:195], v[106:107]
	v_fma_f64 v[4:5], v[192:193], v[104:105], -v[4:5]
	v_add_f64 v[0:1], v[0:1], v[4:5]
	v_mul_f64 v[4:5], v[198:199], v[110:111]
	v_fma_f64 v[4:5], v[196:197], v[108:109], -v[4:5]
	v_add_f64 v[0:1], v[0:1], v[4:5]
	v_mul_f64 v[4:5], v[202:203], v[118:119]
	v_fma_f64 v[4:5], v[200:201], v[116:117], -v[4:5]
	v_add_f64 v[0:1], v[0:1], v[4:5]
	v_mul_f64 v[4:5], v[206:207], v[114:115]
	v_fma_f64 v[4:5], v[204:205], v[112:113], -v[4:5]
	v_add_f64 v[0:1], v[0:1], v[4:5]
	v_mul_f64 v[4:5], v[210:211], v[122:123]
	v_fma_f64 v[4:5], v[208:209], v[120:121], -v[4:5]
	v_add_f64 v[0:1], v[0:1], v[4:5]
	v_mul_f64 v[4:5], v[218:219], v[214:215]
	v_fma_f64 v[4:5], v[216:217], v[212:213], -v[4:5]
	v_add_f64 v[0:1], v[0:1], v[4:5]
	v_mul_f64 v[4:5], v[226:227], v[222:223]
	v_fma_f64 v[4:5], v[224:225], v[220:221], -v[4:5]
	v_add_f64 v[0:1], v[0:1], v[4:5]
	s_waitcnt vmcnt(0)
	v_add_f64 v[4:5], v[228:229], -v[0:1]
	v_accvgpr_read_b32 v0, a120
	v_add_f64 v[6:7], v[230:231], -v[252:253]
	v_cmp_lt_u32_e32 vcc, 17, v0
	scratch_store_dwordx4 off, v[4:7], off offset:304
	s_and_saveexec_b64 s[0:1], vcc
	s_cbranch_execz .LBB123_339
; %bb.338:
	scratch_load_dwordx4 v[6:9], off, s59
	v_mov_b32_e32 v3, v2
	v_mov_b32_e32 v4, v2
	;; [unrolled: 1-line block ×3, first 2 shown]
	v_accvgpr_read_b32 v0, a121
	scratch_store_dwordx4 off, v[2:5], off offset:288
	s_waitcnt vmcnt(1)
	ds_write_b128 v0, v[6:9]
.LBB123_339:
	s_or_b64 exec, exec, s[0:1]
	s_waitcnt lgkmcnt(0)
	; wave barrier
	scratch_load_dwordx4 v[88:91], off, off offset:304
	scratch_load_dwordx4 v[92:95], off, off offset:320
	;; [unrolled: 1-line block ×17, first 2 shown]
	ds_read_b128 v[212:215], v2 offset:1248
	ds_read_b128 v[204:207], v2 offset:1264
	;; [unrolled: 1-line block ×3, first 2 shown]
	scratch_load_dwordx4 v[20:23], off, off offset:576
	ds_read_b128 v[216:219], v2 offset:1296
	ds_read_b128 v[208:211], v2 offset:1312
	;; [unrolled: 1-line block ×5, first 2 shown]
	scratch_load_dwordx4 v[24:27], off, off offset:592
	ds_read_b128 v[180:183], v2 offset:1376
	ds_read_b128 v[160:163], v2 offset:1392
	;; [unrolled: 1-line block ×3, first 2 shown]
	scratch_load_dwordx4 v[28:31], off, off offset:608
	ds_read_b128 v[172:175], v2 offset:1424
	ds_read_b128 v[148:151], v2 offset:1440
	;; [unrolled: 1-line block ×5, first 2 shown]
	scratch_load_dwordx4 v[36:39], off, off offset:624
	ds_read_b128 v[48:51], v2 offset:1504
	scratch_load_dwordx4 v[52:55], off, off offset:640
	scratch_load_dwordx4 v[56:59], off, off offset:656
	;; [unrolled: 1-line block ×9, first 2 shown]
	ds_read_b128 v[140:143], v2 offset:1520
	ds_read_b128 v[232:235], v2 offset:1584
	;; [unrolled: 1-line block ×3, first 2 shown]
	s_waitcnt vmcnt(29) lgkmcnt(14)
	v_mul_f64 v[0:1], v[212:213], v[90:91]
	s_waitcnt vmcnt(28)
	v_mul_f64 v[152:153], v[204:205], v[94:95]
	v_fmac_f64_e32 v[0:1], v[214:215], v[88:89]
	s_waitcnt vmcnt(27)
	v_mul_f64 v[154:155], v[196:197], v[98:99]
	v_fmac_f64_e32 v[152:153], v[206:207], v[92:93]
	v_add_f64 v[0:1], v[0:1], 0
	s_waitcnt vmcnt(26)
	v_mul_f64 v[164:165], v[216:217], v[102:103]
	v_fmac_f64_e32 v[154:155], v[198:199], v[96:97]
	v_add_f64 v[0:1], v[0:1], v[152:153]
	;; [unrolled: 4-line block ×4, first 2 shown]
	s_waitcnt vmcnt(23) lgkmcnt(13)
	v_mul_f64 v[170:171], v[184:185], v[114:115]
	v_fmac_f64_e32 v[168:169], v[202:203], v[108:109]
	v_add_f64 v[0:1], v[0:1], v[166:167]
	s_waitcnt vmcnt(22) lgkmcnt(12)
	v_mul_f64 v[176:177], v[156:157], v[118:119]
	v_fmac_f64_e32 v[170:171], v[186:187], v[112:113]
	v_add_f64 v[0:1], v[0:1], v[168:169]
	s_waitcnt vmcnt(21) lgkmcnt(11)
	v_mul_f64 v[178:179], v[180:181], v[122:123]
	v_fmac_f64_e32 v[176:177], v[158:159], v[116:117]
	v_add_f64 v[0:1], v[0:1], v[170:171]
	s_waitcnt vmcnt(20) lgkmcnt(10)
	v_mul_f64 v[188:189], v[160:161], v[126:127]
	v_fmac_f64_e32 v[178:179], v[182:183], v[120:121]
	v_add_f64 v[0:1], v[0:1], v[176:177]
	s_waitcnt vmcnt(19) lgkmcnt(9)
	v_mul_f64 v[190:191], v[144:145], v[130:131]
	v_fmac_f64_e32 v[188:189], v[162:163], v[124:125]
	v_add_f64 v[0:1], v[0:1], v[178:179]
	s_waitcnt vmcnt(18) lgkmcnt(8)
	v_mul_f64 v[192:193], v[172:173], v[134:135]
	v_fmac_f64_e32 v[190:191], v[146:147], v[128:129]
	v_add_f64 v[0:1], v[0:1], v[188:189]
	s_waitcnt vmcnt(17) lgkmcnt(7)
	v_mul_f64 v[194:195], v[148:149], v[138:139]
	v_fmac_f64_e32 v[192:193], v[174:175], v[132:133]
	v_add_f64 v[0:1], v[0:1], v[190:191]
	s_waitcnt vmcnt(16) lgkmcnt(6)
	v_mul_f64 v[220:221], v[44:45], v[6:7]
	v_fmac_f64_e32 v[194:195], v[150:151], v[136:137]
	v_add_f64 v[0:1], v[0:1], v[192:193]
	s_waitcnt vmcnt(15) lgkmcnt(5)
	v_mul_f64 v[222:223], v[40:41], v[10:11]
	v_fmac_f64_e32 v[220:221], v[46:47], v[4:5]
	v_add_f64 v[0:1], v[0:1], v[194:195]
	s_waitcnt vmcnt(14) lgkmcnt(4)
	v_mul_f64 v[224:225], v[32:33], v[14:15]
	v_fmac_f64_e32 v[222:223], v[42:43], v[8:9]
	v_add_f64 v[0:1], v[0:1], v[220:221]
	v_fmac_f64_e32 v[224:225], v[34:35], v[12:13]
	v_add_f64 v[0:1], v[0:1], v[222:223]
	ds_read_b128 v[220:223], v2 offset:1536
	v_add_f64 v[0:1], v[0:1], v[224:225]
	ds_read_b128 v[224:227], v2 offset:1552
	s_waitcnt vmcnt(13) lgkmcnt(5)
	v_mul_f64 v[164:165], v[48:49], v[18:19]
	scratch_load_dwordx4 v[152:155], off, off offset:784
	v_fmac_f64_e32 v[164:165], v[50:51], v[16:17]
	s_waitcnt vmcnt(13) lgkmcnt(4)
	v_mul_f64 v[168:169], v[140:141], v[22:23]
	v_add_f64 v[0:1], v[0:1], v[164:165]
	v_fmac_f64_e32 v[168:169], v[142:143], v[20:21]
	scratch_load_dwordx4 v[164:167], off, off offset:800
	v_add_f64 v[0:1], v[0:1], v[168:169]
	s_waitcnt vmcnt(13) lgkmcnt(1)
	v_mul_f64 v[176:177], v[220:221], v[26:27]
	scratch_load_dwordx4 v[168:171], off, off offset:816
	v_fmac_f64_e32 v[176:177], v[222:223], v[24:25]
	s_waitcnt vmcnt(13) lgkmcnt(0)
	v_mul_f64 v[188:189], v[224:225], v[30:31]
	v_add_f64 v[0:1], v[0:1], v[176:177]
	scratch_load_dwordx4 v[176:179], off, off offset:832
	v_fmac_f64_e32 v[188:189], v[226:227], v[28:29]
	v_add_f64 v[0:1], v[0:1], v[188:189]
	s_waitcnt vmcnt(13)
	v_mul_f64 v[188:189], v[228:229], v[38:39]
	v_fmac_f64_e32 v[188:189], v[230:231], v[36:37]
	v_add_f64 v[0:1], v[0:1], v[188:189]
	scratch_load_dwordx4 v[188:191], off, off offset:848
	s_waitcnt vmcnt(13)
	v_mul_f64 v[192:193], v[232:233], v[54:55]
	v_fmac_f64_e32 v[192:193], v[234:235], v[52:53]
	v_mul_f64 v[90:91], v[214:215], v[90:91]
	v_add_f64 v[0:1], v[0:1], v[192:193]
	scratch_load_dwordx4 v[192:195], off, off offset:864
	v_fma_f64 v[240:241], v[212:213], v[88:89], -v[90:91]
	v_mul_f64 v[88:89], v[206:207], v[94:95]
	ds_read_b128 v[236:239], v2 offset:1600
	ds_read_b128 v[212:215], v2 offset:1616
	v_fma_f64 v[242:243], v[204:205], v[92:93], -v[88:89]
	scratch_load_dwordx4 v[92:95], off, off offset:880
	scratch_load_dwordx4 v[88:91], off, off offset:896
	v_mul_f64 v[98:99], v[198:199], v[98:99]
	v_fma_f64 v[244:245], v[196:197], v[96:97], -v[98:99]
	scratch_load_dwordx4 v[96:99], off, off offset:912
	s_waitcnt vmcnt(16) lgkmcnt(1)
	v_mul_f64 v[204:205], v[236:237], v[58:59]
	v_mul_f64 v[102:103], v[218:219], v[102:103]
	v_fmac_f64_e32 v[204:205], v[238:239], v[56:57]
	v_fma_f64 v[216:217], v[216:217], v[100:101], -v[102:103]
	ds_read_b128 v[100:103], v2 offset:1632
	s_waitcnt vmcnt(15) lgkmcnt(1)
	v_mul_f64 v[196:197], v[212:213], v[62:63]
	v_add_f64 v[0:1], v[0:1], v[204:205]
	v_fmac_f64_e32 v[196:197], v[214:215], v[60:61]
	v_add_f64 v[0:1], v[0:1], v[196:197]
	ds_read_b128 v[196:199], v2 offset:1648
	v_mul_f64 v[106:107], v[210:211], v[106:107]
	v_fma_f64 v[218:219], v[208:209], v[104:105], -v[106:107]
	ds_read_b128 v[104:107], v2 offset:1664
	s_waitcnt vmcnt(14) lgkmcnt(2)
	v_mul_f64 v[204:205], v[100:101], v[66:67]
	v_fmac_f64_e32 v[204:205], v[102:103], v[64:65]
	v_add_f64 v[0:1], v[0:1], v[204:205]
	s_waitcnt vmcnt(13) lgkmcnt(1)
	v_mul_f64 v[204:205], v[196:197], v[70:71]
	v_mul_f64 v[110:111], v[202:203], v[110:111]
	v_fmac_f64_e32 v[204:205], v[198:199], v[68:69]
	v_fma_f64 v[246:247], v[200:201], v[108:109], -v[110:111]
	ds_read_b128 v[108:111], v2 offset:1680
	s_waitcnt vmcnt(12) lgkmcnt(1)
	v_mul_f64 v[200:201], v[104:105], v[74:75]
	v_add_f64 v[0:1], v[0:1], v[204:205]
	v_fmac_f64_e32 v[200:201], v[106:107], v[72:73]
	v_add_f64 v[0:1], v[0:1], v[200:201]
	ds_read_b128 v[200:203], v2 offset:1696
	v_mul_f64 v[114:115], v[186:187], v[114:115]
	v_fma_f64 v[252:253], v[184:185], v[112:113], -v[114:115]
	ds_read_b128 v[112:115], v2 offset:1712
	s_waitcnt vmcnt(11) lgkmcnt(2)
	v_mul_f64 v[184:185], v[108:109], v[78:79]
	v_fmac_f64_e32 v[184:185], v[110:111], v[76:77]
	v_add_f64 v[0:1], v[0:1], v[184:185]
	s_waitcnt vmcnt(10) lgkmcnt(1)
	v_mul_f64 v[184:185], v[200:201], v[82:83]
	v_mul_f64 v[118:119], v[158:159], v[118:119]
	v_fmac_f64_e32 v[184:185], v[202:203], v[80:81]
	v_fma_f64 v[254:255], v[156:157], v[116:117], -v[118:119]
	s_waitcnt vmcnt(9) lgkmcnt(0)
	v_mul_f64 v[156:157], v[112:113], v[86:87]
	v_add_f64 v[0:1], v[0:1], v[184:185]
	ds_read_b128 v[116:119], v2 offset:1728
	v_fmac_f64_e32 v[156:157], v[114:115], v[84:85]
	v_add_f64 v[0:1], v[0:1], v[156:157]
	ds_read_b128 v[156:159], v2 offset:1744
	v_mul_f64 v[122:123], v[182:183], v[122:123]
	v_fma_f64 v[248:249], v[180:181], v[120:121], -v[122:123]
	ds_read_b128 v[120:123], v2 offset:1760
	v_accvgpr_write_b32 a125, v7
	v_mul_f64 v[126:127], v[162:163], v[126:127]
	v_accvgpr_write_b32 a124, v6
	v_accvgpr_write_b32 a123, v5
	;; [unrolled: 1-line block ×3, first 2 shown]
	v_fma_f64 v[4:5], v[160:161], v[124:125], -v[126:127]
	ds_read_b128 v[124:127], v2 offset:1776
	s_waitcnt vmcnt(8) lgkmcnt(3)
	v_mul_f64 v[184:185], v[116:117], v[154:155]
	v_fmac_f64_e32 v[184:185], v[118:119], v[152:153]
	s_waitcnt vmcnt(7) lgkmcnt(2)
	v_mul_f64 v[180:181], v[156:157], v[166:167]
	v_add_f64 v[0:1], v[0:1], v[184:185]
	v_fmac_f64_e32 v[180:181], v[158:159], v[164:165]
	s_waitcnt vmcnt(6) lgkmcnt(1)
	v_mul_f64 v[6:7], v[120:121], v[170:171]
	ds_read_b128 v[160:163], v2 offset:1792
	v_add_f64 v[0:1], v[0:1], v[180:181]
	v_fmac_f64_e32 v[6:7], v[122:123], v[168:169]
	v_add_f64 v[0:1], v[0:1], v[6:7]
	s_waitcnt vmcnt(5) lgkmcnt(1)
	v_mul_f64 v[6:7], v[124:125], v[178:179]
	v_fmac_f64_e32 v[6:7], v[126:127], v[176:177]
	v_add_f64 v[0:1], v[0:1], v[6:7]
	v_mul_f64 v[6:7], v[146:147], v[130:131]
	v_fma_f64 v[6:7], v[144:145], v[128:129], -v[6:7]
	ds_read_b128 v[128:131], v2 offset:1808
	s_waitcnt vmcnt(4) lgkmcnt(1)
	v_mul_f64 v[144:145], v[160:161], v[190:191]
	v_fmac_f64_e32 v[144:145], v[162:163], v[188:189]
	v_add_f64 v[180:181], v[0:1], v[144:145]
	v_mul_f64 v[0:1], v[174:175], v[134:135]
	v_fma_f64 v[0:1], v[172:173], v[132:133], -v[0:1]
	ds_read_b128 v[132:135], v2 offset:1824
	ds_read_b128 v[144:147], v2 offset:1840
	v_mul_f64 v[138:139], v[150:151], v[138:139]
	v_fma_f64 v[250:251], v[148:149], v[136:137], -v[138:139]
	ds_read_b128 v[136:139], v2 offset:1856
	s_waitcnt vmcnt(3) lgkmcnt(3)
	v_mul_f64 v[172:173], v[128:129], v[194:195]
	v_fmac_f64_e32 v[172:173], v[130:131], v[192:193]
	s_waitcnt vmcnt(2) lgkmcnt(2)
	v_mul_f64 v[148:149], v[132:133], v[94:95]
	v_add_f64 v[172:173], v[180:181], v[172:173]
	v_fmac_f64_e32 v[148:149], v[134:135], v[92:93]
	s_waitcnt vmcnt(1) lgkmcnt(1)
	v_mul_f64 v[150:151], v[144:145], v[90:91]
	v_add_f64 v[148:149], v[172:173], v[148:149]
	v_fmac_f64_e32 v[150:151], v[146:147], v[88:89]
	v_add_f64 v[148:149], v[148:149], v[150:151]
	ds_read_b128 v[172:175], v2 offset:1872
	scratch_load_dwordx4 v[208:211], off, off offset:960
	s_waitcnt vmcnt(1) lgkmcnt(1)
	v_mul_f64 v[150:151], v[136:137], v[98:99]
	v_fmac_f64_e32 v[150:151], v[138:139], v[96:97]
	v_add_f64 v[180:181], v[148:149], v[150:151]
	scratch_load_dwordx4 v[148:151], off, off offset:928
	ds_read_b128 v[184:187], v2 offset:1888
	v_accvgpr_write_b32 a127, v1
	v_accvgpr_write_b32 a126, v0
	s_waitcnt vmcnt(0) lgkmcnt(1)
	v_mul_f64 v[182:183], v[172:173], v[150:151]
	v_fmac_f64_e32 v[182:183], v[174:175], v[148:149]
	v_add_f64 v[204:205], v[180:181], v[182:183]
	scratch_load_dwordx4 v[180:183], off, off offset:944
	s_waitcnt vmcnt(0) lgkmcnt(0)
	v_mul_f64 v[206:207], v[184:185], v[182:183]
	v_fmac_f64_e32 v[206:207], v[186:187], v[180:181]
	v_add_f64 v[0:1], v[204:205], v[206:207]
	ds_read_b128 v[204:207], v2 offset:1904
	s_waitcnt lgkmcnt(0)
	v_mul_f64 v[2:3], v[204:205], v[210:211]
	v_fmac_f64_e32 v[2:3], v[206:207], v[208:209]
	v_add_f64 v[2:3], v[0:1], v[2:3]
	v_add_f64 v[0:1], v[240:241], 0
	;; [unrolled: 1-line block ×6, first 2 shown]
	scratch_load_dwordx4 v[216:219], off, off offset:288
	v_add_f64 v[0:1], v[0:1], v[246:247]
	v_add_f64 v[0:1], v[0:1], v[252:253]
	;; [unrolled: 1-line block ×6, first 2 shown]
	v_accvgpr_read_b32 v0, a126
	v_accvgpr_read_b32 v243, a125
	;; [unrolled: 1-line block ×4, first 2 shown]
	v_add_f64 v[0:1], v[252:253], v[0:1]
	v_accvgpr_read_b32 v241, a123
	v_accvgpr_read_b32 v240, a122
	v_mul_f64 v[4:5], v[46:47], v[242:243]
	v_add_f64 v[0:1], v[0:1], v[250:251]
	v_fma_f64 v[4:5], v[44:45], v[240:241], -v[4:5]
	v_add_f64 v[0:1], v[0:1], v[4:5]
	v_mul_f64 v[4:5], v[42:43], v[10:11]
	v_fma_f64 v[4:5], v[40:41], v[8:9], -v[4:5]
	v_add_f64 v[0:1], v[0:1], v[4:5]
	v_mul_f64 v[4:5], v[34:35], v[14:15]
	;; [unrolled: 3-line block ×28, first 2 shown]
	v_fma_f64 v[4:5], v[204:205], v[208:209], -v[4:5]
	v_add_f64 v[0:1], v[0:1], v[4:5]
	s_waitcnt vmcnt(0)
	v_add_f64 v[4:5], v[216:217], -v[0:1]
	v_accvgpr_read_b32 v0, a120
	v_add_f64 v[6:7], v[218:219], -v[2:3]
	v_cmp_lt_u32_e32 vcc, 16, v0
	scratch_store_dwordx4 off, v[4:7], off offset:288
	s_and_saveexec_b64 s[0:1], vcc
	s_cbranch_execz .LBB123_341
; %bb.340:
	scratch_load_dwordx4 v[2:5], off, s60
	v_mov_b32_e32 v6, 0
	v_mov_b32_e32 v7, v6
	;; [unrolled: 1-line block ×4, first 2 shown]
	v_accvgpr_read_b32 v0, a121
	scratch_store_dwordx4 off, v[6:9], off offset:272
	s_waitcnt vmcnt(1)
	ds_write_b128 v0, v[2:5]
.LBB123_341:
	s_or_b64 exec, exec, s[0:1]
	s_waitcnt lgkmcnt(0)
	; wave barrier
	scratch_load_dwordx4 v[96:99], off, off offset:288
	scratch_load_dwordx4 v[100:103], off, off offset:304
	;; [unrolled: 1-line block ×30, first 2 shown]
	v_mov_b32_e32 v2, 0
	ds_read_b128 v[136:139], v2 offset:1232
	ds_read_b128 v[144:147], v2 offset:1248
	;; [unrolled: 1-line block ×20, first 2 shown]
	s_waitcnt vmcnt(29) lgkmcnt(14)
	v_mul_f64 v[0:1], v[136:137], v[98:99]
	s_waitcnt vmcnt(28)
	v_mul_f64 v[72:73], v[144:145], v[102:103]
	v_fmac_f64_e32 v[0:1], v[138:139], v[96:97]
	s_waitcnt vmcnt(27)
	v_mul_f64 v[74:75], v[148:149], v[106:107]
	v_fmac_f64_e32 v[72:73], v[146:147], v[100:101]
	v_add_f64 v[0:1], v[0:1], 0
	s_waitcnt vmcnt(26)
	v_mul_f64 v[76:77], v[164:165], v[110:111]
	v_fmac_f64_e32 v[74:75], v[150:151], v[104:105]
	v_add_f64 v[0:1], v[0:1], v[72:73]
	;; [unrolled: 4-line block ×4, first 2 shown]
	s_waitcnt vmcnt(23) lgkmcnt(13)
	v_mul_f64 v[82:83], v[200:201], v[158:159]
	v_fmac_f64_e32 v[80:81], v[190:191], v[152:153]
	v_add_f64 v[0:1], v[0:1], v[78:79]
	s_waitcnt vmcnt(22) lgkmcnt(12)
	v_mul_f64 v[84:85], v[208:209], v[162:163]
	v_fmac_f64_e32 v[82:83], v[202:203], v[156:157]
	v_add_f64 v[0:1], v[0:1], v[80:81]
	;; [unrolled: 4-line block ×9, first 2 shown]
	s_waitcnt vmcnt(14) lgkmcnt(4)
	v_mul_f64 v[120:121], v[68:69], v[6:7]
	v_fmac_f64_e32 v[118:119], v[254:255], v[204:205]
	v_accvgpr_write_b32 a125, v7
	v_add_f64 v[0:1], v[0:1], v[116:117]
	v_fmac_f64_e32 v[120:121], v[70:71], v[4:5]
	v_accvgpr_write_b32 a124, v6
	v_accvgpr_write_b32 a123, v5
	;; [unrolled: 1-line block ×3, first 2 shown]
	v_add_f64 v[0:1], v[0:1], v[118:119]
	ds_read_b128 v[116:119], v2 offset:1504
	s_waitcnt vmcnt(13)
	v_mov_b64_e32 v[4:5], v[8:9]
	v_mov_b64_e32 v[6:7], v[10:11]
	s_waitcnt lgkmcnt(4)
	v_mul_f64 v[76:77], v[64:65], v[6:7]
	scratch_load_dwordx4 v[72:75], off, off offset:768
	v_add_f64 v[0:1], v[0:1], v[120:121]
	v_fmac_f64_e32 v[76:77], v[66:67], v[4:5]
	s_waitcnt vmcnt(13)
	v_mov_b64_e32 v[4:5], v[12:13]
	v_add_f64 v[0:1], v[0:1], v[76:77]
	v_mov_b64_e32 v[6:7], v[14:15]
	scratch_load_dwordx4 v[76:79], off, off offset:784
	ds_read_b128 v[120:123], v2 offset:1520
	s_waitcnt lgkmcnt(1)
	v_mul_f64 v[80:81], v[116:117], v[6:7]
	v_fmac_f64_e32 v[80:81], v[118:119], v[4:5]
	v_add_f64 v[0:1], v[0:1], v[80:81]
	scratch_load_dwordx4 v[80:83], off, off offset:800
	s_waitcnt vmcnt(14) lgkmcnt(0)
	v_mul_f64 v[84:85], v[120:121], v[236:237]
	v_fmac_f64_e32 v[84:85], v[122:123], v[234:235]
	s_waitcnt vmcnt(13)
	v_mul_f64 v[88:89], v[124:125], v[22:23]
	v_add_f64 v[0:1], v[0:1], v[84:85]
	v_fmac_f64_e32 v[88:89], v[126:127], v[20:21]
	scratch_load_dwordx4 v[84:87], off, off offset:816
	v_add_f64 v[0:1], v[0:1], v[88:89]
	s_waitcnt vmcnt(13)
	v_mul_f64 v[88:89], v[128:129], v[26:27]
	v_fmac_f64_e32 v[88:89], v[130:131], v[24:25]
	v_add_f64 v[0:1], v[0:1], v[88:89]
	scratch_load_dwordx4 v[88:91], off, off offset:832
	s_waitcnt vmcnt(13)
	v_mul_f64 v[92:93], v[132:133], v[30:31]
	v_fmac_f64_e32 v[92:93], v[134:135], v[28:29]
	v_add_f64 v[0:1], v[0:1], v[92:93]
	scratch_load_dwordx4 v[92:95], off, off offset:848
	v_mul_f64 v[98:99], v[138:139], v[98:99]
	v_fma_f64 v[240:241], v[136:137], v[96:97], -v[98:99]
	v_mul_f64 v[96:97], v[146:147], v[102:103]
	ds_read_b128 v[140:143], v2 offset:1584
	ds_read_b128 v[136:139], v2 offset:1600
	v_fma_f64 v[242:243], v[144:145], v[100:101], -v[96:97]
	scratch_load_dwordx4 v[100:103], off, off offset:864
	scratch_load_dwordx4 v[96:99], off, off offset:880
	s_waitcnt vmcnt(15) lgkmcnt(1)
	v_mul_f64 v[144:145], v[140:141], v[34:35]
	v_fmac_f64_e32 v[144:145], v[142:143], v[32:33]
	v_mul_f64 v[106:107], v[150:151], v[106:107]
	v_add_f64 v[0:1], v[0:1], v[144:145]
	s_waitcnt vmcnt(14) lgkmcnt(0)
	v_mul_f64 v[144:145], v[136:137], v[38:39]
	v_fma_f64 v[244:245], v[148:149], v[104:105], -v[106:107]
	v_mul_f64 v[104:105], v[166:167], v[110:111]
	v_fmac_f64_e32 v[144:145], v[138:139], v[36:37]
	v_fma_f64 v[246:247], v[164:165], v[108:109], -v[104:105]
	scratch_load_dwordx4 v[104:107], off, off offset:896
	v_add_f64 v[0:1], v[0:1], v[144:145]
	ds_read_b128 v[144:147], v2 offset:1616
	ds_read_b128 v[148:151], v2 offset:1632
	v_mul_f64 v[108:109], v[178:179], v[114:115]
	v_fma_f64 v[232:233], v[176:177], v[112:113], -v[108:109]
	scratch_load_dwordx4 v[108:111], off, off offset:912
	s_waitcnt vmcnt(15) lgkmcnt(1)
	v_mul_f64 v[112:113], v[144:145], v[42:43]
	v_fmac_f64_e32 v[112:113], v[146:147], v[40:41]
	v_add_f64 v[0:1], v[0:1], v[112:113]
	v_mul_f64 v[112:113], v[190:191], v[154:155]
	v_fma_f64 v[16:17], v[188:189], v[152:153], -v[112:113]
	scratch_load_dwordx4 v[112:115], off, off offset:928
	ds_read_b128 v[152:155], v2 offset:1648
	s_waitcnt vmcnt(15) lgkmcnt(1)
	v_mul_f64 v[6:7], v[148:149], v[46:47]
	v_fmac_f64_e32 v[6:7], v[150:151], v[44:45]
	v_accvgpr_write_b32 a133, v15
	v_add_f64 v[0:1], v[0:1], v[6:7]
	v_mul_f64 v[6:7], v[202:203], v[158:159]
	v_accvgpr_write_b32 a132, v14
	v_accvgpr_write_b32 a131, v13
	;; [unrolled: 1-line block ×3, first 2 shown]
	v_fma_f64 v[12:13], v[200:201], v[156:157], -v[6:7]
	ds_read_b128 v[156:159], v2 offset:1664
	s_waitcnt vmcnt(14) lgkmcnt(1)
	v_mul_f64 v[6:7], v[152:153], v[50:51]
	v_fmac_f64_e32 v[6:7], v[154:155], v[48:49]
	v_accvgpr_write_b32 a129, v11
	v_add_f64 v[0:1], v[0:1], v[6:7]
	v_mul_f64 v[6:7], v[210:211], v[162:163]
	v_accvgpr_write_b32 a128, v10
	v_accvgpr_write_b32 a127, v9
	;; [unrolled: 1-line block ×3, first 2 shown]
	v_fma_f64 v[10:11], v[208:209], v[160:161], -v[6:7]
	ds_read_b128 v[160:163], v2 offset:1680
	ds_read_b128 v[164:167], v2 offset:1696
	s_waitcnt vmcnt(13) lgkmcnt(2)
	v_mul_f64 v[6:7], v[156:157], v[54:55]
	v_fmac_f64_e32 v[6:7], v[158:159], v[52:53]
	v_add_f64 v[0:1], v[0:1], v[6:7]
	s_waitcnt vmcnt(12) lgkmcnt(1)
	v_mul_f64 v[6:7], v[160:161], v[62:63]
	v_fmac_f64_e32 v[6:7], v[162:163], v[60:61]
	v_add_f64 v[0:1], v[0:1], v[6:7]
	v_mul_f64 v[6:7], v[214:215], v[170:171]
	v_fma_f64 v[8:9], v[212:213], v[168:169], -v[6:7]
	s_waitcnt vmcnt(11) lgkmcnt(0)
	v_mul_f64 v[6:7], v[164:165], v[58:59]
	v_fmac_f64_e32 v[6:7], v[166:167], v[56:57]
	ds_read_b128 v[168:171], v2 offset:1712
	v_add_f64 v[0:1], v[0:1], v[6:7]
	v_mul_f64 v[6:7], v[218:219], v[174:175]
	v_fma_f64 v[14:15], v[216:217], v[172:173], -v[6:7]
	ds_read_b128 v[172:175], v2 offset:1728
	s_waitcnt vmcnt(10) lgkmcnt(1)
	v_mul_f64 v[6:7], v[168:169], v[74:75]
	ds_read_b128 v[176:179], v2 offset:1744
	v_fmac_f64_e32 v[6:7], v[170:171], v[72:73]
	v_add_f64 v[0:1], v[0:1], v[6:7]
	s_waitcnt vmcnt(9) lgkmcnt(1)
	v_mul_f64 v[6:7], v[172:173], v[78:79]
	v_fmac_f64_e32 v[6:7], v[174:175], v[76:77]
	v_add_f64 v[0:1], v[0:1], v[6:7]
	v_mul_f64 v[6:7], v[222:223], v[182:183]
	v_fma_f64 v[4:5], v[220:221], v[180:181], -v[6:7]
	ds_read_b128 v[180:183], v2 offset:1760
	s_waitcnt vmcnt(8) lgkmcnt(1)
	v_mul_f64 v[6:7], v[176:177], v[82:83]
	v_fmac_f64_e32 v[6:7], v[178:179], v[80:81]
	v_add_f64 v[0:1], v[0:1], v[6:7]
	v_mul_f64 v[6:7], v[226:227], v[186:187]
	v_fma_f64 v[6:7], v[224:225], v[184:185], -v[6:7]
	ds_read_b128 v[184:187], v2 offset:1776
	ds_read_b128 v[188:191], v2 offset:1792
	s_waitcnt vmcnt(7) lgkmcnt(2)
	v_mul_f64 v[18:19], v[180:181], v[86:87]
	v_fmac_f64_e32 v[18:19], v[182:183], v[84:85]
	v_add_f64 v[0:1], v[0:1], v[18:19]
	s_waitcnt vmcnt(6) lgkmcnt(1)
	v_mul_f64 v[18:19], v[184:185], v[90:91]
	v_fmac_f64_e32 v[18:19], v[186:187], v[88:89]
	v_add_f64 v[18:19], v[0:1], v[18:19]
	v_mul_f64 v[0:1], v[230:231], v[194:195]
	v_fma_f64 v[0:1], v[228:229], v[192:193], -v[0:1]
	ds_read_b128 v[192:195], v2 offset:1808
	s_waitcnt vmcnt(5) lgkmcnt(1)
	v_mul_f64 v[200:201], v[188:189], v[94:95]
	v_fmac_f64_e32 v[200:201], v[190:191], v[92:93]
	v_mul_f64 v[198:199], v[250:251], v[198:199]
	v_fma_f64 v[238:239], v[248:249], v[196:197], -v[198:199]
	ds_read_b128 v[196:199], v2 offset:1824
	v_add_f64 v[18:19], v[18:19], v[200:201]
	s_waitcnt vmcnt(4) lgkmcnt(1)
	v_mul_f64 v[200:201], v[192:193], v[102:103]
	v_fmac_f64_e32 v[200:201], v[194:195], v[100:101]
	v_add_f64 v[18:19], v[18:19], v[200:201]
	ds_read_b128 v[200:203], v2 offset:1840
	v_mul_f64 v[206:207], v[254:255], v[206:207]
	v_fma_f64 v[248:249], v[252:253], v[204:205], -v[206:207]
	ds_read_b128 v[204:207], v2 offset:1856
	s_waitcnt vmcnt(3) lgkmcnt(2)
	v_mul_f64 v[208:209], v[196:197], v[98:99]
	v_fmac_f64_e32 v[208:209], v[198:199], v[96:97]
	v_add_f64 v[18:19], v[18:19], v[208:209]
	s_waitcnt vmcnt(2) lgkmcnt(1)
	v_mul_f64 v[208:209], v[200:201], v[106:107]
	v_fmac_f64_e32 v[208:209], v[202:203], v[104:105]
	v_add_f64 v[18:19], v[18:19], v[208:209]
	;; [unrolled: 4-line block ×3, first 2 shown]
	ds_read_b128 v[208:211], v2 offset:1872
	ds_read_b128 v[216:219], v2 offset:1888
	;; [unrolled: 1-line block ×3, first 2 shown]
	s_waitcnt vmcnt(0) lgkmcnt(2)
	v_mul_f64 v[212:213], v[208:209], v[114:115]
	v_fmac_f64_e32 v[212:213], v[210:211], v[112:113]
	v_add_f64 v[18:19], v[18:19], v[212:213]
	scratch_load_dwordx4 v[212:215], off, off offset:944
	s_waitcnt vmcnt(0) lgkmcnt(1)
	v_mul_f64 v[220:221], v[216:217], v[214:215]
	v_fmac_f64_e32 v[220:221], v[218:219], v[212:213]
	v_add_f64 v[18:19], v[18:19], v[220:221]
	scratch_load_dwordx4 v[220:223], off, off offset:960
	;; [unrolled: 5-line block ×3, first 2 shown]
	v_add_f64 v[18:19], v[240:241], 0
	v_add_f64 v[18:19], v[18:19], v[242:243]
	;; [unrolled: 1-line block ×12, first 2 shown]
	v_accvgpr_read_b32 v6, a122
	v_accvgpr_read_b32 v8, a124
	;; [unrolled: 1-line block ×3, first 2 shown]
	v_add_f64 v[0:1], v[4:5], v[0:1]
	v_accvgpr_read_b32 v7, a123
	v_mul_f64 v[4:5], v[70:71], v[8:9]
	v_add_f64 v[0:1], v[0:1], v[238:239]
	v_fma_f64 v[4:5], v[68:69], v[6:7], -v[4:5]
	v_accvgpr_read_b32 v6, a126
	v_add_f64 v[0:1], v[0:1], v[248:249]
	v_accvgpr_read_b32 v8, a128
	v_accvgpr_read_b32 v9, a129
	v_add_f64 v[0:1], v[0:1], v[4:5]
	v_accvgpr_read_b32 v7, a127
	v_mul_f64 v[4:5], v[66:67], v[8:9]
	v_fma_f64 v[4:5], v[64:65], v[6:7], -v[4:5]
	v_accvgpr_read_b32 v6, a130
	v_accvgpr_read_b32 v8, a132
	;; [unrolled: 1-line block ×3, first 2 shown]
	v_add_f64 v[0:1], v[0:1], v[4:5]
	v_accvgpr_read_b32 v7, a131
	v_mul_f64 v[4:5], v[118:119], v[8:9]
	v_fma_f64 v[4:5], v[116:117], v[6:7], -v[4:5]
	v_add_f64 v[0:1], v[0:1], v[4:5]
	v_mul_f64 v[4:5], v[122:123], v[236:237]
	v_fma_f64 v[4:5], v[120:121], v[234:235], -v[4:5]
	v_add_f64 v[0:1], v[0:1], v[4:5]
	;; [unrolled: 3-line block ×26, first 2 shown]
	s_waitcnt vmcnt(0)
	v_add_f64 v[4:5], v[228:229], -v[0:1]
	v_accvgpr_read_b32 v0, a120
	v_add_f64 v[6:7], v[230:231], -v[252:253]
	v_cmp_lt_u32_e32 vcc, 15, v0
	scratch_store_dwordx4 off, v[4:7], off offset:272
	s_and_saveexec_b64 s[0:1], vcc
	s_cbranch_execz .LBB123_343
; %bb.342:
	scratch_load_dwordx4 v[6:9], off, s61
	v_mov_b32_e32 v3, v2
	v_mov_b32_e32 v4, v2
	;; [unrolled: 1-line block ×3, first 2 shown]
	v_accvgpr_read_b32 v0, a121
	scratch_store_dwordx4 off, v[2:5], off offset:256
	s_waitcnt vmcnt(1)
	ds_write_b128 v0, v[6:9]
.LBB123_343:
	s_or_b64 exec, exec, s[0:1]
	s_waitcnt lgkmcnt(0)
	; wave barrier
	scratch_load_dwordx4 v[72:75], off, off offset:272
	scratch_load_dwordx4 v[76:79], off, off offset:288
	;; [unrolled: 1-line block ×17, first 2 shown]
	ds_read_b128 v[176:179], v2 offset:1216
	ds_read_b128 v[192:195], v2 offset:1232
	;; [unrolled: 1-line block ×3, first 2 shown]
	scratch_load_dwordx4 v[20:23], off, off offset:544
	ds_read_b128 v[236:239], v2 offset:1264
	ds_read_b128 v[232:235], v2 offset:1280
	;; [unrolled: 1-line block ×5, first 2 shown]
	scratch_load_dwordx4 v[168:171], off, off offset:560
	ds_read_b128 v[224:227], v2 offset:1344
	ds_read_b128 v[212:215], v2 offset:1360
	;; [unrolled: 1-line block ×3, first 2 shown]
	scratch_load_dwordx4 v[12:15], off, off offset:576
	ds_read_b128 v[216:219], v2 offset:1392
	ds_read_b128 v[204:207], v2 offset:1408
	;; [unrolled: 1-line block ×5, first 2 shown]
	scratch_load_dwordx4 v[28:31], off, off offset:592
	ds_read_b128 v[32:35], v2 offset:1472
	scratch_load_dwordx4 v[36:39], off, off offset:608
	scratch_load_dwordx4 v[40:43], off, off offset:624
	scratch_load_dwordx4 v[44:47], off, off offset:640
	scratch_load_dwordx4 v[48:51], off, off offset:656
	scratch_load_dwordx4 v[52:55], off, off offset:672
	scratch_load_dwordx4 v[56:59], off, off offset:688
	scratch_load_dwordx4 v[60:63], off, off offset:704
	scratch_load_dwordx4 v[68:71], off, off offset:720
	scratch_load_dwordx4 v[64:67], off, off offset:736
	ds_read_b128 v[132:135], v2 offset:1488
	s_waitcnt lgkmcnt(2)
	v_accvgpr_write_b32 a129, v19
	v_accvgpr_write_b32 a128, v18
	;; [unrolled: 1-line block ×4, first 2 shown]
	ds_read_b128 v[172:175], v2 offset:1552
	s_waitcnt vmcnt(29)
	v_mul_f64 v[0:1], v[176:177], v[74:75]
	s_waitcnt vmcnt(28)
	v_mul_f64 v[136:137], v[192:193], v[78:79]
	v_fmac_f64_e32 v[0:1], v[178:179], v[72:73]
	s_waitcnt vmcnt(27)
	v_mul_f64 v[138:139], v[188:189], v[82:83]
	v_fmac_f64_e32 v[136:137], v[194:195], v[76:77]
	v_add_f64 v[0:1], v[0:1], 0
	s_waitcnt vmcnt(26)
	v_mul_f64 v[140:141], v[236:237], v[86:87]
	v_fmac_f64_e32 v[138:139], v[190:191], v[80:81]
	v_add_f64 v[0:1], v[0:1], v[136:137]
	;; [unrolled: 4-line block ×14, first 2 shown]
	v_fmac_f64_e32 v[164:165], v[18:19], v[4:5]
	v_add_f64 v[0:1], v[0:1], v[162:163]
	s_waitcnt vmcnt(13) lgkmcnt(2)
	v_mul_f64 v[140:141], v[32:33], v[26:27]
	scratch_load_dwordx4 v[136:139], off, off offset:752
	v_add_f64 v[0:1], v[0:1], v[164:165]
	v_fmac_f64_e32 v[140:141], v[34:35], v[24:25]
	v_add_f64 v[0:1], v[0:1], v[140:141]
	ds_read_b128 v[160:163], v2 offset:1504
	scratch_load_dwordx4 v[140:143], off, off offset:768
	ds_read_b128 v[164:167], v2 offset:1520
	s_waitcnt vmcnt(13)
	v_mov_b64_e32 v[16:17], v[168:169]
	v_mov_b64_e32 v[18:19], v[170:171]
	ds_read_b128 v[168:171], v2 offset:1536
	s_waitcnt lgkmcnt(4)
	v_mul_f64 v[144:145], v[132:133], v[22:23]
	v_fmac_f64_e32 v[144:145], v[134:135], v[20:21]
	s_waitcnt lgkmcnt(2)
	v_mul_f64 v[148:149], v[160:161], v[18:19]
	v_add_f64 v[0:1], v[0:1], v[144:145]
	v_fmac_f64_e32 v[148:149], v[162:163], v[16:17]
	s_waitcnt vmcnt(12) lgkmcnt(1)
	v_mul_f64 v[152:153], v[164:165], v[14:15]
	scratch_load_dwordx4 v[144:147], off, off offset:784
	v_add_f64 v[0:1], v[0:1], v[148:149]
	v_fmac_f64_e32 v[152:153], v[166:167], v[12:13]
	scratch_load_dwordx4 v[148:151], off, off offset:800
	v_add_f64 v[0:1], v[0:1], v[152:153]
	s_waitcnt vmcnt(13) lgkmcnt(0)
	v_mul_f64 v[152:153], v[168:169], v[30:31]
	v_fmac_f64_e32 v[152:153], v[170:171], v[28:29]
	v_add_f64 v[0:1], v[0:1], v[152:153]
	scratch_load_dwordx4 v[152:155], off, off offset:816
	s_waitcnt vmcnt(13)
	v_mul_f64 v[156:157], v[172:173], v[38:39]
	v_fmac_f64_e32 v[156:157], v[174:175], v[36:37]
	v_mul_f64 v[74:75], v[178:179], v[74:75]
	v_add_f64 v[0:1], v[0:1], v[156:157]
	scratch_load_dwordx4 v[156:159], off, off offset:832
	v_fma_f64 v[240:241], v[176:177], v[72:73], -v[74:75]
	v_mul_f64 v[72:73], v[194:195], v[78:79]
	ds_read_b128 v[180:183], v2 offset:1568
	ds_read_b128 v[176:179], v2 offset:1584
	v_fma_f64 v[242:243], v[192:193], v[76:77], -v[72:73]
	scratch_load_dwordx4 v[76:79], off, off offset:848
	scratch_load_dwordx4 v[72:75], off, off offset:864
	v_mul_f64 v[82:83], v[190:191], v[82:83]
	v_fma_f64 v[244:245], v[188:189], v[80:81], -v[82:83]
	v_mul_f64 v[80:81], v[238:239], v[86:87]
	v_fma_f64 v[236:237], v[236:237], v[84:85], -v[80:81]
	scratch_load_dwordx4 v[80:83], off, off offset:880
	ds_read_b128 v[188:191], v2 offset:1600
	v_mul_f64 v[84:85], v[234:235], v[90:91]
	s_waitcnt vmcnt(16) lgkmcnt(2)
	v_mul_f64 v[192:193], v[180:181], v[42:43]
	v_fma_f64 v[238:239], v[232:233], v[88:89], -v[84:85]
	scratch_load_dwordx4 v[84:87], off, off offset:896
	v_fmac_f64_e32 v[192:193], v[182:183], v[40:41]
	v_add_f64 v[0:1], v[0:1], v[192:193]
	s_waitcnt vmcnt(16) lgkmcnt(1)
	v_mul_f64 v[192:193], v[176:177], v[46:47]
	v_fmac_f64_e32 v[192:193], v[178:179], v[44:45]
	v_add_f64 v[0:1], v[0:1], v[192:193]
	ds_read_b128 v[192:195], v2 offset:1616
	s_waitcnt vmcnt(15) lgkmcnt(1)
	v_mul_f64 v[88:89], v[188:189], v[50:51]
	v_fmac_f64_e32 v[88:89], v[190:191], v[48:49]
	v_add_f64 v[0:1], v[0:1], v[88:89]
	v_mul_f64 v[88:89], v[230:231], v[94:95]
	v_fma_f64 v[246:247], v[228:229], v[92:93], -v[88:89]
	scratch_load_dwordx4 v[88:91], off, off offset:912
	scratch_load_dwordx4 v[232:235], off, off offset:960
	ds_read_b128 v[92:95], v2 offset:1632
	v_mul_f64 v[98:99], v[222:223], v[98:99]
	v_fma_f64 v[252:253], v[220:221], v[96:97], -v[98:99]
	ds_read_b128 v[96:99], v2 offset:1648
	v_mul_f64 v[102:103], v[210:211], v[102:103]
	s_waitcnt vmcnt(16) lgkmcnt(2)
	v_mul_f64 v[228:229], v[192:193], v[54:55]
	v_fma_f64 v[254:255], v[208:209], v[100:101], -v[102:103]
	ds_read_b128 v[100:103], v2 offset:1664
	ds_read_b128 v[208:211], v2 offset:1680
	v_fmac_f64_e32 v[228:229], v[194:195], v[52:53]
	s_waitcnt vmcnt(15) lgkmcnt(3)
	v_mul_f64 v[220:221], v[92:93], v[58:59]
	v_add_f64 v[0:1], v[0:1], v[228:229]
	v_fmac_f64_e32 v[220:221], v[94:95], v[56:57]
	v_mul_f64 v[106:107], v[226:227], v[106:107]
	v_add_f64 v[0:1], v[0:1], v[220:221]
	s_waitcnt vmcnt(14) lgkmcnt(2)
	v_mul_f64 v[220:221], v[96:97], v[62:63]
	v_fma_f64 v[248:249], v[224:225], v[104:105], -v[106:107]
	ds_read_b128 v[104:107], v2 offset:1696
	v_fmac_f64_e32 v[220:221], v[98:99], v[60:61]
	v_mul_f64 v[110:111], v[214:215], v[110:111]
	v_add_f64 v[0:1], v[0:1], v[220:221]
	s_waitcnt vmcnt(13) lgkmcnt(2)
	v_mul_f64 v[220:221], v[100:101], v[70:71]
	v_fma_f64 v[8:9], v[212:213], v[108:109], -v[110:111]
	ds_read_b128 v[108:111], v2 offset:1712
	v_fmac_f64_e32 v[220:221], v[102:103], v[68:69]
	v_accvgpr_write_b32 a125, v7
	v_add_f64 v[0:1], v[0:1], v[220:221]
	s_waitcnt vmcnt(12) lgkmcnt(2)
	v_mul_f64 v[220:221], v[208:209], v[66:67]
	v_accvgpr_write_b32 a124, v6
	v_accvgpr_write_b32 a123, v5
	;; [unrolled: 1-line block ×3, first 2 shown]
	v_fmac_f64_e32 v[220:221], v[210:211], v[64:65]
	s_waitcnt vmcnt(11) lgkmcnt(1)
	v_mul_f64 v[6:7], v[104:105], v[138:139]
	v_add_f64 v[0:1], v[0:1], v[220:221]
	v_fmac_f64_e32 v[6:7], v[106:107], v[136:137]
	v_add_f64 v[0:1], v[0:1], v[6:7]
	s_waitcnt vmcnt(10) lgkmcnt(0)
	v_mul_f64 v[6:7], v[108:109], v[142:143]
	v_fmac_f64_e32 v[6:7], v[110:111], v[140:141]
	ds_read_b128 v[212:215], v2 offset:1728
	v_add_f64 v[0:1], v[0:1], v[6:7]
	v_mul_f64 v[6:7], v[202:203], v[114:115]
	v_fma_f64 v[6:7], v[200:201], v[112:113], -v[6:7]
	ds_read_b128 v[112:115], v2 offset:1744
	v_mul_f64 v[118:119], v[218:219], v[118:119]
	v_fma_f64 v[4:5], v[216:217], v[116:117], -v[118:119]
	ds_read_b128 v[116:119], v2 offset:1760
	s_waitcnt vmcnt(9) lgkmcnt(2)
	v_mul_f64 v[200:201], v[212:213], v[146:147]
	v_fmac_f64_e32 v[200:201], v[214:215], v[144:145]
	s_waitcnt vmcnt(8) lgkmcnt(1)
	v_mul_f64 v[10:11], v[112:113], v[150:151]
	v_add_f64 v[0:1], v[0:1], v[200:201]
	v_fmac_f64_e32 v[10:11], v[114:115], v[148:149]
	v_add_f64 v[0:1], v[0:1], v[10:11]
	ds_read_b128 v[200:203], v2 offset:1776
	s_waitcnt vmcnt(7) lgkmcnt(1)
	v_mul_f64 v[10:11], v[116:117], v[154:155]
	v_fmac_f64_e32 v[10:11], v[118:119], v[152:153]
	v_add_f64 v[10:11], v[0:1], v[10:11]
	v_mul_f64 v[0:1], v[206:207], v[122:123]
	v_fma_f64 v[0:1], v[204:205], v[120:121], -v[0:1]
	ds_read_b128 v[120:123], v2 offset:1792
	v_mul_f64 v[126:127], v[198:199], v[126:127]
	v_fma_f64 v[124:125], v[196:197], v[124:125], -v[126:127]
	s_waitcnt vmcnt(6) lgkmcnt(1)
	v_mul_f64 v[204:205], v[200:201], v[158:159]
	v_accvgpr_write_b32 a131, v125
	v_fmac_f64_e32 v[204:205], v[202:203], v[156:157]
	v_accvgpr_write_b32 a130, v124
	ds_read_b128 v[124:127], v2 offset:1808
	s_waitcnt vmcnt(5) lgkmcnt(1)
	v_mul_f64 v[196:197], v[120:121], v[78:79]
	v_add_f64 v[10:11], v[10:11], v[204:205]
	v_fmac_f64_e32 v[196:197], v[122:123], v[76:77]
	v_add_f64 v[10:11], v[10:11], v[196:197]
	ds_read_b128 v[196:199], v2 offset:1824
	v_mul_f64 v[130:131], v[186:187], v[130:131]
	v_fma_f64 v[250:251], v[184:185], v[128:129], -v[130:131]
	ds_read_b128 v[128:131], v2 offset:1840
	s_waitcnt vmcnt(4) lgkmcnt(2)
	v_mul_f64 v[184:185], v[124:125], v[74:75]
	v_fmac_f64_e32 v[184:185], v[126:127], v[72:73]
	v_add_f64 v[10:11], v[10:11], v[184:185]
	s_waitcnt vmcnt(3) lgkmcnt(1)
	v_mul_f64 v[184:185], v[196:197], v[82:83]
	v_fmac_f64_e32 v[184:185], v[198:199], v[80:81]
	v_add_f64 v[10:11], v[10:11], v[184:185]
	;; [unrolled: 4-line block ×3, first 2 shown]
	ds_read_b128 v[184:187], v2 offset:1856
	ds_read_b128 v[216:219], v2 offset:1872
	;; [unrolled: 1-line block ×3, first 2 shown]
	s_waitcnt vmcnt(1) lgkmcnt(2)
	v_mul_f64 v[204:205], v[184:185], v[90:91]
	v_fmac_f64_e32 v[204:205], v[186:187], v[88:89]
	v_add_f64 v[10:11], v[10:11], v[204:205]
	scratch_load_dwordx4 v[204:207], off, off offset:928
	s_waitcnt vmcnt(0) lgkmcnt(1)
	v_mul_f64 v[220:221], v[216:217], v[206:207]
	v_fmac_f64_e32 v[220:221], v[218:219], v[204:205]
	v_add_f64 v[10:11], v[10:11], v[220:221]
	scratch_load_dwordx4 v[220:223], off, off offset:944
	s_waitcnt vmcnt(0) lgkmcnt(0)
	v_mul_f64 v[228:229], v[224:225], v[222:223]
	v_fmac_f64_e32 v[228:229], v[226:227], v[220:221]
	v_add_f64 v[10:11], v[10:11], v[228:229]
	ds_read_b128 v[228:231], v2 offset:1904
	s_waitcnt lgkmcnt(0)
	v_mul_f64 v[2:3], v[228:229], v[234:235]
	v_fmac_f64_e32 v[2:3], v[230:231], v[232:233]
	v_add_f64 v[2:3], v[10:11], v[2:3]
	v_add_f64 v[10:11], v[240:241], 0
	;; [unrolled: 1-line block ×6, first 2 shown]
	scratch_load_dwordx4 v[236:239], off, off offset:256
	v_add_f64 v[10:11], v[10:11], v[246:247]
	v_add_f64 v[10:11], v[10:11], v[252:253]
	;; [unrolled: 1-line block ×8, first 2 shown]
	v_accvgpr_read_b32 v0, a130
	v_accvgpr_read_b32 v6, a122
	;; [unrolled: 1-line block ×7, first 2 shown]
	v_add_f64 v[0:1], v[252:253], v[0:1]
	v_accvgpr_read_b32 v7, a123
	v_accvgpr_read_b32 v241, a127
	v_accvgpr_read_b32 v240, a126
	v_mul_f64 v[4:5], v[242:243], v[8:9]
	v_add_f64 v[0:1], v[0:1], v[250:251]
	v_fma_f64 v[4:5], v[240:241], v[6:7], -v[4:5]
	v_add_f64 v[0:1], v[0:1], v[4:5]
	v_mul_f64 v[4:5], v[34:35], v[26:27]
	v_fma_f64 v[4:5], v[32:33], v[24:25], -v[4:5]
	v_add_f64 v[0:1], v[0:1], v[4:5]
	v_mul_f64 v[4:5], v[134:135], v[22:23]
	;; [unrolled: 3-line block ×28, first 2 shown]
	v_fma_f64 v[4:5], v[228:229], v[232:233], -v[4:5]
	v_add_f64 v[0:1], v[0:1], v[4:5]
	s_waitcnt vmcnt(0)
	v_add_f64 v[4:5], v[236:237], -v[0:1]
	v_accvgpr_read_b32 v0, a120
	v_add_f64 v[6:7], v[238:239], -v[2:3]
	v_cmp_lt_u32_e32 vcc, 14, v0
	scratch_store_dwordx4 off, v[4:7], off offset:256
	s_and_saveexec_b64 s[0:1], vcc
	s_cbranch_execz .LBB123_345
; %bb.344:
	scratch_load_dwordx4 v[2:5], off, s62
	v_mov_b32_e32 v6, 0
	v_mov_b32_e32 v7, v6
	;; [unrolled: 1-line block ×4, first 2 shown]
	v_accvgpr_read_b32 v0, a121
	scratch_store_dwordx4 off, v[6:9], off offset:240
	s_waitcnt vmcnt(1)
	ds_write_b128 v0, v[2:5]
.LBB123_345:
	s_or_b64 exec, exec, s[0:1]
	s_waitcnt lgkmcnt(0)
	; wave barrier
	scratch_load_dwordx4 v[80:83], off, off offset:256
	scratch_load_dwordx4 v[84:87], off, off offset:272
	;; [unrolled: 1-line block ×29, first 2 shown]
	v_mov_b32_e32 v2, 0
	ds_read_b128 v[132:135], v2 offset:1200
	ds_read_b128 v[136:139], v2 offset:1216
	;; [unrolled: 1-line block ×22, first 2 shown]
	s_waitcnt vmcnt(28) lgkmcnt(14)
	v_mul_f64 v[0:1], v[132:133], v[82:83]
	s_waitcnt vmcnt(27)
	v_mul_f64 v[56:57], v[136:137], v[86:87]
	v_fmac_f64_e32 v[0:1], v[134:135], v[80:81]
	s_waitcnt vmcnt(26)
	v_mul_f64 v[58:59], v[140:141], v[90:91]
	v_fmac_f64_e32 v[56:57], v[138:139], v[84:85]
	v_add_f64 v[0:1], v[0:1], 0
	s_waitcnt vmcnt(25)
	v_mul_f64 v[60:61], v[148:149], v[94:95]
	v_fmac_f64_e32 v[58:59], v[142:143], v[88:89]
	v_add_f64 v[0:1], v[0:1], v[56:57]
	;; [unrolled: 4-line block ×6, first 2 shown]
	s_waitcnt vmcnt(20) lgkmcnt(13)
	v_mul_f64 v[70:71], v[204:205], v[154:155]
	v_fmac_f64_e32 v[68:69], v[198:199], v[144:145]
	v_add_f64 v[0:1], v[0:1], v[66:67]
	s_waitcnt vmcnt(19) lgkmcnt(12)
	v_mul_f64 v[72:73], v[208:209], v[158:159]
	v_fmac_f64_e32 v[70:71], v[206:207], v[152:153]
	v_add_f64 v[0:1], v[0:1], v[68:69]
	s_waitcnt vmcnt(18) lgkmcnt(11)
	v_mul_f64 v[74:75], v[212:213], v[166:167]
	v_fmac_f64_e32 v[72:73], v[210:211], v[156:157]
	v_add_f64 v[0:1], v[0:1], v[70:71]
	s_waitcnt vmcnt(17) lgkmcnt(10)
	v_mul_f64 v[76:77], v[216:217], v[170:171]
	v_fmac_f64_e32 v[74:75], v[214:215], v[164:165]
	v_add_f64 v[0:1], v[0:1], v[72:73]
	s_waitcnt vmcnt(16) lgkmcnt(9)
	v_mul_f64 v[78:79], v[220:221], v[178:179]
	v_fmac_f64_e32 v[76:77], v[218:219], v[168:169]
	v_add_f64 v[0:1], v[0:1], v[74:75]
	s_waitcnt vmcnt(15) lgkmcnt(8)
	v_mul_f64 v[108:109], v[224:225], v[182:183]
	v_fmac_f64_e32 v[78:79], v[222:223], v[176:177]
	v_add_f64 v[0:1], v[0:1], v[76:77]
	s_waitcnt vmcnt(14) lgkmcnt(7)
	v_mul_f64 v[110:111], v[228:229], v[190:191]
	v_fmac_f64_e32 v[108:109], v[226:227], v[180:181]
	v_add_f64 v[0:1], v[0:1], v[78:79]
	s_waitcnt vmcnt(13) lgkmcnt(6)
	v_mul_f64 v[112:113], v[248:249], v[194:195]
	v_fmac_f64_e32 v[110:111], v[230:231], v[188:189]
	v_add_f64 v[0:1], v[0:1], v[108:109]
	v_fmac_f64_e32 v[112:113], v[250:251], v[192:193]
	v_add_f64 v[0:1], v[0:1], v[110:111]
	s_waitcnt vmcnt(12) lgkmcnt(5)
	v_mul_f64 v[60:61], v[252:253], v[202:203]
	scratch_load_dwordx4 v[56:59], off, off offset:720
	ds_read_b128 v[108:111], v2 offset:1488
	v_add_f64 v[0:1], v[0:1], v[112:113]
	v_fmac_f64_e32 v[60:61], v[254:255], v[200:201]
	v_add_f64 v[0:1], v[0:1], v[60:61]
	s_waitcnt vmcnt(12) lgkmcnt(5)
	v_mul_f64 v[64:65], v[52:53], v[6:7]
	scratch_load_dwordx4 v[60:63], off, off offset:736
	v_accvgpr_write_b32 a125, v7
	v_fmac_f64_e32 v[64:65], v[54:55], v[4:5]
	v_accvgpr_write_b32 a124, v6
	v_accvgpr_write_b32 a123, v5
	;; [unrolled: 1-line block ×3, first 2 shown]
	ds_read_b128 v[112:115], v2 offset:1504
	s_waitcnt vmcnt(12)
	v_mov_b64_e32 v[4:5], v[8:9]
	v_mov_b64_e32 v[6:7], v[10:11]
	s_waitcnt lgkmcnt(1)
	v_mul_f64 v[68:69], v[108:109], v[6:7]
	v_fmac_f64_e32 v[68:69], v[110:111], v[4:5]
	s_waitcnt vmcnt(11)
	v_mov_b64_e32 v[4:5], v[12:13]
	v_add_f64 v[0:1], v[0:1], v[64:65]
	v_mov_b64_e32 v[6:7], v[14:15]
	scratch_load_dwordx4 v[64:67], off, off offset:752
	v_add_f64 v[0:1], v[0:1], v[68:69]
	s_waitcnt lgkmcnt(0)
	v_mul_f64 v[68:69], v[112:113], v[6:7]
	v_fmac_f64_e32 v[68:69], v[114:115], v[4:5]
	s_waitcnt vmcnt(11)
	v_mov_b64_e32 v[4:5], v[16:17]
	v_add_f64 v[0:1], v[0:1], v[68:69]
	scratch_load_dwordx4 v[68:71], off, off offset:768
	v_mov_b64_e32 v[6:7], v[18:19]
	v_mul_f64 v[76:77], v[116:117], v[6:7]
	scratch_load_dwordx4 v[72:75], off, off offset:784
	v_fmac_f64_e32 v[76:77], v[118:119], v[4:5]
	v_add_f64 v[0:1], v[0:1], v[76:77]
	s_waitcnt vmcnt(12)
	v_mul_f64 v[76:77], v[120:121], v[236:237]
	v_fmac_f64_e32 v[76:77], v[122:123], v[234:235]
	v_add_f64 v[0:1], v[0:1], v[76:77]
	scratch_load_dwordx4 v[76:79], off, off offset:800
	v_mul_f64 v[82:83], v[134:135], v[82:83]
	v_fma_f64 v[240:241], v[132:133], v[80:81], -v[82:83]
	scratch_load_dwordx4 v[80:83], off, off offset:816
	v_mul_f64 v[86:87], v[138:139], v[86:87]
	v_fma_f64 v[242:243], v[136:137], v[84:85], -v[86:87]
	scratch_load_dwordx4 v[84:87], off, off offset:832
	v_mul_f64 v[90:91], v[142:143], v[90:91]
	s_waitcnt vmcnt(14)
	v_mul_f64 v[132:133], v[124:125], v[26:27]
	v_fma_f64 v[244:245], v[140:141], v[88:89], -v[90:91]
	scratch_load_dwordx4 v[88:91], off, off offset:848
	v_fmac_f64_e32 v[132:133], v[126:127], v[24:25]
	s_waitcnt vmcnt(14)
	v_mul_f64 v[136:137], v[128:129], v[30:31]
	v_mul_f64 v[94:95], v[150:151], v[94:95]
	v_add_f64 v[0:1], v[0:1], v[132:133]
	v_fmac_f64_e32 v[136:137], v[130:131], v[28:29]
	v_fma_f64 v[246:247], v[148:149], v[92:93], -v[94:95]
	v_mul_f64 v[92:93], v[162:163], v[98:99]
	ds_read_b128 v[132:135], v2 offset:1584
	v_add_f64 v[0:1], v[0:1], v[136:137]
	ds_read_b128 v[136:139], v2 offset:1600
	v_fma_f64 v[232:233], v[160:161], v[96:97], -v[92:93]
	scratch_load_dwordx4 v[96:99], off, off offset:864
	scratch_load_dwordx4 v[92:95], off, off offset:880
	v_mul_f64 v[102:103], v[174:175], v[102:103]
	v_fma_f64 v[20:21], v[172:173], v[100:101], -v[102:103]
	scratch_load_dwordx4 v[100:103], off, off offset:896
	v_accvgpr_write_b32 a137, v19
	v_mul_f64 v[6:7], v[186:187], v[106:107]
	v_accvgpr_write_b32 a136, v18
	v_accvgpr_write_b32 a135, v17
	;; [unrolled: 1-line block ×3, first 2 shown]
	v_fma_f64 v[16:17], v[184:185], v[104:105], -v[6:7]
	scratch_load_dwordx4 v[104:107], off, off offset:912
	s_waitcnt vmcnt(17) lgkmcnt(1)
	v_mul_f64 v[140:141], v[132:133], v[34:35]
	v_fmac_f64_e32 v[140:141], v[134:135], v[32:33]
	v_add_f64 v[0:1], v[0:1], v[140:141]
	ds_read_b128 v[140:143], v2 offset:1616
	v_accvgpr_write_b32 a133, v15
	v_mul_f64 v[6:7], v[198:199], v[146:147]
	v_accvgpr_write_b32 a132, v14
	v_accvgpr_write_b32 a131, v13
	;; [unrolled: 1-line block ×3, first 2 shown]
	v_fma_f64 v[12:13], v[196:197], v[144:145], -v[6:7]
	ds_read_b128 v[144:147], v2 offset:1632
	s_waitcnt vmcnt(16) lgkmcnt(2)
	v_mul_f64 v[148:149], v[136:137], v[38:39]
	v_fmac_f64_e32 v[148:149], v[138:139], v[36:37]
	v_add_f64 v[0:1], v[0:1], v[148:149]
	s_waitcnt vmcnt(15) lgkmcnt(1)
	v_mul_f64 v[6:7], v[140:141], v[42:43]
	ds_read_b128 v[148:151], v2 offset:1648
	v_fmac_f64_e32 v[6:7], v[142:143], v[40:41]
	v_add_f64 v[0:1], v[0:1], v[6:7]
	s_waitcnt vmcnt(14) lgkmcnt(1)
	v_mul_f64 v[6:7], v[144:145], v[46:47]
	v_fmac_f64_e32 v[6:7], v[146:147], v[44:45]
	v_accvgpr_write_b32 a129, v11
	v_add_f64 v[0:1], v[0:1], v[6:7]
	v_mul_f64 v[6:7], v[206:207], v[154:155]
	v_accvgpr_write_b32 a128, v10
	v_accvgpr_write_b32 a127, v9
	;; [unrolled: 1-line block ×3, first 2 shown]
	v_fma_f64 v[10:11], v[204:205], v[152:153], -v[6:7]
	ds_read_b128 v[152:155], v2 offset:1664
	s_waitcnt vmcnt(13) lgkmcnt(1)
	v_mul_f64 v[6:7], v[148:149], v[50:51]
	v_fmac_f64_e32 v[6:7], v[150:151], v[48:49]
	v_add_f64 v[0:1], v[0:1], v[6:7]
	v_mul_f64 v[6:7], v[210:211], v[158:159]
	v_fma_f64 v[14:15], v[208:209], v[156:157], -v[6:7]
	ds_read_b128 v[156:159], v2 offset:1680
	ds_read_b128 v[160:163], v2 offset:1696
	s_waitcnt vmcnt(12) lgkmcnt(2)
	v_mul_f64 v[6:7], v[152:153], v[58:59]
	v_fmac_f64_e32 v[6:7], v[154:155], v[56:57]
	v_add_f64 v[0:1], v[0:1], v[6:7]
	s_waitcnt vmcnt(11) lgkmcnt(1)
	v_mul_f64 v[6:7], v[156:157], v[62:63]
	v_fmac_f64_e32 v[6:7], v[158:159], v[60:61]
	v_add_f64 v[0:1], v[0:1], v[6:7]
	v_mul_f64 v[6:7], v[214:215], v[166:167]
	v_fma_f64 v[8:9], v[212:213], v[164:165], -v[6:7]
	ds_read_b128 v[164:167], v2 offset:1712
	v_mul_f64 v[18:19], v[218:219], v[170:171]
	v_fma_f64 v[18:19], v[216:217], v[168:169], -v[18:19]
	ds_read_b128 v[168:171], v2 offset:1728
	s_waitcnt vmcnt(10) lgkmcnt(2)
	v_mul_f64 v[6:7], v[160:161], v[66:67]
	v_fmac_f64_e32 v[6:7], v[162:163], v[64:65]
	v_add_f64 v[0:1], v[0:1], v[6:7]
	s_waitcnt vmcnt(9) lgkmcnt(1)
	v_mul_f64 v[6:7], v[164:165], v[70:71]
	ds_read_b128 v[172:175], v2 offset:1744
	v_fmac_f64_e32 v[6:7], v[166:167], v[68:69]
	v_add_f64 v[0:1], v[0:1], v[6:7]
	s_waitcnt vmcnt(8) lgkmcnt(1)
	v_mul_f64 v[6:7], v[168:169], v[74:75]
	v_fmac_f64_e32 v[6:7], v[170:171], v[72:73]
	v_add_f64 v[0:1], v[0:1], v[6:7]
	v_mul_f64 v[6:7], v[222:223], v[178:179]
	v_fma_f64 v[4:5], v[220:221], v[176:177], -v[6:7]
	ds_read_b128 v[176:179], v2 offset:1760
	s_waitcnt vmcnt(7) lgkmcnt(1)
	v_mul_f64 v[6:7], v[172:173], v[78:79]
	v_fmac_f64_e32 v[6:7], v[174:175], v[76:77]
	v_add_f64 v[0:1], v[0:1], v[6:7]
	v_mul_f64 v[6:7], v[226:227], v[182:183]
	v_fma_f64 v[6:7], v[224:225], v[180:181], -v[6:7]
	ds_read_b128 v[180:183], v2 offset:1776
	ds_read_b128 v[184:187], v2 offset:1792
	s_waitcnt vmcnt(6) lgkmcnt(2)
	v_mul_f64 v[22:23], v[176:177], v[82:83]
	v_fmac_f64_e32 v[22:23], v[178:179], v[80:81]
	v_add_f64 v[0:1], v[0:1], v[22:23]
	s_waitcnt vmcnt(5) lgkmcnt(1)
	v_mul_f64 v[22:23], v[180:181], v[86:87]
	v_fmac_f64_e32 v[22:23], v[182:183], v[84:85]
	v_add_f64 v[22:23], v[0:1], v[22:23]
	v_mul_f64 v[0:1], v[230:231], v[190:191]
	v_fma_f64 v[0:1], v[228:229], v[188:189], -v[0:1]
	ds_read_b128 v[188:191], v2 offset:1808
	s_waitcnt vmcnt(4) lgkmcnt(1)
	v_mul_f64 v[196:197], v[184:185], v[90:91]
	v_fmac_f64_e32 v[196:197], v[186:187], v[88:89]
	v_mul_f64 v[194:195], v[250:251], v[194:195]
	v_fma_f64 v[238:239], v[248:249], v[192:193], -v[194:195]
	ds_read_b128 v[192:195], v2 offset:1824
	v_add_f64 v[22:23], v[22:23], v[196:197]
	s_waitcnt vmcnt(3) lgkmcnt(1)
	v_mul_f64 v[196:197], v[188:189], v[98:99]
	v_fmac_f64_e32 v[196:197], v[190:191], v[96:97]
	v_add_f64 v[22:23], v[22:23], v[196:197]
	ds_read_b128 v[196:199], v2 offset:1840
	v_mul_f64 v[202:203], v[254:255], v[202:203]
	v_fma_f64 v[248:249], v[252:253], v[200:201], -v[202:203]
	ds_read_b128 v[200:203], v2 offset:1856
	s_waitcnt vmcnt(2) lgkmcnt(2)
	v_mul_f64 v[204:205], v[192:193], v[94:95]
	v_fmac_f64_e32 v[204:205], v[194:195], v[92:93]
	v_add_f64 v[22:23], v[22:23], v[204:205]
	s_waitcnt vmcnt(1) lgkmcnt(1)
	v_mul_f64 v[204:205], v[196:197], v[102:103]
	v_fmac_f64_e32 v[204:205], v[198:199], v[100:101]
	v_add_f64 v[22:23], v[22:23], v[204:205]
	;; [unrolled: 4-line block ×3, first 2 shown]
	scratch_load_dwordx4 v[204:207], off, off offset:928
	ds_read_b128 v[208:211], v2 offset:1872
	ds_read_b128 v[216:219], v2 offset:1888
	;; [unrolled: 1-line block ×3, first 2 shown]
	s_waitcnt vmcnt(0) lgkmcnt(2)
	v_mul_f64 v[212:213], v[208:209], v[206:207]
	v_fmac_f64_e32 v[212:213], v[210:211], v[204:205]
	v_add_f64 v[22:23], v[22:23], v[212:213]
	scratch_load_dwordx4 v[212:215], off, off offset:944
	s_waitcnt vmcnt(0) lgkmcnt(1)
	v_mul_f64 v[220:221], v[216:217], v[214:215]
	v_fmac_f64_e32 v[220:221], v[218:219], v[212:213]
	v_add_f64 v[22:23], v[22:23], v[220:221]
	scratch_load_dwordx4 v[220:223], off, off offset:960
	;; [unrolled: 5-line block ×3, first 2 shown]
	v_add_f64 v[22:23], v[240:241], 0
	v_add_f64 v[22:23], v[22:23], v[242:243]
	;; [unrolled: 1-line block ×14, first 2 shown]
	v_accvgpr_read_b32 v6, a122
	v_accvgpr_read_b32 v8, a124
	;; [unrolled: 1-line block ×3, first 2 shown]
	v_add_f64 v[0:1], v[4:5], v[0:1]
	v_accvgpr_read_b32 v7, a123
	v_mul_f64 v[4:5], v[54:55], v[8:9]
	v_add_f64 v[0:1], v[0:1], v[238:239]
	v_fma_f64 v[4:5], v[52:53], v[6:7], -v[4:5]
	v_accvgpr_read_b32 v6, a126
	v_add_f64 v[0:1], v[0:1], v[248:249]
	v_accvgpr_read_b32 v8, a128
	v_accvgpr_read_b32 v9, a129
	v_add_f64 v[0:1], v[0:1], v[4:5]
	v_accvgpr_read_b32 v7, a127
	v_mul_f64 v[4:5], v[110:111], v[8:9]
	v_fma_f64 v[4:5], v[108:109], v[6:7], -v[4:5]
	v_accvgpr_read_b32 v6, a130
	v_accvgpr_read_b32 v8, a132
	;; [unrolled: 1-line block ×3, first 2 shown]
	v_add_f64 v[0:1], v[0:1], v[4:5]
	v_accvgpr_read_b32 v7, a131
	v_mul_f64 v[4:5], v[114:115], v[8:9]
	v_fma_f64 v[4:5], v[112:113], v[6:7], -v[4:5]
	v_accvgpr_read_b32 v6, a134
	v_accvgpr_read_b32 v8, a136
	v_accvgpr_read_b32 v9, a137
	v_add_f64 v[0:1], v[0:1], v[4:5]
	v_accvgpr_read_b32 v7, a135
	v_mul_f64 v[4:5], v[118:119], v[8:9]
	v_fma_f64 v[4:5], v[116:117], v[6:7], -v[4:5]
	v_add_f64 v[0:1], v[0:1], v[4:5]
	v_mul_f64 v[4:5], v[122:123], v[236:237]
	v_fma_f64 v[4:5], v[120:121], v[234:235], -v[4:5]
	v_add_f64 v[0:1], v[0:1], v[4:5]
	;; [unrolled: 3-line block ×25, first 2 shown]
	s_waitcnt vmcnt(0)
	v_add_f64 v[4:5], v[228:229], -v[0:1]
	v_accvgpr_read_b32 v0, a120
	v_add_f64 v[6:7], v[230:231], -v[252:253]
	v_cmp_lt_u32_e32 vcc, 13, v0
	scratch_store_dwordx4 off, v[4:7], off offset:240
	s_and_saveexec_b64 s[0:1], vcc
	s_cbranch_execz .LBB123_347
; %bb.346:
	scratch_load_dwordx4 v[6:9], off, s63
	v_mov_b32_e32 v3, v2
	v_mov_b32_e32 v4, v2
	;; [unrolled: 1-line block ×3, first 2 shown]
	v_accvgpr_read_b32 v0, a121
	scratch_store_dwordx4 off, v[2:5], off offset:224
	s_waitcnt vmcnt(1)
	ds_write_b128 v0, v[6:9]
.LBB123_347:
	s_or_b64 exec, exec, s[0:1]
	s_waitcnt lgkmcnt(0)
	; wave barrier
	scratch_load_dwordx4 v[80:83], off, off offset:240
	scratch_load_dwordx4 v[84:87], off, off offset:256
	scratch_load_dwordx4 v[88:91], off, off offset:272
	scratch_load_dwordx4 v[92:95], off, off offset:288
	scratch_load_dwordx4 v[96:99], off, off offset:304
	scratch_load_dwordx4 v[100:103], off, off offset:320
	scratch_load_dwordx4 v[104:107], off, off offset:336
	scratch_load_dwordx4 v[144:147], off, off offset:352
	scratch_load_dwordx4 v[152:155], off, off offset:368
	scratch_load_dwordx4 v[156:159], off, off offset:384
	scratch_load_dwordx4 v[164:167], off, off offset:400
	scratch_load_dwordx4 v[168:171], off, off offset:416
	scratch_load_dwordx4 v[176:179], off, off offset:432
	scratch_load_dwordx4 v[180:183], off, off offset:448
	scratch_load_dwordx4 v[188:191], off, off offset:464
	scratch_load_dwordx4 v[192:195], off, off offset:480
	scratch_load_dwordx4 v[200:203], off, off offset:496
	ds_read_b128 v[136:139], v2 offset:1184
	ds_read_b128 v[132:135], v2 offset:1200
	scratch_load_dwordx4 v[4:7], off, off offset:512
	ds_read_b128 v[236:239], v2 offset:1216
	ds_read_b128 v[228:231], v2 offset:1232
	;; [unrolled: 1-line block ×5, first 2 shown]
	scratch_load_dwordx4 v[8:11], off, off offset:528
	ds_read_b128 v[232:235], v2 offset:1296
	ds_read_b128 v[216:219], v2 offset:1312
	;; [unrolled: 1-line block ×3, first 2 shown]
	scratch_load_dwordx4 v[12:15], off, off offset:544
	ds_read_b128 v[220:223], v2 offset:1344
	ds_read_b128 v[172:175], v2 offset:1360
	;; [unrolled: 1-line block ×5, first 2 shown]
	scratch_load_dwordx4 v[16:19], off, off offset:560
	ds_read_b128 v[208:211], v2 offset:1424
	ds_read_b128 v[204:207], v2 offset:1440
	;; [unrolled: 1-line block ×3, first 2 shown]
	scratch_load_dwordx4 v[24:27], off, off offset:576
	scratch_load_dwordx4 v[28:31], off, off offset:592
	;; [unrolled: 1-line block ×8, first 2 shown]
	ds_read_b128 v[116:119], v2 offset:1504
	ds_read_b128 v[120:123], v2 offset:1520
	;; [unrolled: 1-line block ×4, first 2 shown]
	s_waitcnt vmcnt(28) lgkmcnt(14)
	v_mul_f64 v[0:1], v[136:137], v[82:83]
	s_waitcnt vmcnt(27)
	v_mul_f64 v[56:57], v[132:133], v[86:87]
	v_fmac_f64_e32 v[0:1], v[138:139], v[80:81]
	s_waitcnt vmcnt(26)
	v_mul_f64 v[58:59], v[236:237], v[90:91]
	v_fmac_f64_e32 v[56:57], v[134:135], v[84:85]
	v_add_f64 v[0:1], v[0:1], 0
	s_waitcnt vmcnt(25)
	v_mul_f64 v[60:61], v[228:229], v[94:95]
	v_fmac_f64_e32 v[58:59], v[238:239], v[88:89]
	v_add_f64 v[0:1], v[0:1], v[56:57]
	;; [unrolled: 4-line block ×6, first 2 shown]
	s_waitcnt vmcnt(20) lgkmcnt(13)
	v_mul_f64 v[70:71], v[216:217], v[154:155]
	v_fmac_f64_e32 v[68:69], v[234:235], v[144:145]
	v_add_f64 v[0:1], v[0:1], v[66:67]
	s_waitcnt vmcnt(19) lgkmcnt(12)
	v_mul_f64 v[72:73], v[160:161], v[158:159]
	v_fmac_f64_e32 v[70:71], v[218:219], v[152:153]
	v_add_f64 v[0:1], v[0:1], v[68:69]
	;; [unrolled: 4-line block ×7, first 2 shown]
	v_fmac_f64_e32 v[110:111], v[198:199], v[188:189]
	v_add_f64 v[0:1], v[0:1], v[108:109]
	s_waitcnt vmcnt(13) lgkmcnt(6)
	v_mul_f64 v[112:113], v[208:209], v[194:195]
	v_add_f64 v[0:1], v[0:1], v[110:111]
	scratch_load_dwordx4 v[56:59], off, off offset:704
	scratch_load_dwordx4 v[60:63], off, off offset:720
	ds_read_b128 v[108:111], v2 offset:1472
	s_waitcnt vmcnt(14) lgkmcnt(6)
	v_mul_f64 v[114:115], v[204:205], v[202:203]
	v_fmac_f64_e32 v[112:113], v[210:211], v[192:193]
	v_add_f64 v[0:1], v[0:1], v[112:113]
	v_fmac_f64_e32 v[114:115], v[206:207], v[200:201]
	s_waitcnt vmcnt(13) lgkmcnt(5)
	v_mul_f64 v[64:65], v[20:21], v[6:7]
	v_accvgpr_write_b32 a125, v7
	v_add_f64 v[0:1], v[0:1], v[114:115]
	v_fmac_f64_e32 v[64:65], v[22:23], v[4:5]
	v_accvgpr_write_b32 a124, v6
	v_accvgpr_write_b32 a123, v5
	;; [unrolled: 1-line block ×3, first 2 shown]
	ds_read_b128 v[112:115], v2 offset:1488
	s_waitcnt vmcnt(12)
	v_mov_b64_e32 v[4:5], v[8:9]
	v_mov_b64_e32 v[6:7], v[10:11]
	s_waitcnt lgkmcnt(1)
	v_mul_f64 v[68:69], v[108:109], v[6:7]
	v_fmac_f64_e32 v[68:69], v[110:111], v[4:5]
	s_waitcnt vmcnt(11)
	v_mov_b64_e32 v[4:5], v[12:13]
	v_add_f64 v[0:1], v[0:1], v[64:65]
	v_mov_b64_e32 v[6:7], v[14:15]
	v_add_f64 v[0:1], v[0:1], v[68:69]
	s_waitcnt lgkmcnt(0)
	v_mul_f64 v[68:69], v[112:113], v[6:7]
	scratch_load_dwordx4 v[64:67], off, off offset:736
	v_fmac_f64_e32 v[68:69], v[114:115], v[4:5]
	v_add_f64 v[0:1], v[0:1], v[68:69]
	scratch_load_dwordx4 v[68:71], off, off offset:752
	scratch_load_dwordx4 v[72:75], off, off offset:768
	s_waitcnt vmcnt(13)
	v_mul_f64 v[76:77], v[116:117], v[18:19]
	v_fmac_f64_e32 v[76:77], v[118:119], v[16:17]
	v_add_f64 v[0:1], v[0:1], v[76:77]
	s_waitcnt vmcnt(12)
	v_mul_f64 v[76:77], v[120:121], v[26:27]
	v_fmac_f64_e32 v[76:77], v[122:123], v[24:25]
	v_add_f64 v[0:1], v[0:1], v[76:77]
	scratch_load_dwordx4 v[76:79], off, off offset:784
	v_mul_f64 v[82:83], v[138:139], v[82:83]
	v_fma_f64 v[240:241], v[136:137], v[80:81], -v[82:83]
	scratch_load_dwordx4 v[80:83], off, off offset:800
	v_mul_f64 v[86:87], v[134:135], v[86:87]
	v_fma_f64 v[242:243], v[132:133], v[84:85], -v[86:87]
	scratch_load_dwordx4 v[84:87], off, off offset:816
	s_waitcnt vmcnt(14)
	v_mul_f64 v[136:137], v[124:125], v[30:31]
	v_mul_f64 v[90:91], v[238:239], v[90:91]
	v_fmac_f64_e32 v[136:137], v[126:127], v[28:29]
	v_fma_f64 v[236:237], v[236:237], v[88:89], -v[90:91]
	scratch_load_dwordx4 v[88:91], off, off offset:832
	v_add_f64 v[0:1], v[0:1], v[136:137]
	s_waitcnt vmcnt(14)
	v_mul_f64 v[136:137], v[128:129], v[34:35]
	v_mul_f64 v[94:95], v[230:231], v[94:95]
	v_fmac_f64_e32 v[136:137], v[130:131], v[32:33]
	v_fma_f64 v[238:239], v[228:229], v[92:93], -v[94:95]
	v_mul_f64 v[92:93], v[226:227], v[98:99]
	ds_read_b128 v[132:135], v2 offset:1568
	v_add_f64 v[0:1], v[0:1], v[136:137]
	ds_read_b128 v[136:139], v2 offset:1584
	v_fma_f64 v[244:245], v[224:225], v[96:97], -v[92:93]
	scratch_load_dwordx4 v[96:99], off, off offset:848
	scratch_load_dwordx4 v[92:95], off, off offset:864
	v_mul_f64 v[102:103], v[150:151], v[102:103]
	v_fma_f64 v[246:247], v[148:149], v[100:101], -v[102:103]
	scratch_load_dwordx4 v[100:103], off, off offset:880
	v_mul_f64 v[106:107], v[142:143], v[106:107]
	v_fma_f64 v[252:253], v[140:141], v[104:105], -v[106:107]
	v_mul_f64 v[104:105], v[234:235], v[146:147]
	v_fma_f64 v[254:255], v[232:233], v[144:145], -v[104:105]
	scratch_load_dwordx4 v[104:107], off, off offset:896
	ds_read_b128 v[140:143], v2 offset:1600
	ds_read_b128 v[144:147], v2 offset:1616
	s_waitcnt vmcnt(17) lgkmcnt(3)
	v_mul_f64 v[228:229], v[132:133], v[38:39]
	v_fmac_f64_e32 v[228:229], v[134:135], v[36:37]
	s_waitcnt vmcnt(16) lgkmcnt(2)
	v_mul_f64 v[224:225], v[136:137], v[42:43]
	v_add_f64 v[0:1], v[0:1], v[228:229]
	v_fmac_f64_e32 v[224:225], v[138:139], v[40:41]
	s_waitcnt vmcnt(15) lgkmcnt(1)
	v_mul_f64 v[148:149], v[140:141], v[46:47]
	v_add_f64 v[0:1], v[0:1], v[224:225]
	v_fmac_f64_e32 v[148:149], v[142:143], v[44:45]
	v_add_f64 v[0:1], v[0:1], v[148:149]
	ds_read_b128 v[148:151], v2 offset:1632
	v_mul_f64 v[154:155], v[218:219], v[154:155]
	v_fma_f64 v[248:249], v[216:217], v[152:153], -v[154:155]
	ds_read_b128 v[152:155], v2 offset:1648
	v_accvgpr_write_b32 a133, v15
	v_mul_f64 v[158:159], v[162:163], v[158:159]
	v_accvgpr_write_b32 a132, v14
	v_accvgpr_write_b32 a131, v13
	;; [unrolled: 1-line block ×3, first 2 shown]
	v_fma_f64 v[12:13], v[160:161], v[156:157], -v[158:159]
	ds_read_b128 v[156:159], v2 offset:1664
	ds_read_b128 v[160:163], v2 offset:1680
	s_waitcnt vmcnt(14) lgkmcnt(4)
	v_mul_f64 v[224:225], v[144:145], v[50:51]
	v_fmac_f64_e32 v[224:225], v[146:147], v[48:49]
	s_waitcnt vmcnt(13) lgkmcnt(3)
	v_mul_f64 v[216:217], v[148:149], v[54:55]
	v_add_f64 v[0:1], v[0:1], v[224:225]
	v_fmac_f64_e32 v[216:217], v[150:151], v[52:53]
	s_waitcnt vmcnt(12) lgkmcnt(2)
	v_mul_f64 v[6:7], v[152:153], v[58:59]
	v_add_f64 v[0:1], v[0:1], v[216:217]
	v_fmac_f64_e32 v[6:7], v[154:155], v[56:57]
	v_add_f64 v[0:1], v[0:1], v[6:7]
	s_waitcnt vmcnt(11) lgkmcnt(1)
	v_mul_f64 v[6:7], v[156:157], v[62:63]
	v_fmac_f64_e32 v[6:7], v[158:159], v[60:61]
	v_accvgpr_write_b32 a129, v11
	v_add_f64 v[0:1], v[0:1], v[6:7]
	v_mul_f64 v[6:7], v[222:223], v[166:167]
	v_accvgpr_write_b32 a128, v10
	v_accvgpr_write_b32 a127, v9
	;; [unrolled: 1-line block ×3, first 2 shown]
	v_fma_f64 v[8:9], v[220:221], v[164:165], -v[6:7]
	ds_read_b128 v[164:167], v2 offset:1696
	v_mul_f64 v[170:171], v[174:175], v[170:171]
	v_fma_f64 v[6:7], v[172:173], v[168:169], -v[170:171]
	ds_read_b128 v[168:171], v2 offset:1712
	s_waitcnt vmcnt(10) lgkmcnt(2)
	v_mul_f64 v[216:217], v[160:161], v[66:67]
	v_fmac_f64_e32 v[216:217], v[162:163], v[64:65]
	s_waitcnt vmcnt(9) lgkmcnt(1)
	v_mul_f64 v[10:11], v[164:165], v[70:71]
	v_add_f64 v[0:1], v[0:1], v[216:217]
	v_fmac_f64_e32 v[10:11], v[166:167], v[68:69]
	v_add_f64 v[0:1], v[0:1], v[10:11]
	s_waitcnt vmcnt(8) lgkmcnt(0)
	v_mul_f64 v[10:11], v[168:169], v[74:75]
	v_fmac_f64_e32 v[10:11], v[170:171], v[72:73]
	ds_read_b128 v[172:175], v2 offset:1728
	v_add_f64 v[0:1], v[0:1], v[10:11]
	v_mul_f64 v[10:11], v[214:215], v[178:179]
	v_fma_f64 v[10:11], v[212:213], v[176:177], -v[10:11]
	ds_read_b128 v[176:179], v2 offset:1744
	v_mul_f64 v[182:183], v[186:187], v[182:183]
	v_fma_f64 v[4:5], v[184:185], v[180:181], -v[182:183]
	ds_read_b128 v[180:183], v2 offset:1760
	ds_read_b128 v[184:187], v2 offset:1776
	s_waitcnt vmcnt(7) lgkmcnt(3)
	v_mul_f64 v[212:213], v[172:173], v[78:79]
	v_fmac_f64_e32 v[212:213], v[174:175], v[76:77]
	s_waitcnt vmcnt(6) lgkmcnt(2)
	v_mul_f64 v[14:15], v[176:177], v[82:83]
	v_add_f64 v[0:1], v[0:1], v[212:213]
	v_fmac_f64_e32 v[14:15], v[178:179], v[80:81]
	v_add_f64 v[0:1], v[0:1], v[14:15]
	s_waitcnt vmcnt(5) lgkmcnt(1)
	v_mul_f64 v[14:15], v[180:181], v[86:87]
	v_fmac_f64_e32 v[14:15], v[182:183], v[84:85]
	v_add_f64 v[14:15], v[0:1], v[14:15]
	v_mul_f64 v[0:1], v[198:199], v[190:191]
	v_fma_f64 v[0:1], v[196:197], v[188:189], -v[0:1]
	ds_read_b128 v[188:191], v2 offset:1792
	v_mul_f64 v[194:195], v[210:211], v[194:195]
	s_waitcnt vmcnt(4) lgkmcnt(1)
	v_mul_f64 v[196:197], v[184:185], v[90:91]
	v_fma_f64 v[192:193], v[208:209], v[192:193], -v[194:195]
	v_fmac_f64_e32 v[196:197], v[186:187], v[88:89]
	v_accvgpr_write_b32 a134, v192
	v_accvgpr_write_b32 a135, v193
	ds_read_b128 v[192:195], v2 offset:1808
	v_add_f64 v[14:15], v[14:15], v[196:197]
	s_waitcnt vmcnt(3) lgkmcnt(1)
	v_mul_f64 v[196:197], v[188:189], v[98:99]
	v_fmac_f64_e32 v[196:197], v[190:191], v[96:97]
	v_add_f64 v[14:15], v[14:15], v[196:197]
	ds_read_b128 v[196:199], v2 offset:1824
	v_mul_f64 v[202:203], v[206:207], v[202:203]
	v_fma_f64 v[250:251], v[204:205], v[200:201], -v[202:203]
	ds_read_b128 v[200:203], v2 offset:1840
	s_waitcnt vmcnt(2) lgkmcnt(2)
	v_mul_f64 v[204:205], v[192:193], v[94:95]
	v_fmac_f64_e32 v[204:205], v[194:195], v[92:93]
	v_add_f64 v[14:15], v[14:15], v[204:205]
	s_waitcnt vmcnt(1) lgkmcnt(1)
	v_mul_f64 v[204:205], v[196:197], v[102:103]
	v_fmac_f64_e32 v[204:205], v[198:199], v[100:101]
	v_add_f64 v[14:15], v[14:15], v[204:205]
	;; [unrolled: 4-line block ×3, first 2 shown]
	scratch_load_dwordx4 v[204:207], off, off offset:912
	scratch_load_dwordx4 v[232:235], off, off offset:960
	ds_read_b128 v[208:211], v2 offset:1856
	ds_read_b128 v[216:219], v2 offset:1872
	;; [unrolled: 1-line block ×3, first 2 shown]
	s_waitcnt vmcnt(1) lgkmcnt(2)
	v_mul_f64 v[212:213], v[208:209], v[206:207]
	v_fmac_f64_e32 v[212:213], v[210:211], v[204:205]
	v_add_f64 v[14:15], v[14:15], v[212:213]
	scratch_load_dwordx4 v[212:215], off, off offset:928
	s_waitcnt vmcnt(0) lgkmcnt(1)
	v_mul_f64 v[220:221], v[216:217], v[214:215]
	v_fmac_f64_e32 v[220:221], v[218:219], v[212:213]
	v_add_f64 v[14:15], v[14:15], v[220:221]
	scratch_load_dwordx4 v[220:223], off, off offset:944
	s_waitcnt vmcnt(0) lgkmcnt(0)
	v_mul_f64 v[228:229], v[224:225], v[222:223]
	v_fmac_f64_e32 v[228:229], v[226:227], v[220:221]
	v_add_f64 v[14:15], v[14:15], v[228:229]
	ds_read_b128 v[228:231], v2 offset:1904
	s_waitcnt lgkmcnt(0)
	v_mul_f64 v[2:3], v[228:229], v[234:235]
	v_fmac_f64_e32 v[2:3], v[230:231], v[232:233]
	v_add_f64 v[2:3], v[14:15], v[2:3]
	v_add_f64 v[14:15], v[240:241], 0
	;; [unrolled: 1-line block ×5, first 2 shown]
	scratch_load_dwordx4 v[236:239], off, off offset:224
	v_add_f64 v[14:15], v[14:15], v[244:245]
	v_add_f64 v[14:15], v[14:15], v[246:247]
	;; [unrolled: 1-line block ×10, first 2 shown]
	v_accvgpr_read_b32 v6, a122
	v_add_f64 v[252:253], v[4:5], v[0:1]
	v_accvgpr_read_b32 v0, a134
	v_accvgpr_read_b32 v8, a124
	v_accvgpr_read_b32 v9, a125
	v_accvgpr_read_b32 v1, a135
	v_accvgpr_read_b32 v7, a123
	v_mul_f64 v[4:5], v[22:23], v[8:9]
	v_add_f64 v[0:1], v[252:253], v[0:1]
	v_fma_f64 v[4:5], v[20:21], v[6:7], -v[4:5]
	v_accvgpr_read_b32 v6, a126
	v_add_f64 v[0:1], v[0:1], v[250:251]
	v_accvgpr_read_b32 v8, a128
	v_accvgpr_read_b32 v9, a129
	v_add_f64 v[0:1], v[0:1], v[4:5]
	v_accvgpr_read_b32 v7, a127
	v_mul_f64 v[4:5], v[110:111], v[8:9]
	v_fma_f64 v[4:5], v[108:109], v[6:7], -v[4:5]
	v_accvgpr_read_b32 v6, a130
	v_accvgpr_read_b32 v8, a132
	;; [unrolled: 1-line block ×3, first 2 shown]
	v_add_f64 v[0:1], v[0:1], v[4:5]
	v_accvgpr_read_b32 v7, a131
	v_mul_f64 v[4:5], v[114:115], v[8:9]
	v_fma_f64 v[4:5], v[112:113], v[6:7], -v[4:5]
	v_add_f64 v[0:1], v[0:1], v[4:5]
	v_mul_f64 v[4:5], v[118:119], v[18:19]
	v_fma_f64 v[4:5], v[116:117], v[16:17], -v[4:5]
	v_add_f64 v[0:1], v[0:1], v[4:5]
	;; [unrolled: 3-line block ×27, first 2 shown]
	s_waitcnt vmcnt(0)
	v_add_f64 v[4:5], v[236:237], -v[0:1]
	v_accvgpr_read_b32 v0, a120
	v_add_f64 v[6:7], v[238:239], -v[2:3]
	v_cmp_lt_u32_e32 vcc, 12, v0
	scratch_store_dwordx4 off, v[4:7], off offset:224
	s_and_saveexec_b64 s[0:1], vcc
	s_cbranch_execz .LBB123_349
; %bb.348:
	scratch_load_dwordx4 v[2:5], off, s64
	v_mov_b32_e32 v6, 0
	v_mov_b32_e32 v7, v6
	;; [unrolled: 1-line block ×4, first 2 shown]
	v_accvgpr_read_b32 v0, a121
	scratch_store_dwordx4 off, v[6:9], off offset:208
	s_waitcnt vmcnt(1)
	ds_write_b128 v0, v[2:5]
.LBB123_349:
	s_or_b64 exec, exec, s[0:1]
	s_waitcnt lgkmcnt(0)
	; wave barrier
	scratch_load_dwordx4 v[68:71], off, off offset:224
	scratch_load_dwordx4 v[72:75], off, off offset:240
	;; [unrolled: 1-line block ×28, first 2 shown]
	v_mov_b32_e32 v2, 0
	ds_read_b128 v[124:127], v2 offset:1168
	ds_read_b128 v[128:131], v2 offset:1184
	;; [unrolled: 1-line block ×23, first 2 shown]
	s_waitcnt vmcnt(27) lgkmcnt(14)
	v_mul_f64 v[0:1], v[124:125], v[70:71]
	s_waitcnt vmcnt(26)
	v_mul_f64 v[40:41], v[128:129], v[74:75]
	v_fmac_f64_e32 v[0:1], v[126:127], v[68:69]
	s_waitcnt vmcnt(25)
	v_mul_f64 v[42:43], v[132:133], v[78:79]
	v_fmac_f64_e32 v[40:41], v[130:131], v[72:73]
	v_add_f64 v[0:1], v[0:1], 0
	s_waitcnt vmcnt(24)
	v_mul_f64 v[44:45], v[136:137], v[82:83]
	v_fmac_f64_e32 v[42:43], v[134:135], v[76:77]
	v_add_f64 v[0:1], v[0:1], v[40:41]
	;; [unrolled: 4-line block ×7, first 2 shown]
	s_waitcnt vmcnt(18) lgkmcnt(13)
	v_mul_f64 v[56:57], v[200:201], v[146:147]
	v_fmac_f64_e32 v[54:55], v[194:195], v[112:113]
	v_add_f64 v[0:1], v[0:1], v[52:53]
	s_waitcnt vmcnt(17) lgkmcnt(12)
	v_mul_f64 v[58:59], v[204:205], v[150:151]
	v_fmac_f64_e32 v[56:57], v[202:203], v[144:145]
	v_add_f64 v[0:1], v[0:1], v[54:55]
	;; [unrolled: 4-line block ×7, first 2 shown]
	scratch_load_dwordx4 v[40:43], off, off offset:672
	scratch_load_dwordx4 v[44:47], off, off offset:688
	s_waitcnt vmcnt(13) lgkmcnt(6)
	v_mul_f64 v[102:103], v[228:229], v[186:187]
	v_fmac_f64_e32 v[100:101], v[226:227], v[176:177]
	v_add_f64 v[0:1], v[0:1], v[66:67]
	v_add_f64 v[0:1], v[0:1], v[100:101]
	v_fmac_f64_e32 v[102:103], v[230:231], v[184:185]
	v_add_f64 v[0:1], v[0:1], v[102:103]
	ds_read_b128 v[100:103], v2 offset:1472
	s_waitcnt vmcnt(12) lgkmcnt(6)
	v_mul_f64 v[48:49], v[248:249], v[190:191]
	v_fmac_f64_e32 v[48:49], v[250:251], v[188:189]
	v_add_f64 v[0:1], v[0:1], v[48:49]
	s_waitcnt vmcnt(11) lgkmcnt(5)
	v_mul_f64 v[48:49], v[252:253], v[198:199]
	v_fmac_f64_e32 v[48:49], v[254:255], v[196:197]
	v_add_f64 v[0:1], v[0:1], v[48:49]
	scratch_load_dwordx4 v[48:51], off, off offset:704
	scratch_load_dwordx4 v[52:55], off, off offset:720
	s_waitcnt vmcnt(12) lgkmcnt(0)
	v_mul_f64 v[56:57], v[100:101], v[6:7]
	v_accvgpr_write_b32 a125, v7
	v_fmac_f64_e32 v[56:57], v[102:103], v[4:5]
	v_accvgpr_write_b32 a124, v6
	v_accvgpr_write_b32 a123, v5
	;; [unrolled: 1-line block ×3, first 2 shown]
	s_waitcnt vmcnt(11)
	v_mov_b64_e32 v[4:5], v[8:9]
	v_mov_b64_e32 v[6:7], v[10:11]
	v_add_f64 v[0:1], v[0:1], v[56:57]
	v_mul_f64 v[56:57], v[104:105], v[6:7]
	v_fmac_f64_e32 v[56:57], v[106:107], v[4:5]
	v_add_f64 v[0:1], v[0:1], v[56:57]
	scratch_load_dwordx4 v[56:59], off, off offset:736
	s_waitcnt vmcnt(11)
	v_mov_b64_e32 v[4:5], v[12:13]
	v_mov_b64_e32 v[6:7], v[14:15]
	v_mul_f64 v[60:61], v[108:109], v[6:7]
	v_fmac_f64_e32 v[60:61], v[110:111], v[4:5]
	s_waitcnt vmcnt(10)
	v_mov_b64_e32 v[4:5], v[16:17]
	v_mov_b64_e32 v[6:7], v[18:19]
	v_add_f64 v[0:1], v[0:1], v[60:61]
	scratch_load_dwordx4 v[60:63], off, off offset:752
	v_mul_f64 v[64:65], v[116:117], v[6:7]
	v_fmac_f64_e32 v[64:65], v[118:119], v[4:5]
	v_add_f64 v[0:1], v[0:1], v[64:65]
	scratch_load_dwordx4 v[64:67], off, off offset:768
	v_mul_f64 v[70:71], v[126:127], v[70:71]
	s_waitcnt vmcnt(11)
	v_mov_b64_e32 v[4:5], v[20:21]
	v_fma_f64 v[240:241], v[124:125], v[68:69], -v[70:71]
	v_mov_b64_e32 v[6:7], v[22:23]
	scratch_load_dwordx4 v[68:71], off, off offset:784
	v_mul_f64 v[124:125], v[120:121], v[6:7]
	v_mul_f64 v[74:75], v[130:131], v[74:75]
	v_fmac_f64_e32 v[124:125], v[122:123], v[4:5]
	v_fma_f64 v[242:243], v[128:129], v[72:73], -v[74:75]
	scratch_load_dwordx4 v[72:75], off, off offset:800
	v_mul_f64 v[78:79], v[134:135], v[78:79]
	v_add_f64 v[0:1], v[0:1], v[124:125]
	ds_read_b128 v[124:127], v2 offset:1552
	ds_read_b128 v[128:131], v2 offset:1568
	v_fma_f64 v[244:245], v[132:133], v[76:77], -v[78:79]
	v_mul_f64 v[76:77], v[138:139], v[82:83]
	v_fma_f64 v[246:247], v[136:137], v[80:81], -v[76:77]
	scratch_load_dwordx4 v[76:79], off, off offset:816
	s_waitcnt vmcnt(13) lgkmcnt(1)
	v_mul_f64 v[132:133], v[124:125], v[236:237]
	v_fmac_f64_e32 v[132:133], v[126:127], v[234:235]
	v_add_f64 v[0:1], v[0:1], v[132:133]
	s_waitcnt vmcnt(12) lgkmcnt(0)
	v_mul_f64 v[132:133], v[128:129], v[30:31]
	scratch_load_dwordx4 v[80:83], off, off offset:832
	v_fmac_f64_e32 v[132:133], v[130:131], v[28:29]
	v_mul_f64 v[86:87], v[142:143], v[86:87]
	v_add_f64 v[0:1], v[0:1], v[132:133]
	v_fma_f64 v[232:233], v[140:141], v[84:85], -v[86:87]
	ds_read_b128 v[132:135], v2 offset:1584
	v_mul_f64 v[84:85], v[158:159], v[90:91]
	v_fma_f64 v[24:25], v[156:157], v[88:89], -v[84:85]
	scratch_load_dwordx4 v[88:91], off, off offset:848
	scratch_load_dwordx4 v[84:87], off, off offset:864
	v_accvgpr_write_b32 a141, v23
	v_mul_f64 v[6:7], v[170:171], v[94:95]
	v_accvgpr_write_b32 a140, v22
	v_accvgpr_write_b32 a139, v21
	;; [unrolled: 1-line block ×3, first 2 shown]
	v_fma_f64 v[20:21], v[168:169], v[92:93], -v[6:7]
	s_waitcnt vmcnt(14) lgkmcnt(0)
	v_mul_f64 v[6:7], v[132:133], v[34:35]
	v_fmac_f64_e32 v[6:7], v[134:135], v[32:33]
	v_accvgpr_write_b32 a137, v19
	v_add_f64 v[0:1], v[0:1], v[6:7]
	v_mul_f64 v[6:7], v[182:183], v[98:99]
	v_accvgpr_write_b32 a136, v18
	v_accvgpr_write_b32 a135, v17
	v_accvgpr_write_b32 a134, v16
	ds_read_b128 v[136:139], v2 offset:1600
	v_fma_f64 v[16:17], v[180:181], v[96:97], -v[6:7]
	scratch_load_dwordx4 v[96:99], off, off offset:880
	scratch_load_dwordx4 v[92:95], off, off offset:896
	v_accvgpr_write_b32 a133, v15
	v_mul_f64 v[6:7], v[194:195], v[114:115]
	v_accvgpr_write_b32 a132, v14
	v_accvgpr_write_b32 a131, v13
	;; [unrolled: 1-line block ×3, first 2 shown]
	v_fma_f64 v[12:13], v[192:193], v[112:113], -v[6:7]
	scratch_load_dwordx4 v[112:115], off, off offset:912
	ds_read_b128 v[140:143], v2 offset:1616
	s_waitcnt vmcnt(16) lgkmcnt(1)
	v_mul_f64 v[6:7], v[136:137], v[38:39]
	v_fmac_f64_e32 v[6:7], v[138:139], v[36:37]
	v_add_f64 v[0:1], v[0:1], v[6:7]
	v_mul_f64 v[6:7], v[202:203], v[146:147]
	v_fma_f64 v[14:15], v[200:201], v[144:145], -v[6:7]
	ds_read_b128 v[144:147], v2 offset:1632
	s_waitcnt vmcnt(15) lgkmcnt(1)
	v_mul_f64 v[6:7], v[140:141], v[42:43]
	v_fmac_f64_e32 v[6:7], v[142:143], v[40:41]
	v_accvgpr_write_b32 a129, v11
	v_add_f64 v[0:1], v[0:1], v[6:7]
	v_mul_f64 v[6:7], v[206:207], v[150:151]
	v_accvgpr_write_b32 a128, v10
	v_accvgpr_write_b32 a127, v9
	;; [unrolled: 1-line block ×3, first 2 shown]
	v_fma_f64 v[10:11], v[204:205], v[148:149], -v[6:7]
	ds_read_b128 v[148:151], v2 offset:1648
	v_mul_f64 v[18:19], v[210:211], v[154:155]
	v_fma_f64 v[18:19], v[208:209], v[152:153], -v[18:19]
	ds_read_b128 v[152:155], v2 offset:1664
	s_waitcnt vmcnt(14) lgkmcnt(2)
	v_mul_f64 v[6:7], v[144:145], v[46:47]
	v_fmac_f64_e32 v[6:7], v[146:147], v[44:45]
	v_add_f64 v[0:1], v[0:1], v[6:7]
	s_waitcnt vmcnt(13) lgkmcnt(1)
	v_mul_f64 v[6:7], v[148:149], v[50:51]
	ds_read_b128 v[156:159], v2 offset:1680
	v_fmac_f64_e32 v[6:7], v[150:151], v[48:49]
	v_add_f64 v[0:1], v[0:1], v[6:7]
	s_waitcnt vmcnt(12) lgkmcnt(1)
	v_mul_f64 v[6:7], v[152:153], v[54:55]
	v_fmac_f64_e32 v[6:7], v[154:155], v[52:53]
	v_add_f64 v[0:1], v[0:1], v[6:7]
	v_mul_f64 v[6:7], v[214:215], v[162:163]
	v_fma_f64 v[8:9], v[212:213], v[160:161], -v[6:7]
	ds_read_b128 v[160:163], v2 offset:1696
	s_waitcnt vmcnt(11) lgkmcnt(1)
	v_mul_f64 v[6:7], v[156:157], v[58:59]
	v_fmac_f64_e32 v[6:7], v[158:159], v[56:57]
	v_add_f64 v[0:1], v[0:1], v[6:7]
	v_mul_f64 v[6:7], v[218:219], v[166:167]
	v_fma_f64 v[22:23], v[216:217], v[164:165], -v[6:7]
	ds_read_b128 v[164:167], v2 offset:1712
	ds_read_b128 v[168:171], v2 offset:1728
	s_waitcnt vmcnt(10) lgkmcnt(2)
	v_mul_f64 v[6:7], v[160:161], v[62:63]
	v_fmac_f64_e32 v[6:7], v[162:163], v[60:61]
	v_add_f64 v[0:1], v[0:1], v[6:7]
	s_waitcnt vmcnt(9) lgkmcnt(1)
	v_mul_f64 v[6:7], v[164:165], v[66:67]
	v_fmac_f64_e32 v[6:7], v[166:167], v[64:65]
	v_add_f64 v[0:1], v[0:1], v[6:7]
	v_mul_f64 v[6:7], v[222:223], v[174:175]
	v_fma_f64 v[4:5], v[220:221], v[172:173], -v[6:7]
	ds_read_b128 v[172:175], v2 offset:1744
	v_mul_f64 v[6:7], v[226:227], v[178:179]
	v_fma_f64 v[6:7], v[224:225], v[176:177], -v[6:7]
	ds_read_b128 v[176:179], v2 offset:1760
	s_waitcnt vmcnt(8) lgkmcnt(2)
	v_mul_f64 v[26:27], v[168:169], v[70:71]
	v_fmac_f64_e32 v[26:27], v[170:171], v[68:69]
	v_add_f64 v[0:1], v[0:1], v[26:27]
	s_waitcnt vmcnt(7) lgkmcnt(1)
	v_mul_f64 v[26:27], v[172:173], v[74:75]
	v_fmac_f64_e32 v[26:27], v[174:175], v[72:73]
	v_add_f64 v[0:1], v[0:1], v[26:27]
	s_waitcnt vmcnt(6) lgkmcnt(0)
	v_mul_f64 v[26:27], v[176:177], v[78:79]
	v_fmac_f64_e32 v[26:27], v[178:179], v[76:77]
	ds_read_b128 v[180:183], v2 offset:1776
	v_add_f64 v[26:27], v[0:1], v[26:27]
	v_mul_f64 v[0:1], v[230:231], v[186:187]
	v_fma_f64 v[0:1], v[228:229], v[184:185], -v[0:1]
	ds_read_b128 v[184:187], v2 offset:1792
	s_waitcnt vmcnt(5) lgkmcnt(1)
	v_mul_f64 v[192:193], v[180:181], v[82:83]
	v_fmac_f64_e32 v[192:193], v[182:183], v[80:81]
	v_mul_f64 v[190:191], v[250:251], v[190:191]
	v_add_f64 v[26:27], v[26:27], v[192:193]
	v_fma_f64 v[238:239], v[248:249], v[188:189], -v[190:191]
	ds_read_b128 v[188:191], v2 offset:1808
	s_waitcnt vmcnt(4) lgkmcnt(1)
	v_mul_f64 v[192:193], v[184:185], v[90:91]
	v_fmac_f64_e32 v[192:193], v[186:187], v[88:89]
	v_add_f64 v[26:27], v[26:27], v[192:193]
	ds_read_b128 v[192:195], v2 offset:1824
	v_mul_f64 v[198:199], v[254:255], v[198:199]
	v_fma_f64 v[248:249], v[252:253], v[196:197], -v[198:199]
	ds_read_b128 v[196:199], v2 offset:1840
	ds_read_b128 v[208:211], v2 offset:1872
	s_waitcnt vmcnt(3) lgkmcnt(3)
	v_mul_f64 v[200:201], v[188:189], v[86:87]
	v_fmac_f64_e32 v[200:201], v[190:191], v[84:85]
	v_add_f64 v[26:27], v[26:27], v[200:201]
	s_waitcnt vmcnt(2) lgkmcnt(2)
	v_mul_f64 v[200:201], v[192:193], v[98:99]
	v_fmac_f64_e32 v[200:201], v[194:195], v[96:97]
	v_add_f64 v[26:27], v[26:27], v[200:201]
	;; [unrolled: 4-line block ×3, first 2 shown]
	ds_read_b128 v[200:203], v2 offset:1856
	ds_read_b128 v[216:219], v2 offset:1888
	;; [unrolled: 1-line block ×3, first 2 shown]
	s_waitcnt vmcnt(0) lgkmcnt(2)
	v_mul_f64 v[204:205], v[200:201], v[114:115]
	v_fmac_f64_e32 v[204:205], v[202:203], v[112:113]
	v_add_f64 v[26:27], v[26:27], v[204:205]
	scratch_load_dwordx4 v[204:207], off, off offset:928
	s_waitcnt vmcnt(0)
	v_mul_f64 v[212:213], v[208:209], v[206:207]
	v_fmac_f64_e32 v[212:213], v[210:211], v[204:205]
	v_add_f64 v[26:27], v[26:27], v[212:213]
	scratch_load_dwordx4 v[212:215], off, off offset:944
	s_waitcnt vmcnt(0) lgkmcnt(1)
	v_mul_f64 v[220:221], v[216:217], v[214:215]
	v_fmac_f64_e32 v[220:221], v[218:219], v[212:213]
	v_add_f64 v[26:27], v[26:27], v[220:221]
	scratch_load_dwordx4 v[220:223], off, off offset:960
	s_waitcnt vmcnt(0) lgkmcnt(0)
	v_mul_f64 v[228:229], v[224:225], v[222:223]
	v_fmac_f64_e32 v[228:229], v[226:227], v[220:221]
	v_add_f64 v[252:253], v[26:27], v[228:229]
	scratch_load_dwordx4 v[228:231], off, off offset:208
	v_add_f64 v[26:27], v[240:241], 0
	v_add_f64 v[26:27], v[26:27], v[242:243]
	;; [unrolled: 1-line block ×16, first 2 shown]
	v_accvgpr_read_b32 v6, a122
	v_accvgpr_read_b32 v8, a124
	;; [unrolled: 1-line block ×3, first 2 shown]
	v_add_f64 v[0:1], v[4:5], v[0:1]
	v_accvgpr_read_b32 v7, a123
	v_mul_f64 v[4:5], v[102:103], v[8:9]
	v_add_f64 v[0:1], v[0:1], v[238:239]
	v_fma_f64 v[4:5], v[100:101], v[6:7], -v[4:5]
	v_accvgpr_read_b32 v6, a126
	v_add_f64 v[0:1], v[0:1], v[248:249]
	v_accvgpr_read_b32 v8, a128
	v_accvgpr_read_b32 v9, a129
	v_add_f64 v[0:1], v[0:1], v[4:5]
	v_accvgpr_read_b32 v7, a127
	v_mul_f64 v[4:5], v[106:107], v[8:9]
	v_fma_f64 v[4:5], v[104:105], v[6:7], -v[4:5]
	v_accvgpr_read_b32 v6, a130
	v_accvgpr_read_b32 v8, a132
	v_accvgpr_read_b32 v9, a133
	v_add_f64 v[0:1], v[0:1], v[4:5]
	v_accvgpr_read_b32 v7, a131
	v_mul_f64 v[4:5], v[110:111], v[8:9]
	v_fma_f64 v[4:5], v[108:109], v[6:7], -v[4:5]
	v_accvgpr_read_b32 v6, a134
	;; [unrolled: 7-line block ×3, first 2 shown]
	v_accvgpr_read_b32 v8, a140
	v_accvgpr_read_b32 v9, a141
	v_add_f64 v[0:1], v[0:1], v[4:5]
	v_accvgpr_read_b32 v7, a139
	v_mul_f64 v[4:5], v[122:123], v[8:9]
	v_fma_f64 v[4:5], v[120:121], v[6:7], -v[4:5]
	v_add_f64 v[0:1], v[0:1], v[4:5]
	v_mul_f64 v[4:5], v[126:127], v[236:237]
	v_fma_f64 v[4:5], v[124:125], v[234:235], -v[4:5]
	v_add_f64 v[0:1], v[0:1], v[4:5]
	v_mul_f64 v[4:5], v[130:131], v[30:31]
	v_fma_f64 v[4:5], v[128:129], v[28:29], -v[4:5]
	v_add_f64 v[0:1], v[0:1], v[4:5]
	v_mul_f64 v[4:5], v[134:135], v[34:35]
	v_fma_f64 v[4:5], v[132:133], v[32:33], -v[4:5]
	v_add_f64 v[0:1], v[0:1], v[4:5]
	v_mul_f64 v[4:5], v[138:139], v[38:39]
	v_fma_f64 v[4:5], v[136:137], v[36:37], -v[4:5]
	v_add_f64 v[0:1], v[0:1], v[4:5]
	v_mul_f64 v[4:5], v[142:143], v[42:43]
	v_fma_f64 v[4:5], v[140:141], v[40:41], -v[4:5]
	v_add_f64 v[0:1], v[0:1], v[4:5]
	v_mul_f64 v[4:5], v[146:147], v[46:47]
	v_fma_f64 v[4:5], v[144:145], v[44:45], -v[4:5]
	v_add_f64 v[0:1], v[0:1], v[4:5]
	v_mul_f64 v[4:5], v[150:151], v[50:51]
	v_fma_f64 v[4:5], v[148:149], v[48:49], -v[4:5]
	v_add_f64 v[0:1], v[0:1], v[4:5]
	v_mul_f64 v[4:5], v[154:155], v[54:55]
	v_fma_f64 v[4:5], v[152:153], v[52:53], -v[4:5]
	v_add_f64 v[0:1], v[0:1], v[4:5]
	v_mul_f64 v[4:5], v[158:159], v[58:59]
	v_fma_f64 v[4:5], v[156:157], v[56:57], -v[4:5]
	v_add_f64 v[0:1], v[0:1], v[4:5]
	v_mul_f64 v[4:5], v[162:163], v[62:63]
	v_fma_f64 v[4:5], v[160:161], v[60:61], -v[4:5]
	v_add_f64 v[0:1], v[0:1], v[4:5]
	v_mul_f64 v[4:5], v[166:167], v[66:67]
	v_fma_f64 v[4:5], v[164:165], v[64:65], -v[4:5]
	v_add_f64 v[0:1], v[0:1], v[4:5]
	v_mul_f64 v[4:5], v[170:171], v[70:71]
	v_fma_f64 v[4:5], v[168:169], v[68:69], -v[4:5]
	v_add_f64 v[0:1], v[0:1], v[4:5]
	v_mul_f64 v[4:5], v[174:175], v[74:75]
	v_fma_f64 v[4:5], v[172:173], v[72:73], -v[4:5]
	v_add_f64 v[0:1], v[0:1], v[4:5]
	v_mul_f64 v[4:5], v[178:179], v[78:79]
	v_fma_f64 v[4:5], v[176:177], v[76:77], -v[4:5]
	v_add_f64 v[0:1], v[0:1], v[4:5]
	v_mul_f64 v[4:5], v[182:183], v[82:83]
	v_fma_f64 v[4:5], v[180:181], v[80:81], -v[4:5]
	v_add_f64 v[0:1], v[0:1], v[4:5]
	v_mul_f64 v[4:5], v[186:187], v[90:91]
	v_fma_f64 v[4:5], v[184:185], v[88:89], -v[4:5]
	v_add_f64 v[0:1], v[0:1], v[4:5]
	v_mul_f64 v[4:5], v[190:191], v[86:87]
	v_fma_f64 v[4:5], v[188:189], v[84:85], -v[4:5]
	v_add_f64 v[0:1], v[0:1], v[4:5]
	v_mul_f64 v[4:5], v[194:195], v[98:99]
	v_fma_f64 v[4:5], v[192:193], v[96:97], -v[4:5]
	v_add_f64 v[0:1], v[0:1], v[4:5]
	v_mul_f64 v[4:5], v[198:199], v[94:95]
	v_fma_f64 v[4:5], v[196:197], v[92:93], -v[4:5]
	v_add_f64 v[0:1], v[0:1], v[4:5]
	v_mul_f64 v[4:5], v[202:203], v[114:115]
	v_fma_f64 v[4:5], v[200:201], v[112:113], -v[4:5]
	v_add_f64 v[0:1], v[0:1], v[4:5]
	v_mul_f64 v[4:5], v[210:211], v[206:207]
	v_fma_f64 v[4:5], v[208:209], v[204:205], -v[4:5]
	v_add_f64 v[0:1], v[0:1], v[4:5]
	v_mul_f64 v[4:5], v[218:219], v[214:215]
	v_fma_f64 v[4:5], v[216:217], v[212:213], -v[4:5]
	v_add_f64 v[0:1], v[0:1], v[4:5]
	v_mul_f64 v[4:5], v[226:227], v[222:223]
	v_fma_f64 v[4:5], v[224:225], v[220:221], -v[4:5]
	v_add_f64 v[0:1], v[0:1], v[4:5]
	s_waitcnt vmcnt(0)
	v_add_f64 v[4:5], v[228:229], -v[0:1]
	v_accvgpr_read_b32 v0, a120
	v_add_f64 v[6:7], v[230:231], -v[252:253]
	v_cmp_lt_u32_e32 vcc, 11, v0
	scratch_store_dwordx4 off, v[4:7], off offset:208
	s_and_saveexec_b64 s[0:1], vcc
	s_cbranch_execz .LBB123_351
; %bb.350:
	scratch_load_dwordx4 v[6:9], off, s65
	v_mov_b32_e32 v3, v2
	v_mov_b32_e32 v4, v2
	;; [unrolled: 1-line block ×3, first 2 shown]
	v_accvgpr_read_b32 v0, a121
	scratch_store_dwordx4 off, v[2:5], off offset:192
	s_waitcnt vmcnt(1)
	ds_write_b128 v0, v[6:9]
.LBB123_351:
	s_or_b64 exec, exec, s[0:1]
	s_waitcnt lgkmcnt(0)
	; wave barrier
	scratch_load_dwordx4 v[40:43], off, off offset:208
	scratch_load_dwordx4 v[44:47], off, off offset:224
	;; [unrolled: 1-line block ×18, first 2 shown]
	ds_read_b128 v[164:167], v2 offset:1152
	ds_read_b128 v[232:235], v2 offset:1168
	;; [unrolled: 1-line block ×6, first 2 shown]
	scratch_load_dwordx4 v[140:143], off, off offset:496
	ds_read_b128 v[224:227], v2 offset:1248
	ds_read_b128 v[212:215], v2 offset:1264
	ds_read_b128 v[180:183], v2 offset:1280
	scratch_load_dwordx4 v[4:7], off, off offset:512
	ds_read_b128 v[228:231], v2 offset:1296
	ds_read_b128 v[216:219], v2 offset:1312
	;; [unrolled: 1-line block ×5, first 2 shown]
	scratch_load_dwordx4 v[8:11], off, off offset:528
	ds_read_b128 v[208:211], v2 offset:1376
	ds_read_b128 v[196:199], v2 offset:1392
	;; [unrolled: 1-line block ×3, first 2 shown]
	scratch_load_dwordx4 v[12:15], off, off offset:544
	ds_read_b128 v[200:203], v2 offset:1424
	scratch_load_dwordx4 v[16:19], off, off offset:560
	scratch_load_dwordx4 v[20:23], off, off offset:576
	;; [unrolled: 1-line block ×7, first 2 shown]
	ds_read_b128 v[236:239], v2 offset:1440
	ds_read_b128 v[156:159], v2 offset:1504
	;; [unrolled: 1-line block ×4, first 2 shown]
	s_waitcnt vmcnt(28) lgkmcnt(14)
	v_mul_f64 v[0:1], v[164:165], v[42:43]
	s_waitcnt vmcnt(27)
	v_mul_f64 v[108:109], v[232:233], v[46:47]
	v_fmac_f64_e32 v[0:1], v[166:167], v[40:41]
	s_waitcnt vmcnt(26)
	v_mul_f64 v[110:111], v[168:169], v[50:51]
	v_fmac_f64_e32 v[108:109], v[234:235], v[44:45]
	v_add_f64 v[0:1], v[0:1], 0
	s_waitcnt vmcnt(25)
	v_mul_f64 v[116:117], v[220:221], v[54:55]
	v_fmac_f64_e32 v[110:111], v[170:171], v[48:49]
	v_add_f64 v[0:1], v[0:1], v[108:109]
	;; [unrolled: 4-line block ×6, first 2 shown]
	s_waitcnt vmcnt(20) lgkmcnt(13)
	v_mul_f64 v[126:127], v[180:181], v[78:79]
	v_fmac_f64_e32 v[124:125], v[214:215], v[68:69]
	v_add_f64 v[0:1], v[0:1], v[122:123]
	s_waitcnt vmcnt(19) lgkmcnt(12)
	v_mul_f64 v[128:129], v[228:229], v[82:83]
	v_fmac_f64_e32 v[126:127], v[182:183], v[76:77]
	v_add_f64 v[0:1], v[0:1], v[124:125]
	;; [unrolled: 4-line block ×9, first 2 shown]
	v_add_f64 v[0:1], v[0:1], v[148:149]
	v_fmac_f64_e32 v[150:151], v[186:187], v[112:113]
	s_waitcnt vmcnt(11) lgkmcnt(4)
	v_mul_f64 v[116:117], v[200:201], v[138:139]
	v_add_f64 v[0:1], v[0:1], v[150:151]
	v_fmac_f64_e32 v[116:117], v[202:203], v[136:137]
	v_add_f64 v[0:1], v[0:1], v[116:117]
	ds_read_b128 v[144:147], v2 offset:1456
	s_waitcnt vmcnt(10) lgkmcnt(4)
	v_mul_f64 v[116:117], v[236:237], v[142:143]
	scratch_load_dwordx4 v[108:111], off, off offset:672
	v_fmac_f64_e32 v[116:117], v[238:239], v[140:141]
	v_add_f64 v[0:1], v[0:1], v[116:117]
	scratch_load_dwordx4 v[116:119], off, off offset:688
	ds_read_b128 v[148:151], v2 offset:1472
	scratch_load_dwordx4 v[120:123], off, off offset:704
	s_waitcnt vmcnt(12) lgkmcnt(1)
	v_mul_f64 v[124:125], v[144:145], v[6:7]
	v_fmac_f64_e32 v[124:125], v[146:147], v[4:5]
	v_add_f64 v[0:1], v[0:1], v[124:125]
	s_waitcnt vmcnt(11) lgkmcnt(0)
	v_mul_f64 v[124:125], v[148:149], v[10:11]
	v_fmac_f64_e32 v[124:125], v[150:151], v[8:9]
	s_waitcnt vmcnt(10)
	v_mul_f64 v[128:129], v[152:153], v[14:15]
	v_add_f64 v[0:1], v[0:1], v[124:125]
	scratch_load_dwordx4 v[124:127], off, off offset:720
	v_fmac_f64_e32 v[128:129], v[154:155], v[12:13]
	v_add_f64 v[0:1], v[0:1], v[128:129]
	scratch_load_dwordx4 v[128:131], off, off offset:736
	s_waitcnt vmcnt(11)
	v_mul_f64 v[132:133], v[156:157], v[18:19]
	v_fmac_f64_e32 v[132:133], v[158:159], v[16:17]
	v_add_f64 v[0:1], v[0:1], v[132:133]
	scratch_load_dwordx4 v[132:135], off, off offset:752
	v_mul_f64 v[42:43], v[166:167], v[42:43]
	v_fma_f64 v[240:241], v[164:165], v[40:41], -v[42:43]
	scratch_load_dwordx4 v[40:43], off, off offset:768
	v_mul_f64 v[46:47], v[234:235], v[46:47]
	v_fma_f64 v[242:243], v[232:233], v[44:45], -v[46:47]
	;; [unrolled: 3-line block ×3, first 2 shown]
	v_mul_f64 v[48:49], v[222:223], v[54:55]
	v_fma_f64 v[246:247], v[220:221], v[52:53], -v[48:49]
	scratch_load_dwordx4 v[48:51], off, off offset:800
	scratch_load_dwordx4 v[52:55], off, off offset:816
	s_waitcnt vmcnt(15)
	v_mul_f64 v[164:165], v[160:161], v[22:23]
	v_fmac_f64_e32 v[164:165], v[162:163], v[20:21]
	v_add_f64 v[0:1], v[0:1], v[164:165]
	ds_read_b128 v[164:167], v2 offset:1536
	ds_read_b128 v[168:171], v2 offset:1552
	v_mul_f64 v[58:59], v[174:175], v[58:59]
	v_fma_f64 v[252:253], v[172:173], v[56:57], -v[58:59]
	ds_read_b128 v[172:175], v2 offset:1568
	v_mul_f64 v[56:57], v[178:179], v[62:63]
	v_fma_f64 v[254:255], v[176:177], v[60:61], -v[56:57]
	scratch_load_dwordx4 v[60:63], off, off offset:832
	scratch_load_dwordx4 v[56:59], off, off offset:848
	s_waitcnt vmcnt(16) lgkmcnt(2)
	v_mul_f64 v[232:233], v[164:165], v[34:35]
	v_fmac_f64_e32 v[232:233], v[166:167], v[32:33]
	s_waitcnt vmcnt(15) lgkmcnt(1)
	v_mul_f64 v[220:221], v[168:169], v[38:39]
	v_mul_f64 v[66:67], v[226:227], v[66:67]
	v_add_f64 v[0:1], v[0:1], v[232:233]
	v_fmac_f64_e32 v[220:221], v[170:171], v[36:37]
	v_fma_f64 v[248:249], v[224:225], v[64:65], -v[66:67]
	s_waitcnt vmcnt(14) lgkmcnt(0)
	v_mul_f64 v[64:65], v[172:173], v[30:31]
	v_add_f64 v[0:1], v[0:1], v[220:221]
	v_fmac_f64_e32 v[64:65], v[174:175], v[28:29]
	v_accvgpr_write_b32 a149, v23
	v_add_f64 v[0:1], v[0:1], v[64:65]
	v_mul_f64 v[64:65], v[214:215], v[70:71]
	v_accvgpr_write_b32 a148, v22
	v_accvgpr_write_b32 a147, v21
	;; [unrolled: 1-line block ×3, first 2 shown]
	ds_read_b128 v[176:179], v2 offset:1584
	v_fma_f64 v[20:21], v[212:213], v[68:69], -v[64:65]
	scratch_load_dwordx4 v[68:71], off, off offset:864
	scratch_load_dwordx4 v[64:67], off, off offset:880
	v_accvgpr_write_b32 a133, v7
	v_accvgpr_write_b32 a132, v6
	;; [unrolled: 1-line block ×5, first 2 shown]
	v_mul_f64 v[6:7], v[182:183], v[78:79]
	v_accvgpr_write_b32 a144, v18
	v_accvgpr_write_b32 a143, v17
	;; [unrolled: 1-line block ×3, first 2 shown]
	v_fma_f64 v[16:17], v[180:181], v[76:77], -v[6:7]
	s_waitcnt vmcnt(15) lgkmcnt(0)
	v_mul_f64 v[76:77], v[176:177], v[26:27]
	v_fmac_f64_e32 v[76:77], v[178:179], v[24:25]
	v_accvgpr_write_b32 a141, v15
	v_add_f64 v[0:1], v[0:1], v[76:77]
	v_mul_f64 v[76:77], v[230:231], v[82:83]
	v_accvgpr_write_b32 a140, v14
	v_accvgpr_write_b32 a139, v13
	;; [unrolled: 1-line block ×3, first 2 shown]
	v_fma_f64 v[12:13], v[228:229], v[80:81], -v[76:77]
	scratch_load_dwordx4 v[76:79], off, off offset:896
	scratch_load_dwordx4 v[232:235], off, off offset:960
	ds_read_b128 v[180:183], v2 offset:1600
	ds_read_b128 v[80:83], v2 offset:1616
	v_accvgpr_write_b32 a137, v11
	v_accvgpr_write_b32 a136, v10
	v_accvgpr_write_b32 a135, v9
	v_accvgpr_write_b32 a134, v8
	s_waitcnt vmcnt(16) lgkmcnt(1)
	v_mul_f64 v[10:11], v[180:181], v[74:75]
	v_fmac_f64_e32 v[10:11], v[182:183], v[72:73]
	v_add_f64 v[0:1], v[0:1], v[10:11]
	v_mul_f64 v[10:11], v[218:219], v[86:87]
	v_fma_f64 v[10:11], v[216:217], v[84:85], -v[10:11]
	ds_read_b128 v[84:87], v2 offset:1632
	v_mul_f64 v[90:91], v[190:191], v[90:91]
	v_fma_f64 v[8:9], v[188:189], v[88:89], -v[90:91]
	ds_read_b128 v[88:91], v2 offset:1648
	s_waitcnt vmcnt(15) lgkmcnt(2)
	v_mul_f64 v[212:213], v[80:81], v[110:111]
	v_fmac_f64_e32 v[212:213], v[82:83], v[108:109]
	s_waitcnt vmcnt(14) lgkmcnt(1)
	v_mul_f64 v[14:15], v[84:85], v[118:119]
	v_add_f64 v[0:1], v[0:1], v[212:213]
	v_fmac_f64_e32 v[14:15], v[86:87], v[116:117]
	v_add_f64 v[0:1], v[0:1], v[14:15]
	s_waitcnt vmcnt(13) lgkmcnt(0)
	v_mul_f64 v[14:15], v[88:89], v[122:123]
	v_fmac_f64_e32 v[14:15], v[90:91], v[120:121]
	ds_read_b128 v[188:191], v2 offset:1664
	v_add_f64 v[0:1], v[0:1], v[14:15]
	v_mul_f64 v[14:15], v[206:207], v[94:95]
	v_fma_f64 v[14:15], v[204:205], v[92:93], -v[14:15]
	ds_read_b128 v[92:95], v2 offset:1680
	v_mul_f64 v[98:99], v[194:195], v[98:99]
	v_fma_f64 v[6:7], v[192:193], v[96:97], -v[98:99]
	ds_read_b128 v[96:99], v2 offset:1696
	ds_read_b128 v[192:195], v2 offset:1712
	s_waitcnt vmcnt(12) lgkmcnt(3)
	v_mul_f64 v[204:205], v[188:189], v[126:127]
	v_fmac_f64_e32 v[204:205], v[190:191], v[124:125]
	s_waitcnt vmcnt(11) lgkmcnt(2)
	v_mul_f64 v[18:19], v[92:93], v[130:131]
	v_add_f64 v[0:1], v[0:1], v[204:205]
	v_fmac_f64_e32 v[18:19], v[94:95], v[128:129]
	v_add_f64 v[0:1], v[0:1], v[18:19]
	s_waitcnt vmcnt(10) lgkmcnt(1)
	v_mul_f64 v[18:19], v[96:97], v[134:135]
	v_fmac_f64_e32 v[18:19], v[98:99], v[132:133]
	v_add_f64 v[0:1], v[0:1], v[18:19]
	v_mul_f64 v[18:19], v[210:211], v[102:103]
	v_fma_f64 v[18:19], v[208:209], v[100:101], -v[18:19]
	ds_read_b128 v[100:103], v2 offset:1728
	v_mul_f64 v[106:107], v[198:199], v[106:107]
	v_fma_f64 v[4:5], v[196:197], v[104:105], -v[106:107]
	ds_read_b128 v[104:107], v2 offset:1744
	s_waitcnt vmcnt(9) lgkmcnt(2)
	v_mul_f64 v[204:205], v[192:193], v[42:43]
	v_fmac_f64_e32 v[204:205], v[194:195], v[40:41]
	s_waitcnt vmcnt(8) lgkmcnt(1)
	v_mul_f64 v[22:23], v[100:101], v[46:47]
	v_add_f64 v[0:1], v[0:1], v[204:205]
	v_fmac_f64_e32 v[22:23], v[102:103], v[44:45]
	v_add_f64 v[0:1], v[0:1], v[22:23]
	s_waitcnt vmcnt(7) lgkmcnt(0)
	v_mul_f64 v[22:23], v[104:105], v[50:51]
	ds_read_b128 v[196:199], v2 offset:1760
	v_fmac_f64_e32 v[22:23], v[106:107], v[48:49]
	v_add_f64 v[0:1], v[0:1], v[22:23]
	v_mul_f64 v[22:23], v[186:187], v[114:115]
	v_fma_f64 v[22:23], v[184:185], v[112:113], -v[22:23]
	ds_read_b128 v[112:115], v2 offset:1776
	s_waitcnt vmcnt(6) lgkmcnt(1)
	v_mul_f64 v[184:185], v[196:197], v[54:55]
	v_fmac_f64_e32 v[184:185], v[198:199], v[52:53]
	v_add_f64 v[184:185], v[0:1], v[184:185]
	v_mul_f64 v[0:1], v[202:203], v[138:139]
	v_fma_f64 v[0:1], v[200:201], v[136:137], -v[0:1]
	ds_read_b128 v[136:139], v2 offset:1792
	s_waitcnt vmcnt(5) lgkmcnt(1)
	v_mul_f64 v[186:187], v[112:113], v[62:63]
	v_fmac_f64_e32 v[186:187], v[114:115], v[60:61]
	v_add_f64 v[200:201], v[184:185], v[186:187]
	ds_read_b128 v[184:187], v2 offset:1808
	v_mul_f64 v[142:143], v[238:239], v[142:143]
	v_fma_f64 v[250:251], v[236:237], v[140:141], -v[142:143]
	ds_read_b128 v[140:143], v2 offset:1824
	ds_read_b128 v[208:211], v2 offset:1856
	s_waitcnt vmcnt(4) lgkmcnt(3)
	v_mul_f64 v[202:203], v[136:137], v[58:59]
	v_fmac_f64_e32 v[202:203], v[138:139], v[56:57]
	v_add_f64 v[200:201], v[200:201], v[202:203]
	s_waitcnt vmcnt(3) lgkmcnt(2)
	v_mul_f64 v[202:203], v[184:185], v[70:71]
	v_fmac_f64_e32 v[202:203], v[186:187], v[68:69]
	v_add_f64 v[200:201], v[200:201], v[202:203]
	;; [unrolled: 4-line block ×3, first 2 shown]
	ds_read_b128 v[200:203], v2 offset:1840
	ds_read_b128 v[216:219], v2 offset:1872
	;; [unrolled: 1-line block ×3, first 2 shown]
	s_waitcnt vmcnt(1) lgkmcnt(2)
	v_mul_f64 v[206:207], v[200:201], v[78:79]
	v_fmac_f64_e32 v[206:207], v[202:203], v[76:77]
	v_add_f64 v[212:213], v[204:205], v[206:207]
	scratch_load_dwordx4 v[204:207], off, off offset:912
	s_waitcnt vmcnt(0)
	v_mul_f64 v[214:215], v[208:209], v[206:207]
	v_fmac_f64_e32 v[214:215], v[210:211], v[204:205]
	v_add_f64 v[220:221], v[212:213], v[214:215]
	scratch_load_dwordx4 v[212:215], off, off offset:928
	s_waitcnt vmcnt(0) lgkmcnt(1)
	v_mul_f64 v[222:223], v[216:217], v[214:215]
	v_fmac_f64_e32 v[222:223], v[218:219], v[212:213]
	v_add_f64 v[228:229], v[220:221], v[222:223]
	scratch_load_dwordx4 v[220:223], off, off offset:944
	s_waitcnt vmcnt(0) lgkmcnt(0)
	v_mul_f64 v[230:231], v[224:225], v[222:223]
	v_fmac_f64_e32 v[230:231], v[226:227], v[220:221]
	v_add_f64 v[236:237], v[228:229], v[230:231]
	ds_read_b128 v[228:231], v2 offset:1904
	s_waitcnt lgkmcnt(0)
	v_mul_f64 v[2:3], v[228:229], v[234:235]
	v_fmac_f64_e32 v[2:3], v[230:231], v[232:233]
	v_add_f64 v[2:3], v[236:237], v[2:3]
	v_add_f64 v[236:237], v[240:241], 0
	;; [unrolled: 1-line block ×9, first 2 shown]
	scratch_load_dwordx4 v[236:239], off, off offset:192
	v_add_f64 v[16:17], v[20:21], v[16:17]
	v_add_f64 v[12:13], v[16:17], v[12:13]
	;; [unrolled: 1-line block ×8, first 2 shown]
	v_accvgpr_read_b32 v6, a130
	v_accvgpr_read_b32 v8, a132
	v_accvgpr_read_b32 v9, a133
	v_add_f64 v[252:253], v[4:5], v[22:23]
	v_accvgpr_read_b32 v7, a131
	v_mul_f64 v[4:5], v[146:147], v[8:9]
	v_add_f64 v[0:1], v[252:253], v[0:1]
	v_fma_f64 v[4:5], v[144:145], v[6:7], -v[4:5]
	v_accvgpr_read_b32 v6, a134
	v_add_f64 v[0:1], v[0:1], v[250:251]
	v_accvgpr_read_b32 v8, a136
	v_accvgpr_read_b32 v9, a137
	v_add_f64 v[0:1], v[0:1], v[4:5]
	v_accvgpr_read_b32 v7, a135
	v_mul_f64 v[4:5], v[150:151], v[8:9]
	v_fma_f64 v[4:5], v[148:149], v[6:7], -v[4:5]
	v_accvgpr_read_b32 v6, a138
	v_accvgpr_read_b32 v8, a140
	v_accvgpr_read_b32 v9, a141
	v_add_f64 v[0:1], v[0:1], v[4:5]
	v_accvgpr_read_b32 v7, a139
	v_mul_f64 v[4:5], v[154:155], v[8:9]
	v_fma_f64 v[4:5], v[152:153], v[6:7], -v[4:5]
	v_accvgpr_read_b32 v6, a142
	;; [unrolled: 7-line block ×3, first 2 shown]
	v_accvgpr_read_b32 v8, a148
	v_accvgpr_read_b32 v9, a149
	v_add_f64 v[0:1], v[0:1], v[4:5]
	v_accvgpr_read_b32 v7, a147
	v_mul_f64 v[4:5], v[162:163], v[8:9]
	v_fma_f64 v[4:5], v[160:161], v[6:7], -v[4:5]
	v_add_f64 v[0:1], v[0:1], v[4:5]
	v_mul_f64 v[4:5], v[166:167], v[34:35]
	v_fma_f64 v[4:5], v[164:165], v[32:33], -v[4:5]
	v_add_f64 v[0:1], v[0:1], v[4:5]
	;; [unrolled: 3-line block ×25, first 2 shown]
	s_waitcnt vmcnt(0)
	v_add_f64 v[4:5], v[236:237], -v[0:1]
	v_accvgpr_read_b32 v0, a120
	v_add_f64 v[6:7], v[238:239], -v[2:3]
	v_cmp_lt_u32_e32 vcc, 10, v0
	scratch_store_dwordx4 off, v[4:7], off offset:192
	s_and_saveexec_b64 s[0:1], vcc
	s_cbranch_execz .LBB123_353
; %bb.352:
	scratch_load_dwordx4 v[2:5], off, s66
	v_mov_b32_e32 v6, 0
	v_mov_b32_e32 v7, v6
	;; [unrolled: 1-line block ×4, first 2 shown]
	v_accvgpr_read_b32 v0, a121
	scratch_store_dwordx4 off, v[6:9], off offset:176
	s_waitcnt vmcnt(1)
	ds_write_b128 v0, v[2:5]
.LBB123_353:
	s_or_b64 exec, exec, s[0:1]
	s_waitcnt lgkmcnt(0)
	; wave barrier
	scratch_load_dwordx4 v[56:59], off, off offset:192
	scratch_load_dwordx4 v[60:63], off, off offset:208
	;; [unrolled: 1-line block ×28, first 2 shown]
	v_mov_b32_e32 v2, 0
	ds_read_b128 v[116:119], v2 offset:1136
	ds_read_b128 v[120:123], v2 offset:1152
	;; [unrolled: 1-line block ×22, first 2 shown]
	s_waitcnt vmcnt(27) lgkmcnt(14)
	v_mul_f64 v[0:1], v[116:117], v[58:59]
	s_waitcnt vmcnt(26)
	v_mul_f64 v[32:33], v[120:121], v[62:63]
	v_fmac_f64_e32 v[0:1], v[118:119], v[56:57]
	s_waitcnt vmcnt(25)
	v_mul_f64 v[34:35], v[124:125], v[66:67]
	v_fmac_f64_e32 v[32:33], v[122:123], v[60:61]
	v_add_f64 v[0:1], v[0:1], 0
	v_fmac_f64_e32 v[34:35], v[126:127], v[64:65]
	v_add_f64 v[0:1], v[0:1], v[32:33]
	v_add_f64 v[0:1], v[0:1], v[34:35]
	scratch_load_dwordx4 v[32:35], off, off offset:640
	s_waitcnt vmcnt(25)
	v_mul_f64 v[36:37], v[128:129], v[70:71]
	s_waitcnt vmcnt(24)
	v_mul_f64 v[38:39], v[132:133], v[74:75]
	v_fmac_f64_e32 v[36:37], v[130:131], v[68:69]
	s_waitcnt vmcnt(23)
	v_mul_f64 v[40:41], v[140:141], v[78:79]
	v_fmac_f64_e32 v[38:39], v[134:135], v[72:73]
	v_add_f64 v[0:1], v[0:1], v[36:37]
	s_waitcnt vmcnt(22)
	v_mul_f64 v[42:43], v[152:153], v[82:83]
	v_fmac_f64_e32 v[40:41], v[142:143], v[76:77]
	v_add_f64 v[0:1], v[0:1], v[38:39]
	;; [unrolled: 4-line block ×3, first 2 shown]
	s_waitcnt vmcnt(20) lgkmcnt(13)
	v_mul_f64 v[46:47], v[176:177], v[94:95]
	v_fmac_f64_e32 v[44:45], v[166:167], v[84:85]
	v_add_f64 v[0:1], v[0:1], v[42:43]
	s_waitcnt vmcnt(19) lgkmcnt(12)
	v_mul_f64 v[48:49], v[188:189], v[98:99]
	v_fmac_f64_e32 v[46:47], v[178:179], v[92:93]
	v_add_f64 v[0:1], v[0:1], v[44:45]
	;; [unrolled: 4-line block ×9, first 2 shown]
	v_add_f64 v[0:1], v[0:1], v[104:105]
	v_fmac_f64_e32 v[106:107], v[222:223], v[168:169]
	s_waitcnt vmcnt(11) lgkmcnt(4)
	v_mul_f64 v[40:41], v[224:225], v[174:175]
	v_add_f64 v[0:1], v[0:1], v[106:107]
	v_fmac_f64_e32 v[40:41], v[226:227], v[172:173]
	scratch_load_dwordx4 v[36:39], off, off offset:656
	v_add_f64 v[0:1], v[0:1], v[40:41]
	s_waitcnt vmcnt(11) lgkmcnt(3)
	v_mul_f64 v[40:41], v[228:229], v[182:183]
	v_fmac_f64_e32 v[40:41], v[230:231], v[180:181]
	s_waitcnt vmcnt(10) lgkmcnt(2)
	v_mul_f64 v[44:45], v[248:249], v[186:187]
	v_add_f64 v[0:1], v[0:1], v[40:41]
	v_fmac_f64_e32 v[44:45], v[250:251], v[184:185]
	scratch_load_dwordx4 v[40:43], off, off offset:672
	ds_read_b128 v[88:91], v2 offset:1472
	v_add_f64 v[0:1], v[0:1], v[44:45]
	s_waitcnt vmcnt(10) lgkmcnt(2)
	v_mul_f64 v[44:45], v[252:253], v[194:195]
	v_fmac_f64_e32 v[44:45], v[254:255], v[192:193]
	v_add_f64 v[0:1], v[0:1], v[44:45]
	scratch_load_dwordx4 v[44:47], off, off offset:688
	ds_read_b128 v[104:107], v2 offset:1488
	s_waitcnt vmcnt(10) lgkmcnt(1)
	v_mul_f64 v[48:49], v[88:89], v[6:7]
	v_accvgpr_write_b32 a125, v7
	v_fmac_f64_e32 v[48:49], v[90:91], v[4:5]
	v_accvgpr_write_b32 a124, v6
	v_accvgpr_write_b32 a123, v5
	;; [unrolled: 1-line block ×3, first 2 shown]
	s_waitcnt vmcnt(9)
	v_mov_b64_e32 v[4:5], v[8:9]
	v_add_f64 v[0:1], v[0:1], v[48:49]
	scratch_load_dwordx4 v[48:51], off, off offset:704
	v_mov_b64_e32 v[6:7], v[10:11]
	s_waitcnt lgkmcnt(0)
	v_mul_f64 v[52:53], v[104:105], v[6:7]
	v_fmac_f64_e32 v[52:53], v[106:107], v[4:5]
	v_add_f64 v[0:1], v[0:1], v[52:53]
	scratch_load_dwordx4 v[52:55], off, off offset:720
	v_mul_f64 v[58:59], v[118:119], v[58:59]
	s_waitcnt vmcnt(10)
	v_mov_b64_e32 v[4:5], v[12:13]
	v_fma_f64 v[240:241], v[116:117], v[56:57], -v[58:59]
	scratch_load_dwordx4 v[56:59], off, off offset:736
	v_mov_b64_e32 v[6:7], v[14:15]
	v_mul_f64 v[112:113], v[108:109], v[6:7]
	v_fmac_f64_e32 v[112:113], v[110:111], v[4:5]
	v_add_f64 v[0:1], v[0:1], v[112:113]
	ds_read_b128 v[112:115], v2 offset:1520
	ds_read_b128 v[116:119], v2 offset:1536
	v_mul_f64 v[62:63], v[122:123], v[62:63]
	v_fma_f64 v[242:243], v[120:121], v[60:61], -v[62:63]
	scratch_load_dwordx4 v[60:63], off, off offset:752
	s_waitcnt vmcnt(11)
	v_mov_b64_e32 v[4:5], v[16:17]
	v_mul_f64 v[66:67], v[126:127], v[66:67]
	v_mov_b64_e32 v[6:7], v[18:19]
	v_fma_f64 v[244:245], v[124:125], v[64:65], -v[66:67]
	scratch_load_dwordx4 v[64:67], off, off offset:768
	s_waitcnt lgkmcnt(1)
	v_mul_f64 v[120:121], v[112:113], v[6:7]
	v_fmac_f64_e32 v[120:121], v[114:115], v[4:5]
	s_waitcnt vmcnt(11)
	v_mov_b64_e32 v[4:5], v[20:21]
	v_mov_b64_e32 v[6:7], v[22:23]
	v_add_f64 v[0:1], v[0:1], v[120:121]
	s_waitcnt lgkmcnt(0)
	v_mul_f64 v[120:121], v[116:117], v[6:7]
	v_fmac_f64_e32 v[120:121], v[118:119], v[4:5]
	v_mul_f64 v[70:71], v[130:131], v[70:71]
	v_add_f64 v[0:1], v[0:1], v[120:121]
	v_fma_f64 v[246:247], v[128:129], v[68:69], -v[70:71]
	scratch_load_dwordx4 v[68:71], off, off offset:784
	ds_read_b128 v[120:123], v2 offset:1552
	ds_read_b128 v[124:127], v2 offset:1568
	v_mul_f64 v[74:75], v[134:135], v[74:75]
	v_accvgpr_write_b32 a129, v11
	v_fma_f64 v[232:233], v[132:133], v[72:73], -v[74:75]
	scratch_load_dwordx4 v[72:75], off, off offset:800
	v_accvgpr_write_b32 a128, v10
	v_accvgpr_write_b32 a127, v9
	;; [unrolled: 1-line block ×3, first 2 shown]
	v_mul_f64 v[78:79], v[142:143], v[78:79]
	s_waitcnt vmcnt(12)
	v_mov_b64_e32 v[8:9], v[24:25]
	v_fma_f64 v[28:29], v[140:141], v[76:77], -v[78:79]
	v_mov_b64_e32 v[10:11], v[26:27]
	scratch_load_dwordx4 v[76:79], off, off offset:816
	s_waitcnt lgkmcnt(1)
	v_mul_f64 v[6:7], v[120:121], v[10:11]
	v_fmac_f64_e32 v[6:7], v[122:123], v[8:9]
	v_accvgpr_write_b32 a145, v27
	v_add_f64 v[0:1], v[0:1], v[6:7]
	v_mul_f64 v[6:7], v[154:155], v[82:83]
	v_accvgpr_write_b32 a144, v26
	v_accvgpr_write_b32 a143, v25
	v_accvgpr_write_b32 a142, v24
	v_fma_f64 v[24:25], v[152:153], v[80:81], -v[6:7]
	s_waitcnt vmcnt(12) lgkmcnt(0)
	v_mul_f64 v[6:7], v[124:125], v[236:237]
	v_fmac_f64_e32 v[6:7], v[126:127], v[234:235]
	scratch_load_dwordx4 v[80:83], off, off offset:832
	v_accvgpr_write_b32 a141, v23
	v_add_f64 v[0:1], v[0:1], v[6:7]
	v_mul_f64 v[6:7], v[166:167], v[86:87]
	v_accvgpr_write_b32 a140, v22
	v_accvgpr_write_b32 a139, v21
	v_accvgpr_write_b32 a138, v20
	v_fma_f64 v[20:21], v[164:165], v[84:85], -v[6:7]
	scratch_load_dwordx4 v[84:87], off, off offset:848
	ds_read_b128 v[132:135], v2 offset:1584
	ds_read_b128 v[128:131], v2 offset:1600
	v_accvgpr_write_b32 a137, v19
	v_mul_f64 v[6:7], v[178:179], v[94:95]
	v_accvgpr_write_b32 a133, v15
	v_accvgpr_write_b32 a136, v18
	;; [unrolled: 1-line block ×4, first 2 shown]
	v_fma_f64 v[16:17], v[176:177], v[92:93], -v[6:7]
	v_mul_f64 v[6:7], v[190:191], v[98:99]
	v_accvgpr_write_b32 a132, v14
	v_accvgpr_write_b32 a131, v13
	;; [unrolled: 1-line block ×3, first 2 shown]
	v_fma_f64 v[14:15], v[188:189], v[96:97], -v[6:7]
	scratch_load_dwordx4 v[96:99], off, off offset:864
	scratch_load_dwordx4 v[92:95], off, off offset:880
	s_waitcnt vmcnt(15) lgkmcnt(1)
	v_mul_f64 v[6:7], v[132:133], v[34:35]
	v_fmac_f64_e32 v[6:7], v[134:135], v[32:33]
	v_add_f64 v[0:1], v[0:1], v[6:7]
	v_mul_f64 v[6:7], v[198:199], v[102:103]
	v_fma_f64 v[12:13], v[196:197], v[100:101], -v[6:7]
	scratch_load_dwordx4 v[100:103], off, off offset:896
	v_mul_f64 v[6:7], v[202:203], v[138:139]
	v_fma_f64 v[18:19], v[200:201], v[136:137], -v[6:7]
	ds_read_b128 v[136:139], v2 offset:1616
	ds_read_b128 v[140:143], v2 offset:1632
	s_waitcnt vmcnt(15) lgkmcnt(2)
	v_mul_f64 v[6:7], v[128:129], v[38:39]
	v_fmac_f64_e32 v[6:7], v[130:131], v[36:37]
	v_add_f64 v[0:1], v[0:1], v[6:7]
	s_waitcnt vmcnt(14) lgkmcnt(1)
	v_mul_f64 v[6:7], v[136:137], v[42:43]
	v_fmac_f64_e32 v[6:7], v[138:139], v[40:41]
	v_add_f64 v[0:1], v[0:1], v[6:7]
	v_mul_f64 v[6:7], v[206:207], v[146:147]
	v_fma_f64 v[10:11], v[204:205], v[144:145], -v[6:7]
	ds_read_b128 v[144:147], v2 offset:1648
	s_waitcnt vmcnt(13) lgkmcnt(1)
	v_mul_f64 v[6:7], v[140:141], v[46:47]
	v_fmac_f64_e32 v[6:7], v[142:143], v[44:45]
	v_add_f64 v[0:1], v[0:1], v[6:7]
	v_mul_f64 v[6:7], v[210:211], v[150:151]
	v_fma_f64 v[22:23], v[208:209], v[148:149], -v[6:7]
	ds_read_b128 v[148:151], v2 offset:1664
	s_waitcnt vmcnt(12) lgkmcnt(1)
	v_mul_f64 v[6:7], v[144:145], v[50:51]
	ds_read_b128 v[152:155], v2 offset:1680
	v_fmac_f64_e32 v[6:7], v[146:147], v[48:49]
	v_add_f64 v[0:1], v[0:1], v[6:7]
	v_mul_f64 v[6:7], v[214:215], v[158:159]
	v_fma_f64 v[8:9], v[212:213], v[156:157], -v[6:7]
	s_waitcnt vmcnt(11) lgkmcnt(1)
	v_mul_f64 v[6:7], v[148:149], v[54:55]
	v_fmac_f64_e32 v[6:7], v[150:151], v[52:53]
	ds_read_b128 v[156:159], v2 offset:1696
	v_add_f64 v[0:1], v[0:1], v[6:7]
	s_waitcnt vmcnt(10) lgkmcnt(1)
	v_mul_f64 v[6:7], v[152:153], v[58:59]
	v_fmac_f64_e32 v[6:7], v[154:155], v[56:57]
	v_add_f64 v[0:1], v[0:1], v[6:7]
	v_mul_f64 v[6:7], v[218:219], v[162:163]
	v_fma_f64 v[26:27], v[216:217], v[160:161], -v[6:7]
	ds_read_b128 v[160:163], v2 offset:1712
	ds_read_b128 v[164:167], v2 offset:1728
	s_waitcnt vmcnt(9) lgkmcnt(2)
	v_mul_f64 v[6:7], v[156:157], v[62:63]
	v_fmac_f64_e32 v[6:7], v[158:159], v[60:61]
	v_add_f64 v[0:1], v[0:1], v[6:7]
	s_waitcnt vmcnt(8) lgkmcnt(1)
	v_mul_f64 v[6:7], v[160:161], v[66:67]
	v_fmac_f64_e32 v[6:7], v[162:163], v[64:65]
	v_add_f64 v[0:1], v[0:1], v[6:7]
	v_mul_f64 v[6:7], v[222:223], v[170:171]
	v_fma_f64 v[4:5], v[220:221], v[168:169], -v[6:7]
	ds_read_b128 v[168:171], v2 offset:1744
	v_mul_f64 v[6:7], v[226:227], v[174:175]
	v_fma_f64 v[6:7], v[224:225], v[172:173], -v[6:7]
	ds_read_b128 v[172:175], v2 offset:1760
	s_waitcnt vmcnt(7) lgkmcnt(2)
	v_mul_f64 v[30:31], v[164:165], v[70:71]
	v_fmac_f64_e32 v[30:31], v[166:167], v[68:69]
	v_add_f64 v[0:1], v[0:1], v[30:31]
	s_waitcnt vmcnt(6) lgkmcnt(1)
	v_mul_f64 v[30:31], v[168:169], v[74:75]
	v_fmac_f64_e32 v[30:31], v[170:171], v[72:73]
	v_add_f64 v[0:1], v[0:1], v[30:31]
	s_waitcnt vmcnt(5) lgkmcnt(0)
	v_mul_f64 v[30:31], v[172:173], v[78:79]
	ds_read_b128 v[176:179], v2 offset:1776
	v_fmac_f64_e32 v[30:31], v[174:175], v[76:77]
	v_add_f64 v[30:31], v[0:1], v[30:31]
	v_mul_f64 v[0:1], v[230:231], v[182:183]
	v_fma_f64 v[0:1], v[228:229], v[180:181], -v[0:1]
	ds_read_b128 v[180:183], v2 offset:1792
	v_mul_f64 v[186:187], v[250:251], v[186:187]
	s_waitcnt vmcnt(4) lgkmcnt(1)
	v_mul_f64 v[188:189], v[176:177], v[82:83]
	v_fma_f64 v[238:239], v[248:249], v[184:185], -v[186:187]
	ds_read_b128 v[184:187], v2 offset:1808
	v_fmac_f64_e32 v[188:189], v[178:179], v[80:81]
	v_add_f64 v[30:31], v[30:31], v[188:189]
	ds_read_b128 v[188:191], v2 offset:1824
	s_waitcnt vmcnt(3) lgkmcnt(2)
	v_mul_f64 v[196:197], v[180:181], v[86:87]
	v_mul_f64 v[194:195], v[254:255], v[194:195]
	v_fmac_f64_e32 v[196:197], v[182:183], v[84:85]
	v_fma_f64 v[248:249], v[252:253], v[192:193], -v[194:195]
	ds_read_b128 v[192:195], v2 offset:1840
	ds_read_b128 v[200:203], v2 offset:1856
	v_add_f64 v[30:31], v[30:31], v[196:197]
	s_waitcnt vmcnt(2) lgkmcnt(3)
	v_mul_f64 v[196:197], v[184:185], v[98:99]
	v_fmac_f64_e32 v[196:197], v[186:187], v[96:97]
	v_add_f64 v[30:31], v[30:31], v[196:197]
	s_waitcnt vmcnt(1) lgkmcnt(2)
	v_mul_f64 v[196:197], v[188:189], v[94:95]
	v_fmac_f64_e32 v[196:197], v[190:191], v[92:93]
	;; [unrolled: 4-line block ×3, first 2 shown]
	v_add_f64 v[30:31], v[30:31], v[196:197]
	scratch_load_dwordx4 v[196:199], off, off offset:912
	ds_read_b128 v[208:211], v2 offset:1872
	ds_read_b128 v[216:219], v2 offset:1888
	;; [unrolled: 1-line block ×3, first 2 shown]
	s_waitcnt vmcnt(0) lgkmcnt(3)
	v_mul_f64 v[204:205], v[200:201], v[198:199]
	v_fmac_f64_e32 v[204:205], v[202:203], v[196:197]
	v_add_f64 v[30:31], v[30:31], v[204:205]
	scratch_load_dwordx4 v[204:207], off, off offset:928
	s_waitcnt vmcnt(0) lgkmcnt(2)
	v_mul_f64 v[212:213], v[208:209], v[206:207]
	v_fmac_f64_e32 v[212:213], v[210:211], v[204:205]
	v_add_f64 v[30:31], v[30:31], v[212:213]
	scratch_load_dwordx4 v[212:215], off, off offset:944
	;; [unrolled: 5-line block ×3, first 2 shown]
	s_waitcnt vmcnt(0) lgkmcnt(0)
	v_mul_f64 v[228:229], v[224:225], v[222:223]
	v_fmac_f64_e32 v[228:229], v[226:227], v[220:221]
	v_add_f64 v[252:253], v[30:31], v[228:229]
	v_add_f64 v[30:31], v[240:241], 0
	;; [unrolled: 1-line block ×3, first 2 shown]
	scratch_load_dwordx4 v[228:231], off, off offset:176
	v_add_f64 v[30:31], v[30:31], v[244:245]
	v_add_f64 v[30:31], v[30:31], v[246:247]
	;; [unrolled: 1-line block ×16, first 2 shown]
	v_accvgpr_read_b32 v6, a122
	v_accvgpr_read_b32 v8, a124
	;; [unrolled: 1-line block ×3, first 2 shown]
	v_add_f64 v[0:1], v[4:5], v[0:1]
	v_accvgpr_read_b32 v7, a123
	v_mul_f64 v[4:5], v[90:91], v[8:9]
	v_add_f64 v[0:1], v[0:1], v[238:239]
	v_fma_f64 v[4:5], v[88:89], v[6:7], -v[4:5]
	v_accvgpr_read_b32 v6, a126
	v_add_f64 v[0:1], v[0:1], v[248:249]
	v_accvgpr_read_b32 v8, a128
	v_accvgpr_read_b32 v9, a129
	v_add_f64 v[0:1], v[0:1], v[4:5]
	v_accvgpr_read_b32 v7, a127
	v_mul_f64 v[4:5], v[106:107], v[8:9]
	v_fma_f64 v[4:5], v[104:105], v[6:7], -v[4:5]
	v_accvgpr_read_b32 v6, a130
	v_accvgpr_read_b32 v8, a132
	v_accvgpr_read_b32 v9, a133
	v_add_f64 v[0:1], v[0:1], v[4:5]
	v_accvgpr_read_b32 v7, a131
	v_mul_f64 v[4:5], v[110:111], v[8:9]
	v_fma_f64 v[4:5], v[108:109], v[6:7], -v[4:5]
	v_accvgpr_read_b32 v6, a134
	;; [unrolled: 7-line block ×4, first 2 shown]
	v_accvgpr_read_b32 v8, a144
	v_accvgpr_read_b32 v9, a145
	v_add_f64 v[0:1], v[0:1], v[4:5]
	v_accvgpr_read_b32 v7, a143
	v_mul_f64 v[4:5], v[122:123], v[8:9]
	v_fma_f64 v[4:5], v[120:121], v[6:7], -v[4:5]
	v_add_f64 v[0:1], v[0:1], v[4:5]
	v_mul_f64 v[4:5], v[126:127], v[236:237]
	v_fma_f64 v[4:5], v[124:125], v[234:235], -v[4:5]
	v_add_f64 v[0:1], v[0:1], v[4:5]
	;; [unrolled: 3-line block ×23, first 2 shown]
	s_waitcnt vmcnt(0)
	v_add_f64 v[4:5], v[228:229], -v[0:1]
	v_accvgpr_read_b32 v0, a120
	v_add_f64 v[6:7], v[230:231], -v[252:253]
	v_cmp_lt_u32_e32 vcc, 9, v0
	scratch_store_dwordx4 off, v[4:7], off offset:176
	s_and_saveexec_b64 s[0:1], vcc
	s_cbranch_execz .LBB123_355
; %bb.354:
	scratch_load_dwordx4 v[6:9], off, s67
	v_mov_b32_e32 v3, v2
	v_mov_b32_e32 v4, v2
	;; [unrolled: 1-line block ×3, first 2 shown]
	v_accvgpr_read_b32 v0, a121
	scratch_store_dwordx4 off, v[2:5], off offset:160
	s_waitcnt vmcnt(1)
	ds_write_b128 v0, v[6:9]
.LBB123_355:
	s_or_b64 exec, exec, s[0:1]
	s_waitcnt lgkmcnt(0)
	; wave barrier
	scratch_load_dwordx4 v[56:59], off, off offset:176
	scratch_load_dwordx4 v[60:63], off, off offset:192
	;; [unrolled: 1-line block ×18, first 2 shown]
	ds_read_b128 v[116:119], v2 offset:1120
	ds_read_b128 v[220:223], v2 offset:1136
	;; [unrolled: 1-line block ×6, first 2 shown]
	scratch_load_dwordx4 v[180:183], off, off offset:464
	ds_read_b128 v[204:207], v2 offset:1216
	ds_read_b128 v[132:135], v2 offset:1232
	scratch_load_dwordx4 v[184:187], off, off offset:480
	ds_read_b128 v[224:227], v2 offset:1248
	ds_read_b128 v[216:219], v2 offset:1264
	;; [unrolled: 1-line block ×5, first 2 shown]
	scratch_load_dwordx4 v[192:195], off, off offset:496
	ds_read_b128 v[200:203], v2 offset:1328
	ds_read_b128 v[164:167], v2 offset:1344
	scratch_load_dwordx4 v[4:7], off, off offset:512
	ds_read_b128 v[212:215], v2 offset:1360
	ds_read_b128 v[188:191], v2 offset:1376
	;; [unrolled: 1-line block ×3, first 2 shown]
	scratch_load_dwordx4 v[8:11], off, off offset:528
	scratch_load_dwordx4 v[12:15], off, off offset:544
	;; [unrolled: 1-line block ×6, first 2 shown]
	ds_read_b128 v[228:231], v2 offset:1408
	ds_read_b128 v[232:235], v2 offset:1424
	;; [unrolled: 1-line block ×4, first 2 shown]
	s_waitcnt vmcnt(27) lgkmcnt(14)
	v_mul_f64 v[0:1], v[116:117], v[58:59]
	s_waitcnt vmcnt(26)
	v_mul_f64 v[32:33], v[220:221], v[62:63]
	v_fmac_f64_e32 v[0:1], v[118:119], v[56:57]
	s_waitcnt vmcnt(25)
	v_mul_f64 v[34:35], v[208:209], v[66:67]
	v_fmac_f64_e32 v[32:33], v[222:223], v[60:61]
	v_add_f64 v[0:1], v[0:1], 0
	v_fmac_f64_e32 v[34:35], v[210:211], v[64:65]
	v_add_f64 v[0:1], v[0:1], v[32:33]
	v_add_f64 v[0:1], v[0:1], v[34:35]
	scratch_load_dwordx4 v[32:35], off, off offset:624
	s_waitcnt vmcnt(25)
	v_mul_f64 v[36:37], v[120:121], v[70:71]
	s_waitcnt vmcnt(24)
	v_mul_f64 v[38:39], v[128:129], v[74:75]
	v_fmac_f64_e32 v[36:37], v[122:123], v[68:69]
	s_waitcnt vmcnt(23)
	v_mul_f64 v[40:41], v[124:125], v[78:79]
	v_fmac_f64_e32 v[38:39], v[130:131], v[72:73]
	v_add_f64 v[0:1], v[0:1], v[36:37]
	s_waitcnt vmcnt(22)
	v_mul_f64 v[42:43], v[204:205], v[82:83]
	v_fmac_f64_e32 v[40:41], v[126:127], v[76:77]
	v_add_f64 v[0:1], v[0:1], v[38:39]
	;; [unrolled: 4-line block ×3, first 2 shown]
	s_waitcnt vmcnt(20) lgkmcnt(13)
	v_mul_f64 v[46:47], v[224:225], v[94:95]
	v_fmac_f64_e32 v[44:45], v[134:135], v[84:85]
	v_add_f64 v[0:1], v[0:1], v[42:43]
	s_waitcnt vmcnt(19) lgkmcnt(12)
	v_mul_f64 v[48:49], v[216:217], v[98:99]
	v_fmac_f64_e32 v[46:47], v[226:227], v[92:93]
	v_add_f64 v[0:1], v[0:1], v[44:45]
	;; [unrolled: 4-line block ×9, first 2 shown]
	v_fmac_f64_e32 v[106:107], v[190:191], v[168:169]
	v_add_f64 v[0:1], v[0:1], v[104:105]
	s_waitcnt vmcnt(11) lgkmcnt(4)
	v_mul_f64 v[40:41], v[176:177], v[174:175]
	v_add_f64 v[0:1], v[0:1], v[106:107]
	v_fmac_f64_e32 v[40:41], v[178:179], v[172:173]
	scratch_load_dwordx4 v[36:39], off, off offset:640
	v_add_f64 v[0:1], v[0:1], v[40:41]
	s_waitcnt vmcnt(11) lgkmcnt(3)
	v_mul_f64 v[40:41], v[228:229], v[182:183]
	v_fmac_f64_e32 v[40:41], v[230:231], v[180:181]
	v_add_f64 v[0:1], v[0:1], v[40:41]
	scratch_load_dwordx4 v[40:43], off, off offset:656
	ds_read_b128 v[88:91], v2 offset:1456
	s_waitcnt vmcnt(11) lgkmcnt(3)
	v_mul_f64 v[44:45], v[232:233], v[186:187]
	v_fmac_f64_e32 v[44:45], v[234:235], v[184:185]
	v_add_f64 v[0:1], v[0:1], v[44:45]
	s_waitcnt vmcnt(10) lgkmcnt(2)
	v_mul_f64 v[44:45], v[236:237], v[194:195]
	v_fmac_f64_e32 v[44:45], v[238:239], v[192:193]
	s_waitcnt vmcnt(9) lgkmcnt(0)
	v_mul_f64 v[48:49], v[88:89], v[6:7]
	ds_read_b128 v[104:107], v2 offset:1472
	v_add_f64 v[0:1], v[0:1], v[44:45]
	scratch_load_dwordx4 v[44:47], off, off offset:672
	v_fmac_f64_e32 v[48:49], v[90:91], v[4:5]
	v_accvgpr_write_b32 a125, v7
	v_add_f64 v[0:1], v[0:1], v[48:49]
	scratch_load_dwordx4 v[48:51], off, off offset:688
	v_accvgpr_write_b32 a124, v6
	v_accvgpr_write_b32 a123, v5
	;; [unrolled: 1-line block ×3, first 2 shown]
	s_waitcnt vmcnt(10)
	v_mov_b64_e32 v[4:5], v[8:9]
	v_mov_b64_e32 v[6:7], v[10:11]
	s_waitcnt lgkmcnt(0)
	v_mul_f64 v[52:53], v[104:105], v[6:7]
	v_fmac_f64_e32 v[52:53], v[106:107], v[4:5]
	v_add_f64 v[0:1], v[0:1], v[52:53]
	scratch_load_dwordx4 v[52:55], off, off offset:704
	v_mul_f64 v[58:59], v[118:119], v[58:59]
	v_fma_f64 v[240:241], v[116:117], v[56:57], -v[58:59]
	scratch_load_dwordx4 v[56:59], off, off offset:720
	v_mul_f64 v[62:63], v[222:223], v[62:63]
	v_fma_f64 v[242:243], v[220:221], v[60:61], -v[62:63]
	scratch_load_dwordx4 v[60:63], off, off offset:736
	s_waitcnt vmcnt(12)
	v_mov_b64_e32 v[4:5], v[12:13]
	v_mul_f64 v[66:67], v[210:211], v[66:67]
	v_mov_b64_e32 v[6:7], v[14:15]
	v_fma_f64 v[244:245], v[208:209], v[64:65], -v[66:67]
	scratch_load_dwordx4 v[64:67], off, off offset:752
	v_mul_f64 v[112:113], v[108:109], v[6:7]
	v_fmac_f64_e32 v[112:113], v[110:111], v[4:5]
	v_add_f64 v[0:1], v[0:1], v[112:113]
	ds_read_b128 v[112:115], v2 offset:1504
	ds_read_b128 v[116:119], v2 offset:1520
	s_waitcnt vmcnt(12)
	v_mov_b64_e32 v[4:5], v[16:17]
	v_mul_f64 v[70:71], v[122:123], v[70:71]
	v_mov_b64_e32 v[6:7], v[18:19]
	v_fma_f64 v[246:247], v[120:121], v[68:69], -v[70:71]
	scratch_load_dwordx4 v[68:71], off, off offset:768
	v_mul_f64 v[74:75], v[130:131], v[74:75]
	s_waitcnt lgkmcnt(1)
	v_mul_f64 v[220:221], v[112:113], v[6:7]
	v_fma_f64 v[252:253], v[128:129], v[72:73], -v[74:75]
	scratch_load_dwordx4 v[72:75], off, off offset:784
	v_fmac_f64_e32 v[220:221], v[114:115], v[4:5]
	s_waitcnt vmcnt(13)
	v_mov_b64_e32 v[4:5], v[20:21]
	ds_read_b128 v[120:123], v2 offset:1536
	v_mul_f64 v[78:79], v[126:127], v[78:79]
	v_mov_b64_e32 v[6:7], v[22:23]
	v_fma_f64 v[254:255], v[124:125], v[76:77], -v[78:79]
	scratch_load_dwordx4 v[76:79], off, off offset:800
	s_waitcnt lgkmcnt(1)
	v_mul_f64 v[208:209], v[116:117], v[6:7]
	ds_read_b128 v[124:127], v2 offset:1552
	v_fmac_f64_e32 v[208:209], v[118:119], v[4:5]
	s_waitcnt vmcnt(13)
	v_mov_b64_e32 v[4:5], v[24:25]
	v_mul_f64 v[82:83], v[206:207], v[82:83]
	v_mov_b64_e32 v[6:7], v[26:27]
	v_fma_f64 v[248:249], v[204:205], v[80:81], -v[82:83]
	scratch_load_dwordx4 v[80:83], off, off offset:816
	v_add_f64 v[0:1], v[0:1], v[220:221]
	s_waitcnt lgkmcnt(1)
	v_mul_f64 v[128:129], v[120:121], v[6:7]
	v_add_f64 v[0:1], v[0:1], v[208:209]
	v_fmac_f64_e32 v[128:129], v[122:123], v[4:5]
	v_add_f64 v[0:1], v[0:1], v[128:129]
	s_waitcnt vmcnt(13) lgkmcnt(0)
	v_mul_f64 v[128:129], v[124:125], v[30:31]
	v_accvgpr_write_b32 a145, v27
	v_fmac_f64_e32 v[128:129], v[126:127], v[28:29]
	v_mul_f64 v[86:87], v[134:135], v[86:87]
	v_accvgpr_write_b32 a144, v26
	v_accvgpr_write_b32 a143, v25
	;; [unrolled: 1-line block ×3, first 2 shown]
	v_add_f64 v[0:1], v[0:1], v[128:129]
	v_fma_f64 v[24:25], v[132:133], v[84:85], -v[86:87]
	scratch_load_dwordx4 v[84:87], off, off offset:832
	ds_read_b128 v[132:135], v2 offset:1568
	ds_read_b128 v[128:131], v2 offset:1584
	v_accvgpr_write_b32 a141, v23
	v_mul_f64 v[6:7], v[226:227], v[94:95]
	v_accvgpr_write_b32 a137, v19
	v_accvgpr_write_b32 a140, v22
	;; [unrolled: 1-line block ×4, first 2 shown]
	v_fma_f64 v[20:21], v[224:225], v[92:93], -v[6:7]
	v_mul_f64 v[92:93], v[218:219], v[98:99]
	v_accvgpr_write_b32 a129, v11
	v_accvgpr_write_b32 a136, v18
	;; [unrolled: 1-line block ×4, first 2 shown]
	v_fma_f64 v[16:17], v[216:217], v[96:97], -v[92:93]
	scratch_load_dwordx4 v[96:99], off, off offset:848
	scratch_load_dwordx4 v[92:95], off, off offset:864
	v_accvgpr_write_b32 a128, v10
	v_accvgpr_write_b32 a127, v9
	;; [unrolled: 1-line block ×3, first 2 shown]
	s_waitcnt vmcnt(15) lgkmcnt(1)
	v_mul_f64 v[10:11], v[132:133], v[34:35]
	v_fmac_f64_e32 v[10:11], v[134:135], v[32:33]
	v_accvgpr_write_b32 a133, v15
	v_add_f64 v[0:1], v[0:1], v[10:11]
	v_mul_f64 v[10:11], v[198:199], v[102:103]
	v_accvgpr_write_b32 a132, v14
	v_accvgpr_write_b32 a131, v13
	;; [unrolled: 1-line block ×3, first 2 shown]
	v_fma_f64 v[12:13], v[196:197], v[100:101], -v[10:11]
	scratch_load_dwordx4 v[100:103], off, off offset:880
	v_mul_f64 v[138:139], v[142:143], v[138:139]
	v_fma_f64 v[10:11], v[140:141], v[136:137], -v[138:139]
	ds_read_b128 v[136:139], v2 offset:1600
	ds_read_b128 v[140:143], v2 offset:1616
	s_waitcnt vmcnt(15) lgkmcnt(2)
	v_mul_f64 v[14:15], v[128:129], v[38:39]
	v_fmac_f64_e32 v[14:15], v[130:131], v[36:37]
	v_add_f64 v[0:1], v[0:1], v[14:15]
	s_waitcnt vmcnt(14) lgkmcnt(1)
	v_mul_f64 v[14:15], v[136:137], v[42:43]
	v_fmac_f64_e32 v[14:15], v[138:139], v[40:41]
	v_add_f64 v[0:1], v[0:1], v[14:15]
	v_mul_f64 v[14:15], v[154:155], v[146:147]
	v_fma_f64 v[14:15], v[152:153], v[144:145], -v[14:15]
	ds_read_b128 v[144:147], v2 offset:1632
	s_waitcnt vmcnt(13) lgkmcnt(1)
	v_mul_f64 v[152:153], v[140:141], v[46:47]
	v_mul_f64 v[150:151], v[202:203], v[150:151]
	v_fmac_f64_e32 v[152:153], v[142:143], v[44:45]
	v_fma_f64 v[8:9], v[200:201], v[148:149], -v[150:151]
	ds_read_b128 v[148:151], v2 offset:1648
	s_waitcnt vmcnt(12) lgkmcnt(1)
	v_mul_f64 v[18:19], v[144:145], v[50:51]
	v_add_f64 v[0:1], v[0:1], v[152:153]
	v_fmac_f64_e32 v[18:19], v[146:147], v[48:49]
	v_add_f64 v[0:1], v[0:1], v[18:19]
	ds_read_b128 v[152:155], v2 offset:1664
	v_mul_f64 v[18:19], v[166:167], v[158:159]
	v_fma_f64 v[18:19], v[164:165], v[156:157], -v[18:19]
	ds_read_b128 v[156:159], v2 offset:1680
	v_mul_f64 v[162:163], v[214:215], v[162:163]
	s_waitcnt vmcnt(11) lgkmcnt(2)
	v_mul_f64 v[164:165], v[148:149], v[54:55]
	v_fma_f64 v[6:7], v[212:213], v[160:161], -v[162:163]
	ds_read_b128 v[160:163], v2 offset:1696
	v_fmac_f64_e32 v[164:165], v[150:151], v[52:53]
	v_add_f64 v[0:1], v[0:1], v[164:165]
	s_waitcnt vmcnt(10) lgkmcnt(2)
	v_mul_f64 v[164:165], v[152:153], v[58:59]
	v_fmac_f64_e32 v[164:165], v[154:155], v[56:57]
	s_waitcnt vmcnt(9) lgkmcnt(1)
	v_mul_f64 v[22:23], v[156:157], v[62:63]
	v_add_f64 v[0:1], v[0:1], v[164:165]
	v_fmac_f64_e32 v[22:23], v[158:159], v[60:61]
	v_add_f64 v[0:1], v[0:1], v[22:23]
	ds_read_b128 v[164:167], v2 offset:1712
	s_waitcnt vmcnt(8) lgkmcnt(1)
	v_mul_f64 v[22:23], v[160:161], v[66:67]
	v_fmac_f64_e32 v[22:23], v[162:163], v[64:65]
	v_add_f64 v[0:1], v[0:1], v[22:23]
	v_mul_f64 v[22:23], v[190:191], v[170:171]
	v_fma_f64 v[22:23], v[188:189], v[168:169], -v[22:23]
	ds_read_b128 v[168:171], v2 offset:1728
	v_mul_f64 v[174:175], v[178:179], v[174:175]
	v_fma_f64 v[4:5], v[176:177], v[172:173], -v[174:175]
	ds_read_b128 v[172:175], v2 offset:1744
	s_waitcnt vmcnt(7) lgkmcnt(2)
	v_mul_f64 v[188:189], v[164:165], v[70:71]
	v_fmac_f64_e32 v[188:189], v[166:167], v[68:69]
	s_waitcnt vmcnt(6) lgkmcnt(1)
	v_mul_f64 v[26:27], v[168:169], v[74:75]
	ds_read_b128 v[176:179], v2 offset:1760
	v_add_f64 v[0:1], v[0:1], v[188:189]
	v_fmac_f64_e32 v[26:27], v[170:171], v[72:73]
	v_add_f64 v[0:1], v[0:1], v[26:27]
	s_waitcnt vmcnt(5) lgkmcnt(1)
	v_mul_f64 v[26:27], v[172:173], v[78:79]
	v_fmac_f64_e32 v[26:27], v[174:175], v[76:77]
	v_add_f64 v[0:1], v[0:1], v[26:27]
	v_mul_f64 v[26:27], v[230:231], v[182:183]
	v_fma_f64 v[26:27], v[228:229], v[180:181], -v[26:27]
	ds_read_b128 v[180:183], v2 offset:1776
	s_waitcnt vmcnt(4) lgkmcnt(1)
	v_mul_f64 v[188:189], v[176:177], v[82:83]
	v_fmac_f64_e32 v[188:189], v[178:179], v[80:81]
	v_add_f64 v[196:197], v[0:1], v[188:189]
	v_mul_f64 v[0:1], v[234:235], v[186:187]
	v_fma_f64 v[0:1], v[232:233], v[184:185], -v[0:1]
	ds_read_b128 v[184:187], v2 offset:1792
	ds_read_b128 v[188:191], v2 offset:1808
	s_waitcnt vmcnt(3) lgkmcnt(2)
	v_mul_f64 v[198:199], v[180:181], v[86:87]
	v_mul_f64 v[194:195], v[238:239], v[194:195]
	v_fmac_f64_e32 v[198:199], v[182:183], v[84:85]
	v_fma_f64 v[250:251], v[236:237], v[192:193], -v[194:195]
	ds_read_b128 v[192:195], v2 offset:1824
	ds_read_b128 v[200:203], v2 offset:1840
	v_add_f64 v[196:197], v[196:197], v[198:199]
	s_waitcnt vmcnt(2) lgkmcnt(3)
	v_mul_f64 v[198:199], v[184:185], v[98:99]
	v_fmac_f64_e32 v[198:199], v[186:187], v[96:97]
	v_add_f64 v[196:197], v[196:197], v[198:199]
	s_waitcnt vmcnt(1) lgkmcnt(2)
	v_mul_f64 v[198:199], v[188:189], v[94:95]
	v_fmac_f64_e32 v[198:199], v[190:191], v[92:93]
	v_add_f64 v[196:197], v[196:197], v[198:199]
	scratch_load_dwordx4 v[232:235], off, off offset:960
	s_waitcnt vmcnt(1) lgkmcnt(1)
	v_mul_f64 v[198:199], v[192:193], v[102:103]
	v_fmac_f64_e32 v[198:199], v[194:195], v[100:101]
	v_add_f64 v[204:205], v[196:197], v[198:199]
	scratch_load_dwordx4 v[196:199], off, off offset:896
	ds_read_b128 v[208:211], v2 offset:1856
	ds_read_b128 v[216:219], v2 offset:1872
	;; [unrolled: 1-line block ×3, first 2 shown]
	s_waitcnt vmcnt(0) lgkmcnt(3)
	v_mul_f64 v[206:207], v[200:201], v[198:199]
	v_fmac_f64_e32 v[206:207], v[202:203], v[196:197]
	v_add_f64 v[212:213], v[204:205], v[206:207]
	scratch_load_dwordx4 v[204:207], off, off offset:912
	s_waitcnt vmcnt(0) lgkmcnt(2)
	v_mul_f64 v[214:215], v[208:209], v[206:207]
	v_fmac_f64_e32 v[214:215], v[210:211], v[204:205]
	v_add_f64 v[220:221], v[212:213], v[214:215]
	scratch_load_dwordx4 v[212:215], off, off offset:928
	;; [unrolled: 5-line block ×3, first 2 shown]
	s_waitcnt vmcnt(0) lgkmcnt(0)
	v_mul_f64 v[230:231], v[224:225], v[222:223]
	v_fmac_f64_e32 v[230:231], v[226:227], v[220:221]
	v_add_f64 v[236:237], v[228:229], v[230:231]
	ds_read_b128 v[228:231], v2 offset:1904
	s_waitcnt lgkmcnt(0)
	v_mul_f64 v[2:3], v[228:229], v[234:235]
	v_fmac_f64_e32 v[2:3], v[230:231], v[232:233]
	v_add_f64 v[2:3], v[236:237], v[2:3]
	v_add_f64 v[236:237], v[240:241], 0
	;; [unrolled: 1-line block ×9, first 2 shown]
	scratch_load_dwordx4 v[236:239], off, off offset:160
	v_add_f64 v[20:21], v[24:25], v[20:21]
	v_add_f64 v[16:17], v[20:21], v[16:17]
	;; [unrolled: 1-line block ×10, first 2 shown]
	v_accvgpr_read_b32 v6, a122
	v_accvgpr_read_b32 v8, a124
	v_accvgpr_read_b32 v9, a125
	v_add_f64 v[252:253], v[4:5], v[26:27]
	v_accvgpr_read_b32 v7, a123
	v_mul_f64 v[4:5], v[90:91], v[8:9]
	v_add_f64 v[0:1], v[252:253], v[0:1]
	v_fma_f64 v[4:5], v[88:89], v[6:7], -v[4:5]
	v_accvgpr_read_b32 v6, a126
	v_add_f64 v[0:1], v[0:1], v[250:251]
	v_accvgpr_read_b32 v8, a128
	v_accvgpr_read_b32 v9, a129
	v_add_f64 v[0:1], v[0:1], v[4:5]
	v_accvgpr_read_b32 v7, a127
	v_mul_f64 v[4:5], v[106:107], v[8:9]
	v_fma_f64 v[4:5], v[104:105], v[6:7], -v[4:5]
	v_accvgpr_read_b32 v6, a130
	v_accvgpr_read_b32 v8, a132
	v_accvgpr_read_b32 v9, a133
	v_add_f64 v[0:1], v[0:1], v[4:5]
	v_accvgpr_read_b32 v7, a131
	v_mul_f64 v[4:5], v[110:111], v[8:9]
	v_fma_f64 v[4:5], v[108:109], v[6:7], -v[4:5]
	v_accvgpr_read_b32 v6, a134
	;; [unrolled: 7-line block ×4, first 2 shown]
	v_accvgpr_read_b32 v8, a144
	v_accvgpr_read_b32 v9, a145
	v_add_f64 v[0:1], v[0:1], v[4:5]
	v_accvgpr_read_b32 v7, a143
	v_mul_f64 v[4:5], v[122:123], v[8:9]
	v_fma_f64 v[4:5], v[120:121], v[6:7], -v[4:5]
	v_add_f64 v[0:1], v[0:1], v[4:5]
	v_mul_f64 v[4:5], v[126:127], v[30:31]
	v_fma_f64 v[4:5], v[124:125], v[28:29], -v[4:5]
	v_add_f64 v[0:1], v[0:1], v[4:5]
	;; [unrolled: 3-line block ×24, first 2 shown]
	s_waitcnt vmcnt(0)
	v_add_f64 v[4:5], v[236:237], -v[0:1]
	v_accvgpr_read_b32 v0, a120
	v_add_f64 v[6:7], v[238:239], -v[2:3]
	v_cmp_lt_u32_e32 vcc, 8, v0
	scratch_store_dwordx4 off, v[4:7], off offset:160
	s_and_saveexec_b64 s[0:1], vcc
	s_cbranch_execz .LBB123_357
; %bb.356:
	scratch_load_dwordx4 v[2:5], off, s68
	v_mov_b32_e32 v6, 0
	v_mov_b32_e32 v7, v6
	v_mov_b32_e32 v8, v6
	v_mov_b32_e32 v9, v6
	v_accvgpr_read_b32 v0, a121
	scratch_store_dwordx4 off, v[6:9], off offset:144
	s_waitcnt vmcnt(1)
	ds_write_b128 v0, v[2:5]
.LBB123_357:
	s_or_b64 exec, exec, s[0:1]
	s_waitcnt lgkmcnt(0)
	; wave barrier
	scratch_load_dwordx4 v[48:51], off, off offset:160
	scratch_load_dwordx4 v[52:55], off, off offset:176
	;; [unrolled: 1-line block ×28, first 2 shown]
	v_mov_b32_e32 v2, 0
	ds_read_b128 v[104:107], v2 offset:1104
	ds_read_b128 v[112:115], v2 offset:1120
	;; [unrolled: 1-line block ×18, first 2 shown]
	scratch_load_dwordx4 a[122:125], off, off offset:608
	scratch_load_dwordx4 a[126:129], off, off offset:624
	ds_read_b128 v[220:223], v2 offset:1392
	ds_read_b128 v[224:227], v2 offset:1408
	;; [unrolled: 1-line block ×4, first 2 shown]
	scratch_load_dwordx4 v[234:237], off, off offset:640
	ds_read_b128 v[252:255], v2 offset:1456
	s_waitcnt vmcnt(30) lgkmcnt(14)
	v_mul_f64 v[0:1], v[104:105], v[50:51]
	s_waitcnt vmcnt(29)
	v_mul_f64 v[24:25], v[112:113], v[54:55]
	v_fmac_f64_e32 v[0:1], v[106:107], v[48:49]
	s_waitcnt vmcnt(28)
	v_mul_f64 v[26:27], v[116:117], v[58:59]
	v_fmac_f64_e32 v[24:25], v[114:115], v[52:53]
	v_add_f64 v[0:1], v[0:1], 0
	s_waitcnt vmcnt(27)
	v_mul_f64 v[28:29], v[120:121], v[62:63]
	v_fmac_f64_e32 v[26:27], v[118:119], v[56:57]
	v_add_f64 v[0:1], v[0:1], v[24:25]
	;; [unrolled: 4-line block ×7, first 2 shown]
	s_waitcnt vmcnt(21) lgkmcnt(13)
	v_mul_f64 v[40:41], v[172:173], v[86:87]
	v_fmac_f64_e32 v[38:39], v[162:163], v[80:81]
	v_add_f64 v[0:1], v[0:1], v[36:37]
	s_waitcnt vmcnt(20) lgkmcnt(12)
	v_mul_f64 v[42:43], v[184:185], v[94:95]
	v_fmac_f64_e32 v[40:41], v[174:175], v[84:85]
	v_add_f64 v[0:1], v[0:1], v[38:39]
	;; [unrolled: 4-line block ×8, first 2 shown]
	v_add_f64 v[0:1], v[0:1], v[96:97]
	v_fmac_f64_e32 v[98:99], v[214:215], v[152:153]
	s_waitcnt vmcnt(13) lgkmcnt(5)
	v_mul_f64 v[32:33], v[216:217], v[158:159]
	v_add_f64 v[0:1], v[0:1], v[98:99]
	v_fmac_f64_e32 v[32:33], v[218:219], v[156:157]
	v_add_f64 v[0:1], v[0:1], v[32:33]
	s_waitcnt vmcnt(12) lgkmcnt(4)
	v_mul_f64 v[32:33], v[220:221], v[166:167]
	v_fmac_f64_e32 v[32:33], v[222:223], v[164:165]
	s_waitcnt vmcnt(11) lgkmcnt(3)
	v_mul_f64 v[36:37], v[224:225], v[170:171]
	v_add_f64 v[0:1], v[0:1], v[32:33]
	v_fmac_f64_e32 v[36:37], v[226:227], v[168:169]
	v_add_f64 v[0:1], v[0:1], v[36:37]
	s_waitcnt vmcnt(10) lgkmcnt(2)
	v_mul_f64 v[36:37], v[228:229], v[178:179]
	v_fmac_f64_e32 v[36:37], v[230:231], v[176:177]
	v_add_f64 v[0:1], v[0:1], v[36:37]
	scratch_load_dwordx4 v[36:39], off, off offset:656
	s_waitcnt vmcnt(10) lgkmcnt(1)
	v_mul_f64 v[40:41], v[248:249], v[182:183]
	v_fmac_f64_e32 v[40:41], v[250:251], v[180:181]
	v_add_f64 v[0:1], v[0:1], v[40:41]
	scratch_load_dwordx4 v[40:43], off, off offset:672
	ds_read_b128 v[88:91], v2 offset:1472
	s_waitcnt vmcnt(10) lgkmcnt(1)
	v_mul_f64 v[44:45], v[252:253], v[190:191]
	v_fmac_f64_e32 v[44:45], v[254:255], v[188:189]
	v_add_f64 v[0:1], v[0:1], v[44:45]
	scratch_load_dwordx4 v[44:47], off, off offset:688
	v_mul_f64 v[50:51], v[106:107], v[50:51]
	v_fma_f64 v[240:241], v[104:105], v[48:49], -v[50:51]
	scratch_load_dwordx4 v[48:51], off, off offset:704
	s_waitcnt vmcnt(11) lgkmcnt(0)
	v_mul_f64 v[96:97], v[88:89], v[6:7]
	v_mul_f64 v[54:55], v[114:115], v[54:55]
	v_fmac_f64_e32 v[96:97], v[90:91], v[4:5]
	v_fma_f64 v[242:243], v[112:113], v[52:53], -v[54:55]
	scratch_load_dwordx4 v[52:55], off, off offset:720
	v_add_f64 v[0:1], v[0:1], v[96:97]
	ds_read_b128 v[96:99], v2 offset:1488
	ds_read_b128 v[104:107], v2 offset:1504
	v_accvgpr_write_b32 a133, v7
	v_accvgpr_write_b32 a132, v6
	;; [unrolled: 1-line block ×4, first 2 shown]
	s_waitcnt vmcnt(11)
	v_mov_b64_e32 v[4:5], v[8:9]
	v_mov_b64_e32 v[6:7], v[10:11]
	v_mul_f64 v[58:59], v[118:119], v[58:59]
	s_waitcnt lgkmcnt(1)
	v_mul_f64 v[112:113], v[96:97], v[6:7]
	v_fma_f64 v[244:245], v[116:117], v[56:57], -v[58:59]
	scratch_load_dwordx4 v[56:59], off, off offset:736
	v_fmac_f64_e32 v[112:113], v[98:99], v[4:5]
	s_waitcnt vmcnt(11)
	v_mov_b64_e32 v[4:5], v[12:13]
	v_mul_f64 v[62:63], v[122:123], v[62:63]
	v_mov_b64_e32 v[6:7], v[14:15]
	v_fma_f64 v[246:247], v[120:121], v[60:61], -v[62:63]
	scratch_load_dwordx4 v[60:63], off, off offset:752
	v_add_f64 v[0:1], v[0:1], v[112:113]
	s_waitcnt lgkmcnt(0)
	v_mul_f64 v[112:113], v[104:105], v[6:7]
	v_fmac_f64_e32 v[112:113], v[106:107], v[4:5]
	v_mul_f64 v[66:67], v[126:127], v[66:67]
	v_add_f64 v[0:1], v[0:1], v[112:113]
	ds_read_b128 v[112:115], v2 offset:1520
	ds_read_b128 v[116:119], v2 offset:1536
	v_fma_f64 v[232:233], v[124:125], v[64:65], -v[66:67]
	scratch_load_dwordx4 v[64:67], off, off offset:768
	v_accvgpr_write_b32 a137, v11
	v_accvgpr_write_b32 a136, v10
	;; [unrolled: 1-line block ×4, first 2 shown]
	s_waitcnt vmcnt(12)
	v_mov_b64_e32 v[8:9], v[16:17]
	v_mov_b64_e32 v[10:11], v[18:19]
	v_mul_f64 v[70:71], v[130:131], v[70:71]
	s_waitcnt lgkmcnt(1)
	v_mul_f64 v[6:7], v[112:113], v[10:11]
	v_fma_f64 v[32:33], v[128:129], v[68:69], -v[70:71]
	scratch_load_dwordx4 v[68:71], off, off offset:784
	v_fmac_f64_e32 v[6:7], v[114:115], v[8:9]
	v_add_f64 v[0:1], v[0:1], v[6:7]
	v_mul_f64 v[6:7], v[134:135], v[74:75]
	v_fma_f64 v[28:29], v[132:133], v[72:73], -v[6:7]
	s_waitcnt vmcnt(12)
	v_mov_b64_e32 v[8:9], v[20:21]
	scratch_load_dwordx4 v[72:75], off, off offset:800
	v_mov_b64_e32 v[10:11], v[22:23]
	s_waitcnt lgkmcnt(0)
	v_mul_f64 v[6:7], v[116:117], v[10:11]
	v_fmac_f64_e32 v[6:7], v[118:119], v[8:9]
	v_add_f64 v[0:1], v[0:1], v[6:7]
	v_mul_f64 v[6:7], v[150:151], v[78:79]
	v_fma_f64 v[24:25], v[148:149], v[76:77], -v[6:7]
	scratch_load_dwordx4 v[76:79], off, off offset:816
	ds_read_b128 v[124:127], v2 offset:1552
	ds_read_b128 v[120:123], v2 offset:1568
	v_accvgpr_write_b32 a149, v23
	v_mul_f64 v[6:7], v[162:163], v[82:83]
	v_accvgpr_write_b32 a145, v19
	v_accvgpr_write_b32 a148, v22
	;; [unrolled: 1-line block ×4, first 2 shown]
	v_fma_f64 v[20:21], v[160:161], v[80:81], -v[6:7]
	v_mul_f64 v[6:7], v[174:175], v[86:87]
	s_waitcnt vmcnt(13)
	v_accvgpr_read_b32 v8, a122
	v_accvgpr_write_b32 a144, v18
	v_accvgpr_write_b32 a143, v17
	;; [unrolled: 1-line block ×3, first 2 shown]
	v_fma_f64 v[16:17], v[172:173], v[84:85], -v[6:7]
	scratch_load_dwordx4 v[84:87], off, off offset:832
	scratch_load_dwordx4 v[80:83], off, off offset:848
	v_accvgpr_read_b32 v10, a124
	v_accvgpr_read_b32 v11, a125
	;; [unrolled: 1-line block ×3, first 2 shown]
	s_waitcnt lgkmcnt(1)
	v_mul_f64 v[6:7], v[124:125], v[10:11]
	v_fmac_f64_e32 v[6:7], v[126:127], v[8:9]
	s_waitcnt vmcnt(14)
	v_accvgpr_read_b32 v8, a126
	v_accvgpr_read_b32 v10, a128
	;; [unrolled: 1-line block ×3, first 2 shown]
	v_add_f64 v[0:1], v[0:1], v[6:7]
	v_accvgpr_read_b32 v9, a127
	s_waitcnt lgkmcnt(0)
	v_mul_f64 v[6:7], v[120:121], v[10:11]
	v_fmac_f64_e32 v[6:7], v[122:123], v[8:9]
	v_accvgpr_write_b32 a141, v15
	v_add_f64 v[0:1], v[0:1], v[6:7]
	v_mul_f64 v[6:7], v[186:187], v[94:95]
	v_accvgpr_write_b32 a140, v14
	v_accvgpr_write_b32 a139, v13
	;; [unrolled: 1-line block ×3, first 2 shown]
	v_fma_f64 v[14:15], v[184:185], v[92:93], -v[6:7]
	scratch_load_dwordx4 v[92:95], off, off offset:864
	v_mul_f64 v[6:7], v[194:195], v[102:103]
	v_fma_f64 v[18:19], v[192:193], v[100:101], -v[6:7]
	scratch_load_dwordx4 v[100:103], off, off offset:880
	v_mul_f64 v[6:7], v[198:199], v[110:111]
	v_fma_f64 v[12:13], v[196:197], v[108:109], -v[6:7]
	scratch_load_dwordx4 v[108:111], off, off offset:896
	ds_read_b128 v[128:131], v2 offset:1584
	ds_read_b128 v[132:135], v2 offset:1600
	ds_read_b128 v[148:151], v2 offset:1664
	ds_read_b128 v[160:163], v2 offset:1712
	ds_read_b128 v[172:175], v2 offset:1760
	s_waitcnt vmcnt(16) lgkmcnt(4)
	v_mul_f64 v[6:7], v[128:129], v[236:237]
	v_fmac_f64_e32 v[6:7], v[130:131], v[234:235]
	v_add_f64 v[0:1], v[0:1], v[6:7]
	v_mul_f64 v[6:7], v[202:203], v[138:139]
	v_fma_f64 v[22:23], v[200:201], v[136:137], -v[6:7]
	ds_read_b128 v[136:139], v2 offset:1616
	s_waitcnt vmcnt(15) lgkmcnt(4)
	v_mul_f64 v[6:7], v[132:133], v[38:39]
	v_fmac_f64_e32 v[6:7], v[134:135], v[36:37]
	v_add_f64 v[0:1], v[0:1], v[6:7]
	v_mul_f64 v[6:7], v[206:207], v[142:143]
	v_fma_f64 v[10:11], v[204:205], v[140:141], -v[6:7]
	ds_read_b128 v[140:143], v2 offset:1632
	;; [unrolled: 7-line block ×3, first 2 shown]
	s_waitcnt vmcnt(13) lgkmcnt(1)
	v_mul_f64 v[6:7], v[140:141], v[46:47]
	v_fmac_f64_e32 v[6:7], v[142:143], v[44:45]
	v_add_f64 v[0:1], v[0:1], v[6:7]
	v_mul_f64 v[182:183], v[250:251], v[182:183]
	s_waitcnt vmcnt(12) lgkmcnt(0)
	v_mul_f64 v[6:7], v[144:145], v[50:51]
	v_fmac_f64_e32 v[6:7], v[146:147], v[48:49]
	v_add_f64 v[0:1], v[0:1], v[6:7]
	v_mul_f64 v[6:7], v[214:215], v[154:155]
	v_fma_f64 v[8:9], v[212:213], v[152:153], -v[6:7]
	s_waitcnt vmcnt(11)
	v_mul_f64 v[6:7], v[148:149], v[54:55]
	v_fmac_f64_e32 v[6:7], v[150:151], v[52:53]
	ds_read_b128 v[152:155], v2 offset:1680
	v_add_f64 v[0:1], v[0:1], v[6:7]
	v_mul_f64 v[6:7], v[218:219], v[158:159]
	v_fma_f64 v[30:31], v[216:217], v[156:157], -v[6:7]
	ds_read_b128 v[156:159], v2 offset:1696
	s_waitcnt vmcnt(10) lgkmcnt(1)
	v_mul_f64 v[6:7], v[152:153], v[58:59]
	v_fmac_f64_e32 v[6:7], v[154:155], v[56:57]
	v_add_f64 v[0:1], v[0:1], v[6:7]
	s_waitcnt vmcnt(5)
	v_mul_f64 v[184:185], v[172:173], v[78:79]
	s_waitcnt lgkmcnt(0)
	v_mul_f64 v[6:7], v[156:157], v[62:63]
	v_fmac_f64_e32 v[6:7], v[158:159], v[60:61]
	v_add_f64 v[0:1], v[0:1], v[6:7]
	v_mul_f64 v[6:7], v[222:223], v[166:167]
	v_fma_f64 v[4:5], v[220:221], v[164:165], -v[6:7]
	ds_read_b128 v[164:167], v2 offset:1728
	v_mul_f64 v[6:7], v[160:161], v[66:67]
	v_fmac_f64_e32 v[6:7], v[162:163], v[64:65]
	v_add_f64 v[0:1], v[0:1], v[6:7]
	v_mul_f64 v[6:7], v[226:227], v[170:171]
	v_fma_f64 v[6:7], v[224:225], v[168:169], -v[6:7]
	ds_read_b128 v[168:171], v2 offset:1744
	s_waitcnt lgkmcnt(1)
	v_mul_f64 v[34:35], v[164:165], v[70:71]
	v_fmac_f64_e32 v[34:35], v[166:167], v[68:69]
	v_add_f64 v[0:1], v[0:1], v[34:35]
	v_fmac_f64_e32 v[184:185], v[174:175], v[76:77]
	s_waitcnt lgkmcnt(0)
	v_mul_f64 v[34:35], v[168:169], v[74:75]
	v_fmac_f64_e32 v[34:35], v[170:171], v[72:73]
	v_add_f64 v[34:35], v[0:1], v[34:35]
	v_mul_f64 v[0:1], v[230:231], v[178:179]
	v_fma_f64 v[0:1], v[228:229], v[176:177], -v[0:1]
	ds_read_b128 v[176:179], v2 offset:1776
	v_fma_f64 v[238:239], v[248:249], v[180:181], -v[182:183]
	ds_read_b128 v[180:183], v2 offset:1792
	v_add_f64 v[34:35], v[34:35], v[184:185]
	v_mul_f64 v[190:191], v[254:255], v[190:191]
	s_waitcnt vmcnt(4) lgkmcnt(1)
	v_mul_f64 v[184:185], v[176:177], v[86:87]
	v_fmac_f64_e32 v[184:185], v[178:179], v[84:85]
	v_add_f64 v[34:35], v[34:35], v[184:185]
	ds_read_b128 v[184:187], v2 offset:1808
	v_fma_f64 v[248:249], v[252:253], v[188:189], -v[190:191]
	ds_read_b128 v[188:191], v2 offset:1824
	s_waitcnt vmcnt(3) lgkmcnt(2)
	v_mul_f64 v[192:193], v[180:181], v[82:83]
	v_fmac_f64_e32 v[192:193], v[182:183], v[80:81]
	v_add_f64 v[34:35], v[34:35], v[192:193]
	s_waitcnt vmcnt(2) lgkmcnt(1)
	v_mul_f64 v[192:193], v[184:185], v[94:95]
	v_fmac_f64_e32 v[192:193], v[186:187], v[92:93]
	v_add_f64 v[34:35], v[34:35], v[192:193]
	;; [unrolled: 4-line block ×3, first 2 shown]
	ds_read_b128 v[192:195], v2 offset:1840
	ds_read_b128 v[200:203], v2 offset:1856
	;; [unrolled: 1-line block ×5, first 2 shown]
	s_waitcnt vmcnt(0) lgkmcnt(4)
	v_mul_f64 v[196:197], v[192:193], v[110:111]
	v_fmac_f64_e32 v[196:197], v[194:195], v[108:109]
	v_add_f64 v[34:35], v[34:35], v[196:197]
	scratch_load_dwordx4 v[196:199], off, off offset:912
	s_waitcnt vmcnt(0) lgkmcnt(3)
	v_mul_f64 v[204:205], v[200:201], v[198:199]
	v_fmac_f64_e32 v[204:205], v[202:203], v[196:197]
	v_add_f64 v[34:35], v[34:35], v[204:205]
	scratch_load_dwordx4 v[204:207], off, off offset:928
	;; [unrolled: 5-line block ×4, first 2 shown]
	s_waitcnt vmcnt(0) lgkmcnt(0)
	v_mul_f64 v[228:229], v[224:225], v[222:223]
	v_fmac_f64_e32 v[228:229], v[226:227], v[220:221]
	v_add_f64 v[252:253], v[34:35], v[228:229]
	v_add_f64 v[34:35], v[240:241], 0
	;; [unrolled: 1-line block ×6, first 2 shown]
	scratch_load_dwordx4 v[228:231], off, off offset:144
	v_add_f64 v[32:33], v[34:35], v[32:33]
	v_add_f64 v[28:29], v[32:33], v[28:29]
	;; [unrolled: 1-line block ×15, first 2 shown]
	v_accvgpr_read_b32 v6, a130
	v_accvgpr_read_b32 v8, a132
	;; [unrolled: 1-line block ×3, first 2 shown]
	v_add_f64 v[0:1], v[4:5], v[0:1]
	v_accvgpr_read_b32 v7, a131
	v_mul_f64 v[4:5], v[90:91], v[8:9]
	v_add_f64 v[0:1], v[0:1], v[238:239]
	v_fma_f64 v[4:5], v[88:89], v[6:7], -v[4:5]
	v_accvgpr_read_b32 v6, a134
	v_add_f64 v[0:1], v[0:1], v[248:249]
	v_accvgpr_read_b32 v8, a136
	v_accvgpr_read_b32 v9, a137
	v_add_f64 v[0:1], v[0:1], v[4:5]
	v_accvgpr_read_b32 v7, a135
	v_mul_f64 v[4:5], v[98:99], v[8:9]
	v_fma_f64 v[4:5], v[96:97], v[6:7], -v[4:5]
	v_accvgpr_read_b32 v6, a138
	v_accvgpr_read_b32 v8, a140
	v_accvgpr_read_b32 v9, a141
	v_add_f64 v[0:1], v[0:1], v[4:5]
	v_accvgpr_read_b32 v7, a139
	v_mul_f64 v[4:5], v[106:107], v[8:9]
	v_fma_f64 v[4:5], v[104:105], v[6:7], -v[4:5]
	v_accvgpr_read_b32 v6, a142
	;; [unrolled: 7-line block ×5, first 2 shown]
	v_accvgpr_read_b32 v8, a128
	v_accvgpr_read_b32 v9, a129
	v_add_f64 v[0:1], v[0:1], v[4:5]
	v_accvgpr_read_b32 v7, a127
	v_mul_f64 v[4:5], v[122:123], v[8:9]
	v_fma_f64 v[4:5], v[120:121], v[6:7], -v[4:5]
	v_add_f64 v[0:1], v[0:1], v[4:5]
	v_mul_f64 v[4:5], v[130:131], v[236:237]
	v_fma_f64 v[4:5], v[128:129], v[234:235], -v[4:5]
	v_add_f64 v[0:1], v[0:1], v[4:5]
	;; [unrolled: 3-line block ×22, first 2 shown]
	s_waitcnt vmcnt(0)
	v_add_f64 v[4:5], v[228:229], -v[0:1]
	v_accvgpr_read_b32 v0, a120
	v_add_f64 v[6:7], v[230:231], -v[252:253]
	v_cmp_lt_u32_e32 vcc, 7, v0
	scratch_store_dwordx4 off, v[4:7], off offset:144
	s_and_saveexec_b64 s[0:1], vcc
	s_cbranch_execz .LBB123_359
; %bb.358:
	scratch_load_dwordx4 v[6:9], off, s69
	v_mov_b32_e32 v3, v2
	v_mov_b32_e32 v4, v2
	;; [unrolled: 1-line block ×3, first 2 shown]
	v_accvgpr_read_b32 v0, a121
	scratch_store_dwordx4 off, v[2:5], off offset:128
	s_waitcnt vmcnt(1)
	ds_write_b128 v0, v[6:9]
.LBB123_359:
	s_or_b64 exec, exec, s[0:1]
	s_waitcnt lgkmcnt(0)
	; wave barrier
	scratch_load_dwordx4 v[48:51], off, off offset:144
	scratch_load_dwordx4 v[52:55], off, off offset:160
	;; [unrolled: 1-line block ×18, first 2 shown]
	ds_read_b128 v[104:107], v2 offset:1088
	ds_read_b128 v[208:211], v2 offset:1104
	;; [unrolled: 1-line block ×6, first 2 shown]
	scratch_load_dwordx4 v[164:167], off, off offset:432
	ds_read_b128 v[192:195], v2 offset:1184
	ds_read_b128 v[124:127], v2 offset:1200
	scratch_load_dwordx4 v[168:171], off, off offset:448
	ds_read_b128 v[212:215], v2 offset:1216
	ds_read_b128 v[204:207], v2 offset:1232
	;; [unrolled: 1-line block ×5, first 2 shown]
	scratch_load_dwordx4 v[176:179], off, off offset:464
	ds_read_b128 v[200:203], v2 offset:1296
	ds_read_b128 v[172:175], v2 offset:1312
	scratch_load_dwordx4 v[180:183], off, off offset:480
	ds_read_b128 v[216:219], v2 offset:1328
	ds_read_b128 v[184:187], v2 offset:1344
	;; [unrolled: 1-line block ×3, first 2 shown]
	scratch_load_dwordx4 v[188:191], off, off offset:496
	scratch_load_dwordx4 v[4:7], off, off offset:512
	;; [unrolled: 1-line block ×8, first 2 shown]
	ds_read_b128 v[220:223], v2 offset:1376
	ds_read_b128 v[224:227], v2 offset:1392
	ds_read_b128 v[228:231], v2 offset:1408
	ds_read_b128 v[232:235], v2 offset:1424
	ds_read_b128 v[236:239], v2 offset:1440
	s_waitcnt vmcnt(29) lgkmcnt(14)
	v_mul_f64 v[0:1], v[104:105], v[50:51]
	s_waitcnt vmcnt(28)
	v_mul_f64 v[24:25], v[208:209], v[54:55]
	v_fmac_f64_e32 v[0:1], v[106:107], v[48:49]
	s_waitcnt vmcnt(27)
	v_mul_f64 v[26:27], v[196:197], v[58:59]
	v_fmac_f64_e32 v[24:25], v[210:211], v[52:53]
	v_add_f64 v[0:1], v[0:1], 0
	s_waitcnt vmcnt(26)
	v_mul_f64 v[28:29], v[112:113], v[62:63]
	v_fmac_f64_e32 v[26:27], v[198:199], v[56:57]
	v_add_f64 v[0:1], v[0:1], v[24:25]
	;; [unrolled: 4-line block ×7, first 2 shown]
	s_waitcnt vmcnt(20) lgkmcnt(13)
	v_mul_f64 v[40:41], v[204:205], v[86:87]
	v_fmac_f64_e32 v[38:39], v[214:215], v[80:81]
	v_add_f64 v[0:1], v[0:1], v[36:37]
	s_waitcnt vmcnt(19) lgkmcnt(12)
	v_mul_f64 v[42:43], v[128:129], v[94:95]
	v_fmac_f64_e32 v[40:41], v[206:207], v[84:85]
	v_add_f64 v[0:1], v[0:1], v[38:39]
	;; [unrolled: 4-line block ×8, first 2 shown]
	v_fmac_f64_e32 v[98:99], v[186:187], v[152:153]
	v_add_f64 v[0:1], v[0:1], v[96:97]
	s_waitcnt vmcnt(12) lgkmcnt(5)
	v_mul_f64 v[32:33], v[160:161], v[158:159]
	v_add_f64 v[0:1], v[0:1], v[98:99]
	v_fmac_f64_e32 v[32:33], v[162:163], v[156:157]
	v_add_f64 v[0:1], v[0:1], v[32:33]
	s_waitcnt vmcnt(11) lgkmcnt(4)
	v_mul_f64 v[32:33], v[220:221], v[166:167]
	v_fmac_f64_e32 v[32:33], v[222:223], v[164:165]
	v_add_f64 v[0:1], v[0:1], v[32:33]
	scratch_load_dwordx4 v[32:35], off, off offset:624
	s_waitcnt vmcnt(11) lgkmcnt(3)
	v_mul_f64 v[36:37], v[224:225], v[170:171]
	v_fmac_f64_e32 v[36:37], v[226:227], v[168:169]
	v_add_f64 v[0:1], v[0:1], v[36:37]
	s_waitcnt vmcnt(10) lgkmcnt(2)
	v_mul_f64 v[36:37], v[228:229], v[178:179]
	v_fmac_f64_e32 v[36:37], v[230:231], v[176:177]
	v_add_f64 v[0:1], v[0:1], v[36:37]
	scratch_load_dwordx4 v[36:39], off, off offset:640
	s_waitcnt vmcnt(10) lgkmcnt(1)
	v_mul_f64 v[40:41], v[232:233], v[182:183]
	v_fmac_f64_e32 v[40:41], v[234:235], v[180:181]
	ds_read_b128 v[88:91], v2 offset:1456
	s_waitcnt vmcnt(9) lgkmcnt(1)
	v_mul_f64 v[44:45], v[236:237], v[190:191]
	v_add_f64 v[0:1], v[0:1], v[40:41]
	scratch_load_dwordx4 v[40:43], off, off offset:656
	v_fmac_f64_e32 v[44:45], v[238:239], v[188:189]
	v_add_f64 v[0:1], v[0:1], v[44:45]
	scratch_load_dwordx4 v[44:47], off, off offset:672
	v_mul_f64 v[50:51], v[106:107], v[50:51]
	v_fma_f64 v[240:241], v[104:105], v[48:49], -v[50:51]
	scratch_load_dwordx4 v[48:51], off, off offset:688
	s_waitcnt vmcnt(11) lgkmcnt(0)
	v_mul_f64 v[96:97], v[88:89], v[6:7]
	v_mul_f64 v[54:55], v[210:211], v[54:55]
	v_fmac_f64_e32 v[96:97], v[90:91], v[4:5]
	v_fma_f64 v[242:243], v[208:209], v[52:53], -v[54:55]
	scratch_load_dwordx4 v[52:55], off, off offset:704
	v_mul_f64 v[58:59], v[198:199], v[58:59]
	v_add_f64 v[0:1], v[0:1], v[96:97]
	ds_read_b128 v[96:99], v2 offset:1472
	ds_read_b128 v[104:107], v2 offset:1488
	v_fma_f64 v[244:245], v[196:197], v[56:57], -v[58:59]
	scratch_load_dwordx4 v[56:59], off, off offset:720
	v_mul_f64 v[62:63], v[114:115], v[62:63]
	v_accvgpr_write_b32 a133, v7
	v_fma_f64 v[246:247], v[112:113], v[60:61], -v[62:63]
	scratch_load_dwordx4 v[60:63], off, off offset:736
	v_accvgpr_write_b32 a132, v6
	v_accvgpr_write_b32 a131, v5
	;; [unrolled: 1-line block ×3, first 2 shown]
	s_waitcnt vmcnt(13)
	v_mov_b64_e32 v[4:5], v[8:9]
	v_mov_b64_e32 v[6:7], v[10:11]
	s_waitcnt lgkmcnt(1)
	v_mul_f64 v[208:209], v[96:97], v[6:7]
	v_fmac_f64_e32 v[208:209], v[98:99], v[4:5]
	s_waitcnt vmcnt(12)
	v_mov_b64_e32 v[4:5], v[12:13]
	ds_read_b128 v[112:115], v2 offset:1504
	v_mov_b64_e32 v[6:7], v[14:15]
	s_waitcnt lgkmcnt(1)
	v_mul_f64 v[196:197], v[104:105], v[6:7]
	v_mul_f64 v[66:67], v[122:123], v[66:67]
	;; [unrolled: 1-line block ×3, first 2 shown]
	v_fmac_f64_e32 v[196:197], v[106:107], v[4:5]
	v_fma_f64 v[252:253], v[120:121], v[64:65], -v[66:67]
	scratch_load_dwordx4 v[64:67], off, off offset:752
	v_fma_f64 v[254:255], v[116:117], v[68:69], -v[70:71]
	ds_read_b128 v[116:119], v2 offset:1520
	s_waitcnt vmcnt(12)
	v_mov_b64_e32 v[4:5], v[16:17]
	v_mov_b64_e32 v[6:7], v[18:19]
	scratch_load_dwordx4 v[68:71], off, off offset:768
	s_waitcnt lgkmcnt(1)
	v_mul_f64 v[120:121], v[112:113], v[6:7]
	v_mul_f64 v[74:75], v[194:195], v[74:75]
	v_add_f64 v[0:1], v[0:1], v[208:209]
	v_fmac_f64_e32 v[120:121], v[114:115], v[4:5]
	v_fma_f64 v[248:249], v[192:193], v[72:73], -v[74:75]
	s_waitcnt vmcnt(12)
	v_mov_b64_e32 v[4:5], v[20:21]
	scratch_load_dwordx4 v[72:75], off, off offset:784
	v_add_f64 v[0:1], v[0:1], v[196:197]
	v_mov_b64_e32 v[6:7], v[22:23]
	v_add_f64 v[0:1], v[0:1], v[120:121]
	s_waitcnt lgkmcnt(0)
	v_mul_f64 v[120:121], v[116:117], v[6:7]
	v_fmac_f64_e32 v[120:121], v[118:119], v[4:5]
	v_mul_f64 v[78:79], v[126:127], v[78:79]
	v_add_f64 v[0:1], v[0:1], v[120:121]
	v_fma_f64 v[28:29], v[124:125], v[76:77], -v[78:79]
	scratch_load_dwordx4 v[76:79], off, off offset:800
	ds_read_b128 v[124:127], v2 offset:1536
	ds_read_b128 v[120:123], v2 offset:1552
	v_mul_f64 v[6:7], v[214:215], v[82:83]
	v_fma_f64 v[24:25], v[212:213], v[80:81], -v[6:7]
	s_waitcnt vmcnt(13)
	v_accvgpr_read_b32 v4, a122
	v_accvgpr_write_b32 a137, v11
	v_accvgpr_write_b32 a149, v23
	v_mul_f64 v[80:81], v[206:207], v[86:87]
	v_accvgpr_read_b32 v6, a124
	v_accvgpr_read_b32 v7, a125
	v_accvgpr_write_b32 a136, v10
	v_accvgpr_write_b32 a135, v9
	;; [unrolled: 1-line block ×6, first 2 shown]
	v_fma_f64 v[20:21], v[204:205], v[84:85], -v[80:81]
	scratch_load_dwordx4 v[84:87], off, off offset:816
	v_accvgpr_read_b32 v5, a123
	s_waitcnt lgkmcnt(1)
	v_mul_f64 v[10:11], v[124:125], v[6:7]
	v_fmac_f64_e32 v[10:11], v[126:127], v[4:5]
	s_waitcnt vmcnt(13)
	v_accvgpr_read_b32 v4, a126
	v_accvgpr_read_b32 v6, a128
	;; [unrolled: 1-line block ×3, first 2 shown]
	v_add_f64 v[0:1], v[0:1], v[10:11]
	v_accvgpr_read_b32 v5, a127
	s_waitcnt lgkmcnt(0)
	v_mul_f64 v[10:11], v[120:121], v[6:7]
	v_fmac_f64_e32 v[10:11], v[122:123], v[4:5]
	v_accvgpr_write_b32 a145, v19
	scratch_load_dwordx4 v[80:83], off, off offset:832
	v_add_f64 v[0:1], v[0:1], v[10:11]
	v_mul_f64 v[10:11], v[130:131], v[94:95]
	v_accvgpr_write_b32 a141, v15
	v_accvgpr_write_b32 a144, v18
	v_accvgpr_write_b32 a143, v17
	v_accvgpr_write_b32 a142, v16
	v_fma_f64 v[16:17], v[128:129], v[92:93], -v[10:11]
	v_mul_f64 v[92:93], v[134:135], v[102:103]
	v_accvgpr_write_b32 a140, v14
	v_accvgpr_write_b32 a139, v13
	;; [unrolled: 1-line block ×3, first 2 shown]
	v_fma_f64 v[12:13], v[132:133], v[100:101], -v[92:93]
	scratch_load_dwordx4 v[92:95], off, off offset:848
	ds_read_b128 v[128:131], v2 offset:1568
	ds_read_b128 v[132:135], v2 offset:1584
	scratch_load_dwordx4 v[100:103], off, off offset:864
	v_mul_f64 v[14:15], v[150:151], v[110:111]
	v_fma_f64 v[14:15], v[148:149], v[108:109], -v[14:15]
	s_waitcnt vmcnt(15) lgkmcnt(1)
	v_mul_f64 v[108:109], v[128:129], v[34:35]
	v_fmac_f64_e32 v[108:109], v[130:131], v[32:33]
	v_add_f64 v[0:1], v[0:1], v[108:109]
	v_mul_f64 v[108:109], v[202:203], v[138:139]
	v_fma_f64 v[10:11], v[200:201], v[136:137], -v[108:109]
	scratch_load_dwordx4 v[108:111], off, off offset:880
	s_waitcnt vmcnt(15) lgkmcnt(0)
	v_mul_f64 v[18:19], v[132:133], v[38:39]
	v_fmac_f64_e32 v[18:19], v[134:135], v[36:37]
	ds_read_b128 v[136:139], v2 offset:1600
	v_add_f64 v[0:1], v[0:1], v[18:19]
	v_mul_f64 v[18:19], v[174:175], v[142:143]
	v_fma_f64 v[18:19], v[172:173], v[140:141], -v[18:19]
	ds_read_b128 v[140:143], v2 offset:1616
	v_mul_f64 v[146:147], v[218:219], v[146:147]
	v_fma_f64 v[8:9], v[216:217], v[144:145], -v[146:147]
	ds_read_b128 v[144:147], v2 offset:1632
	s_waitcnt vmcnt(14) lgkmcnt(2)
	v_mul_f64 v[148:149], v[136:137], v[42:43]
	v_fmac_f64_e32 v[148:149], v[138:139], v[40:41]
	s_waitcnt vmcnt(13) lgkmcnt(1)
	v_mul_f64 v[22:23], v[140:141], v[46:47]
	v_add_f64 v[0:1], v[0:1], v[148:149]
	v_fmac_f64_e32 v[22:23], v[142:143], v[44:45]
	ds_read_b128 v[148:151], v2 offset:1648
	v_add_f64 v[0:1], v[0:1], v[22:23]
	s_waitcnt vmcnt(12) lgkmcnt(1)
	v_mul_f64 v[22:23], v[144:145], v[50:51]
	v_fmac_f64_e32 v[22:23], v[146:147], v[48:49]
	v_add_f64 v[0:1], v[0:1], v[22:23]
	v_mul_f64 v[22:23], v[186:187], v[154:155]
	v_fma_f64 v[22:23], v[184:185], v[152:153], -v[22:23]
	ds_read_b128 v[152:155], v2 offset:1664
	v_mul_f64 v[158:159], v[162:163], v[158:159]
	v_fma_f64 v[6:7], v[160:161], v[156:157], -v[158:159]
	ds_read_b128 v[156:159], v2 offset:1680
	s_waitcnt vmcnt(11) lgkmcnt(2)
	v_mul_f64 v[172:173], v[148:149], v[54:55]
	v_fmac_f64_e32 v[172:173], v[150:151], v[52:53]
	s_waitcnt vmcnt(10) lgkmcnt(1)
	v_mul_f64 v[26:27], v[152:153], v[58:59]
	v_add_f64 v[0:1], v[0:1], v[172:173]
	v_fmac_f64_e32 v[26:27], v[154:155], v[56:57]
	v_add_f64 v[0:1], v[0:1], v[26:27]
	s_waitcnt vmcnt(9) lgkmcnt(0)
	v_mul_f64 v[26:27], v[156:157], v[62:63]
	v_fmac_f64_e32 v[26:27], v[158:159], v[60:61]
	ds_read_b128 v[160:163], v2 offset:1696
	v_add_f64 v[0:1], v[0:1], v[26:27]
	v_mul_f64 v[26:27], v[222:223], v[166:167]
	v_fma_f64 v[26:27], v[220:221], v[164:165], -v[26:27]
	ds_read_b128 v[164:167], v2 offset:1712
	v_mul_f64 v[170:171], v[226:227], v[170:171]
	v_fma_f64 v[4:5], v[224:225], v[168:169], -v[170:171]
	ds_read_b128 v[168:171], v2 offset:1728
	s_waitcnt vmcnt(8) lgkmcnt(2)
	v_mul_f64 v[172:173], v[160:161], v[66:67]
	v_fmac_f64_e32 v[172:173], v[162:163], v[64:65]
	s_waitcnt vmcnt(7) lgkmcnt(1)
	v_mul_f64 v[30:31], v[164:165], v[70:71]
	v_add_f64 v[0:1], v[0:1], v[172:173]
	v_fmac_f64_e32 v[30:31], v[166:167], v[68:69]
	v_add_f64 v[0:1], v[0:1], v[30:31]
	ds_read_b128 v[172:175], v2 offset:1744
	s_waitcnt vmcnt(6) lgkmcnt(1)
	v_mul_f64 v[30:31], v[168:169], v[74:75]
	v_fmac_f64_e32 v[30:31], v[170:171], v[72:73]
	v_add_f64 v[30:31], v[0:1], v[30:31]
	v_mul_f64 v[0:1], v[230:231], v[178:179]
	v_fma_f64 v[0:1], v[228:229], v[176:177], -v[0:1]
	ds_read_b128 v[176:179], v2 offset:1760
	v_mul_f64 v[182:183], v[234:235], v[182:183]
	s_waitcnt vmcnt(5) lgkmcnt(1)
	v_mul_f64 v[184:185], v[172:173], v[78:79]
	v_fma_f64 v[180:181], v[232:233], v[180:181], -v[182:183]
	v_fmac_f64_e32 v[184:185], v[174:175], v[76:77]
	v_accvgpr_write_b32 a150, v180
	v_mul_f64 v[190:191], v[238:239], v[190:191]
	v_accvgpr_write_b32 a151, v181
	ds_read_b128 v[180:183], v2 offset:1776
	v_add_f64 v[30:31], v[30:31], v[184:185]
	v_fma_f64 v[250:251], v[236:237], v[188:189], -v[190:191]
	scratch_load_dwordx4 v[236:239], off, off offset:128
	s_waitcnt vmcnt(5) lgkmcnt(1)
	v_mul_f64 v[184:185], v[176:177], v[86:87]
	v_fmac_f64_e32 v[184:185], v[178:179], v[84:85]
	v_add_f64 v[30:31], v[30:31], v[184:185]
	ds_read_b128 v[184:187], v2 offset:1792
	ds_read_b128 v[188:191], v2 offset:1808
	s_waitcnt vmcnt(4) lgkmcnt(2)
	v_mul_f64 v[192:193], v[180:181], v[82:83]
	v_fmac_f64_e32 v[192:193], v[182:183], v[80:81]
	v_add_f64 v[30:31], v[30:31], v[192:193]
	s_waitcnt vmcnt(3) lgkmcnt(1)
	v_mul_f64 v[192:193], v[184:185], v[94:95]
	v_fmac_f64_e32 v[192:193], v[186:187], v[92:93]
	v_add_f64 v[30:31], v[30:31], v[192:193]
	;; [unrolled: 4-line block ×3, first 2 shown]
	ds_read_b128 v[192:195], v2 offset:1824
	ds_read_b128 v[200:203], v2 offset:1840
	scratch_load_dwordx4 v[232:235], off, off offset:960
	ds_read_b128 v[208:211], v2 offset:1856
	ds_read_b128 v[216:219], v2 offset:1872
	s_waitcnt vmcnt(2) lgkmcnt(3)
	v_mul_f64 v[196:197], v[192:193], v[110:111]
	v_fmac_f64_e32 v[196:197], v[194:195], v[108:109]
	v_add_f64 v[30:31], v[30:31], v[196:197]
	scratch_load_dwordx4 v[196:199], off, off offset:896
	ds_read_b128 v[224:227], v2 offset:1888
	s_waitcnt vmcnt(0) lgkmcnt(3)
	v_mul_f64 v[204:205], v[200:201], v[198:199]
	v_fmac_f64_e32 v[204:205], v[202:203], v[196:197]
	v_add_f64 v[30:31], v[30:31], v[204:205]
	scratch_load_dwordx4 v[204:207], off, off offset:912
	s_waitcnt vmcnt(0) lgkmcnt(2)
	v_mul_f64 v[212:213], v[208:209], v[206:207]
	v_fmac_f64_e32 v[212:213], v[210:211], v[204:205]
	v_add_f64 v[30:31], v[30:31], v[212:213]
	scratch_load_dwordx4 v[212:215], off, off offset:928
	;; [unrolled: 5-line block ×3, first 2 shown]
	s_waitcnt vmcnt(0) lgkmcnt(0)
	v_mul_f64 v[228:229], v[224:225], v[222:223]
	v_fmac_f64_e32 v[228:229], v[226:227], v[220:221]
	v_add_f64 v[30:31], v[30:31], v[228:229]
	ds_read_b128 v[228:231], v2 offset:1904
	s_waitcnt lgkmcnt(0)
	v_mul_f64 v[2:3], v[228:229], v[234:235]
	v_fmac_f64_e32 v[2:3], v[230:231], v[232:233]
	v_add_f64 v[2:3], v[30:31], v[2:3]
	v_add_f64 v[30:31], v[240:241], 0
	;; [unrolled: 1-line block ×21, first 2 shown]
	v_accvgpr_read_b32 v6, a130
	v_add_f64 v[252:253], v[4:5], v[0:1]
	v_accvgpr_read_b32 v0, a150
	v_accvgpr_read_b32 v8, a132
	;; [unrolled: 1-line block ×5, first 2 shown]
	v_mul_f64 v[4:5], v[90:91], v[8:9]
	v_add_f64 v[0:1], v[252:253], v[0:1]
	v_fma_f64 v[4:5], v[88:89], v[6:7], -v[4:5]
	v_accvgpr_read_b32 v6, a134
	v_add_f64 v[0:1], v[0:1], v[250:251]
	v_accvgpr_read_b32 v8, a136
	v_accvgpr_read_b32 v9, a137
	v_add_f64 v[0:1], v[0:1], v[4:5]
	v_accvgpr_read_b32 v7, a135
	v_mul_f64 v[4:5], v[98:99], v[8:9]
	v_fma_f64 v[4:5], v[96:97], v[6:7], -v[4:5]
	v_accvgpr_read_b32 v6, a138
	v_accvgpr_read_b32 v8, a140
	v_accvgpr_read_b32 v9, a141
	v_add_f64 v[0:1], v[0:1], v[4:5]
	v_accvgpr_read_b32 v7, a139
	v_mul_f64 v[4:5], v[106:107], v[8:9]
	v_fma_f64 v[4:5], v[104:105], v[6:7], -v[4:5]
	v_accvgpr_read_b32 v6, a142
	;; [unrolled: 7-line block ×5, first 2 shown]
	v_accvgpr_read_b32 v8, a128
	v_accvgpr_read_b32 v9, a129
	v_add_f64 v[0:1], v[0:1], v[4:5]
	v_accvgpr_read_b32 v7, a127
	v_mul_f64 v[4:5], v[122:123], v[8:9]
	v_fma_f64 v[4:5], v[120:121], v[6:7], -v[4:5]
	v_add_f64 v[0:1], v[0:1], v[4:5]
	v_mul_f64 v[4:5], v[130:131], v[34:35]
	v_fma_f64 v[4:5], v[128:129], v[32:33], -v[4:5]
	v_add_f64 v[0:1], v[0:1], v[4:5]
	;; [unrolled: 3-line block ×23, first 2 shown]
	v_add_f64 v[4:5], v[236:237], -v[0:1]
	v_accvgpr_read_b32 v0, a120
	v_add_f64 v[6:7], v[238:239], -v[2:3]
	v_cmp_lt_u32_e32 vcc, 6, v0
	scratch_store_dwordx4 off, v[4:7], off offset:128
	s_and_saveexec_b64 s[0:1], vcc
	s_cbranch_execz .LBB123_361
; %bb.360:
	scratch_load_dwordx4 v[2:5], off, s70
	v_mov_b32_e32 v6, 0
	v_mov_b32_e32 v7, v6
	;; [unrolled: 1-line block ×4, first 2 shown]
	v_accvgpr_read_b32 v0, a121
	scratch_store_dwordx4 off, v[6:9], off offset:112
	s_waitcnt vmcnt(1)
	ds_write_b128 v0, v[2:5]
.LBB123_361:
	s_or_b64 exec, exec, s[0:1]
	s_waitcnt lgkmcnt(0)
	; wave barrier
	scratch_load_dwordx4 v[40:43], off, off offset:128
	scratch_load_dwordx4 v[44:47], off, off offset:144
	;; [unrolled: 1-line block ×29, first 2 shown]
	v_mov_b32_e32 v2, 0
	ds_read_b128 v[80:83], v2 offset:1072
	ds_read_b128 v[100:103], v2 offset:1088
	ds_read_b128 v[104:107], v2 offset:1104
	ds_read_b128 v[108:111], v2 offset:1120
	ds_read_b128 v[112:115], v2 offset:1136
	ds_read_b128 v[116:119], v2 offset:1152
	ds_read_b128 v[120:123], v2 offset:1168
	ds_read_b128 v[132:135], v2 offset:1184
	ds_read_b128 v[144:147], v2 offset:1200
	ds_read_b128 v[156:159], v2 offset:1216
	ds_read_b128 v[168:171], v2 offset:1232
	ds_read_b128 v[180:183], v2 offset:1248
	ds_read_b128 v[188:191], v2 offset:1264
	ds_read_b128 v[192:195], v2 offset:1280
	ds_read_b128 v[196:199], v2 offset:1296
	ds_read_b128 v[200:203], v2 offset:1312
	ds_read_b128 v[204:207], v2 offset:1328
	ds_read_b128 v[208:211], v2 offset:1344
	scratch_load_dwordx4 a[122:125], off, off offset:592
	scratch_load_dwordx4 a[126:129], off, off offset:608
	ds_read_b128 v[228:231], v2 offset:1424
	ds_read_b128 v[248:251], v2 offset:1440
	scratch_load_dwordx4 a[130:133], off, off offset:624
	scratch_load_dwordx4 v[234:237], off, off offset:640
	ds_read_b128 v[252:255], v2 offset:1456
	scratch_load_dwordx4 a[134:137], off, off offset:656
	ds_read_b128 v[224:227], v2 offset:1408
	s_waitcnt vmcnt(33) lgkmcnt(14)
	v_mul_f64 v[0:1], v[80:81], v[42:43]
	s_waitcnt vmcnt(32)
	v_mul_f64 v[20:21], v[100:101], v[46:47]
	v_fmac_f64_e32 v[0:1], v[82:83], v[40:41]
	s_waitcnt vmcnt(31)
	v_mul_f64 v[22:23], v[104:105], v[50:51]
	v_fmac_f64_e32 v[20:21], v[102:103], v[44:45]
	v_add_f64 v[0:1], v[0:1], 0
	s_waitcnt vmcnt(30)
	v_mul_f64 v[24:25], v[108:109], v[54:55]
	v_fmac_f64_e32 v[22:23], v[106:107], v[48:49]
	v_add_f64 v[0:1], v[0:1], v[20:21]
	;; [unrolled: 4-line block ×6, first 2 shown]
	s_waitcnt vmcnt(25) lgkmcnt(13)
	v_mul_f64 v[34:35], v[144:145], v[74:75]
	v_fmac_f64_e32 v[32:33], v[134:135], v[68:69]
	v_add_f64 v[0:1], v[0:1], v[30:31]
	s_waitcnt vmcnt(24) lgkmcnt(12)
	v_mul_f64 v[36:37], v[156:157], v[78:79]
	v_fmac_f64_e32 v[34:35], v[146:147], v[72:73]
	v_add_f64 v[0:1], v[0:1], v[32:33]
	;; [unrolled: 4-line block ×7, first 2 shown]
	v_fmac_f64_e32 v[218:219], v[198:199], v[124:125]
	v_add_f64 v[0:1], v[0:1], v[216:217]
	ds_read_b128 v[212:215], v2 offset:1360
	s_waitcnt vmcnt(18) lgkmcnt(7)
	v_mul_f64 v[220:221], v[200:201], v[130:131]
	v_add_f64 v[0:1], v[0:1], v[218:219]
	ds_read_b128 v[216:219], v2 offset:1376
	v_fmac_f64_e32 v[220:221], v[202:203], v[128:129]
	s_waitcnt vmcnt(17) lgkmcnt(7)
	v_mul_f64 v[20:21], v[204:205], v[138:139]
	v_add_f64 v[0:1], v[0:1], v[220:221]
	v_fmac_f64_e32 v[20:21], v[206:207], v[136:137]
	s_waitcnt vmcnt(16) lgkmcnt(6)
	v_mul_f64 v[24:25], v[208:209], v[142:143]
	ds_read_b128 v[220:223], v2 offset:1392
	v_add_f64 v[0:1], v[0:1], v[20:21]
	v_fmac_f64_e32 v[24:25], v[210:211], v[140:141]
	v_add_f64 v[0:1], v[0:1], v[24:25]
	s_waitcnt vmcnt(15) lgkmcnt(2)
	v_mul_f64 v[24:25], v[212:213], v[150:151]
	v_fmac_f64_e32 v[24:25], v[214:215], v[148:149]
	s_waitcnt vmcnt(14) lgkmcnt(1)
	v_mul_f64 v[28:29], v[216:217], v[154:155]
	v_add_f64 v[0:1], v[0:1], v[24:25]
	v_fmac_f64_e32 v[28:29], v[218:219], v[152:153]
	v_add_f64 v[0:1], v[0:1], v[28:29]
	s_waitcnt vmcnt(13) lgkmcnt(0)
	v_mul_f64 v[28:29], v[220:221], v[162:163]
	v_fmac_f64_e32 v[28:29], v[222:223], v[160:161]
	s_waitcnt vmcnt(12)
	v_mul_f64 v[32:33], v[224:225], v[166:167]
	v_add_f64 v[0:1], v[0:1], v[28:29]
	v_fmac_f64_e32 v[32:33], v[226:227], v[164:165]
	v_add_f64 v[0:1], v[0:1], v[32:33]
	s_waitcnt vmcnt(11)
	v_mul_f64 v[32:33], v[228:229], v[174:175]
	v_fmac_f64_e32 v[32:33], v[230:231], v[172:173]
	s_waitcnt vmcnt(10)
	v_mul_f64 v[36:37], v[248:249], v[178:179]
	v_mul_f64 v[42:43], v[82:83], v[42:43]
	v_add_f64 v[0:1], v[0:1], v[32:33]
	v_fmac_f64_e32 v[36:37], v[250:251], v[176:177]
	v_fma_f64 v[240:241], v[80:81], v[40:41], -v[42:43]
	ds_read_b128 v[80:83], v2 offset:1472
	s_waitcnt vmcnt(9)
	v_mul_f64 v[40:41], v[252:253], v[186:187]
	v_add_f64 v[0:1], v[0:1], v[36:37]
	v_fmac_f64_e32 v[40:41], v[254:255], v[184:185]
	v_add_f64 v[0:1], v[0:1], v[40:41]
	v_mul_f64 v[40:41], v[102:103], v[46:47]
	v_fma_f64 v[242:243], v[100:101], v[44:45], -v[40:41]
	scratch_load_dwordx4 v[40:43], off, off offset:672
	s_waitcnt vmcnt(9) lgkmcnt(0)
	v_mul_f64 v[44:45], v[80:81], v[6:7]
	v_fmac_f64_e32 v[44:45], v[82:83], v[4:5]
	v_add_f64 v[0:1], v[0:1], v[44:45]
	scratch_load_dwordx4 v[44:47], off, off offset:688
	v_mul_f64 v[50:51], v[106:107], v[50:51]
	v_fma_f64 v[244:245], v[104:105], v[48:49], -v[50:51]
	ds_read_b128 v[100:103], v2 offset:1488
	v_mul_f64 v[48:49], v[110:111], v[54:55]
	v_fma_f64 v[246:247], v[108:109], v[52:53], -v[48:49]
	scratch_load_dwordx4 v[52:55], off, off offset:704
	scratch_load_dwordx4 v[48:51], off, off offset:720
	v_accvgpr_write_b32 a141, v7
	v_accvgpr_write_b32 a140, v6
	v_accvgpr_write_b32 a139, v5
	v_accvgpr_write_b32 a138, v4
	s_waitcnt vmcnt(11)
	v_mov_b64_e32 v[4:5], v[8:9]
	v_mul_f64 v[58:59], v[114:115], v[58:59]
	v_mov_b64_e32 v[6:7], v[10:11]
	v_fma_f64 v[232:233], v[112:113], v[56:57], -v[58:59]
	ds_read_b128 v[104:107], v2 offset:1504
	ds_read_b128 v[108:111], v2 offset:1520
	s_waitcnt lgkmcnt(2)
	v_mul_f64 v[56:57], v[100:101], v[6:7]
	v_fmac_f64_e32 v[56:57], v[102:103], v[4:5]
	v_accvgpr_write_b32 a145, v11
	v_add_f64 v[0:1], v[0:1], v[56:57]
	v_mul_f64 v[56:57], v[118:119], v[62:63]
	v_accvgpr_write_b32 a144, v10
	v_accvgpr_write_b32 a143, v9
	;; [unrolled: 1-line block ×3, first 2 shown]
	v_fma_f64 v[36:37], v[116:117], v[60:61], -v[56:57]
	scratch_load_dwordx4 v[56:59], off, off offset:736
	scratch_load_dwordx4 v[60:63], off, off offset:752
	s_waitcnt vmcnt(12)
	v_mov_b64_e32 v[8:9], v[12:13]
	v_mov_b64_e32 v[10:11], v[14:15]
	s_waitcnt lgkmcnt(1)
	v_mul_f64 v[6:7], v[104:105], v[10:11]
	v_fmac_f64_e32 v[6:7], v[106:107], v[8:9]
	v_add_f64 v[0:1], v[0:1], v[6:7]
	v_mul_f64 v[6:7], v[122:123], v[66:67]
	v_fma_f64 v[32:33], v[120:121], v[64:65], -v[6:7]
	scratch_load_dwordx4 v[64:67], off, off offset:768
	v_mul_f64 v[6:7], v[134:135], v[70:71]
	v_fma_f64 v[28:29], v[132:133], v[68:69], -v[6:7]
	scratch_load_dwordx4 v[68:71], off, off offset:784
	v_mul_f64 v[6:7], v[146:147], v[74:75]
	v_fma_f64 v[24:25], v[144:145], v[72:73], -v[6:7]
	s_waitcnt vmcnt(13)
	v_mov_b64_e32 v[8:9], v[16:17]
	scratch_load_dwordx4 v[72:75], off, off offset:800
	ds_read_b128 v[112:115], v2 offset:1536
	ds_read_b128 v[116:119], v2 offset:1552
	v_mov_b64_e32 v[10:11], v[18:19]
	s_waitcnt lgkmcnt(2)
	v_mul_f64 v[6:7], v[108:109], v[10:11]
	v_fmac_f64_e32 v[6:7], v[110:111], v[8:9]
	v_add_f64 v[0:1], v[0:1], v[6:7]
	v_mul_f64 v[6:7], v[158:159], v[78:79]
	s_waitcnt vmcnt(13)
	v_accvgpr_read_b32 v8, a122
	v_accvgpr_write_b32 a153, v19
	v_fma_f64 v[20:21], v[156:157], v[76:77], -v[6:7]
	v_accvgpr_read_b32 v10, a124
	v_accvgpr_read_b32 v11, a125
	v_mul_f64 v[76:77], v[170:171], v[86:87]
	v_accvgpr_write_b32 a152, v18
	v_accvgpr_write_b32 a151, v17
	;; [unrolled: 1-line block ×3, first 2 shown]
	v_accvgpr_read_b32 v9, a123
	s_waitcnt lgkmcnt(1)
	v_mul_f64 v[6:7], v[112:113], v[10:11]
	v_fma_f64 v[16:17], v[168:169], v[84:85], -v[76:77]
	scratch_load_dwordx4 v[76:79], off, off offset:816
	v_fmac_f64_e32 v[6:7], v[114:115], v[8:9]
	v_accvgpr_write_b32 a149, v15
	v_add_f64 v[0:1], v[0:1], v[6:7]
	v_mul_f64 v[6:7], v[182:183], v[90:91]
	v_mul_f64 v[84:85], v[190:191], v[94:95]
	v_accvgpr_write_b32 a148, v14
	v_accvgpr_write_b32 a147, v13
	;; [unrolled: 1-line block ×3, first 2 shown]
	v_fma_f64 v[18:19], v[180:181], v[88:89], -v[6:7]
	ds_read_b128 v[120:123], v2 offset:1568
	v_fma_f64 v[14:15], v[188:189], v[92:93], -v[84:85]
	scratch_load_dwordx4 v[88:91], off, off offset:832
	scratch_load_dwordx4 v[84:87], off, off offset:848
	v_mul_f64 v[22:23], v[194:195], v[98:99]
	scratch_load_dwordx4 v[92:95], off, off offset:864
	v_fma_f64 v[22:23], v[192:193], v[96:97], -v[22:23]
	v_mul_f64 v[96:97], v[198:199], v[126:127]
	v_fma_f64 v[12:13], v[196:197], v[124:125], -v[96:97]
	scratch_load_dwordx4 v[96:99], off, off offset:880
	s_waitcnt vmcnt(17)
	v_accvgpr_read_b32 v8, a126
	v_accvgpr_read_b32 v10, a128
	;; [unrolled: 1-line block ×4, first 2 shown]
	s_waitcnt lgkmcnt(1)
	v_mul_f64 v[6:7], v[116:117], v[10:11]
	ds_read_b128 v[124:127], v2 offset:1584
	v_fmac_f64_e32 v[6:7], v[118:119], v[8:9]
	s_waitcnt vmcnt(16)
	v_accvgpr_read_b32 v8, a130
	v_mul_f64 v[26:27], v[202:203], v[130:131]
	v_accvgpr_read_b32 v10, a132
	v_accvgpr_read_b32 v11, a133
	v_fma_f64 v[26:27], v[200:201], v[128:129], -v[26:27]
	ds_read_b128 v[128:131], v2 offset:1600
	v_add_f64 v[0:1], v[0:1], v[6:7]
	v_accvgpr_read_b32 v9, a131
	s_waitcnt lgkmcnt(2)
	v_mul_f64 v[6:7], v[120:121], v[10:11]
	v_fmac_f64_e32 v[6:7], v[122:123], v[8:9]
	v_add_f64 v[0:1], v[0:1], v[6:7]
	s_waitcnt vmcnt(15) lgkmcnt(1)
	v_mul_f64 v[6:7], v[124:125], v[236:237]
	s_waitcnt vmcnt(14)
	v_accvgpr_read_b32 v8, a134
	ds_read_b128 v[132:135], v2 offset:1616
	v_fmac_f64_e32 v[6:7], v[126:127], v[234:235]
	v_accvgpr_read_b32 v10, a136
	v_accvgpr_read_b32 v11, a137
	v_add_f64 v[0:1], v[0:1], v[6:7]
	v_accvgpr_read_b32 v9, a135
	s_waitcnt lgkmcnt(1)
	v_mul_f64 v[6:7], v[128:129], v[10:11]
	v_fmac_f64_e32 v[6:7], v[130:131], v[8:9]
	v_add_f64 v[0:1], v[0:1], v[6:7]
	v_mul_f64 v[6:7], v[206:207], v[138:139]
	v_fma_f64 v[10:11], v[204:205], v[136:137], -v[6:7]
	ds_read_b128 v[136:139], v2 offset:1632
	s_waitcnt vmcnt(13) lgkmcnt(1)
	v_mul_f64 v[6:7], v[132:133], v[42:43]
	v_fmac_f64_e32 v[6:7], v[134:135], v[40:41]
	v_add_f64 v[0:1], v[0:1], v[6:7]
	v_mul_f64 v[6:7], v[210:211], v[142:143]
	v_fma_f64 v[30:31], v[208:209], v[140:141], -v[6:7]
	ds_read_b128 v[140:143], v2 offset:1648
	ds_read_b128 v[144:147], v2 offset:1664
	s_waitcnt vmcnt(12) lgkmcnt(2)
	v_mul_f64 v[6:7], v[136:137], v[46:47]
	v_fmac_f64_e32 v[6:7], v[138:139], v[44:45]
	v_add_f64 v[0:1], v[0:1], v[6:7]
	s_waitcnt vmcnt(11) lgkmcnt(1)
	v_mul_f64 v[6:7], v[140:141], v[54:55]
	v_fmac_f64_e32 v[6:7], v[142:143], v[52:53]
	v_add_f64 v[0:1], v[0:1], v[6:7]
	v_mul_f64 v[6:7], v[214:215], v[150:151]
	v_fma_f64 v[8:9], v[212:213], v[148:149], -v[6:7]
	ds_read_b128 v[148:151], v2 offset:1680
	v_mul_f64 v[34:35], v[218:219], v[154:155]
	v_fma_f64 v[34:35], v[216:217], v[152:153], -v[34:35]
	ds_read_b128 v[152:155], v2 offset:1696
	s_waitcnt vmcnt(10) lgkmcnt(2)
	v_mul_f64 v[6:7], v[144:145], v[50:51]
	v_fmac_f64_e32 v[6:7], v[146:147], v[48:49]
	v_add_f64 v[0:1], v[0:1], v[6:7]
	s_waitcnt vmcnt(9) lgkmcnt(1)
	v_mul_f64 v[6:7], v[148:149], v[58:59]
	ds_read_b128 v[156:159], v2 offset:1712
	v_fmac_f64_e32 v[6:7], v[150:151], v[56:57]
	v_add_f64 v[0:1], v[0:1], v[6:7]
	s_waitcnt vmcnt(8) lgkmcnt(1)
	v_mul_f64 v[6:7], v[152:153], v[62:63]
	v_fmac_f64_e32 v[6:7], v[154:155], v[60:61]
	v_add_f64 v[0:1], v[0:1], v[6:7]
	v_mul_f64 v[6:7], v[222:223], v[162:163]
	v_fma_f64 v[4:5], v[220:221], v[160:161], -v[6:7]
	ds_read_b128 v[160:163], v2 offset:1728
	s_waitcnt vmcnt(7) lgkmcnt(1)
	v_mul_f64 v[6:7], v[156:157], v[66:67]
	v_fmac_f64_e32 v[6:7], v[158:159], v[64:65]
	v_add_f64 v[0:1], v[0:1], v[6:7]
	v_mul_f64 v[6:7], v[226:227], v[166:167]
	v_fma_f64 v[6:7], v[224:225], v[164:165], -v[6:7]
	ds_read_b128 v[164:167], v2 offset:1744
	ds_read_b128 v[168:171], v2 offset:1760
	s_waitcnt vmcnt(6) lgkmcnt(2)
	v_mul_f64 v[38:39], v[160:161], v[70:71]
	v_fmac_f64_e32 v[38:39], v[162:163], v[68:69]
	v_add_f64 v[0:1], v[0:1], v[38:39]
	s_waitcnt vmcnt(5) lgkmcnt(1)
	v_mul_f64 v[38:39], v[164:165], v[74:75]
	v_fmac_f64_e32 v[38:39], v[166:167], v[72:73]
	v_add_f64 v[38:39], v[0:1], v[38:39]
	v_mul_f64 v[0:1], v[230:231], v[174:175]
	v_fma_f64 v[0:1], v[228:229], v[172:173], -v[0:1]
	ds_read_b128 v[172:175], v2 offset:1776
	s_waitcnt vmcnt(4) lgkmcnt(1)
	v_mul_f64 v[180:181], v[168:169], v[78:79]
	v_fmac_f64_e32 v[180:181], v[170:171], v[76:77]
	v_mul_f64 v[178:179], v[250:251], v[178:179]
	v_fma_f64 v[238:239], v[248:249], v[176:177], -v[178:179]
	ds_read_b128 v[176:179], v2 offset:1792
	v_add_f64 v[38:39], v[38:39], v[180:181]
	s_waitcnt vmcnt(3) lgkmcnt(1)
	v_mul_f64 v[180:181], v[172:173], v[90:91]
	v_fmac_f64_e32 v[180:181], v[174:175], v[88:89]
	v_add_f64 v[38:39], v[38:39], v[180:181]
	ds_read_b128 v[180:183], v2 offset:1808
	v_mul_f64 v[186:187], v[254:255], v[186:187]
	v_fma_f64 v[248:249], v[252:253], v[184:185], -v[186:187]
	ds_read_b128 v[184:187], v2 offset:1824
	s_waitcnt vmcnt(2) lgkmcnt(2)
	v_mul_f64 v[188:189], v[176:177], v[86:87]
	v_fmac_f64_e32 v[188:189], v[178:179], v[84:85]
	v_add_f64 v[38:39], v[38:39], v[188:189]
	s_waitcnt vmcnt(1) lgkmcnt(1)
	v_mul_f64 v[188:189], v[180:181], v[94:95]
	v_fmac_f64_e32 v[188:189], v[182:183], v[92:93]
	v_add_f64 v[38:39], v[38:39], v[188:189]
	;; [unrolled: 4-line block ×3, first 2 shown]
	scratch_load_dwordx4 v[188:191], off, off offset:896
	ds_read_b128 v[192:195], v2 offset:1840
	ds_read_b128 v[200:203], v2 offset:1856
	ds_read_b128 v[208:211], v2 offset:1872
	ds_read_b128 v[216:219], v2 offset:1888
	ds_read_b128 v[224:227], v2 offset:1904
	s_waitcnt vmcnt(0) lgkmcnt(4)
	v_mul_f64 v[196:197], v[192:193], v[190:191]
	v_fmac_f64_e32 v[196:197], v[194:195], v[188:189]
	v_add_f64 v[38:39], v[38:39], v[196:197]
	scratch_load_dwordx4 v[196:199], off, off offset:912
	s_waitcnt vmcnt(0) lgkmcnt(3)
	v_mul_f64 v[204:205], v[200:201], v[198:199]
	v_fmac_f64_e32 v[204:205], v[202:203], v[196:197]
	v_add_f64 v[38:39], v[38:39], v[204:205]
	scratch_load_dwordx4 v[204:207], off, off offset:928
	;; [unrolled: 5-line block ×4, first 2 shown]
	s_waitcnt vmcnt(0) lgkmcnt(0)
	v_mul_f64 v[228:229], v[224:225], v[222:223]
	v_fmac_f64_e32 v[228:229], v[226:227], v[220:221]
	v_add_f64 v[252:253], v[38:39], v[228:229]
	v_add_f64 v[38:39], v[240:241], 0
	;; [unrolled: 1-line block ×8, first 2 shown]
	scratch_load_dwordx4 v[228:231], off, off offset:112
	v_add_f64 v[28:29], v[32:33], v[28:29]
	v_add_f64 v[24:25], v[28:29], v[24:25]
	;; [unrolled: 1-line block ×15, first 2 shown]
	v_accvgpr_read_b32 v6, a138
	v_accvgpr_read_b32 v8, a140
	v_accvgpr_read_b32 v9, a141
	v_add_f64 v[0:1], v[4:5], v[0:1]
	v_accvgpr_read_b32 v7, a139
	v_mul_f64 v[4:5], v[82:83], v[8:9]
	v_add_f64 v[0:1], v[0:1], v[238:239]
	v_fma_f64 v[4:5], v[80:81], v[6:7], -v[4:5]
	v_accvgpr_read_b32 v6, a142
	v_add_f64 v[0:1], v[0:1], v[248:249]
	v_accvgpr_read_b32 v8, a144
	v_accvgpr_read_b32 v9, a145
	v_add_f64 v[0:1], v[0:1], v[4:5]
	v_accvgpr_read_b32 v7, a143
	v_mul_f64 v[4:5], v[102:103], v[8:9]
	v_fma_f64 v[4:5], v[100:101], v[6:7], -v[4:5]
	v_accvgpr_read_b32 v6, a146
	v_accvgpr_read_b32 v8, a148
	v_accvgpr_read_b32 v9, a149
	v_add_f64 v[0:1], v[0:1], v[4:5]
	v_accvgpr_read_b32 v7, a147
	v_mul_f64 v[4:5], v[106:107], v[8:9]
	v_fma_f64 v[4:5], v[104:105], v[6:7], -v[4:5]
	v_accvgpr_read_b32 v6, a150
	;; [unrolled: 7-line block ×5, first 2 shown]
	v_accvgpr_read_b32 v8, a132
	v_accvgpr_read_b32 v9, a133
	v_add_f64 v[0:1], v[0:1], v[4:5]
	v_accvgpr_read_b32 v7, a131
	v_mul_f64 v[4:5], v[122:123], v[8:9]
	v_fma_f64 v[4:5], v[120:121], v[6:7], -v[4:5]
	v_add_f64 v[0:1], v[0:1], v[4:5]
	v_mul_f64 v[4:5], v[126:127], v[236:237]
	v_accvgpr_read_b32 v6, a134
	v_fma_f64 v[4:5], v[124:125], v[234:235], -v[4:5]
	v_accvgpr_read_b32 v8, a136
	v_accvgpr_read_b32 v9, a137
	v_add_f64 v[0:1], v[0:1], v[4:5]
	v_accvgpr_read_b32 v7, a135
	v_mul_f64 v[4:5], v[130:131], v[8:9]
	v_fma_f64 v[4:5], v[128:129], v[6:7], -v[4:5]
	v_add_f64 v[0:1], v[0:1], v[4:5]
	v_mul_f64 v[4:5], v[134:135], v[42:43]
	v_fma_f64 v[4:5], v[132:133], v[40:41], -v[4:5]
	v_add_f64 v[0:1], v[0:1], v[4:5]
	;; [unrolled: 3-line block ×20, first 2 shown]
	s_waitcnt vmcnt(0)
	v_add_f64 v[4:5], v[228:229], -v[0:1]
	v_accvgpr_read_b32 v0, a120
	v_add_f64 v[6:7], v[230:231], -v[252:253]
	v_cmp_lt_u32_e32 vcc, 5, v0
	scratch_store_dwordx4 off, v[4:7], off offset:112
	s_and_saveexec_b64 s[0:1], vcc
	s_cbranch_execz .LBB123_363
; %bb.362:
	scratch_load_dwordx4 v[6:9], off, s71
	v_mov_b32_e32 v3, v2
	v_mov_b32_e32 v4, v2
	;; [unrolled: 1-line block ×3, first 2 shown]
	v_accvgpr_read_b32 v0, a121
	scratch_store_dwordx4 off, v[2:5], off offset:96
	s_waitcnt vmcnt(1)
	ds_write_b128 v0, v[6:9]
.LBB123_363:
	s_or_b64 exec, exec, s[0:1]
	s_waitcnt lgkmcnt(0)
	; wave barrier
	scratch_load_dwordx4 v[40:43], off, off offset:112
	scratch_load_dwordx4 v[44:47], off, off offset:128
	;; [unrolled: 1-line block ×18, first 2 shown]
	ds_read_b128 v[80:83], v2 offset:1056
	ds_read_b128 v[204:207], v2 offset:1072
	;; [unrolled: 1-line block ×6, first 2 shown]
	scratch_load_dwordx4 v[148:151], off, off offset:400
	ds_read_b128 v[180:183], v2 offset:1152
	ds_read_b128 v[112:115], v2 offset:1168
	scratch_load_dwordx4 v[152:155], off, off offset:416
	ds_read_b128 v[208:211], v2 offset:1184
	ds_read_b128 v[200:203], v2 offset:1200
	;; [unrolled: 1-line block ×5, first 2 shown]
	scratch_load_dwordx4 v[160:163], off, off offset:432
	ds_read_b128 v[196:199], v2 offset:1264
	ds_read_b128 v[192:195], v2 offset:1280
	;; [unrolled: 1-line block ×4, first 2 shown]
	scratch_load_dwordx4 v[164:167], off, off offset:448
	ds_read_b128 v[168:171], v2 offset:1328
	scratch_load_dwordx4 v[172:175], off, off offset:464
	scratch_load_dwordx4 v[176:179], off, off offset:480
	;; [unrolled: 1-line block ×7, first 2 shown]
	ds_read_b128 v[228:231], v2 offset:1408
	ds_read_b128 v[232:235], v2 offset:1424
	scratch_load_dwordx4 a[126:129], off, off offset:608
	scratch_load_dwordx4 a[130:133], off, off offset:624
	ds_read_b128 v[236:239], v2 offset:1440
	scratch_load_dwordx4 a[122:125], off, off offset:592
	ds_read_b128 v[224:227], v2 offset:1392
	s_waitcnt vmcnt(31) lgkmcnt(14)
	v_mul_f64 v[0:1], v[80:81], v[42:43]
	s_waitcnt vmcnt(30)
	v_mul_f64 v[20:21], v[204:205], v[46:47]
	v_fmac_f64_e32 v[0:1], v[82:83], v[40:41]
	s_waitcnt vmcnt(29)
	v_mul_f64 v[22:23], v[100:101], v[50:51]
	v_fmac_f64_e32 v[20:21], v[206:207], v[44:45]
	v_add_f64 v[0:1], v[0:1], 0
	v_fmac_f64_e32 v[22:23], v[102:103], v[48:49]
	v_add_f64 v[0:1], v[0:1], v[20:21]
	v_add_f64 v[0:1], v[0:1], v[22:23]
	scratch_load_dwordx4 v[20:23], off, off offset:576
	s_waitcnt vmcnt(29)
	v_mul_f64 v[24:25], v[116:117], v[54:55]
	s_waitcnt vmcnt(28)
	v_mul_f64 v[26:27], v[104:105], v[58:59]
	v_fmac_f64_e32 v[24:25], v[118:119], v[52:53]
	s_waitcnt vmcnt(27)
	v_mul_f64 v[28:29], v[108:109], v[62:63]
	v_fmac_f64_e32 v[26:27], v[106:107], v[56:57]
	v_add_f64 v[0:1], v[0:1], v[24:25]
	s_waitcnt vmcnt(26)
	v_mul_f64 v[30:31], v[180:181], v[66:67]
	v_fmac_f64_e32 v[28:29], v[110:111], v[60:61]
	v_add_f64 v[0:1], v[0:1], v[26:27]
	;; [unrolled: 4-line block ×3, first 2 shown]
	s_waitcnt vmcnt(24) lgkmcnt(13)
	v_mul_f64 v[34:35], v[208:209], v[74:75]
	v_fmac_f64_e32 v[32:33], v[114:115], v[68:69]
	v_add_f64 v[0:1], v[0:1], v[30:31]
	s_waitcnt vmcnt(23) lgkmcnt(12)
	v_mul_f64 v[36:37], v[200:201], v[78:79]
	v_fmac_f64_e32 v[34:35], v[210:211], v[72:73]
	v_add_f64 v[0:1], v[0:1], v[32:33]
	s_waitcnt vmcnt(22) lgkmcnt(11)
	v_mul_f64 v[38:39], v[188:189], v[86:87]
	v_fmac_f64_e32 v[36:37], v[202:203], v[76:77]
	v_add_f64 v[0:1], v[0:1], v[34:35]
	s_waitcnt vmcnt(21) lgkmcnt(10)
	v_mul_f64 v[212:213], v[120:121], v[90:91]
	v_fmac_f64_e32 v[38:39], v[190:191], v[84:85]
	v_add_f64 v[0:1], v[0:1], v[36:37]
	s_waitcnt vmcnt(20) lgkmcnt(9)
	v_mul_f64 v[214:215], v[132:133], v[94:95]
	v_fmac_f64_e32 v[212:213], v[122:123], v[88:89]
	v_add_f64 v[0:1], v[0:1], v[38:39]
	s_waitcnt vmcnt(19) lgkmcnt(8)
	v_mul_f64 v[216:217], v[196:197], v[98:99]
	v_fmac_f64_e32 v[214:215], v[134:135], v[92:93]
	v_add_f64 v[0:1], v[0:1], v[212:213]
	s_waitcnt vmcnt(18) lgkmcnt(7)
	v_mul_f64 v[218:219], v[192:193], v[126:127]
	v_fmac_f64_e32 v[216:217], v[198:199], v[96:97]
	v_add_f64 v[0:1], v[0:1], v[214:215]
	s_waitcnt vmcnt(17) lgkmcnt(6)
	v_mul_f64 v[220:221], v[156:157], v[130:131]
	v_fmac_f64_e32 v[218:219], v[194:195], v[124:125]
	v_add_f64 v[0:1], v[0:1], v[216:217]
	ds_read_b128 v[212:215], v2 offset:1344
	s_waitcnt vmcnt(16) lgkmcnt(6)
	v_mul_f64 v[222:223], v[144:145], v[138:139]
	v_fmac_f64_e32 v[220:221], v[158:159], v[128:129]
	v_add_f64 v[0:1], v[0:1], v[218:219]
	ds_read_b128 v[216:219], v2 offset:1360
	v_add_f64 v[0:1], v[0:1], v[220:221]
	v_fmac_f64_e32 v[222:223], v[146:147], v[136:137]
	v_add_f64 v[0:1], v[0:1], v[222:223]
	s_waitcnt vmcnt(15) lgkmcnt(6)
	v_mul_f64 v[24:25], v[168:169], v[142:143]
	ds_read_b128 v[220:223], v2 offset:1376
	v_fmac_f64_e32 v[24:25], v[170:171], v[140:141]
	v_add_f64 v[0:1], v[0:1], v[24:25]
	s_waitcnt vmcnt(14) lgkmcnt(2)
	v_mul_f64 v[24:25], v[212:213], v[150:151]
	v_fmac_f64_e32 v[24:25], v[214:215], v[148:149]
	s_waitcnt vmcnt(13) lgkmcnt(1)
	v_mul_f64 v[28:29], v[216:217], v[154:155]
	v_add_f64 v[0:1], v[0:1], v[24:25]
	v_fmac_f64_e32 v[28:29], v[218:219], v[152:153]
	v_add_f64 v[0:1], v[0:1], v[28:29]
	s_waitcnt vmcnt(12) lgkmcnt(0)
	v_mul_f64 v[28:29], v[220:221], v[162:163]
	v_fmac_f64_e32 v[28:29], v[222:223], v[160:161]
	s_waitcnt vmcnt(11)
	v_mul_f64 v[32:33], v[224:225], v[166:167]
	v_add_f64 v[0:1], v[0:1], v[28:29]
	v_fmac_f64_e32 v[32:33], v[226:227], v[164:165]
	v_add_f64 v[0:1], v[0:1], v[32:33]
	s_waitcnt vmcnt(10)
	v_mul_f64 v[32:33], v[228:229], v[174:175]
	v_fmac_f64_e32 v[32:33], v[230:231], v[172:173]
	s_waitcnt vmcnt(9)
	v_mul_f64 v[36:37], v[232:233], v[178:179]
	v_add_f64 v[0:1], v[0:1], v[32:33]
	v_fmac_f64_e32 v[36:37], v[234:235], v[176:177]
	v_mul_f64 v[42:43], v[82:83], v[42:43]
	v_add_f64 v[0:1], v[0:1], v[36:37]
	scratch_load_dwordx4 v[36:39], off, off offset:640
	v_fma_f64 v[240:241], v[80:81], v[40:41], -v[42:43]
	ds_read_b128 v[80:83], v2 offset:1456
	s_waitcnt vmcnt(9)
	v_mul_f64 v[40:41], v[236:237], v[186:187]
	v_fmac_f64_e32 v[40:41], v[238:239], v[184:185]
	v_add_f64 v[0:1], v[0:1], v[40:41]
	v_mul_f64 v[40:41], v[206:207], v[46:47]
	v_fma_f64 v[242:243], v[204:205], v[44:45], -v[40:41]
	scratch_load_dwordx4 v[40:43], off, off offset:656
	s_waitcnt vmcnt(9) lgkmcnt(0)
	v_mul_f64 v[44:45], v[80:81], v[6:7]
	v_fmac_f64_e32 v[44:45], v[82:83], v[4:5]
	v_add_f64 v[0:1], v[0:1], v[44:45]
	scratch_load_dwordx4 v[44:47], off, off offset:672
	v_mul_f64 v[50:51], v[102:103], v[50:51]
	v_fma_f64 v[244:245], v[100:101], v[48:49], -v[50:51]
	ds_read_b128 v[100:103], v2 offset:1472
	v_mul_f64 v[48:49], v[118:119], v[54:55]
	v_fma_f64 v[246:247], v[116:117], v[52:53], -v[48:49]
	scratch_load_dwordx4 v[52:55], off, off offset:688
	scratch_load_dwordx4 v[48:51], off, off offset:704
	v_accvgpr_write_b32 a137, v7
	v_accvgpr_write_b32 a136, v6
	;; [unrolled: 1-line block ×4, first 2 shown]
	s_waitcnt vmcnt(11)
	v_mov_b64_e32 v[4:5], v[8:9]
	v_mul_f64 v[58:59], v[106:107], v[58:59]
	v_mov_b64_e32 v[6:7], v[10:11]
	v_fma_f64 v[252:253], v[104:105], v[56:57], -v[58:59]
	s_waitcnt lgkmcnt(0)
	v_mul_f64 v[56:57], v[100:101], v[6:7]
	ds_read_b128 v[104:107], v2 offset:1488
	v_fmac_f64_e32 v[56:57], v[102:103], v[4:5]
	v_add_f64 v[0:1], v[0:1], v[56:57]
	v_mul_f64 v[56:57], v[110:111], v[62:63]
	v_fma_f64 v[254:255], v[108:109], v[60:61], -v[56:57]
	scratch_load_dwordx4 v[56:59], off, off offset:720
	scratch_load_dwordx4 v[60:63], off, off offset:736
	s_waitcnt vmcnt(12)
	v_mov_b64_e32 v[4:5], v[12:13]
	v_mul_f64 v[66:67], v[182:183], v[66:67]
	v_mov_b64_e32 v[6:7], v[14:15]
	v_fma_f64 v[248:249], v[180:181], v[64:65], -v[66:67]
	v_mul_f64 v[64:65], v[114:115], v[70:71]
	v_fma_f64 v[32:33], v[112:113], v[68:69], -v[64:65]
	ds_read_b128 v[112:115], v2 offset:1520
	s_waitcnt lgkmcnt(1)
	v_mul_f64 v[108:109], v[104:105], v[6:7]
	v_fmac_f64_e32 v[108:109], v[106:107], v[4:5]
	v_add_f64 v[0:1], v[0:1], v[108:109]
	ds_read_b128 v[108:111], v2 offset:1504
	ds_read_b128 v[116:119], v2 offset:1536
	scratch_load_dwordx4 v[64:67], off, off offset:752
	scratch_load_dwordx4 v[68:71], off, off offset:768
	v_mul_f64 v[6:7], v[210:211], v[74:75]
	v_fma_f64 v[28:29], v[208:209], v[72:73], -v[6:7]
	s_waitcnt vmcnt(13)
	v_mov_b64_e32 v[4:5], v[16:17]
	v_mov_b64_e32 v[6:7], v[18:19]
	s_waitcnt lgkmcnt(1)
	v_mul_f64 v[72:73], v[108:109], v[6:7]
	v_fmac_f64_e32 v[72:73], v[110:111], v[4:5]
	v_add_f64 v[0:1], v[0:1], v[72:73]
	v_mul_f64 v[72:73], v[202:203], v[78:79]
	v_fma_f64 v[24:25], v[200:201], v[76:77], -v[72:73]
	scratch_load_dwordx4 v[72:75], off, off offset:784
	s_waitcnt vmcnt(10)
	v_mov_b64_e32 v[4:5], v[20:21]
	v_accvgpr_write_b32 a141, v11
	v_mov_b64_e32 v[6:7], v[22:23]
	v_mul_f64 v[76:77], v[190:191], v[86:87]
	v_accvgpr_write_b32 a140, v10
	v_accvgpr_write_b32 a139, v9
	v_accvgpr_write_b32 a138, v8
	v_mul_f64 v[10:11], v[112:113], v[6:7]
	v_fma_f64 v[250:251], v[188:189], v[84:85], -v[76:77]
	scratch_load_dwordx4 v[76:79], off, off offset:800
	v_fmac_f64_e32 v[10:11], v[114:115], v[4:5]
	v_accvgpr_write_b32 a153, v23
	v_add_f64 v[0:1], v[0:1], v[10:11]
	v_mul_f64 v[10:11], v[122:123], v[90:91]
	v_accvgpr_write_b32 a152, v22
	v_accvgpr_write_b32 a151, v21
	;; [unrolled: 1-line block ×3, first 2 shown]
	v_fma_f64 v[20:21], v[120:121], v[88:89], -v[10:11]
	ds_read_b128 v[120:123], v2 offset:1552
	scratch_load_dwordx4 v[88:91], off, off offset:816
	scratch_load_dwordx4 v[84:87], off, off offset:832
	v_accvgpr_write_b32 a145, v15
	v_accvgpr_write_b32 a144, v14
	;; [unrolled: 1-line block ×5, first 2 shown]
	v_mul_f64 v[14:15], v[134:135], v[94:95]
	v_accvgpr_write_b32 a148, v18
	v_accvgpr_write_b32 a147, v17
	;; [unrolled: 1-line block ×3, first 2 shown]
	v_fma_f64 v[16:17], v[132:133], v[92:93], -v[14:15]
	v_mul_f64 v[92:93], v[198:199], v[98:99]
	v_fma_f64 v[14:15], v[196:197], v[96:97], -v[92:93]
	scratch_load_dwordx4 v[92:95], off, off offset:848
	v_mul_f64 v[96:97], v[158:159], v[130:131]
	v_fma_f64 v[12:13], v[156:157], v[128:129], -v[96:97]
	scratch_load_dwordx4 v[96:99], off, off offset:864
	v_accvgpr_read_b32 v4, a122
	v_accvgpr_read_b32 v6, a124
	;; [unrolled: 1-line block ×4, first 2 shown]
	s_waitcnt lgkmcnt(1)
	v_mul_f64 v[10:11], v[116:117], v[6:7]
	v_mul_f64 v[18:19], v[194:195], v[126:127]
	v_fmac_f64_e32 v[10:11], v[118:119], v[4:5]
	v_accvgpr_read_b32 v4, a126
	v_fma_f64 v[18:19], v[192:193], v[124:125], -v[18:19]
	ds_read_b128 v[124:127], v2 offset:1568
	ds_read_b128 v[128:131], v2 offset:1584
	v_accvgpr_read_b32 v6, a128
	v_accvgpr_read_b32 v7, a129
	v_add_f64 v[0:1], v[0:1], v[10:11]
	v_accvgpr_read_b32 v5, a127
	s_waitcnt lgkmcnt(2)
	v_mul_f64 v[10:11], v[120:121], v[6:7]
	v_fmac_f64_e32 v[10:11], v[122:123], v[4:5]
	v_accvgpr_read_b32 v4, a130
	v_accvgpr_read_b32 v6, a132
	;; [unrolled: 1-line block ×3, first 2 shown]
	v_add_f64 v[0:1], v[0:1], v[10:11]
	v_accvgpr_read_b32 v5, a131
	s_waitcnt lgkmcnt(1)
	v_mul_f64 v[10:11], v[124:125], v[6:7]
	ds_read_b128 v[132:135], v2 offset:1600
	v_fmac_f64_e32 v[10:11], v[126:127], v[4:5]
	v_add_f64 v[0:1], v[0:1], v[10:11]
	s_waitcnt vmcnt(14) lgkmcnt(1)
	v_mul_f64 v[10:11], v[128:129], v[38:39]
	v_fmac_f64_e32 v[10:11], v[130:131], v[36:37]
	v_add_f64 v[0:1], v[0:1], v[10:11]
	v_mul_f64 v[10:11], v[146:147], v[138:139]
	v_fma_f64 v[22:23], v[144:145], v[136:137], -v[10:11]
	ds_read_b128 v[136:139], v2 offset:1616
	s_waitcnt vmcnt(13) lgkmcnt(1)
	v_mul_f64 v[10:11], v[132:133], v[42:43]
	v_fmac_f64_e32 v[10:11], v[134:135], v[40:41]
	v_add_f64 v[0:1], v[0:1], v[10:11]
	v_mul_f64 v[10:11], v[170:171], v[142:143]
	v_fma_f64 v[8:9], v[168:169], v[140:141], -v[10:11]
	ds_read_b128 v[140:143], v2 offset:1632
	ds_read_b128 v[144:147], v2 offset:1648
	s_waitcnt vmcnt(12) lgkmcnt(2)
	v_mul_f64 v[10:11], v[136:137], v[46:47]
	v_fmac_f64_e32 v[10:11], v[138:139], v[44:45]
	v_add_f64 v[0:1], v[0:1], v[10:11]
	s_waitcnt vmcnt(11) lgkmcnt(1)
	v_mul_f64 v[10:11], v[140:141], v[54:55]
	v_fmac_f64_e32 v[10:11], v[142:143], v[52:53]
	v_add_f64 v[0:1], v[0:1], v[10:11]
	v_mul_f64 v[10:11], v[214:215], v[150:151]
	v_fma_f64 v[26:27], v[212:213], v[148:149], -v[10:11]
	ds_read_b128 v[148:151], v2 offset:1664
	v_mul_f64 v[154:155], v[218:219], v[154:155]
	v_fma_f64 v[6:7], v[216:217], v[152:153], -v[154:155]
	ds_read_b128 v[152:155], v2 offset:1680
	s_waitcnt vmcnt(10) lgkmcnt(2)
	v_mul_f64 v[10:11], v[144:145], v[50:51]
	v_fmac_f64_e32 v[10:11], v[146:147], v[48:49]
	v_add_f64 v[0:1], v[0:1], v[10:11]
	s_waitcnt vmcnt(9) lgkmcnt(1)
	v_mul_f64 v[10:11], v[148:149], v[58:59]
	ds_read_b128 v[156:159], v2 offset:1696
	v_fmac_f64_e32 v[10:11], v[150:151], v[56:57]
	v_add_f64 v[0:1], v[0:1], v[10:11]
	s_waitcnt vmcnt(8) lgkmcnt(1)
	v_mul_f64 v[10:11], v[152:153], v[62:63]
	v_fmac_f64_e32 v[10:11], v[154:155], v[60:61]
	v_add_f64 v[0:1], v[0:1], v[10:11]
	v_mul_f64 v[10:11], v[222:223], v[162:163]
	v_fma_f64 v[30:31], v[220:221], v[160:161], -v[10:11]
	ds_read_b128 v[160:163], v2 offset:1712
	s_waitcnt vmcnt(7) lgkmcnt(1)
	v_mul_f64 v[10:11], v[156:157], v[66:67]
	v_fmac_f64_e32 v[10:11], v[158:159], v[64:65]
	v_add_f64 v[0:1], v[0:1], v[10:11]
	v_mul_f64 v[10:11], v[226:227], v[166:167]
	v_fma_f64 v[4:5], v[224:225], v[164:165], -v[10:11]
	ds_read_b128 v[164:167], v2 offset:1728
	ds_read_b128 v[168:171], v2 offset:1744
	s_waitcnt vmcnt(6) lgkmcnt(2)
	v_mul_f64 v[10:11], v[160:161], v[70:71]
	v_fmac_f64_e32 v[10:11], v[162:163], v[68:69]
	v_add_f64 v[0:1], v[0:1], v[10:11]
	s_waitcnt vmcnt(5) lgkmcnt(1)
	v_mul_f64 v[10:11], v[164:165], v[74:75]
	v_fmac_f64_e32 v[10:11], v[166:167], v[72:73]
	v_add_f64 v[10:11], v[0:1], v[10:11]
	v_mul_f64 v[0:1], v[230:231], v[174:175]
	v_fma_f64 v[34:35], v[228:229], v[172:173], -v[0:1]
	ds_read_b128 v[172:175], v2 offset:1760
	s_waitcnt vmcnt(4) lgkmcnt(1)
	v_mul_f64 v[180:181], v[168:169], v[78:79]
	v_fmac_f64_e32 v[180:181], v[170:171], v[76:77]
	v_mul_f64 v[0:1], v[234:235], v[178:179]
	v_fma_f64 v[0:1], v[232:233], v[176:177], -v[0:1]
	ds_read_b128 v[176:179], v2 offset:1776
	v_add_f64 v[10:11], v[10:11], v[180:181]
	s_waitcnt vmcnt(3) lgkmcnt(1)
	v_mul_f64 v[180:181], v[172:173], v[90:91]
	v_fmac_f64_e32 v[180:181], v[174:175], v[88:89]
	v_add_f64 v[188:189], v[10:11], v[180:181]
	ds_read_b128 v[180:183], v2 offset:1792
	v_mul_f64 v[10:11], v[238:239], v[186:187]
	v_fma_f64 v[10:11], v[236:237], v[184:185], -v[10:11]
	ds_read_b128 v[184:187], v2 offset:1808
	s_waitcnt vmcnt(2) lgkmcnt(2)
	v_mul_f64 v[190:191], v[176:177], v[86:87]
	v_fmac_f64_e32 v[190:191], v[178:179], v[84:85]
	v_add_f64 v[188:189], v[188:189], v[190:191]
	s_waitcnt vmcnt(1) lgkmcnt(1)
	v_mul_f64 v[190:191], v[180:181], v[94:95]
	v_fmac_f64_e32 v[190:191], v[182:183], v[92:93]
	v_add_f64 v[188:189], v[188:189], v[190:191]
	;; [unrolled: 4-line block ×3, first 2 shown]
	scratch_load_dwordx4 v[188:191], off, off offset:880
	scratch_load_dwordx4 v[232:235], off, off offset:960
	ds_read_b128 v[192:195], v2 offset:1824
	ds_read_b128 v[200:203], v2 offset:1840
	;; [unrolled: 1-line block ×5, first 2 shown]
	s_waitcnt vmcnt(1) lgkmcnt(4)
	v_mul_f64 v[198:199], v[192:193], v[190:191]
	v_fmac_f64_e32 v[198:199], v[194:195], v[188:189]
	v_add_f64 v[204:205], v[196:197], v[198:199]
	scratch_load_dwordx4 v[196:199], off, off offset:896
	s_waitcnt vmcnt(0) lgkmcnt(3)
	v_mul_f64 v[206:207], v[200:201], v[198:199]
	v_fmac_f64_e32 v[206:207], v[202:203], v[196:197]
	v_add_f64 v[212:213], v[204:205], v[206:207]
	scratch_load_dwordx4 v[204:207], off, off offset:912
	;; [unrolled: 5-line block ×4, first 2 shown]
	s_waitcnt vmcnt(0) lgkmcnt(0)
	v_mul_f64 v[230:231], v[224:225], v[222:223]
	v_fmac_f64_e32 v[230:231], v[226:227], v[220:221]
	v_add_f64 v[236:237], v[228:229], v[230:231]
	ds_read_b128 v[228:231], v2 offset:1904
	s_waitcnt lgkmcnt(0)
	v_mul_f64 v[2:3], v[228:229], v[234:235]
	v_fmac_f64_e32 v[2:3], v[230:231], v[232:233]
	v_add_f64 v[2:3], v[236:237], v[2:3]
	v_add_f64 v[236:237], v[240:241], 0
	;; [unrolled: 1-line block ×11, first 2 shown]
	scratch_load_dwordx4 v[236:239], off, off offset:96
	v_add_f64 v[24:25], v[24:25], v[250:251]
	v_add_f64 v[20:21], v[24:25], v[20:21]
	;; [unrolled: 1-line block ×12, first 2 shown]
	v_accvgpr_read_b32 v6, a134
	v_accvgpr_read_b32 v8, a136
	;; [unrolled: 1-line block ×3, first 2 shown]
	v_add_f64 v[252:253], v[4:5], v[34:35]
	v_accvgpr_read_b32 v7, a135
	v_mul_f64 v[4:5], v[82:83], v[8:9]
	v_add_f64 v[0:1], v[252:253], v[0:1]
	v_fma_f64 v[4:5], v[80:81], v[6:7], -v[4:5]
	v_accvgpr_read_b32 v6, a138
	v_add_f64 v[0:1], v[0:1], v[10:11]
	v_accvgpr_read_b32 v8, a140
	v_accvgpr_read_b32 v9, a141
	v_add_f64 v[0:1], v[0:1], v[4:5]
	v_accvgpr_read_b32 v7, a139
	v_mul_f64 v[4:5], v[102:103], v[8:9]
	v_fma_f64 v[4:5], v[100:101], v[6:7], -v[4:5]
	v_accvgpr_read_b32 v6, a142
	v_accvgpr_read_b32 v8, a144
	v_accvgpr_read_b32 v9, a145
	v_add_f64 v[0:1], v[0:1], v[4:5]
	v_accvgpr_read_b32 v7, a143
	v_mul_f64 v[4:5], v[106:107], v[8:9]
	v_fma_f64 v[4:5], v[104:105], v[6:7], -v[4:5]
	v_accvgpr_read_b32 v6, a146
	;; [unrolled: 7-line block ×6, first 2 shown]
	v_accvgpr_read_b32 v8, a132
	v_accvgpr_read_b32 v9, a133
	v_add_f64 v[0:1], v[0:1], v[4:5]
	v_accvgpr_read_b32 v7, a131
	v_mul_f64 v[4:5], v[126:127], v[8:9]
	v_fma_f64 v[4:5], v[124:125], v[6:7], -v[4:5]
	v_add_f64 v[0:1], v[0:1], v[4:5]
	v_mul_f64 v[4:5], v[130:131], v[38:39]
	v_fma_f64 v[4:5], v[128:129], v[36:37], -v[4:5]
	v_add_f64 v[0:1], v[0:1], v[4:5]
	;; [unrolled: 3-line block ×22, first 2 shown]
	s_waitcnt vmcnt(0)
	v_add_f64 v[4:5], v[236:237], -v[0:1]
	v_accvgpr_read_b32 v0, a120
	v_add_f64 v[6:7], v[238:239], -v[2:3]
	v_cmp_lt_u32_e32 vcc, 4, v0
	scratch_store_dwordx4 off, v[4:7], off offset:96
	s_and_saveexec_b64 s[0:1], vcc
	s_cbranch_execz .LBB123_365
; %bb.364:
	scratch_load_dwordx4 v[2:5], off, s72
	v_mov_b32_e32 v6, 0
	v_mov_b32_e32 v7, v6
	;; [unrolled: 1-line block ×4, first 2 shown]
	v_accvgpr_read_b32 v0, a121
	scratch_store_dwordx4 off, v[6:9], off offset:80
	s_waitcnt vmcnt(1)
	ds_write_b128 v0, v[2:5]
.LBB123_365:
	s_or_b64 exec, exec, s[0:1]
	s_waitcnt lgkmcnt(0)
	; wave barrier
	scratch_load_dwordx4 v[16:19], off, off offset:96
	scratch_load_dwordx4 v[20:23], off, off offset:112
	;; [unrolled: 1-line block ×30, first 2 shown]
	v_mov_b32_e32 v2, 0
	ds_read_b128 v[84:87], v2 offset:1040
	ds_read_b128 v[96:99], v2 offset:1056
	;; [unrolled: 1-line block ×17, first 2 shown]
	scratch_load_dwordx4 a[122:125], off, off offset:576
	scratch_load_dwordx4 a[126:129], off, off offset:592
	scratch_load_dwordx4 a[130:133], off, off offset:608
	scratch_load_dwordx4 a[134:137], off, off offset:624
	ds_read_b128 v[228:231], v2 offset:1408
	ds_read_b128 v[236:239], v2 offset:1424
	scratch_load_dwordx4 a[138:141], off, off offset:640
	ds_read_b128 v[248:251], v2 offset:1440
	ds_read_b128 v[252:255], v2 offset:1456
	;; [unrolled: 1-line block ×3, first 2 shown]
	s_waitcnt vmcnt(34) lgkmcnt(14)
	v_mul_f64 v[0:1], v[84:85], v[18:19]
	s_waitcnt vmcnt(33)
	v_mul_f64 v[40:41], v[96:97], v[22:23]
	v_fmac_f64_e32 v[0:1], v[86:87], v[16:17]
	s_waitcnt vmcnt(32)
	v_mul_f64 v[42:43], v[104:105], v[26:27]
	v_fmac_f64_e32 v[40:41], v[98:99], v[20:21]
	v_add_f64 v[0:1], v[0:1], 0
	s_waitcnt vmcnt(31)
	v_mul_f64 v[48:49], v[108:109], v[30:31]
	v_fmac_f64_e32 v[42:43], v[106:107], v[24:25]
	v_add_f64 v[0:1], v[0:1], v[40:41]
	s_waitcnt vmcnt(30)
	v_mul_f64 v[50:51], v[112:113], v[34:35]
	v_fmac_f64_e32 v[48:49], v[110:111], v[28:29]
	v_add_f64 v[0:1], v[0:1], v[42:43]
	s_waitcnt vmcnt(29)
	v_mul_f64 v[56:57], v[116:117], v[38:39]
	v_fmac_f64_e32 v[50:51], v[114:115], v[32:33]
	v_add_f64 v[0:1], v[0:1], v[48:49]
	s_waitcnt vmcnt(28)
	v_mul_f64 v[58:59], v[120:121], v[46:47]
	v_fmac_f64_e32 v[56:57], v[118:119], v[36:37]
	v_add_f64 v[0:1], v[0:1], v[50:51]
	s_waitcnt vmcnt(27)
	v_mul_f64 v[204:205], v[124:125], v[54:55]
	v_fmac_f64_e32 v[58:59], v[122:123], v[44:45]
	v_add_f64 v[0:1], v[0:1], v[56:57]
	s_waitcnt vmcnt(26) lgkmcnt(13)
	v_mul_f64 v[206:207], v[140:141], v[62:63]
	v_fmac_f64_e32 v[204:205], v[126:127], v[52:53]
	v_add_f64 v[0:1], v[0:1], v[58:59]
	s_waitcnt vmcnt(25) lgkmcnt(12)
	v_mul_f64 v[208:209], v[152:153], v[66:67]
	v_fmac_f64_e32 v[206:207], v[142:143], v[60:61]
	v_add_f64 v[0:1], v[0:1], v[204:205]
	;; [unrolled: 4-line block ×6, first 2 shown]
	ds_read_b128 v[204:207], v2 offset:1312
	ds_read_b128 v[208:211], v2 offset:1328
	s_waitcnt vmcnt(20) lgkmcnt(9)
	v_mul_f64 v[218:219], v[192:193], v[90:91]
	v_fmac_f64_e32 v[216:217], v[190:191], v[80:81]
	v_add_f64 v[0:1], v[0:1], v[214:215]
	s_waitcnt vmcnt(19) lgkmcnt(8)
	v_mul_f64 v[220:221], v[196:197], v[94:95]
	v_fmac_f64_e32 v[218:219], v[194:195], v[88:89]
	v_add_f64 v[0:1], v[0:1], v[216:217]
	v_fmac_f64_e32 v[220:221], v[198:199], v[92:93]
	v_add_f64 v[0:1], v[0:1], v[218:219]
	s_waitcnt vmcnt(18) lgkmcnt(7)
	v_mul_f64 v[40:41], v[200:201], v[102:103]
	ds_read_b128 v[212:215], v2 offset:1344
	ds_read_b128 v[216:219], v2 offset:1360
	v_add_f64 v[0:1], v[0:1], v[220:221]
	v_fmac_f64_e32 v[40:41], v[202:203], v[100:101]
	v_add_f64 v[0:1], v[0:1], v[40:41]
	s_waitcnt vmcnt(17) lgkmcnt(3)
	v_mul_f64 v[40:41], v[204:205], v[130:131]
	v_fmac_f64_e32 v[40:41], v[206:207], v[128:129]
	ds_read_b128 v[220:223], v2 offset:1376
	v_add_f64 v[0:1], v[0:1], v[40:41]
	s_waitcnt vmcnt(16) lgkmcnt(3)
	v_mul_f64 v[40:41], v[208:209], v[134:135]
	v_fmac_f64_e32 v[40:41], v[210:211], v[132:133]
	s_waitcnt vmcnt(15) lgkmcnt(2)
	v_mul_f64 v[48:49], v[212:213], v[138:139]
	v_add_f64 v[0:1], v[0:1], v[40:41]
	v_fmac_f64_e32 v[48:49], v[214:215], v[136:137]
	s_waitcnt vmcnt(14) lgkmcnt(1)
	v_mul_f64 v[56:57], v[216:217], v[146:147]
	v_add_f64 v[0:1], v[0:1], v[48:49]
	v_fmac_f64_e32 v[56:57], v[218:219], v[144:145]
	v_add_f64 v[0:1], v[0:1], v[56:57]
	s_waitcnt vmcnt(13) lgkmcnt(0)
	v_mul_f64 v[56:57], v[220:221], v[150:151]
	v_fmac_f64_e32 v[56:57], v[222:223], v[148:149]
	v_add_f64 v[0:1], v[0:1], v[56:57]
	s_waitcnt vmcnt(12)
	v_mul_f64 v[56:57], v[224:225], v[158:159]
	v_fmac_f64_e32 v[56:57], v[226:227], v[156:157]
	s_waitcnt vmcnt(11)
	v_mul_f64 v[232:233], v[228:229], v[162:163]
	v_add_f64 v[0:1], v[0:1], v[56:57]
	v_fmac_f64_e32 v[232:233], v[230:231], v[160:161]
	v_add_f64 v[0:1], v[0:1], v[232:233]
	s_waitcnt vmcnt(10)
	v_mul_f64 v[232:233], v[236:237], v[170:171]
	v_mul_f64 v[18:19], v[86:87], v[18:19]
	v_fmac_f64_e32 v[232:233], v[238:239], v[168:169]
	v_fma_f64 v[240:241], v[84:85], v[16:17], -v[18:19]
	s_waitcnt vmcnt(9)
	v_mul_f64 v[84:85], v[248:249], v[174:175]
	v_add_f64 v[0:1], v[0:1], v[232:233]
	v_fmac_f64_e32 v[84:85], v[250:251], v[172:173]
	v_add_f64 v[0:1], v[0:1], v[84:85]
	ds_read_b128 v[84:87], v2 offset:1472
	scratch_load_dwordx4 v[56:59], off, off offset:656
	scratch_load_dwordx4 v[40:43], off, off offset:672
	scratch_load_dwordx4 v[48:51], off, off offset:688
	v_mul_f64 v[30:31], v[110:111], v[30:31]
	v_mul_f64 v[22:23], v[98:99], v[22:23]
	;; [unrolled: 1-line block ×3, first 2 shown]
	v_fma_f64 v[246:247], v[108:109], v[28:29], -v[30:31]
	s_waitcnt vmcnt(11)
	v_mul_f64 v[28:29], v[252:253], v[182:183]
	v_fma_f64 v[242:243], v[96:97], v[20:21], -v[22:23]
	v_fma_f64 v[244:245], v[104:105], v[24:25], -v[26:27]
	v_fmac_f64_e32 v[28:29], v[254:255], v[180:181]
	ds_read_b128 v[104:107], v2 offset:1504
	s_waitcnt vmcnt(10) lgkmcnt(1)
	v_mul_f64 v[96:97], v[84:85], v[6:7]
	v_add_f64 v[0:1], v[0:1], v[28:29]
	v_fmac_f64_e32 v[96:97], v[86:87], v[4:5]
	v_add_f64 v[0:1], v[0:1], v[96:97]
	ds_read_b128 v[96:99], v2 offset:1488
	v_mul_f64 v[34:35], v[114:115], v[34:35]
	v_accvgpr_write_b32 a145, v7
	v_mul_f64 v[38:39], v[118:119], v[38:39]
	v_fma_f64 v[232:233], v[112:113], v[32:33], -v[34:35]
	v_accvgpr_write_b32 a144, v6
	v_accvgpr_write_b32 a143, v5
	;; [unrolled: 1-line block ×3, first 2 shown]
	v_fma_f64 v[32:33], v[116:117], v[36:37], -v[38:39]
	scratch_load_dwordx4 v[36:39], off, off offset:704
	v_mul_f64 v[6:7], v[122:123], v[46:47]
	v_mul_f64 v[46:47], v[126:127], v[54:55]
	v_fma_f64 v[28:29], v[120:121], v[44:45], -v[6:7]
	v_fma_f64 v[24:25], v[124:125], v[52:53], -v[46:47]
	scratch_load_dwordx4 v[52:55], off, off offset:720
	ds_read_b128 v[112:115], v2 offset:1536
	s_waitcnt vmcnt(11) lgkmcnt(1)
	v_mul_f64 v[44:45], v[96:97], v[10:11]
	v_fmac_f64_e32 v[44:45], v[98:99], v[8:9]
	v_add_f64 v[0:1], v[0:1], v[44:45]
	scratch_load_dwordx4 v[44:47], off, off offset:736
	s_waitcnt vmcnt(11)
	v_mov_b64_e32 v[4:5], v[12:13]
	v_mov_b64_e32 v[6:7], v[14:15]
	v_accvgpr_write_b32 a149, v11
	v_mul_f64 v[108:109], v[104:105], v[6:7]
	v_accvgpr_write_b32 a148, v10
	v_accvgpr_write_b32 a147, v9
	;; [unrolled: 1-line block ×3, first 2 shown]
	v_mul_f64 v[10:11], v[142:143], v[62:63]
	v_fmac_f64_e32 v[108:109], v[106:107], v[4:5]
	v_fma_f64 v[20:21], v[140:141], v[60:61], -v[10:11]
	scratch_load_dwordx4 v[60:63], off, off offset:752
	v_add_f64 v[0:1], v[0:1], v[108:109]
	ds_read_b128 v[108:111], v2 offset:1520
	v_mul_f64 v[66:67], v[154:155], v[66:67]
	v_fma_f64 v[16:17], v[152:153], v[64:65], -v[66:67]
	scratch_load_dwordx4 v[64:67], off, off offset:768
	s_waitcnt vmcnt(12)
	v_accvgpr_read_b32 v4, a122
	v_accvgpr_write_b32 a153, v15
	v_accvgpr_read_b32 v6, a124
	v_accvgpr_read_b32 v7, a125
	v_accvgpr_write_b32 a152, v14
	v_accvgpr_write_b32 a151, v13
	v_accvgpr_write_b32 a150, v12
	v_mul_f64 v[14:15], v[166:167], v[70:71]
	v_accvgpr_read_b32 v5, a123
	s_waitcnt lgkmcnt(0)
	v_mul_f64 v[116:117], v[108:109], v[6:7]
	v_fma_f64 v[14:15], v[164:165], v[68:69], -v[14:15]
	v_mul_f64 v[68:69], v[178:179], v[74:75]
	v_fmac_f64_e32 v[116:117], v[110:111], v[4:5]
	s_waitcnt vmcnt(11)
	v_accvgpr_read_b32 v4, a126
	v_fma_f64 v[12:13], v[176:177], v[72:73], -v[68:69]
	scratch_load_dwordx4 v[68:71], off, off offset:784
	v_accvgpr_read_b32 v6, a128
	v_accvgpr_read_b32 v7, a129
	;; [unrolled: 1-line block ×3, first 2 shown]
	v_mul_f64 v[18:19], v[112:113], v[6:7]
	v_add_f64 v[0:1], v[0:1], v[116:117]
	v_fmac_f64_e32 v[18:19], v[114:115], v[4:5]
	scratch_load_dwordx4 v[72:75], off, off offset:800
	v_add_f64 v[0:1], v[0:1], v[18:19]
	v_mul_f64 v[18:19], v[186:187], v[78:79]
	v_fma_f64 v[18:19], v[184:185], v[76:77], -v[18:19]
	ds_read_b128 v[116:119], v2 offset:1552
	v_mul_f64 v[76:77], v[190:191], v[82:83]
	v_fma_f64 v[184:185], v[188:189], v[80:81], -v[76:77]
	scratch_load_dwordx4 v[80:83], off, off offset:816
	scratch_load_dwordx4 v[76:79], off, off offset:832
	ds_read_b128 v[120:123], v2 offset:1568
	s_waitcnt vmcnt(14)
	v_accvgpr_read_b32 v4, a130
	v_mul_f64 v[90:91], v[194:195], v[90:91]
	v_accvgpr_read_b32 v6, a132
	v_accvgpr_read_b32 v7, a133
	v_fma_f64 v[186:187], v[192:193], v[88:89], -v[90:91]
	v_accvgpr_read_b32 v5, a131
	s_waitcnt lgkmcnt(1)
	v_mul_f64 v[88:89], v[116:117], v[6:7]
	v_fmac_f64_e32 v[88:89], v[118:119], v[4:5]
	s_waitcnt vmcnt(13)
	v_accvgpr_read_b32 v4, a134
	v_add_f64 v[0:1], v[0:1], v[88:89]
	v_mul_f64 v[88:89], v[198:199], v[94:95]
	v_mul_f64 v[22:23], v[202:203], v[102:103]
	v_accvgpr_read_b32 v6, a136
	v_accvgpr_read_b32 v7, a137
	v_fma_f64 v[10:11], v[196:197], v[92:93], -v[88:89]
	scratch_load_dwordx4 v[92:95], off, off offset:848
	scratch_load_dwordx4 v[88:91], off, off offset:864
	v_fma_f64 v[22:23], v[200:201], v[100:101], -v[22:23]
	v_accvgpr_read_b32 v5, a135
	s_waitcnt lgkmcnt(0)
	v_mul_f64 v[100:101], v[120:121], v[6:7]
	v_fmac_f64_e32 v[100:101], v[122:123], v[4:5]
	v_add_f64 v[0:1], v[0:1], v[100:101]
	v_mul_f64 v[100:101], v[206:207], v[130:131]
	v_fma_f64 v[8:9], v[204:205], v[128:129], -v[100:101]
	scratch_load_dwordx4 v[100:103], off, off offset:880
	ds_read_b128 v[124:127], v2 offset:1584
	ds_read_b128 v[128:131], v2 offset:1600
	s_waitcnt vmcnt(15)
	v_accvgpr_read_b32 v4, a138
	v_accvgpr_read_b32 v6, a140
	;; [unrolled: 1-line block ×4, first 2 shown]
	s_waitcnt lgkmcnt(1)
	v_mul_f64 v[26:27], v[124:125], v[6:7]
	v_fmac_f64_e32 v[26:27], v[126:127], v[4:5]
	v_add_f64 v[0:1], v[0:1], v[26:27]
	v_mul_f64 v[26:27], v[210:211], v[134:135]
	v_fma_f64 v[26:27], v[208:209], v[132:133], -v[26:27]
	ds_read_b128 v[132:135], v2 offset:1616
	v_mul_f64 v[138:139], v[214:215], v[138:139]
	v_fma_f64 v[6:7], v[212:213], v[136:137], -v[138:139]
	ds_read_b128 v[136:139], v2 offset:1632
	s_waitcnt vmcnt(14) lgkmcnt(2)
	v_mul_f64 v[140:141], v[128:129], v[58:59]
	v_fmac_f64_e32 v[140:141], v[130:131], v[56:57]
	s_waitcnt vmcnt(13) lgkmcnt(1)
	v_mul_f64 v[30:31], v[132:133], v[42:43]
	v_add_f64 v[0:1], v[0:1], v[140:141]
	v_fmac_f64_e32 v[30:31], v[134:135], v[40:41]
	v_add_f64 v[0:1], v[0:1], v[30:31]
	s_waitcnt vmcnt(12) lgkmcnt(0)
	v_mul_f64 v[30:31], v[136:137], v[50:51]
	v_fmac_f64_e32 v[30:31], v[138:139], v[48:49]
	ds_read_b128 v[140:143], v2 offset:1648
	v_add_f64 v[0:1], v[0:1], v[30:31]
	v_mul_f64 v[30:31], v[218:219], v[146:147]
	v_fma_f64 v[30:31], v[216:217], v[144:145], -v[30:31]
	ds_read_b128 v[144:147], v2 offset:1664
	v_mul_f64 v[150:151], v[222:223], v[150:151]
	v_fma_f64 v[4:5], v[220:221], v[148:149], -v[150:151]
	ds_read_b128 v[148:151], v2 offset:1680
	s_waitcnt vmcnt(11) lgkmcnt(2)
	v_mul_f64 v[152:153], v[140:141], v[38:39]
	v_fmac_f64_e32 v[152:153], v[142:143], v[36:37]
	s_waitcnt vmcnt(10) lgkmcnt(1)
	v_mul_f64 v[34:35], v[144:145], v[54:55]
	v_add_f64 v[0:1], v[0:1], v[152:153]
	v_fmac_f64_e32 v[34:35], v[146:147], v[52:53]
	v_add_f64 v[0:1], v[0:1], v[34:35]
	ds_read_b128 v[152:155], v2 offset:1696
	s_waitcnt vmcnt(9) lgkmcnt(1)
	v_mul_f64 v[34:35], v[148:149], v[46:47]
	v_fmac_f64_e32 v[34:35], v[150:151], v[44:45]
	v_add_f64 v[0:1], v[0:1], v[34:35]
	v_mul_f64 v[34:35], v[226:227], v[158:159]
	v_fma_f64 v[34:35], v[224:225], v[156:157], -v[34:35]
	ds_read_b128 v[156:159], v2 offset:1712
	s_waitcnt vmcnt(8) lgkmcnt(1)
	v_mul_f64 v[164:165], v[152:153], v[62:63]
	v_fmac_f64_e32 v[164:165], v[154:155], v[60:61]
	v_mul_f64 v[162:163], v[230:231], v[162:163]
	v_fma_f64 v[234:235], v[228:229], v[160:161], -v[162:163]
	ds_read_b128 v[160:163], v2 offset:1728
	v_add_f64 v[0:1], v[0:1], v[164:165]
	s_waitcnt vmcnt(7) lgkmcnt(1)
	v_mul_f64 v[164:165], v[156:157], v[66:67]
	v_fmac_f64_e32 v[164:165], v[158:159], v[64:65]
	v_add_f64 v[0:1], v[0:1], v[164:165]
	ds_read_b128 v[164:167], v2 offset:1744
	v_mul_f64 v[170:171], v[238:239], v[170:171]
	v_fma_f64 v[236:237], v[236:237], v[168:169], -v[170:171]
	ds_read_b128 v[168:171], v2 offset:1760
	s_waitcnt vmcnt(6) lgkmcnt(2)
	v_mul_f64 v[176:177], v[160:161], v[70:71]
	v_fmac_f64_e32 v[176:177], v[162:163], v[68:69]
	v_add_f64 v[0:1], v[0:1], v[176:177]
	s_waitcnt vmcnt(5) lgkmcnt(1)
	v_mul_f64 v[176:177], v[164:165], v[74:75]
	v_fmac_f64_e32 v[176:177], v[166:167], v[72:73]
	v_mul_f64 v[174:175], v[250:251], v[174:175]
	v_add_f64 v[0:1], v[0:1], v[176:177]
	v_fma_f64 v[238:239], v[248:249], v[172:173], -v[174:175]
	ds_read_b128 v[172:175], v2 offset:1776
	s_waitcnt vmcnt(4) lgkmcnt(1)
	v_mul_f64 v[176:177], v[168:169], v[82:83]
	v_fmac_f64_e32 v[176:177], v[170:171], v[80:81]
	v_add_f64 v[0:1], v[0:1], v[176:177]
	ds_read_b128 v[176:179], v2 offset:1792
	v_mul_f64 v[182:183], v[254:255], v[182:183]
	v_fma_f64 v[248:249], v[252:253], v[180:181], -v[182:183]
	ds_read_b128 v[180:183], v2 offset:1808
	ds_read_b128 v[252:255], v2 offset:1824
	s_waitcnt vmcnt(3) lgkmcnt(3)
	v_mul_f64 v[188:189], v[172:173], v[78:79]
	v_fmac_f64_e32 v[188:189], v[174:175], v[76:77]
	v_add_f64 v[0:1], v[0:1], v[188:189]
	s_waitcnt vmcnt(2) lgkmcnt(2)
	v_mul_f64 v[188:189], v[176:177], v[94:95]
	v_fmac_f64_e32 v[188:189], v[178:179], v[92:93]
	v_add_f64 v[0:1], v[0:1], v[188:189]
	;; [unrolled: 4-line block ×4, first 2 shown]
	scratch_load_dwordx4 v[188:191], off, off offset:896
	ds_read_b128 v[192:195], v2 offset:1840
	ds_read_b128 v[200:203], v2 offset:1856
	;; [unrolled: 1-line block ×5, first 2 shown]
	s_waitcnt vmcnt(0) lgkmcnt(4)
	v_mul_f64 v[196:197], v[192:193], v[190:191]
	v_fmac_f64_e32 v[196:197], v[194:195], v[188:189]
	v_add_f64 v[0:1], v[0:1], v[196:197]
	scratch_load_dwordx4 v[196:199], off, off offset:912
	s_waitcnt vmcnt(0) lgkmcnt(3)
	v_mul_f64 v[204:205], v[200:201], v[198:199]
	v_fmac_f64_e32 v[204:205], v[202:203], v[196:197]
	v_add_f64 v[0:1], v[0:1], v[204:205]
	scratch_load_dwordx4 v[204:207], off, off offset:928
	;; [unrolled: 5-line block ×4, first 2 shown]
	s_waitcnt vmcnt(0) lgkmcnt(0)
	v_mul_f64 v[228:229], v[224:225], v[222:223]
	v_fmac_f64_e32 v[228:229], v[226:227], v[220:221]
	v_add_f64 v[0:1], v[0:1], v[228:229]
	v_add_f64 v[228:229], v[240:241], 0
	;; [unrolled: 1-line block ×9, first 2 shown]
	scratch_load_dwordx4 v[228:231], off, off offset:80
	v_add_f64 v[20:21], v[24:25], v[20:21]
	v_add_f64 v[16:17], v[20:21], v[16:17]
	;; [unrolled: 1-line block ×15, first 2 shown]
	v_accvgpr_read_b32 v8, a142
	v_add_f64 v[4:5], v[250:251], v[234:235]
	v_accvgpr_read_b32 v10, a144
	v_accvgpr_read_b32 v11, a145
	v_add_f64 v[4:5], v[4:5], v[236:237]
	v_accvgpr_read_b32 v9, a143
	v_mul_f64 v[6:7], v[86:87], v[10:11]
	v_add_f64 v[4:5], v[4:5], v[238:239]
	v_fma_f64 v[6:7], v[84:85], v[8:9], -v[6:7]
	v_accvgpr_read_b32 v8, a146
	v_add_f64 v[4:5], v[4:5], v[248:249]
	v_accvgpr_read_b32 v10, a148
	v_accvgpr_read_b32 v11, a149
	v_add_f64 v[4:5], v[4:5], v[6:7]
	v_accvgpr_read_b32 v9, a147
	v_mul_f64 v[6:7], v[98:99], v[10:11]
	v_fma_f64 v[6:7], v[96:97], v[8:9], -v[6:7]
	v_accvgpr_read_b32 v8, a150
	v_accvgpr_read_b32 v10, a152
	v_accvgpr_read_b32 v11, a153
	v_add_f64 v[4:5], v[4:5], v[6:7]
	v_accvgpr_read_b32 v9, a151
	v_mul_f64 v[6:7], v[106:107], v[10:11]
	v_fma_f64 v[6:7], v[104:105], v[8:9], -v[6:7]
	v_accvgpr_read_b32 v8, a122
	;; [unrolled: 7-line block ×6, first 2 shown]
	v_accvgpr_read_b32 v10, a140
	v_accvgpr_read_b32 v11, a141
	v_add_f64 v[4:5], v[4:5], v[6:7]
	v_accvgpr_read_b32 v9, a139
	v_mul_f64 v[6:7], v[126:127], v[10:11]
	v_fma_f64 v[6:7], v[124:125], v[8:9], -v[6:7]
	v_add_f64 v[4:5], v[4:5], v[6:7]
	v_mul_f64 v[6:7], v[130:131], v[58:59]
	v_fma_f64 v[6:7], v[128:129], v[56:57], -v[6:7]
	v_add_f64 v[4:5], v[4:5], v[6:7]
	v_mul_f64 v[6:7], v[134:135], v[42:43]
	v_fma_f64 v[6:7], v[132:133], v[40:41], -v[6:7]
	v_add_f64 v[4:5], v[4:5], v[6:7]
	v_mul_f64 v[6:7], v[138:139], v[50:51]
	v_fma_f64 v[6:7], v[136:137], v[48:49], -v[6:7]
	v_add_f64 v[4:5], v[4:5], v[6:7]
	v_mul_f64 v[6:7], v[142:143], v[38:39]
	v_fma_f64 v[6:7], v[140:141], v[36:37], -v[6:7]
	v_add_f64 v[4:5], v[4:5], v[6:7]
	v_mul_f64 v[6:7], v[146:147], v[54:55]
	v_fma_f64 v[6:7], v[144:145], v[52:53], -v[6:7]
	v_add_f64 v[4:5], v[4:5], v[6:7]
	v_mul_f64 v[6:7], v[150:151], v[46:47]
	v_fma_f64 v[6:7], v[148:149], v[44:45], -v[6:7]
	v_add_f64 v[4:5], v[4:5], v[6:7]
	v_mul_f64 v[6:7], v[154:155], v[62:63]
	v_fma_f64 v[6:7], v[152:153], v[60:61], -v[6:7]
	v_add_f64 v[4:5], v[4:5], v[6:7]
	v_mul_f64 v[6:7], v[158:159], v[66:67]
	v_fma_f64 v[6:7], v[156:157], v[64:65], -v[6:7]
	v_add_f64 v[4:5], v[4:5], v[6:7]
	v_mul_f64 v[6:7], v[162:163], v[70:71]
	v_fma_f64 v[6:7], v[160:161], v[68:69], -v[6:7]
	v_add_f64 v[4:5], v[4:5], v[6:7]
	v_mul_f64 v[6:7], v[166:167], v[74:75]
	v_fma_f64 v[6:7], v[164:165], v[72:73], -v[6:7]
	v_add_f64 v[4:5], v[4:5], v[6:7]
	v_mul_f64 v[6:7], v[170:171], v[82:83]
	v_fma_f64 v[6:7], v[168:169], v[80:81], -v[6:7]
	v_add_f64 v[4:5], v[4:5], v[6:7]
	v_mul_f64 v[6:7], v[174:175], v[78:79]
	v_fma_f64 v[6:7], v[172:173], v[76:77], -v[6:7]
	v_add_f64 v[4:5], v[4:5], v[6:7]
	v_mul_f64 v[6:7], v[178:179], v[94:95]
	v_fma_f64 v[6:7], v[176:177], v[92:93], -v[6:7]
	v_add_f64 v[4:5], v[4:5], v[6:7]
	v_mul_f64 v[6:7], v[182:183], v[90:91]
	v_fma_f64 v[6:7], v[180:181], v[88:89], -v[6:7]
	v_add_f64 v[4:5], v[4:5], v[6:7]
	v_mul_f64 v[6:7], v[254:255], v[102:103]
	v_fma_f64 v[6:7], v[252:253], v[100:101], -v[6:7]
	v_add_f64 v[4:5], v[4:5], v[6:7]
	v_mul_f64 v[6:7], v[194:195], v[190:191]
	v_fma_f64 v[6:7], v[192:193], v[188:189], -v[6:7]
	v_add_f64 v[4:5], v[4:5], v[6:7]
	v_mul_f64 v[6:7], v[202:203], v[198:199]
	v_fma_f64 v[6:7], v[200:201], v[196:197], -v[6:7]
	v_add_f64 v[4:5], v[4:5], v[6:7]
	v_mul_f64 v[6:7], v[210:211], v[206:207]
	v_fma_f64 v[6:7], v[208:209], v[204:205], -v[6:7]
	v_add_f64 v[4:5], v[4:5], v[6:7]
	v_mul_f64 v[6:7], v[218:219], v[214:215]
	v_fma_f64 v[6:7], v[216:217], v[212:213], -v[6:7]
	v_add_f64 v[4:5], v[4:5], v[6:7]
	v_mul_f64 v[6:7], v[226:227], v[222:223]
	v_fma_f64 v[6:7], v[224:225], v[220:221], -v[6:7]
	v_add_f64 v[4:5], v[4:5], v[6:7]
	s_waitcnt vmcnt(0)
	v_add_f64 v[6:7], v[230:231], -v[0:1]
	v_accvgpr_read_b32 v0, a120
	v_add_f64 v[4:5], v[228:229], -v[4:5]
	v_cmp_lt_u32_e32 vcc, 3, v0
	scratch_store_dwordx4 off, v[4:7], off offset:80
	s_and_saveexec_b64 s[0:1], vcc
	s_cbranch_execz .LBB123_367
; %bb.366:
	scratch_load_dwordx4 v[6:9], off, s73
	v_mov_b32_e32 v3, v2
	v_mov_b32_e32 v4, v2
	;; [unrolled: 1-line block ×3, first 2 shown]
	v_accvgpr_read_b32 v0, a121
	scratch_store_dwordx4 off, v[2:5], off offset:64
	s_waitcnt vmcnt(1)
	ds_write_b128 v0, v[6:9]
.LBB123_367:
	s_or_b64 exec, exec, s[0:1]
	s_waitcnt lgkmcnt(0)
	; wave barrier
	scratch_load_dwordx4 v[16:19], off, off offset:80
	scratch_load_dwordx4 v[20:23], off, off offset:96
	;; [unrolled: 1-line block ×17, first 2 shown]
	ds_read_b128 v[112:115], v2 offset:1024
	ds_read_b128 v[96:99], v2 offset:1040
	ds_read_b128 v[84:87], v2 offset:1056
	scratch_load_dwordx4 v[120:123], off, off offset:352
	ds_read_b128 v[184:187], v2 offset:1072
	ds_read_b128 v[140:143], v2 offset:1088
	ds_read_b128 v[104:107], v2 offset:1104
	scratch_load_dwordx4 v[132:135], off, off offset:368
	;; [unrolled: 4-line block ×3, first 2 shown]
	ds_read_b128 v[200:203], v2 offset:1168
	ds_read_b128 v[192:195], v2 offset:1184
	;; [unrolled: 1-line block ×5, first 2 shown]
	scratch_load_dwordx4 v[144:147], off, off offset:400
	ds_read_b128 v[180:183], v2 offset:1248
	ds_read_b128 v[152:155], v2 offset:1264
	;; [unrolled: 1-line block ×3, first 2 shown]
	scratch_load_dwordx4 v[148:151], off, off offset:416
	scratch_load_dwordx4 v[156:159], off, off offset:432
	;; [unrolled: 1-line block ×13, first 2 shown]
	ds_read_b128 v[204:207], v2 offset:1296
	scratch_load_dwordx4 a[138:141], off, off offset:624
	scratch_load_dwordx4 a[142:145], off, off offset:640
	ds_read_b128 v[228:231], v2 offset:1392
	ds_read_b128 v[232:235], v2 offset:1408
	;; [unrolled: 1-line block ×4, first 2 shown]
	s_waitcnt vmcnt(35) lgkmcnt(14)
	v_mul_f64 v[0:1], v[112:113], v[18:19]
	s_waitcnt vmcnt(34)
	v_mul_f64 v[48:49], v[96:97], v[22:23]
	v_fmac_f64_e32 v[0:1], v[114:115], v[16:17]
	s_waitcnt vmcnt(33)
	v_mul_f64 v[50:51], v[84:85], v[26:27]
	v_fmac_f64_e32 v[48:49], v[98:99], v[20:21]
	v_add_f64 v[0:1], v[0:1], 0
	s_waitcnt vmcnt(32)
	v_mul_f64 v[56:57], v[184:185], v[30:31]
	v_fmac_f64_e32 v[50:51], v[86:87], v[24:25]
	v_add_f64 v[0:1], v[0:1], v[48:49]
	;; [unrolled: 4-line block ×6, first 2 shown]
	s_waitcnt vmcnt(27) lgkmcnt(13)
	v_mul_f64 v[210:211], v[108:109], v[54:55]
	v_fmac_f64_e32 v[208:209], v[166:167], v[44:45]
	v_add_f64 v[0:1], v[0:1], v[66:67]
	s_waitcnt vmcnt(26) lgkmcnt(12)
	v_mul_f64 v[212:213], v[200:201], v[62:63]
	v_fmac_f64_e32 v[210:211], v[110:111], v[52:53]
	v_add_f64 v[0:1], v[0:1], v[208:209]
	;; [unrolled: 4-line block ×8, first 2 shown]
	ds_read_b128 v[208:211], v2 offset:1312
	v_fmac_f64_e32 v[224:225], v[154:155], v[92:93]
	v_add_f64 v[0:1], v[0:1], v[222:223]
	s_waitcnt vmcnt(19) lgkmcnt(6)
	v_mul_f64 v[48:49], v[128:129], v[102:103]
	ds_read_b128 v[212:215], v2 offset:1328
	ds_read_b128 v[216:219], v2 offset:1344
	v_add_f64 v[0:1], v[0:1], v[224:225]
	v_fmac_f64_e32 v[48:49], v[130:131], v[100:101]
	v_add_f64 v[0:1], v[0:1], v[48:49]
	s_waitcnt vmcnt(18) lgkmcnt(7)
	v_mul_f64 v[48:49], v[204:205], v[122:123]
	v_fmac_f64_e32 v[48:49], v[206:207], v[120:121]
	ds_read_b128 v[220:223], v2 offset:1360
	ds_read_b128 v[224:227], v2 offset:1376
	v_add_f64 v[0:1], v[0:1], v[48:49]
	s_waitcnt vmcnt(17) lgkmcnt(4)
	v_mul_f64 v[48:49], v[208:209], v[134:135]
	v_fmac_f64_e32 v[48:49], v[210:211], v[132:133]
	s_waitcnt vmcnt(16) lgkmcnt(3)
	v_mul_f64 v[56:57], v[212:213], v[138:139]
	v_add_f64 v[0:1], v[0:1], v[48:49]
	v_fmac_f64_e32 v[56:57], v[214:215], v[136:137]
	s_waitcnt vmcnt(15) lgkmcnt(2)
	v_mul_f64 v[64:65], v[216:217], v[146:147]
	v_add_f64 v[0:1], v[0:1], v[56:57]
	v_fmac_f64_e32 v[64:65], v[218:219], v[144:145]
	v_add_f64 v[0:1], v[0:1], v[64:65]
	s_waitcnt vmcnt(14) lgkmcnt(1)
	v_mul_f64 v[64:65], v[220:221], v[150:151]
	v_fmac_f64_e32 v[64:65], v[222:223], v[148:149]
	v_add_f64 v[0:1], v[0:1], v[64:65]
	s_waitcnt vmcnt(13) lgkmcnt(0)
	v_mul_f64 v[64:65], v[224:225], v[158:159]
	v_fmac_f64_e32 v[64:65], v[226:227], v[156:157]
	v_mul_f64 v[30:31], v[186:187], v[30:31]
	v_add_f64 v[0:1], v[0:1], v[64:65]
	v_fma_f64 v[246:247], v[184:185], v[28:29], -v[30:31]
	scratch_load_dwordx4 v[64:67], off, off offset:656
	scratch_load_dwordx4 v[184:187], off, off offset:672
	s_waitcnt vmcnt(14)
	v_mul_f64 v[240:241], v[228:229], v[162:163]
	v_mul_f64 v[26:27], v[86:87], v[26:27]
	v_fmac_f64_e32 v[240:241], v[230:231], v[160:161]
	v_fma_f64 v[244:245], v[84:85], v[24:25], -v[26:27]
	ds_read_b128 v[84:87], v2 offset:1456
	v_add_f64 v[0:1], v[0:1], v[240:241]
	s_waitcnt vmcnt(13)
	v_mul_f64 v[240:241], v[232:233], v[170:171]
	v_fmac_f64_e32 v[240:241], v[234:235], v[168:169]
	v_mul_f64 v[18:19], v[114:115], v[18:19]
	v_add_f64 v[0:1], v[0:1], v[240:241]
	v_fma_f64 v[240:241], v[112:113], v[16:17], -v[18:19]
	s_waitcnt vmcnt(12)
	v_mul_f64 v[112:113], v[236:237], v[174:175]
	v_fmac_f64_e32 v[112:113], v[238:239], v[172:173]
	v_mul_f64 v[22:23], v[98:99], v[22:23]
	s_waitcnt vmcnt(11)
	v_mul_f64 v[28:29], v[250:251], v[198:199]
	v_mul_f64 v[38:39], v[106:107], v[38:39]
	v_add_f64 v[0:1], v[0:1], v[112:113]
	v_fma_f64 v[242:243], v[96:97], v[20:21], -v[22:23]
	v_fmac_f64_e32 v[28:29], v[252:253], v[196:197]
	v_fma_f64 v[248:249], v[104:105], v[36:37], -v[38:39]
	ds_read_b128 v[104:107], v2 offset:1488
	s_waitcnt vmcnt(10) lgkmcnt(1)
	v_mul_f64 v[96:97], v[84:85], v[6:7]
	v_add_f64 v[0:1], v[0:1], v[28:29]
	v_fmac_f64_e32 v[96:97], v[86:87], v[4:5]
	scratch_load_dwordx4 v[56:59], off, off offset:688
	v_mul_f64 v[42:43], v[190:191], v[42:43]
	v_add_f64 v[0:1], v[0:1], v[96:97]
	ds_read_b128 v[96:99], v2 offset:1472
	ds_read_b128 v[112:115], v2 offset:1520
	v_fma_f64 v[42:43], v[188:189], v[40:41], -v[42:43]
	v_mul_f64 v[40:41], v[166:167], v[46:47]
	v_fma_f64 v[36:37], v[164:165], v[44:45], -v[40:41]
	scratch_load_dwordx4 v[44:47], off, off offset:704
	v_accvgpr_write_b32 a149, v7
	v_accvgpr_write_b32 a148, v6
	;; [unrolled: 1-line block ×4, first 2 shown]
	s_waitcnt vmcnt(11) lgkmcnt(1)
	v_mul_f64 v[6:7], v[96:97], v[10:11]
	v_fmac_f64_e32 v[6:7], v[98:99], v[8:9]
	v_accvgpr_write_b32 a153, v11
	v_mul_f64 v[34:35], v[142:143], v[34:35]
	v_accvgpr_write_b32 a152, v10
	v_accvgpr_write_b32 a151, v9
	;; [unrolled: 1-line block ×3, first 2 shown]
	v_add_f64 v[0:1], v[0:1], v[6:7]
	scratch_load_dwordx4 v[48:51], off, off offset:720
	v_mul_f64 v[6:7], v[110:111], v[54:55]
	s_waitcnt vmcnt(11)
	v_mul_f64 v[10:11], v[104:105], v[14:15]
	v_fma_f64 v[254:255], v[140:141], v[32:33], -v[34:35]
	v_fma_f64 v[32:33], v[108:109], v[52:53], -v[6:7]
	v_fmac_f64_e32 v[10:11], v[106:107], v[12:13]
	scratch_load_dwordx4 v[52:55], off, off offset:736
	v_add_f64 v[0:1], v[0:1], v[10:11]
	v_mul_f64 v[10:11], v[202:203], v[62:63]
	ds_read_b128 v[108:111], v2 offset:1504
	v_fma_f64 v[28:29], v[200:201], v[60:61], -v[10:11]
	scratch_load_dwordx4 v[60:63], off, off offset:752
	v_mul_f64 v[70:71], v[194:195], v[70:71]
	v_fma_f64 v[24:25], v[192:193], v[68:69], -v[70:71]
	v_mul_f64 v[68:69], v[178:179], v[74:75]
	s_waitcnt vmcnt(12)
	v_accvgpr_read_b32 v4, a122
	v_fma_f64 v[20:21], v[176:177], v[72:73], -v[68:69]
	scratch_load_dwordx4 v[68:71], off, off offset:768
	v_accvgpr_write_b32 a157, v15
	v_accvgpr_read_b32 v6, a124
	v_accvgpr_read_b32 v7, a125
	v_accvgpr_write_b32 a156, v14
	v_accvgpr_write_b32 a155, v13
	;; [unrolled: 1-line block ×3, first 2 shown]
	v_accvgpr_read_b32 v5, a123
	s_waitcnt lgkmcnt(0)
	v_mul_f64 v[14:15], v[108:109], v[6:7]
	v_fmac_f64_e32 v[14:15], v[110:111], v[4:5]
	s_waitcnt vmcnt(12)
	v_accvgpr_read_b32 v4, a126
	v_accvgpr_read_b32 v6, a128
	;; [unrolled: 1-line block ×3, first 2 shown]
	v_add_f64 v[0:1], v[0:1], v[14:15]
	v_accvgpr_read_b32 v5, a127
	v_mul_f64 v[14:15], v[112:113], v[6:7]
	scratch_load_dwordx4 v[72:75], off, off offset:784
	v_fmac_f64_e32 v[14:15], v[114:115], v[4:5]
	v_add_f64 v[0:1], v[0:1], v[14:15]
	v_mul_f64 v[14:15], v[118:119], v[78:79]
	v_fma_f64 v[16:17], v[116:117], v[76:77], -v[14:15]
	ds_read_b128 v[116:119], v2 offset:1536
	v_mul_f64 v[18:19], v[126:127], v[82:83]
	v_fma_f64 v[18:19], v[124:125], v[80:81], -v[18:19]
	scratch_load_dwordx4 v[80:83], off, off offset:800
	scratch_load_dwordx4 v[76:79], off, off offset:816
	s_waitcnt vmcnt(14)
	v_accvgpr_read_b32 v4, a130
	v_accvgpr_read_b32 v6, a132
	;; [unrolled: 1-line block ×4, first 2 shown]
	s_waitcnt lgkmcnt(0)
	v_mul_f64 v[22:23], v[116:117], v[6:7]
	v_fmac_f64_e32 v[22:23], v[118:119], v[4:5]
	v_mul_f64 v[90:91], v[182:183], v[90:91]
	v_add_f64 v[0:1], v[0:1], v[22:23]
	v_mul_f64 v[22:23], v[154:155], v[94:95]
	v_fma_f64 v[14:15], v[180:181], v[88:89], -v[90:91]
	ds_read_b128 v[124:127], v2 offset:1552
	v_fma_f64 v[22:23], v[152:153], v[92:93], -v[22:23]
	scratch_load_dwordx4 v[92:95], off, off offset:832
	scratch_load_dwordx4 v[88:91], off, off offset:848
	v_mul_f64 v[102:103], v[130:131], v[102:103]
	v_fma_f64 v[12:13], v[128:129], v[100:101], -v[102:103]
	scratch_load_dwordx4 v[100:103], off, off offset:864
	s_waitcnt vmcnt(16)
	v_accvgpr_read_b32 v4, a134
	v_accvgpr_read_b32 v6, a136
	;; [unrolled: 1-line block ×3, first 2 shown]
	ds_read_b128 v[128:131], v2 offset:1568
	v_accvgpr_read_b32 v5, a135
	s_waitcnt lgkmcnt(1)
	v_mul_f64 v[26:27], v[124:125], v[6:7]
	v_fmac_f64_e32 v[26:27], v[126:127], v[4:5]
	v_add_f64 v[0:1], v[0:1], v[26:27]
	v_mul_f64 v[26:27], v[206:207], v[122:123]
	v_fma_f64 v[26:27], v[204:205], v[120:121], -v[26:27]
	ds_read_b128 v[120:123], v2 offset:1584
	s_waitcnt vmcnt(15)
	v_accvgpr_read_b32 v4, a138
	v_accvgpr_read_b32 v6, a140
	;; [unrolled: 1-line block ×3, first 2 shown]
	v_mul_f64 v[134:135], v[210:211], v[134:135]
	v_accvgpr_read_b32 v5, a139
	s_waitcnt lgkmcnt(1)
	v_mul_f64 v[140:141], v[128:129], v[6:7]
	v_fma_f64 v[10:11], v[208:209], v[132:133], -v[134:135]
	ds_read_b128 v[132:135], v2 offset:1600
	v_fmac_f64_e32 v[140:141], v[130:131], v[4:5]
	s_waitcnt vmcnt(14)
	v_accvgpr_read_b32 v4, a142
	v_mul_f64 v[138:139], v[214:215], v[138:139]
	v_accvgpr_read_b32 v6, a144
	v_accvgpr_read_b32 v7, a145
	v_fma_f64 v[8:9], v[212:213], v[136:137], -v[138:139]
	ds_read_b128 v[136:139], v2 offset:1616
	v_accvgpr_read_b32 v5, a143
	s_waitcnt lgkmcnt(2)
	v_mul_f64 v[30:31], v[120:121], v[6:7]
	v_add_f64 v[0:1], v[0:1], v[140:141]
	v_fmac_f64_e32 v[30:31], v[122:123], v[4:5]
	v_add_f64 v[0:1], v[0:1], v[30:31]
	s_waitcnt vmcnt(13) lgkmcnt(1)
	v_mul_f64 v[30:31], v[132:133], v[66:67]
	s_waitcnt vmcnt(12)
	v_mov_b64_e32 v[4:5], v[184:185]
	v_fmac_f64_e32 v[30:31], v[134:135], v[64:65]
	v_mov_b64_e32 v[6:7], v[186:187]
	v_add_f64 v[0:1], v[0:1], v[30:31]
	s_waitcnt lgkmcnt(0)
	v_mul_f64 v[30:31], v[136:137], v[6:7]
	v_fmac_f64_e32 v[30:31], v[138:139], v[4:5]
	ds_read_b128 v[140:143], v2 offset:1632
	v_add_f64 v[0:1], v[0:1], v[30:31]
	v_mul_f64 v[30:31], v[218:219], v[146:147]
	v_fma_f64 v[30:31], v[216:217], v[144:145], -v[30:31]
	ds_read_b128 v[144:147], v2 offset:1648
	s_waitcnt vmcnt(11) lgkmcnt(1)
	v_mul_f64 v[34:35], v[140:141], v[58:59]
	v_fmac_f64_e32 v[34:35], v[142:143], v[56:57]
	v_add_f64 v[0:1], v[0:1], v[34:35]
	v_mul_f64 v[34:35], v[222:223], v[150:151]
	s_waitcnt vmcnt(10) lgkmcnt(0)
	v_mul_f64 v[152:153], v[144:145], v[46:47]
	v_fma_f64 v[34:35], v[220:221], v[148:149], -v[34:35]
	ds_read_b128 v[148:151], v2 offset:1664
	v_fmac_f64_e32 v[152:153], v[146:147], v[44:45]
	v_add_f64 v[0:1], v[0:1], v[152:153]
	ds_read_b128 v[152:155], v2 offset:1680
	v_mul_f64 v[158:159], v[226:227], v[158:159]
	v_fma_f64 v[6:7], v[224:225], v[156:157], -v[158:159]
	ds_read_b128 v[156:159], v2 offset:1696
	v_mul_f64 v[162:163], v[230:231], v[162:163]
	s_waitcnt vmcnt(9) lgkmcnt(2)
	v_mul_f64 v[164:165], v[148:149], v[50:51]
	v_fma_f64 v[4:5], v[228:229], v[160:161], -v[162:163]
	ds_read_b128 v[160:163], v2 offset:1712
	v_fmac_f64_e32 v[164:165], v[150:151], v[48:49]
	s_waitcnt vmcnt(8) lgkmcnt(2)
	v_mul_f64 v[38:39], v[152:153], v[54:55]
	v_add_f64 v[0:1], v[0:1], v[164:165]
	v_fmac_f64_e32 v[38:39], v[154:155], v[52:53]
	v_add_f64 v[0:1], v[0:1], v[38:39]
	s_waitcnt vmcnt(7) lgkmcnt(1)
	v_mul_f64 v[38:39], v[156:157], v[62:63]
	v_fmac_f64_e32 v[38:39], v[158:159], v[60:61]
	v_add_f64 v[0:1], v[0:1], v[38:39]
	s_waitcnt vmcnt(6) lgkmcnt(0)
	v_mul_f64 v[38:39], v[160:161], v[70:71]
	ds_read_b128 v[164:167], v2 offset:1728
	v_fmac_f64_e32 v[38:39], v[162:163], v[68:69]
	v_add_f64 v[0:1], v[0:1], v[38:39]
	v_mul_f64 v[38:39], v[234:235], v[170:171]
	v_fma_f64 v[38:39], v[232:233], v[168:169], -v[38:39]
	ds_read_b128 v[168:171], v2 offset:1744
	s_waitcnt vmcnt(5) lgkmcnt(1)
	v_mul_f64 v[40:41], v[164:165], v[74:75]
	v_fmac_f64_e32 v[40:41], v[166:167], v[72:73]
	v_add_f64 v[40:41], v[0:1], v[40:41]
	v_mul_f64 v[0:1], v[238:239], v[174:175]
	v_fma_f64 v[0:1], v[236:237], v[172:173], -v[0:1]
	ds_read_b128 v[172:175], v2 offset:1760
	s_waitcnt vmcnt(4) lgkmcnt(1)
	v_mul_f64 v[176:177], v[168:169], v[82:83]
	v_fmac_f64_e32 v[176:177], v[170:171], v[80:81]
	v_add_f64 v[40:41], v[40:41], v[176:177]
	ds_read_b128 v[176:179], v2 offset:1776
	v_mul_f64 v[180:181], v[252:253], v[198:199]
	v_accvgpr_write_b32 a158, v184
	v_fma_f64 v[250:251], v[250:251], v[196:197], -v[180:181]
	ds_read_b128 v[180:183], v2 offset:1792
	ds_read_b128 v[192:195], v2 offset:1824
	v_accvgpr_write_b32 a159, v185
	v_accvgpr_write_b32 a160, v186
	;; [unrolled: 1-line block ×3, first 2 shown]
	s_waitcnt vmcnt(3) lgkmcnt(3)
	v_mul_f64 v[184:185], v[172:173], v[78:79]
	v_fmac_f64_e32 v[184:185], v[174:175], v[76:77]
	v_add_f64 v[40:41], v[40:41], v[184:185]
	s_waitcnt vmcnt(2) lgkmcnt(2)
	v_mul_f64 v[184:185], v[176:177], v[94:95]
	v_fmac_f64_e32 v[184:185], v[178:179], v[92:93]
	v_add_f64 v[40:41], v[40:41], v[184:185]
	;; [unrolled: 4-line block ×3, first 2 shown]
	ds_read_b128 v[184:187], v2 offset:1808
	ds_read_b128 v[200:203], v2 offset:1840
	scratch_load_dwordx4 v[236:239], off, off offset:64
	scratch_load_dwordx4 v[232:235], off, off offset:960
	ds_read_b128 v[208:211], v2 offset:1856
	ds_read_b128 v[216:219], v2 offset:1872
	s_waitcnt vmcnt(2) lgkmcnt(3)
	v_mul_f64 v[188:189], v[184:185], v[102:103]
	v_fmac_f64_e32 v[188:189], v[186:187], v[100:101]
	v_add_f64 v[40:41], v[40:41], v[188:189]
	scratch_load_dwordx4 v[188:191], off, off offset:880
	ds_read_b128 v[224:227], v2 offset:1888
	s_waitcnt vmcnt(0)
	v_mul_f64 v[196:197], v[192:193], v[190:191]
	v_fmac_f64_e32 v[196:197], v[194:195], v[188:189]
	v_add_f64 v[40:41], v[40:41], v[196:197]
	scratch_load_dwordx4 v[196:199], off, off offset:896
	s_waitcnt vmcnt(0) lgkmcnt(3)
	v_mul_f64 v[204:205], v[200:201], v[198:199]
	v_fmac_f64_e32 v[204:205], v[202:203], v[196:197]
	v_add_f64 v[40:41], v[40:41], v[204:205]
	scratch_load_dwordx4 v[204:207], off, off offset:912
	s_waitcnt vmcnt(0) lgkmcnt(2)
	;; [unrolled: 5-line block ×4, first 2 shown]
	v_mul_f64 v[228:229], v[224:225], v[222:223]
	v_fmac_f64_e32 v[228:229], v[226:227], v[220:221]
	v_add_f64 v[40:41], v[40:41], v[228:229]
	ds_read_b128 v[228:231], v2 offset:1904
	s_waitcnt lgkmcnt(0)
	v_mul_f64 v[2:3], v[228:229], v[234:235]
	v_fmac_f64_e32 v[2:3], v[230:231], v[232:233]
	v_add_f64 v[2:3], v[40:41], v[2:3]
	v_add_f64 v[40:41], v[240:241], 0
	;; [unrolled: 1-line block ×25, first 2 shown]
	v_accvgpr_read_b32 v6, a146
	v_accvgpr_read_b32 v8, a148
	v_accvgpr_read_b32 v9, a149
	v_add_f64 v[252:253], v[4:5], v[38:39]
	v_accvgpr_read_b32 v7, a147
	v_mul_f64 v[4:5], v[86:87], v[8:9]
	v_add_f64 v[0:1], v[252:253], v[0:1]
	v_fma_f64 v[4:5], v[84:85], v[6:7], -v[4:5]
	v_accvgpr_read_b32 v6, a150
	v_add_f64 v[0:1], v[0:1], v[250:251]
	v_accvgpr_read_b32 v8, a152
	v_accvgpr_read_b32 v9, a153
	v_add_f64 v[0:1], v[0:1], v[4:5]
	v_accvgpr_read_b32 v7, a151
	v_mul_f64 v[4:5], v[98:99], v[8:9]
	v_fma_f64 v[4:5], v[96:97], v[6:7], -v[4:5]
	v_accvgpr_read_b32 v6, a154
	v_accvgpr_read_b32 v8, a156
	v_accvgpr_read_b32 v9, a157
	v_add_f64 v[0:1], v[0:1], v[4:5]
	v_accvgpr_read_b32 v7, a155
	v_mul_f64 v[4:5], v[106:107], v[8:9]
	v_fma_f64 v[4:5], v[104:105], v[6:7], -v[4:5]
	v_accvgpr_read_b32 v6, a122
	;; [unrolled: 7-line block ×7, first 2 shown]
	v_accvgpr_read_b32 v8, a144
	v_accvgpr_read_b32 v9, a145
	v_add_f64 v[0:1], v[0:1], v[4:5]
	v_accvgpr_read_b32 v7, a143
	v_mul_f64 v[4:5], v[122:123], v[8:9]
	v_fma_f64 v[4:5], v[120:121], v[6:7], -v[4:5]
	v_add_f64 v[0:1], v[0:1], v[4:5]
	v_mul_f64 v[4:5], v[134:135], v[66:67]
	v_accvgpr_read_b32 v6, a158
	v_fma_f64 v[4:5], v[132:133], v[64:65], -v[4:5]
	v_accvgpr_read_b32 v8, a160
	v_accvgpr_read_b32 v9, a161
	v_add_f64 v[0:1], v[0:1], v[4:5]
	v_accvgpr_read_b32 v7, a159
	v_mul_f64 v[4:5], v[138:139], v[8:9]
	v_fma_f64 v[4:5], v[136:137], v[6:7], -v[4:5]
	v_add_f64 v[0:1], v[0:1], v[4:5]
	v_mul_f64 v[4:5], v[142:143], v[58:59]
	v_fma_f64 v[4:5], v[140:141], v[56:57], -v[4:5]
	v_add_f64 v[0:1], v[0:1], v[4:5]
	;; [unrolled: 3-line block ×19, first 2 shown]
	v_add_f64 v[4:5], v[236:237], -v[0:1]
	v_accvgpr_read_b32 v0, a120
	v_add_f64 v[6:7], v[238:239], -v[2:3]
	v_cmp_lt_u32_e32 vcc, 2, v0
	scratch_store_dwordx4 off, v[4:7], off offset:64
	s_and_saveexec_b64 s[0:1], vcc
	s_cbranch_execz .LBB123_369
; %bb.368:
	scratch_load_dwordx4 v[2:5], off, s74
	v_mov_b32_e32 v6, 0
	v_mov_b32_e32 v7, v6
	;; [unrolled: 1-line block ×4, first 2 shown]
	v_accvgpr_read_b32 v0, a121
	scratch_store_dwordx4 off, v[6:9], off offset:48
	s_waitcnt vmcnt(1)
	ds_write_b128 v0, v[2:5]
.LBB123_369:
	s_or_b64 exec, exec, s[0:1]
	s_waitcnt lgkmcnt(0)
	; wave barrier
	scratch_load_dwordx4 v[24:27], off, off offset:64
	scratch_load_dwordx4 v[28:31], off, off offset:80
	;; [unrolled: 1-line block ×30, first 2 shown]
	v_mov_b32_e32 v2, 0
	ds_read_b128 v[80:83], v2 offset:1008
	ds_read_b128 v[96:99], v2 offset:1024
	;; [unrolled: 1-line block ×17, first 2 shown]
	scratch_load_dwordx4 a[126:129], off, off offset:544
	scratch_load_dwordx4 a[130:133], off, off offset:560
	;; [unrolled: 1-line block ×6, first 2 shown]
	ds_read_b128 v[224:227], v2 offset:1344
	ds_read_b128 v[228:231], v2 offset:1360
	;; [unrolled: 1-line block ×6, first 2 shown]
	scratch_load_dwordx4 a[150:153], off, off offset:640
	ds_read_b128 v[242:245], v2 offset:1440
	ds_read_b128 v[220:223], v2 offset:1328
	s_waitcnt vmcnt(36) lgkmcnt(14)
	v_mul_f64 v[0:1], v[80:81], v[26:27]
	s_waitcnt vmcnt(35)
	v_mul_f64 v[4:5], v[96:97], v[30:31]
	v_fmac_f64_e32 v[0:1], v[82:83], v[24:25]
	s_waitcnt vmcnt(34)
	v_mul_f64 v[6:7], v[100:101], v[34:35]
	v_fmac_f64_e32 v[4:5], v[98:99], v[28:29]
	v_add_f64 v[0:1], v[0:1], 0
	s_waitcnt vmcnt(33)
	v_mul_f64 v[8:9], v[104:105], v[38:39]
	v_fmac_f64_e32 v[6:7], v[102:103], v[32:33]
	v_add_f64 v[0:1], v[0:1], v[4:5]
	;; [unrolled: 4-line block ×9, first 2 shown]
	s_waitcnt vmcnt(25) lgkmcnt(13)
	v_mul_f64 v[208:209], v[184:185], v[70:71]
	v_fmac_f64_e32 v[22:23], v[182:183], v[64:65]
	v_add_f64 v[0:1], v[0:1], v[20:21]
	s_waitcnt vmcnt(24) lgkmcnt(12)
	v_mul_f64 v[210:211], v[188:189], v[74:75]
	v_fmac_f64_e32 v[208:209], v[186:187], v[68:69]
	v_add_f64 v[0:1], v[0:1], v[22:23]
	;; [unrolled: 4-line block ×4, first 2 shown]
	ds_read_b128 v[208:211], v2 offset:1280
	v_fmac_f64_e32 v[214:215], v[198:199], v[84:85]
	v_add_f64 v[0:1], v[0:1], v[212:213]
	s_waitcnt vmcnt(21) lgkmcnt(10)
	v_mul_f64 v[216:217], v[200:201], v[90:91]
	v_add_f64 v[0:1], v[0:1], v[214:215]
	ds_read_b128 v[212:215], v2 offset:1296
	v_fmac_f64_e32 v[216:217], v[202:203], v[88:89]
	s_waitcnt vmcnt(20) lgkmcnt(10)
	v_mul_f64 v[4:5], v[204:205], v[94:95]
	v_add_f64 v[0:1], v[0:1], v[216:217]
	v_fmac_f64_e32 v[4:5], v[206:207], v[92:93]
	ds_read_b128 v[216:219], v2 offset:1312
	v_add_f64 v[0:1], v[0:1], v[4:5]
	s_waitcnt vmcnt(19) lgkmcnt(2)
	v_mul_f64 v[4:5], v[208:209], v[122:123]
	v_fmac_f64_e32 v[4:5], v[210:211], v[120:121]
	v_add_f64 v[0:1], v[0:1], v[4:5]
	s_waitcnt vmcnt(18) lgkmcnt(1)
	v_mul_f64 v[4:5], v[212:213], v[126:127]
	v_fmac_f64_e32 v[4:5], v[214:215], v[124:125]
	v_add_f64 v[0:1], v[0:1], v[4:5]
	s_waitcnt vmcnt(17) lgkmcnt(0)
	v_mul_f64 v[4:5], v[216:217], v[130:131]
	v_fmac_f64_e32 v[4:5], v[218:219], v[128:129]
	v_add_f64 v[0:1], v[0:1], v[4:5]
	s_waitcnt vmcnt(16)
	v_mul_f64 v[4:5], v[220:221], v[134:135]
	v_fmac_f64_e32 v[4:5], v[222:223], v[132:133]
	v_add_f64 v[0:1], v[0:1], v[4:5]
	s_waitcnt vmcnt(15)
	v_mul_f64 v[4:5], v[224:225], v[138:139]
	v_fmac_f64_e32 v[4:5], v[226:227], v[136:137]
	;; [unrolled: 4-line block ×3, first 2 shown]
	v_add_f64 v[0:1], v[0:1], v[4:5]
	v_mul_f64 v[4:5], v[82:83], v[26:27]
	v_fma_f64 v[240:241], v[80:81], v[24:25], -v[4:5]
	s_waitcnt vmcnt(13)
	v_mul_f64 v[4:5], v[232:233], v[146:147]
	v_fmac_f64_e32 v[4:5], v[234:235], v[144:145]
	v_add_f64 v[0:1], v[0:1], v[4:5]
	s_waitcnt vmcnt(12)
	v_mul_f64 v[4:5], v[236:237], v[154:155]
	v_fmac_f64_e32 v[4:5], v[238:239], v[152:153]
	v_add_f64 v[0:1], v[0:1], v[4:5]
	;; [unrolled: 4-line block ×3, first 2 shown]
	v_mul_f64 v[4:5], v[98:99], v[30:31]
	v_fma_f64 v[246:247], v[96:97], v[28:29], -v[4:5]
	v_mul_f64 v[4:5], v[102:103], v[34:35]
	v_fma_f64 v[32:33], v[100:101], v[32:33], -v[4:5]
	;; [unrolled: 2-line block ×3, first 2 shown]
	s_waitcnt vmcnt(10)
	v_mul_f64 v[4:5], v[252:253], v[166:167]
	v_fmac_f64_e32 v[4:5], v[254:255], v[164:165]
	v_add_f64 v[0:1], v[0:1], v[4:5]
	ds_read_b128 v[80:83], v2 offset:1472
	s_waitcnt vmcnt(9)
	v_mul_f64 v[4:5], v[242:243], v[170:171]
	v_fmac_f64_e32 v[4:5], v[244:245], v[168:169]
	scratch_load_dwordx4 v[36:39], off, off offset:656
	v_add_f64 v[0:1], v[0:1], v[4:5]
	v_mul_f64 v[4:5], v[110:111], v[42:43]
	v_fma_f64 v[24:25], v[108:109], v[40:41], -v[4:5]
	v_mul_f64 v[40:41], v[118:119], v[50:51]
	ds_read_b128 v[4:7], v2 offset:1456
	ds_read_b128 v[96:99], v2 offset:1488
	v_fma_f64 v[16:17], v[116:117], v[48:49], -v[40:41]
	scratch_load_dwordx4 v[40:43], off, off offset:672
	v_mul_f64 v[14:15], v[114:115], v[46:47]
	v_fma_f64 v[20:21], v[112:113], v[44:45], -v[14:15]
	v_mul_f64 v[44:45], v[150:151], v[54:55]
	s_waitcnt vmcnt(10) lgkmcnt(1)
	v_mul_f64 v[18:19], v[4:5], v[178:179]
	s_waitcnt vmcnt(9)
	v_accvgpr_read_b32 v8, a122
	v_fma_f64 v[14:15], v[148:149], v[52:53], -v[44:45]
	scratch_load_dwordx4 v[44:47], off, off offset:688
	v_fmac_f64_e32 v[18:19], v[6:7], v[176:177]
	v_accvgpr_read_b32 v10, a124
	v_accvgpr_read_b32 v11, a125
	v_add_f64 v[0:1], v[0:1], v[18:19]
	v_accvgpr_read_b32 v9, a123
	v_mul_f64 v[18:19], v[80:81], v[10:11]
	scratch_load_dwordx4 v[48:51], off, off offset:704
	scratch_load_dwordx4 v[52:55], off, off offset:720
	v_fmac_f64_e32 v[18:19], v[82:83], v[8:9]
	ds_read_b128 v[100:103], v2 offset:1504
	ds_read_b128 v[104:107], v2 offset:1520
	s_waitcnt vmcnt(11)
	v_accvgpr_read_b32 v8, a126
	v_add_f64 v[0:1], v[0:1], v[18:19]
	v_mul_f64 v[18:19], v[162:163], v[58:59]
	v_accvgpr_read_b32 v10, a128
	v_accvgpr_read_b32 v11, a129
	v_fma_f64 v[18:19], v[160:161], v[56:57], -v[18:19]
	v_accvgpr_read_b32 v9, a127
	s_waitcnt lgkmcnt(2)
	v_mul_f64 v[56:57], v[96:97], v[10:11]
	v_fmac_f64_e32 v[56:57], v[98:99], v[8:9]
	s_waitcnt vmcnt(10)
	v_accvgpr_read_b32 v8, a130
	v_mul_f64 v[22:23], v[174:175], v[62:63]
	v_accvgpr_read_b32 v10, a132
	v_accvgpr_read_b32 v11, a133
	v_fma_f64 v[22:23], v[172:173], v[60:61], -v[22:23]
	v_add_f64 v[0:1], v[0:1], v[56:57]
	v_mul_f64 v[56:57], v[182:183], v[66:67]
	v_accvgpr_read_b32 v9, a131
	s_waitcnt lgkmcnt(1)
	v_mul_f64 v[60:61], v[100:101], v[10:11]
	v_fma_f64 v[172:173], v[180:181], v[64:65], -v[56:57]
	scratch_load_dwordx4 v[56:59], off, off offset:736
	v_fmac_f64_e32 v[60:61], v[102:103], v[8:9]
	v_add_f64 v[0:1], v[0:1], v[60:61]
	v_mul_f64 v[60:61], v[186:187], v[70:71]
	v_fma_f64 v[174:175], v[184:185], v[68:69], -v[60:61]
	scratch_load_dwordx4 v[60:63], off, off offset:752
	v_mul_f64 v[64:65], v[190:191], v[74:75]
	ds_read_b128 v[108:111], v2 offset:1536
	s_waitcnt vmcnt(11)
	v_accvgpr_read_b32 v8, a134
	v_fma_f64 v[180:181], v[188:189], v[72:73], -v[64:65]
	scratch_load_dwordx4 v[64:67], off, off offset:768
	v_accvgpr_read_b32 v10, a136
	v_accvgpr_read_b32 v11, a137
	;; [unrolled: 1-line block ×3, first 2 shown]
	s_waitcnt lgkmcnt(1)
	v_mul_f64 v[72:73], v[104:105], v[10:11]
	v_fmac_f64_e32 v[72:73], v[106:107], v[8:9]
	s_waitcnt vmcnt(11)
	v_accvgpr_read_b32 v8, a138
	v_mul_f64 v[68:69], v[194:195], v[78:79]
	v_accvgpr_read_b32 v10, a140
	v_accvgpr_read_b32 v11, a141
	v_fma_f64 v[182:183], v[192:193], v[76:77], -v[68:69]
	v_accvgpr_read_b32 v9, a139
	s_waitcnt lgkmcnt(0)
	v_mul_f64 v[76:77], v[108:109], v[10:11]
	scratch_load_dwordx4 v[68:71], off, off offset:784
	v_add_f64 v[0:1], v[0:1], v[72:73]
	v_fmac_f64_e32 v[76:77], v[110:111], v[8:9]
	v_mul_f64 v[72:73], v[198:199], v[86:87]
	v_add_f64 v[0:1], v[0:1], v[76:77]
	v_mul_f64 v[76:77], v[202:203], v[90:91]
	v_fma_f64 v[184:185], v[196:197], v[84:85], -v[72:73]
	scratch_load_dwordx4 v[72:75], off, off offset:800
	v_fma_f64 v[186:187], v[200:201], v[88:89], -v[76:77]
	scratch_load_dwordx4 v[76:79], off, off offset:816
	ds_read_b128 v[116:119], v2 offset:1552
	ds_read_b128 v[112:115], v2 offset:1568
	s_waitcnt vmcnt(13)
	v_accvgpr_read_b32 v8, a142
	v_mul_f64 v[84:85], v[206:207], v[94:95]
	scratch_load_dwordx4 v[88:91], off, off offset:832
	v_accvgpr_read_b32 v10, a144
	v_accvgpr_read_b32 v11, a145
	v_fma_f64 v[12:13], v[204:205], v[92:93], -v[84:85]
	v_accvgpr_read_b32 v9, a143
	s_waitcnt lgkmcnt(1)
	v_mul_f64 v[92:93], v[116:117], v[10:11]
	scratch_load_dwordx4 v[84:87], off, off offset:848
	v_fmac_f64_e32 v[92:93], v[118:119], v[8:9]
	v_add_f64 v[0:1], v[0:1], v[92:93]
	v_mul_f64 v[92:93], v[214:215], v[126:127]
	v_fma_f64 v[10:11], v[212:213], v[124:125], -v[92:93]
	scratch_load_dwordx4 v[92:95], off, off offset:864
	v_mul_f64 v[26:27], v[210:211], v[122:123]
	v_fma_f64 v[26:27], v[208:209], v[120:121], -v[26:27]
	v_mul_f64 v[30:31], v[218:219], v[130:131]
	ds_read_b128 v[120:123], v2 offset:1584
	v_fma_f64 v[30:31], v[216:217], v[128:129], -v[30:31]
	s_waitcnt vmcnt(15)
	v_accvgpr_read_b32 v126, a146
	v_accvgpr_read_b32 v128, a148
	;; [unrolled: 1-line block ×4, first 2 shown]
	s_waitcnt lgkmcnt(1)
	v_mul_f64 v[124:125], v[112:113], v[128:129]
	s_waitcnt vmcnt(14)
	v_accvgpr_read_b32 v148, a150
	v_fmac_f64_e32 v[124:125], v[114:115], v[126:127]
	v_accvgpr_read_b32 v150, a152
	v_accvgpr_read_b32 v151, a153
	v_add_f64 v[0:1], v[0:1], v[124:125]
	ds_read_b128 v[124:127], v2 offset:1600
	v_accvgpr_read_b32 v149, a151
	s_waitcnt lgkmcnt(1)
	v_mul_f64 v[128:129], v[120:121], v[150:151]
	v_fmac_f64_e32 v[128:129], v[122:123], v[148:149]
	v_add_f64 v[0:1], v[0:1], v[128:129]
	v_mul_f64 v[128:129], v[222:223], v[134:135]
	v_fma_f64 v[8:9], v[220:221], v[132:133], -v[128:129]
	ds_read_b128 v[128:131], v2 offset:1616
	ds_read_b128 v[132:135], v2 offset:1632
	s_waitcnt vmcnt(13) lgkmcnt(2)
	v_mul_f64 v[34:35], v[124:125], v[38:39]
	v_fmac_f64_e32 v[34:35], v[126:127], v[36:37]
	v_add_f64 v[0:1], v[0:1], v[34:35]
	v_mul_f64 v[34:35], v[226:227], v[138:139]
	v_fma_f64 v[34:35], v[224:225], v[136:137], -v[34:35]
	s_waitcnt vmcnt(12) lgkmcnt(1)
	v_mul_f64 v[136:137], v[128:129], v[42:43]
	v_fmac_f64_e32 v[136:137], v[130:131], v[40:41]
	v_add_f64 v[0:1], v[0:1], v[136:137]
	ds_read_b128 v[136:139], v2 offset:1648
	v_mul_f64 v[142:143], v[230:231], v[142:143]
	v_fma_f64 v[228:229], v[228:229], v[140:141], -v[142:143]
	ds_read_b128 v[140:143], v2 offset:1664
	s_waitcnt vmcnt(11) lgkmcnt(2)
	v_mul_f64 v[148:149], v[132:133], v[46:47]
	v_add_f64 v[240:241], v[240:241], 0
	v_fmac_f64_e32 v[148:149], v[134:135], v[44:45]
	v_add_f64 v[240:241], v[240:241], v[246:247]
	v_add_f64 v[0:1], v[0:1], v[148:149]
	s_waitcnt vmcnt(10) lgkmcnt(1)
	v_mul_f64 v[148:149], v[136:137], v[50:51]
	v_add_f64 v[32:33], v[240:241], v[32:33]
	v_fmac_f64_e32 v[148:149], v[138:139], v[48:49]
	v_mul_f64 v[146:147], v[234:235], v[146:147]
	v_add_f64 v[28:29], v[32:33], v[28:29]
	v_add_f64 v[0:1], v[0:1], v[148:149]
	v_fma_f64 v[230:231], v[232:233], v[144:145], -v[146:147]
	ds_read_b128 v[144:147], v2 offset:1680
	s_waitcnt vmcnt(9) lgkmcnt(1)
	v_mul_f64 v[148:149], v[140:141], v[54:55]
	v_add_f64 v[24:25], v[28:29], v[24:25]
	v_fmac_f64_e32 v[148:149], v[142:143], v[52:53]
	v_add_f64 v[20:21], v[24:25], v[20:21]
	v_add_f64 v[0:1], v[0:1], v[148:149]
	ds_read_b128 v[148:151], v2 offset:1696
	v_add_f64 v[16:17], v[20:21], v[16:17]
	v_mul_f64 v[154:155], v[238:239], v[154:155]
	v_add_f64 v[14:15], v[16:17], v[14:15]
	v_fma_f64 v[232:233], v[236:237], v[152:153], -v[154:155]
	ds_read_b128 v[152:155], v2 offset:1712
	v_add_f64 v[14:15], v[14:15], v[18:19]
	s_waitcnt vmcnt(8) lgkmcnt(2)
	v_mul_f64 v[160:161], v[144:145], v[58:59]
	v_add_f64 v[14:15], v[14:15], v[22:23]
	v_fmac_f64_e32 v[160:161], v[146:147], v[56:57]
	v_add_f64 v[14:15], v[14:15], v[172:173]
	v_add_f64 v[0:1], v[0:1], v[160:161]
	s_waitcnt vmcnt(7) lgkmcnt(1)
	v_mul_f64 v[160:161], v[148:149], v[62:63]
	v_add_f64 v[14:15], v[14:15], v[174:175]
	v_fmac_f64_e32 v[160:161], v[150:151], v[60:61]
	v_mul_f64 v[158:159], v[250:251], v[158:159]
	v_add_f64 v[14:15], v[14:15], v[180:181]
	v_fma_f64 v[234:235], v[248:249], v[156:157], -v[158:159]
	ds_read_b128 v[156:159], v2 offset:1728
	v_add_f64 v[0:1], v[0:1], v[160:161]
	s_waitcnt vmcnt(6) lgkmcnt(1)
	v_mul_f64 v[160:161], v[152:153], v[66:67]
	v_add_f64 v[14:15], v[14:15], v[182:183]
	v_fmac_f64_e32 v[160:161], v[154:155], v[64:65]
	v_add_f64 v[14:15], v[14:15], v[184:185]
	v_add_f64 v[0:1], v[0:1], v[160:161]
	ds_read_b128 v[160:163], v2 offset:1744
	v_add_f64 v[14:15], v[14:15], v[186:187]
	v_mul_f64 v[166:167], v[254:255], v[166:167]
	v_add_f64 v[12:13], v[14:15], v[12:13]
	v_fma_f64 v[236:237], v[252:253], v[164:165], -v[166:167]
	ds_read_b128 v[164:167], v2 offset:1760
	v_mul_f64 v[170:171], v[244:245], v[170:171]
	v_add_f64 v[12:13], v[12:13], v[26:27]
	s_waitcnt vmcnt(5) lgkmcnt(2)
	v_mul_f64 v[188:189], v[156:157], v[70:71]
	v_fma_f64 v[238:239], v[242:243], v[168:169], -v[170:171]
	ds_read_b128 v[168:171], v2 offset:1776
	ds_read_b128 v[242:245], v2 offset:1792
	v_add_f64 v[10:11], v[12:13], v[10:11]
	v_fmac_f64_e32 v[188:189], v[158:159], v[68:69]
	v_add_f64 v[10:11], v[10:11], v[30:31]
	v_add_f64 v[0:1], v[0:1], v[188:189]
	s_waitcnt vmcnt(4) lgkmcnt(3)
	v_mul_f64 v[188:189], v[160:161], v[74:75]
	v_add_f64 v[8:9], v[10:11], v[8:9]
	v_fmac_f64_e32 v[188:189], v[162:163], v[72:73]
	v_mul_f64 v[6:7], v[6:7], v[178:179]
	v_add_f64 v[8:9], v[8:9], v[34:35]
	v_add_f64 v[0:1], v[0:1], v[188:189]
	s_waitcnt vmcnt(3) lgkmcnt(2)
	v_mul_f64 v[188:189], v[164:165], v[78:79]
	v_fma_f64 v[248:249], v[4:5], v[176:177], -v[6:7]
	ds_read_b128 v[176:179], v2 offset:1808
	ds_read_b128 v[252:255], v2 offset:1824
	v_add_f64 v[8:9], v[8:9], v[228:229]
	v_fmac_f64_e32 v[188:189], v[166:167], v[76:77]
	v_add_f64 v[8:9], v[8:9], v[230:231]
	scratch_load_dwordx4 v[228:231], off, off offset:48
	s_waitcnt vmcnt(3) lgkmcnt(3)
	v_mul_f64 v[4:5], v[168:169], v[90:91]
	v_add_f64 v[0:1], v[0:1], v[188:189]
	v_fmac_f64_e32 v[4:5], v[170:171], v[88:89]
	v_add_f64 v[0:1], v[0:1], v[4:5]
	s_waitcnt vmcnt(2) lgkmcnt(2)
	v_mul_f64 v[4:5], v[242:243], v[86:87]
	v_fmac_f64_e32 v[4:5], v[244:245], v[84:85]
	v_add_f64 v[0:1], v[0:1], v[4:5]
	s_waitcnt vmcnt(1) lgkmcnt(1)
	v_mul_f64 v[4:5], v[176:177], v[94:95]
	v_fmac_f64_e32 v[4:5], v[178:179], v[92:93]
	v_add_f64 v[0:1], v[0:1], v[4:5]
	scratch_load_dwordx4 v[4:7], off, off offset:880
	ds_read_b128 v[192:195], v2 offset:1840
	ds_read_b128 v[200:203], v2 offset:1856
	;; [unrolled: 1-line block ×5, first 2 shown]
	v_accvgpr_read_b32 v12, a122
	v_accvgpr_read_b32 v14, a124
	;; [unrolled: 1-line block ×4, first 2 shown]
	v_mul_f64 v[10:11], v[82:83], v[14:15]
	v_fma_f64 v[10:11], v[80:81], v[12:13], -v[10:11]
	v_accvgpr_read_b32 v12, a126
	v_accvgpr_read_b32 v14, a128
	;; [unrolled: 1-line block ×4, first 2 shown]
	s_waitcnt vmcnt(0) lgkmcnt(5)
	v_mul_f64 v[188:189], v[252:253], v[6:7]
	v_fmac_f64_e32 v[188:189], v[254:255], v[4:5]
	v_add_f64 v[0:1], v[0:1], v[188:189]
	scratch_load_dwordx4 v[188:191], off, off offset:896
	v_mul_f64 v[6:7], v[254:255], v[6:7]
	v_fma_f64 v[4:5], v[252:253], v[4:5], -v[6:7]
	s_waitcnt vmcnt(0) lgkmcnt(4)
	v_mul_f64 v[196:197], v[192:193], v[190:191]
	v_fmac_f64_e32 v[196:197], v[194:195], v[188:189]
	v_add_f64 v[0:1], v[0:1], v[196:197]
	scratch_load_dwordx4 v[196:199], off, off offset:912
	v_mul_f64 v[6:7], v[194:195], v[190:191]
	v_fma_f64 v[6:7], v[192:193], v[188:189], -v[6:7]
	s_waitcnt vmcnt(0) lgkmcnt(3)
	v_mul_f64 v[204:205], v[200:201], v[198:199]
	v_fmac_f64_e32 v[204:205], v[202:203], v[196:197]
	v_add_f64 v[0:1], v[0:1], v[204:205]
	scratch_load_dwordx4 v[204:207], off, off offset:928
	s_waitcnt vmcnt(0) lgkmcnt(2)
	v_mul_f64 v[212:213], v[208:209], v[206:207]
	v_fmac_f64_e32 v[212:213], v[210:211], v[204:205]
	v_add_f64 v[0:1], v[0:1], v[212:213]
	scratch_load_dwordx4 v[212:215], off, off offset:944
	s_waitcnt vmcnt(0) lgkmcnt(1)
	v_mul_f64 v[220:221], v[216:217], v[214:215]
	v_fmac_f64_e32 v[220:221], v[218:219], v[212:213]
	v_add_f64 v[0:1], v[0:1], v[220:221]
	scratch_load_dwordx4 v[220:223], off, off offset:960
	s_waitcnt vmcnt(0) lgkmcnt(0)
	v_mul_f64 v[250:251], v[224:225], v[222:223]
	v_fmac_f64_e32 v[250:251], v[226:227], v[220:221]
	v_add_f64 v[0:1], v[0:1], v[250:251]
	v_add_f64 v[250:251], v[8:9], v[232:233]
	;; [unrolled: 1-line block ×7, first 2 shown]
	v_mul_f64 v[10:11], v[98:99], v[14:15]
	v_fma_f64 v[10:11], v[96:97], v[12:13], -v[10:11]
	v_accvgpr_read_b32 v12, a130
	v_accvgpr_read_b32 v14, a132
	v_accvgpr_read_b32 v15, a133
	v_add_f64 v[8:9], v[8:9], v[10:11]
	v_accvgpr_read_b32 v13, a131
	v_mul_f64 v[10:11], v[102:103], v[14:15]
	v_fma_f64 v[10:11], v[100:101], v[12:13], -v[10:11]
	v_accvgpr_read_b32 v12, a134
	v_accvgpr_read_b32 v14, a136
	v_accvgpr_read_b32 v15, a137
	v_add_f64 v[8:9], v[8:9], v[10:11]
	v_accvgpr_read_b32 v13, a135
	;; [unrolled: 7-line block ×6, first 2 shown]
	v_mul_f64 v[10:11], v[122:123], v[14:15]
	v_fma_f64 v[10:11], v[120:121], v[12:13], -v[10:11]
	v_add_f64 v[8:9], v[8:9], v[10:11]
	v_mul_f64 v[10:11], v[126:127], v[38:39]
	v_fma_f64 v[10:11], v[124:125], v[36:37], -v[10:11]
	v_add_f64 v[8:9], v[8:9], v[10:11]
	;; [unrolled: 3-line block ×15, first 2 shown]
	v_add_f64 v[4:5], v[8:9], v[4:5]
	v_add_f64 v[4:5], v[4:5], v[6:7]
	v_mul_f64 v[6:7], v[202:203], v[198:199]
	v_fma_f64 v[6:7], v[200:201], v[196:197], -v[6:7]
	v_add_f64 v[4:5], v[4:5], v[6:7]
	v_mul_f64 v[6:7], v[210:211], v[206:207]
	v_fma_f64 v[6:7], v[208:209], v[204:205], -v[6:7]
	;; [unrolled: 3-line block ×4, first 2 shown]
	v_add_f64 v[4:5], v[4:5], v[6:7]
	v_add_f64 v[6:7], v[230:231], -v[0:1]
	v_accvgpr_read_b32 v0, a120
	v_add_f64 v[4:5], v[228:229], -v[4:5]
	v_cmp_lt_u32_e32 vcc, 1, v0
	scratch_store_dwordx4 off, v[4:7], off offset:48
	s_and_saveexec_b64 s[0:1], vcc
	s_cbranch_execz .LBB123_371
; %bb.370:
	scratch_load_dwordx4 v[6:9], off, s75
	v_mov_b32_e32 v3, v2
	v_mov_b32_e32 v4, v2
	;; [unrolled: 1-line block ×3, first 2 shown]
	v_accvgpr_read_b32 v0, a121
	scratch_store_dwordx4 off, v[2:5], off offset:32
	s_waitcnt vmcnt(1)
	ds_write_b128 v0, v[6:9]
.LBB123_371:
	s_or_b64 exec, exec, s[0:1]
	s_waitcnt lgkmcnt(0)
	; wave barrier
	scratch_load_dwordx4 v[8:11], off, off offset:48
	scratch_load_dwordx4 v[12:15], off, off offset:64
	;; [unrolled: 1-line block ×17, first 2 shown]
	ds_read_b128 v[180:183], v2 offset:992
	ds_read_b128 v[108:111], v2 offset:1008
	scratch_load_dwordx4 v[92:95], off, off offset:320
	ds_read_b128 v[184:187], v2 offset:1024
	ds_read_b128 v[172:175], v2 offset:1040
	;; [unrolled: 1-line block ×5, first 2 shown]
	scratch_load_dwordx4 v[100:103], off, off offset:336
	ds_read_b128 v[160:163], v2 offset:1104
	ds_read_b128 v[128:131], v2 offset:1120
	scratch_load_dwordx4 v[116:119], off, off offset:352
	ds_read_b128 v[196:199], v2 offset:1136
	ds_read_b128 v[176:179], v2 offset:1152
	;; [unrolled: 1-line block ×5, first 2 shown]
	scratch_load_dwordx4 v[124:127], off, off offset:368
	ds_read_b128 v[168:171], v2 offset:1216
	ds_read_b128 v[156:159], v2 offset:1232
	;; [unrolled: 1-line block ×3, first 2 shown]
	scratch_load_dwordx4 v[136:139], off, off offset:384
	scratch_load_dwordx4 v[140:143], off, off offset:400
	;; [unrolled: 1-line block ×9, first 2 shown]
	ds_read_b128 v[208:211], v2 offset:1264
	scratch_load_dwordx4 a[134:137], off, off offset:560
	scratch_load_dwordx4 a[138:141], off, off offset:576
	;; [unrolled: 1-line block ×6, first 2 shown]
	ds_read_b128 v[232:235], v2 offset:1360
	ds_read_b128 v[236:239], v2 offset:1376
	scratch_load_dwordx4 a[158:161], off, off offset:656
	ds_read_b128 v[242:245], v2 offset:1408
	ds_read_b128 v[228:231], v2 offset:1344
	scratch_load_dwordx4 a[130:133], off, off offset:544
	ds_read_b128 v[250:253], v2 offset:1440
	s_waitcnt vmcnt(37) lgkmcnt(14)
	v_mul_f64 v[0:1], v[180:181], v[10:11]
	s_waitcnt vmcnt(36)
	v_mul_f64 v[56:57], v[108:109], v[14:15]
	v_fmac_f64_e32 v[0:1], v[182:183], v[8:9]
	s_waitcnt vmcnt(35)
	v_mul_f64 v[58:59], v[184:185], v[18:19]
	v_fmac_f64_e32 v[56:57], v[110:111], v[12:13]
	v_add_f64 v[0:1], v[0:1], 0
	s_waitcnt vmcnt(34)
	v_mul_f64 v[60:61], v[172:173], v[22:23]
	v_fmac_f64_e32 v[58:59], v[186:187], v[16:17]
	v_add_f64 v[0:1], v[0:1], v[56:57]
	;; [unrolled: 4-line block ×7, first 2 shown]
	s_waitcnt vmcnt(28) lgkmcnt(13)
	v_mul_f64 v[212:213], v[196:197], v[46:47]
	v_fmac_f64_e32 v[74:75], v[130:131], v[38:39]
	v_add_f64 v[0:1], v[0:1], v[72:73]
	s_waitcnt vmcnt(27) lgkmcnt(12)
	v_mul_f64 v[214:215], v[176:177], v[50:51]
	v_fmac_f64_e32 v[212:213], v[198:199], v[44:45]
	v_add_f64 v[0:1], v[0:1], v[74:75]
	;; [unrolled: 4-line block ×7, first 2 shown]
	v_fmac_f64_e32 v[224:225], v[158:159], v[84:85]
	v_add_f64 v[0:1], v[0:1], v[222:223]
	s_waitcnt vmcnt(21) lgkmcnt(6)
	v_mul_f64 v[56:57], v[132:133], v[90:91]
	v_add_f64 v[0:1], v[0:1], v[224:225]
	v_fmac_f64_e32 v[56:57], v[134:135], v[88:89]
	v_add_f64 v[0:1], v[0:1], v[56:57]
	ds_read_b128 v[212:215], v2 offset:1280
	s_waitcnt vmcnt(20) lgkmcnt(6)
	v_mul_f64 v[56:57], v[208:209], v[94:95]
	v_fmac_f64_e32 v[56:57], v[210:211], v[92:93]
	v_add_f64 v[0:1], v[0:1], v[56:57]
	scratch_load_dwordx4 v[56:59], off, off offset:528
	ds_read_b128 v[216:219], v2 offset:1296
	ds_read_b128 v[220:223], v2 offset:1312
	s_waitcnt vmcnt(20) lgkmcnt(2)
	v_mul_f64 v[60:61], v[212:213], v[102:103]
	ds_read_b128 v[224:227], v2 offset:1328
	v_fmac_f64_e32 v[60:61], v[214:215], v[100:101]
	s_waitcnt vmcnt(19) lgkmcnt(2)
	v_mul_f64 v[68:69], v[216:217], v[118:119]
	v_add_f64 v[0:1], v[0:1], v[60:61]
	v_fmac_f64_e32 v[68:69], v[218:219], v[116:117]
	v_add_f64 v[0:1], v[0:1], v[68:69]
	s_waitcnt vmcnt(18) lgkmcnt(1)
	v_mul_f64 v[68:69], v[220:221], v[126:127]
	v_fmac_f64_e32 v[68:69], v[222:223], v[124:125]
	v_add_f64 v[0:1], v[0:1], v[68:69]
	s_waitcnt vmcnt(17) lgkmcnt(0)
	v_mul_f64 v[68:69], v[224:225], v[138:139]
	v_mul_f64 v[10:11], v[182:183], v[10:11]
	v_fmac_f64_e32 v[68:69], v[226:227], v[136:137]
	s_waitcnt vmcnt(16)
	v_mul_f64 v[72:73], v[228:229], v[142:143]
	v_fma_f64 v[240:241], v[180:181], v[8:9], -v[10:11]
	ds_read_b128 v[180:183], v2 offset:1392
	v_add_f64 v[0:1], v[0:1], v[68:69]
	v_fmac_f64_e32 v[72:73], v[230:231], v[140:141]
	s_waitcnt vmcnt(15)
	v_mul_f64 v[8:9], v[232:233], v[146:147]
	v_add_f64 v[0:1], v[0:1], v[72:73]
	v_fmac_f64_e32 v[8:9], v[234:235], v[144:145]
	v_add_f64 v[0:1], v[0:1], v[8:9]
	s_waitcnt vmcnt(14)
	v_mul_f64 v[8:9], v[236:237], v[154:155]
	v_fmac_f64_e32 v[8:9], v[238:239], v[152:153]
	v_add_f64 v[0:1], v[0:1], v[8:9]
	s_waitcnt vmcnt(13) lgkmcnt(0)
	v_mul_f64 v[8:9], v[180:181], v[190:191]
	v_fmac_f64_e32 v[8:9], v[182:183], v[188:189]
	v_add_f64 v[0:1], v[0:1], v[8:9]
	v_mul_f64 v[8:9], v[110:111], v[14:15]
	v_accvgpr_write_b32 a129, v37
	v_fma_f64 v[246:247], v[108:109], v[12:13], -v[8:9]
	v_mul_f64 v[12:13], v[186:187], v[18:19]
	v_mul_f64 v[6:7], v[98:99], v[6:7]
	v_accvgpr_write_b32 a128, v36
	v_accvgpr_write_b32 a127, v35
	;; [unrolled: 1-line block ×3, first 2 shown]
	v_fma_f64 v[254:255], v[184:185], v[16:17], -v[12:13]
	ds_read_b128 v[184:187], v2 offset:1424
	v_fma_f64 v[36:37], v[96:97], v[4:5], -v[6:7]
	ds_read_b128 v[96:99], v2 offset:1456
	scratch_load_dwordx4 v[72:75], off, off offset:672
	scratch_load_dwordx4 v[68:71], off, off offset:688
	;; [unrolled: 1-line block ×3, first 2 shown]
	s_waitcnt vmcnt(15)
	v_mul_f64 v[16:17], v[242:243], v[194:195]
	s_waitcnt vmcnt(12)
	v_accvgpr_read_b32 v4, a122
	v_mul_f64 v[12:13], v[174:175], v[22:23]
	v_fmac_f64_e32 v[16:17], v[244:245], v[192:193]
	v_mul_f64 v[24:25], v[106:107], v[28:29]
	v_accvgpr_read_b32 v6, a124
	v_accvgpr_read_b32 v7, a125
	v_fma_f64 v[248:249], v[172:173], v[20:21], -v[12:13]
	v_add_f64 v[0:1], v[0:1], v[16:17]
	s_waitcnt lgkmcnt(1)
	v_mul_f64 v[16:17], v[184:185], v[202:203]
	v_mul_f64 v[20:21], v[114:115], v[32:33]
	v_fma_f64 v[172:173], v[104:105], v[26:27], -v[24:25]
	v_accvgpr_read_b32 v5, a123
	ds_read_b128 v[104:107], v2 offset:1472
	s_waitcnt lgkmcnt(1)
	v_mul_f64 v[32:33], v[96:97], v[6:7]
	v_fmac_f64_e32 v[16:17], v[186:187], v[200:201]
	v_mul_f64 v[28:29], v[250:251], v[206:207]
	v_fmac_f64_e32 v[32:33], v[98:99], v[4:5]
	v_accvgpr_read_b32 v4, a126
	v_add_f64 v[0:1], v[0:1], v[16:17]
	v_fmac_f64_e32 v[28:29], v[252:253], v[204:205]
	v_accvgpr_read_b32 v6, a128
	v_accvgpr_read_b32 v7, a129
	v_add_f64 v[0:1], v[0:1], v[28:29]
	v_accvgpr_read_b32 v5, a127
	v_mul_f64 v[28:29], v[162:163], v[6:7]
	v_fma_f64 v[174:175], v[160:161], v[4:5], -v[28:29]
	ds_read_b128 v[108:111], v2 offset:1488
	v_add_f64 v[0:1], v[0:1], v[32:33]
	v_mul_f64 v[32:33], v[130:131], v[40:41]
	v_mul_f64 v[10:11], v[198:199], v[46:47]
	v_fma_f64 v[42:43], v[112:113], v[30:31], -v[20:21]
	v_fma_f64 v[30:31], v[196:197], v[44:45], -v[10:11]
	scratch_load_dwordx4 v[44:47], off, off offset:736
	s_waitcnt vmcnt(4)
	v_mov_b64_e32 v[4:5], v[56:57]
	v_accvgpr_write_b32 a129, v59
	v_mov_b64_e32 v[6:7], v[58:59]
	v_accvgpr_write_b32 a128, v58
	v_accvgpr_write_b32 a127, v57
	;; [unrolled: 1-line block ×3, first 2 shown]
	scratch_load_dwordx4 v[56:59], off, off offset:720
	s_waitcnt lgkmcnt(1)
	v_mul_f64 v[40:41], v[104:105], v[6:7]
	v_fmac_f64_e32 v[40:41], v[106:107], v[4:5]
	v_accvgpr_read_b32 v4, a130
	v_accvgpr_read_b32 v6, a132
	;; [unrolled: 1-line block ×3, first 2 shown]
	v_add_f64 v[0:1], v[0:1], v[40:41]
	v_mul_f64 v[40:41], v[178:179], v[50:51]
	v_accvgpr_read_b32 v5, a131
	ds_read_b128 v[112:115], v2 offset:1504
	s_waitcnt lgkmcnt(1)
	v_mul_f64 v[14:15], v[108:109], v[6:7]
	v_fma_f64 v[26:27], v[176:177], v[48:49], -v[40:41]
	v_fmac_f64_e32 v[14:15], v[110:111], v[4:5]
	v_mul_f64 v[48:49], v[150:151], v[66:67]
	v_add_f64 v[0:1], v[0:1], v[14:15]
	v_mul_f64 v[14:15], v[166:167], v[54:55]
	v_fma_f64 v[16:17], v[148:149], v[64:65], -v[48:49]
	scratch_load_dwordx4 v[48:51], off, off offset:752
	v_fma_f64 v[20:21], v[164:165], v[52:53], -v[14:15]
	scratch_load_dwordx4 v[52:55], off, off offset:768
	v_accvgpr_read_b32 v4, a134
	v_mul_f64 v[18:19], v[122:123], v[78:79]
	v_accvgpr_read_b32 v6, a136
	v_accvgpr_read_b32 v7, a137
	v_fma_f64 v[18:19], v[120:121], v[76:77], -v[18:19]
	ds_read_b128 v[120:123], v2 offset:1520
	v_accvgpr_read_b32 v5, a135
	s_waitcnt lgkmcnt(1)
	v_mul_f64 v[64:65], v[112:113], v[6:7]
	v_fmac_f64_e32 v[64:65], v[114:115], v[4:5]
	v_add_f64 v[0:1], v[0:1], v[64:65]
	v_mul_f64 v[64:65], v[170:171], v[82:83]
	v_fma_f64 v[14:15], v[168:169], v[80:81], -v[64:65]
	v_accvgpr_read_b32 v4, a138
	scratch_load_dwordx4 v[64:67], off, off offset:784
	scratch_load_dwordx4 v[76:79], off, off offset:800
	v_accvgpr_read_b32 v6, a140
	v_accvgpr_read_b32 v7, a141
	v_mul_f64 v[80:81], v[134:135], v[90:91]
	v_fma_f64 v[34:35], v[128:129], v[38:39], -v[32:33]
	v_accvgpr_read_b32 v5, a139
	s_waitcnt lgkmcnt(0)
	v_mul_f64 v[22:23], v[120:121], v[6:7]
	v_fma_f64 v[12:13], v[132:133], v[88:89], -v[80:81]
	ds_read_b128 v[132:135], v2 offset:1536
	ds_read_b128 v[128:131], v2 offset:1552
	v_fmac_f64_e32 v[22:23], v[122:123], v[4:5]
	v_add_f64 v[0:1], v[0:1], v[22:23]
	v_mul_f64 v[22:23], v[158:159], v[86:87]
	v_accvgpr_read_b32 v4, a142
	v_fma_f64 v[22:23], v[156:157], v[84:85], -v[22:23]
	scratch_load_dwordx4 v[84:87], off, off offset:816
	scratch_load_dwordx4 v[80:83], off, off offset:832
	v_accvgpr_read_b32 v6, a144
	v_accvgpr_read_b32 v7, a145
	;; [unrolled: 1-line block ×3, first 2 shown]
	s_waitcnt lgkmcnt(1)
	v_mul_f64 v[88:89], v[132:133], v[6:7]
	v_fmac_f64_e32 v[88:89], v[134:135], v[4:5]
	v_add_f64 v[0:1], v[0:1], v[88:89]
	v_mul_f64 v[88:89], v[214:215], v[102:103]
	v_fma_f64 v[10:11], v[212:213], v[100:101], -v[88:89]
	scratch_load_dwordx4 v[88:91], off, off offset:848
	v_mul_f64 v[24:25], v[210:211], v[94:95]
	v_fma_f64 v[24:25], v[208:209], v[92:93], -v[24:25]
	ds_read_b128 v[92:95], v2 offset:1568
	v_accvgpr_read_b32 v4, a146
	v_accvgpr_read_b32 v6, a148
	v_accvgpr_read_b32 v7, a149
	v_accvgpr_read_b32 v5, a147
	s_waitcnt lgkmcnt(1)
	v_mul_f64 v[100:101], v[128:129], v[6:7]
	v_fmac_f64_e32 v[100:101], v[130:131], v[4:5]
	v_accvgpr_read_b32 v4, a150
	v_mul_f64 v[28:29], v[218:219], v[118:119]
	v_accvgpr_read_b32 v6, a152
	v_accvgpr_read_b32 v7, a153
	v_fma_f64 v[28:29], v[216:217], v[116:117], -v[28:29]
	v_add_f64 v[0:1], v[0:1], v[100:101]
	ds_read_b128 v[100:103], v2 offset:1584
	v_accvgpr_read_b32 v5, a151
	s_waitcnt lgkmcnt(1)
	v_mul_f64 v[116:117], v[92:93], v[6:7]
	v_fmac_f64_e32 v[116:117], v[94:95], v[4:5]
	v_add_f64 v[0:1], v[0:1], v[116:117]
	v_mul_f64 v[116:117], v[222:223], v[126:127]
	v_fma_f64 v[8:9], v[220:221], v[124:125], -v[116:117]
	ds_read_b128 v[116:119], v2 offset:1600
	ds_read_b128 v[124:127], v2 offset:1616
	v_accvgpr_read_b32 v4, a154
	v_accvgpr_read_b32 v6, a156
	;; [unrolled: 1-line block ×4, first 2 shown]
	s_waitcnt lgkmcnt(2)
	v_mul_f64 v[32:33], v[100:101], v[6:7]
	v_fmac_f64_e32 v[32:33], v[102:103], v[4:5]
	v_accvgpr_read_b32 v4, a158
	v_add_f64 v[0:1], v[0:1], v[32:33]
	v_mul_f64 v[32:33], v[226:227], v[138:139]
	v_accvgpr_read_b32 v6, a160
	v_accvgpr_read_b32 v7, a161
	v_fma_f64 v[32:33], v[224:225], v[136:137], -v[32:33]
	v_accvgpr_read_b32 v5, a159
	s_waitcnt lgkmcnt(1)
	v_mul_f64 v[136:137], v[116:117], v[6:7]
	v_fmac_f64_e32 v[136:137], v[118:119], v[4:5]
	v_add_f64 v[0:1], v[0:1], v[136:137]
	ds_read_b128 v[136:139], v2 offset:1632
	s_waitcnt vmcnt(11) lgkmcnt(1)
	v_mul_f64 v[38:39], v[124:125], v[74:75]
	v_mul_f64 v[142:143], v[230:231], v[142:143]
	v_fmac_f64_e32 v[38:39], v[126:127], v[72:73]
	v_fma_f64 v[6:7], v[228:229], v[140:141], -v[142:143]
	ds_read_b128 v[140:143], v2 offset:1648
	v_add_f64 v[0:1], v[0:1], v[38:39]
	s_waitcnt vmcnt(10) lgkmcnt(1)
	v_mul_f64 v[38:39], v[136:137], v[70:71]
	v_fmac_f64_e32 v[38:39], v[138:139], v[68:69]
	v_add_f64 v[0:1], v[0:1], v[38:39]
	v_mul_f64 v[38:39], v[234:235], v[146:147]
	v_fma_f64 v[38:39], v[232:233], v[144:145], -v[38:39]
	ds_read_b128 v[144:147], v2 offset:1664
	s_waitcnt vmcnt(9) lgkmcnt(1)
	v_mul_f64 v[148:149], v[140:141], v[62:63]
	v_fmac_f64_e32 v[148:149], v[142:143], v[60:61]
	v_add_f64 v[0:1], v[0:1], v[148:149]
	ds_read_b128 v[148:151], v2 offset:1680
	s_waitcnt vmcnt(7) lgkmcnt(1)
	v_mul_f64 v[156:157], v[144:145], v[58:59]
	v_fmac_f64_e32 v[156:157], v[146:147], v[56:57]
	v_mul_f64 v[154:155], v[238:239], v[154:155]
	v_add_f64 v[0:1], v[0:1], v[156:157]
	v_fma_f64 v[236:237], v[236:237], v[152:153], -v[154:155]
	ds_read_b128 v[152:155], v2 offset:1696
	v_mul_f64 v[156:157], v[182:183], v[190:191]
	v_fma_f64 v[238:239], v[180:181], v[188:189], -v[156:157]
	ds_read_b128 v[156:159], v2 offset:1712
	s_waitcnt lgkmcnt(2)
	v_mul_f64 v[160:161], v[148:149], v[46:47]
	v_fmac_f64_e32 v[160:161], v[150:151], v[44:45]
	v_add_f64 v[0:1], v[0:1], v[160:161]
	s_waitcnt vmcnt(6) lgkmcnt(1)
	v_mul_f64 v[160:161], v[152:153], v[50:51]
	v_fmac_f64_e32 v[160:161], v[154:155], v[48:49]
	s_waitcnt vmcnt(5) lgkmcnt(0)
	v_mul_f64 v[164:165], v[156:157], v[54:55]
	v_add_f64 v[0:1], v[0:1], v[160:161]
	v_fmac_f64_e32 v[164:165], v[158:159], v[52:53]
	ds_read_b128 v[160:163], v2 offset:1728
	v_add_f64 v[0:1], v[0:1], v[164:165]
	v_mul_f64 v[164:165], v[244:245], v[194:195]
	v_fma_f64 v[4:5], v[242:243], v[192:193], -v[164:165]
	ds_read_b128 v[164:167], v2 offset:1744
	s_waitcnt vmcnt(4) lgkmcnt(1)
	v_mul_f64 v[40:41], v[160:161], v[66:67]
	ds_read_b128 v[168:171], v2 offset:1760
	ds_read_b128 v[242:245], v2 offset:1776
	v_fmac_f64_e32 v[40:41], v[162:163], v[64:65]
	s_waitcnt vmcnt(3) lgkmcnt(2)
	v_mul_f64 v[176:177], v[164:165], v[78:79]
	v_add_f64 v[40:41], v[0:1], v[40:41]
	v_fmac_f64_e32 v[176:177], v[166:167], v[76:77]
	v_add_f64 v[40:41], v[40:41], v[176:177]
	v_mul_f64 v[176:177], v[252:253], v[206:207]
	v_fma_f64 v[250:251], v[250:251], v[204:205], -v[176:177]
	ds_read_b128 v[176:179], v2 offset:1792
	s_waitcnt vmcnt(2) lgkmcnt(2)
	v_mul_f64 v[180:181], v[168:169], v[86:87]
	v_fmac_f64_e32 v[180:181], v[170:171], v[84:85]
	v_add_f64 v[40:41], v[40:41], v[180:181]
	s_waitcnt vmcnt(1) lgkmcnt(1)
	v_mul_f64 v[180:181], v[242:243], v[82:83]
	v_mul_f64 v[0:1], v[186:187], v[202:203]
	v_fmac_f64_e32 v[180:181], v[244:245], v[80:81]
	v_fma_f64 v[0:1], v[184:185], v[200:201], -v[0:1]
	v_add_f64 v[40:41], v[40:41], v[180:181]
	ds_read_b128 v[184:187], v2 offset:1808
	scratch_load_dwordx4 v[232:235], off, off offset:960
	s_waitcnt vmcnt(1) lgkmcnt(1)
	v_mul_f64 v[180:181], v[176:177], v[90:91]
	v_fmac_f64_e32 v[180:181], v[178:179], v[88:89]
	v_add_f64 v[40:41], v[40:41], v[180:181]
	scratch_load_dwordx4 v[180:183], off, off offset:864
	ds_read_b128 v[192:195], v2 offset:1824
	ds_read_b128 v[200:203], v2 offset:1840
	;; [unrolled: 1-line block ×5, first 2 shown]
	s_waitcnt vmcnt(0) lgkmcnt(5)
	v_mul_f64 v[188:189], v[184:185], v[182:183]
	v_fmac_f64_e32 v[188:189], v[186:187], v[180:181]
	v_add_f64 v[40:41], v[40:41], v[188:189]
	scratch_load_dwordx4 v[188:191], off, off offset:880
	s_waitcnt vmcnt(0) lgkmcnt(4)
	v_mul_f64 v[196:197], v[192:193], v[190:191]
	v_fmac_f64_e32 v[196:197], v[194:195], v[188:189]
	v_add_f64 v[40:41], v[40:41], v[196:197]
	scratch_load_dwordx4 v[196:199], off, off offset:896
	;; [unrolled: 5-line block ×5, first 2 shown]
	s_waitcnt vmcnt(0) lgkmcnt(0)
	v_mul_f64 v[228:229], v[224:225], v[222:223]
	v_fmac_f64_e32 v[228:229], v[226:227], v[220:221]
	v_add_f64 v[40:41], v[40:41], v[228:229]
	ds_read_b128 v[228:231], v2 offset:1904
	s_waitcnt lgkmcnt(0)
	v_mul_f64 v[2:3], v[228:229], v[234:235]
	v_fmac_f64_e32 v[2:3], v[230:231], v[232:233]
	v_add_f64 v[2:3], v[40:41], v[2:3]
	v_add_f64 v[40:41], v[240:241], 0
	;; [unrolled: 1-line block ×27, first 2 shown]
	scratch_load_dwordx4 v[236:239], off, off offset:32
	v_add_f64 v[252:253], v[6:7], v[4:5]
	v_accvgpr_read_b32 v6, a122
	v_accvgpr_read_b32 v8, a124
	;; [unrolled: 1-line block ×4, first 2 shown]
	v_mul_f64 v[4:5], v[98:99], v[8:9]
	v_add_f64 v[0:1], v[252:253], v[0:1]
	v_fma_f64 v[4:5], v[96:97], v[6:7], -v[4:5]
	v_accvgpr_read_b32 v6, a126
	v_add_f64 v[0:1], v[0:1], v[250:251]
	v_accvgpr_read_b32 v8, a128
	v_accvgpr_read_b32 v9, a129
	v_add_f64 v[0:1], v[0:1], v[4:5]
	v_accvgpr_read_b32 v7, a127
	v_mul_f64 v[4:5], v[106:107], v[8:9]
	v_fma_f64 v[4:5], v[104:105], v[6:7], -v[4:5]
	v_accvgpr_read_b32 v6, a130
	v_accvgpr_read_b32 v8, a132
	v_accvgpr_read_b32 v9, a133
	v_add_f64 v[0:1], v[0:1], v[4:5]
	v_accvgpr_read_b32 v7, a131
	v_mul_f64 v[4:5], v[110:111], v[8:9]
	v_fma_f64 v[4:5], v[108:109], v[6:7], -v[4:5]
	v_accvgpr_read_b32 v6, a134
	;; [unrolled: 7-line block ×8, first 2 shown]
	v_accvgpr_read_b32 v8, a160
	v_accvgpr_read_b32 v9, a161
	v_add_f64 v[0:1], v[0:1], v[4:5]
	v_accvgpr_read_b32 v7, a159
	v_mul_f64 v[4:5], v[118:119], v[8:9]
	v_fma_f64 v[4:5], v[116:117], v[6:7], -v[4:5]
	v_add_f64 v[0:1], v[0:1], v[4:5]
	v_mul_f64 v[4:5], v[126:127], v[74:75]
	v_fma_f64 v[4:5], v[124:125], v[72:73], -v[4:5]
	v_add_f64 v[0:1], v[0:1], v[4:5]
	;; [unrolled: 3-line block ×20, first 2 shown]
	s_waitcnt vmcnt(0)
	v_add_f64 v[4:5], v[236:237], -v[0:1]
	v_accvgpr_read_b32 v0, a120
	v_add_f64 v[6:7], v[238:239], -v[2:3]
	v_cmp_ne_u32_e32 vcc, 0, v0
	scratch_store_dwordx4 off, v[4:7], off offset:32
	s_and_saveexec_b64 s[0:1], vcc
	s_cbranch_execz .LBB123_373
; %bb.372:
	scratch_load_dwordx4 v[2:5], off, off offset:16
	v_mov_b32_e32 v6, 0
	v_mov_b32_e32 v7, v6
	;; [unrolled: 1-line block ×4, first 2 shown]
	v_accvgpr_read_b32 v0, a121
	scratch_store_dwordx4 off, v[6:9], off offset:16
	s_waitcnt vmcnt(1)
	ds_write_b128 v0, v[2:5]
.LBB123_373:
	s_or_b64 exec, exec, s[0:1]
	s_waitcnt lgkmcnt(0)
	; wave barrier
	scratch_load_dwordx4 v[16:19], off, off offset:32
	scratch_load_dwordx4 v[20:23], off, off offset:48
	;; [unrolled: 1-line block ×30, first 2 shown]
	v_mov_b32_e32 v252, 0
	ds_read_b128 v[88:91], v252 offset:976
	ds_read_b128 v[92:95], v252 offset:992
	;; [unrolled: 1-line block ×17, first 2 shown]
	scratch_load_dwordx4 a[124:127], off, off offset:544
	scratch_load_dwordx4 a[128:131], off, off offset:560
	;; [unrolled: 1-line block ×6, first 2 shown]
	ds_read_b128 v[220:223], v252 offset:1312
	ds_read_b128 v[224:227], v252 offset:1328
	;; [unrolled: 1-line block ×7, first 2 shown]
	scratch_load_dwordx4 a[148:151], off, off offset:640
	scratch_load_dwordx4 a[152:155], off, off offset:656
	s_and_b64 vcc, exec, s[10:11]
	scratch_load_dwordx4 a[120:123], off, off offset:528
	s_waitcnt vmcnt(38) lgkmcnt(14)
	v_mul_f64 v[0:1], v[88:89], v[18:19]
	s_waitcnt vmcnt(37)
	v_mul_f64 v[2:3], v[92:93], v[22:23]
	v_fmac_f64_e32 v[0:1], v[90:91], v[16:17]
	s_waitcnt vmcnt(36)
	v_mul_f64 v[4:5], v[100:101], v[26:27]
	v_fmac_f64_e32 v[2:3], v[94:95], v[20:21]
	v_add_f64 v[0:1], v[0:1], 0
	s_waitcnt vmcnt(35)
	v_mul_f64 v[6:7], v[104:105], v[30:31]
	v_fmac_f64_e32 v[4:5], v[102:103], v[24:25]
	v_add_f64 v[0:1], v[0:1], v[2:3]
	;; [unrolled: 4-line block ×4, first 2 shown]
	v_fmac_f64_e32 v[10:11], v[114:115], v[36:37]
	v_add_f64 v[0:1], v[0:1], v[8:9]
	v_add_f64 v[0:1], v[0:1], v[10:11]
	scratch_load_dwordx4 v[8:11], off, off offset:512
	s_waitcnt vmcnt(33)
	v_mul_f64 v[12:13], v[116:117], v[42:43]
	s_waitcnt vmcnt(32)
	v_mul_f64 v[14:15], v[140:141], v[46:47]
	v_fmac_f64_e32 v[12:13], v[118:119], v[40:41]
	s_waitcnt vmcnt(31)
	v_mul_f64 v[204:205], v[152:153], v[50:51]
	v_fmac_f64_e32 v[14:15], v[142:143], v[44:45]
	v_add_f64 v[0:1], v[0:1], v[12:13]
	s_waitcnt vmcnt(30)
	v_mul_f64 v[206:207], v[164:165], v[54:55]
	v_fmac_f64_e32 v[204:205], v[154:155], v[48:49]
	v_add_f64 v[0:1], v[0:1], v[14:15]
	s_waitcnt vmcnt(29) lgkmcnt(13)
	v_mul_f64 v[208:209], v[176:177], v[58:59]
	v_fmac_f64_e32 v[206:207], v[166:167], v[52:53]
	v_add_f64 v[0:1], v[0:1], v[204:205]
	s_waitcnt vmcnt(28) lgkmcnt(12)
	;; [unrolled: 4-line block ×4, first 2 shown]
	v_mul_f64 v[214:215], v[188:189], v[70:71]
	v_fmac_f64_e32 v[212:213], v[186:187], v[64:65]
	v_add_f64 v[0:1], v[0:1], v[210:211]
	ds_read_b128 v[204:207], v252 offset:1248
	ds_read_b128 v[208:211], v252 offset:1264
	s_waitcnt vmcnt(25) lgkmcnt(11)
	v_mul_f64 v[216:217], v[192:193], v[74:75]
	v_fmac_f64_e32 v[214:215], v[190:191], v[68:69]
	v_add_f64 v[0:1], v[0:1], v[212:213]
	s_waitcnt vmcnt(24) lgkmcnt(10)
	v_mul_f64 v[218:219], v[196:197], v[78:79]
	v_fmac_f64_e32 v[216:217], v[194:195], v[72:73]
	v_add_f64 v[0:1], v[0:1], v[214:215]
	v_fmac_f64_e32 v[218:219], v[198:199], v[76:77]
	v_add_f64 v[0:1], v[0:1], v[216:217]
	s_waitcnt vmcnt(23) lgkmcnt(9)
	v_mul_f64 v[2:3], v[200:201], v[82:83]
	v_add_f64 v[0:1], v[0:1], v[218:219]
	v_fmac_f64_e32 v[2:3], v[202:203], v[80:81]
	ds_read_b128 v[212:215], v252 offset:1280
	ds_read_b128 v[216:219], v252 offset:1296
	v_add_f64 v[0:1], v[0:1], v[2:3]
	s_waitcnt vmcnt(22) lgkmcnt(3)
	v_mul_f64 v[2:3], v[204:205], v[86:87]
	v_fmac_f64_e32 v[2:3], v[206:207], v[84:85]
	v_add_f64 v[0:1], v[0:1], v[2:3]
	s_waitcnt vmcnt(21) lgkmcnt(2)
	v_mul_f64 v[2:3], v[208:209], v[98:99]
	v_fmac_f64_e32 v[2:3], v[210:211], v[96:97]
	;; [unrolled: 4-line block ×4, first 2 shown]
	v_add_f64 v[0:1], v[0:1], v[2:3]
	s_waitcnt vmcnt(18)
	v_mul_f64 v[2:3], v[220:221], v[130:131]
	v_fmac_f64_e32 v[2:3], v[222:223], v[128:129]
	v_add_f64 v[0:1], v[0:1], v[2:3]
	s_waitcnt vmcnt(17)
	v_mul_f64 v[2:3], v[224:225], v[134:135]
	v_fmac_f64_e32 v[2:3], v[226:227], v[132:133]
	;; [unrolled: 4-line block ×4, first 2 shown]
	v_add_f64 v[0:1], v[0:1], v[2:3]
	v_mul_f64 v[2:3], v[90:91], v[18:19]
	v_fma_f64 v[240:241], v[88:89], v[16:17], -v[2:3]
	s_waitcnt vmcnt(14)
	v_mul_f64 v[2:3], v[236:237], v[150:151]
	v_fmac_f64_e32 v[2:3], v[238:239], v[148:149]
	v_add_f64 v[0:1], v[0:1], v[2:3]
	s_waitcnt vmcnt(13)
	v_mul_f64 v[2:3], v[242:243], v[158:159]
	v_mul_f64 v[4:5], v[94:95], v[22:23]
	v_fmac_f64_e32 v[2:3], v[244:245], v[156:157]
	v_fma_f64 v[246:247], v[92:93], v[20:21], -v[4:5]
	v_add_f64 v[0:1], v[0:1], v[2:3]
	ds_read_b128 v[92:95], v252 offset:1472
	s_waitcnt vmcnt(12)
	v_mul_f64 v[2:3], v[248:249], v[162:163]
	v_mul_f64 v[4:5], v[102:103], v[26:27]
	v_fmac_f64_e32 v[2:3], v[250:251], v[160:161]
	v_fma_f64 v[254:255], v[100:101], v[24:25], -v[4:5]
	v_add_f64 v[88:89], v[0:1], v[2:3]
	v_mul_f64 v[0:1], v[106:107], v[30:31]
	v_mul_f64 v[4:5], v[110:111], v[34:35]
	v_fma_f64 v[90:91], v[104:105], v[28:29], -v[0:1]
	ds_read_b128 v[0:3], v252 offset:1424
	v_fma_f64 v[32:33], v[108:109], v[32:33], -v[4:5]
	v_mul_f64 v[4:5], v[114:115], v[38:39]
	v_fma_f64 v[28:29], v[112:113], v[36:37], -v[4:5]
	ds_read_b128 v[4:7], v252 offset:1440
	v_mul_f64 v[36:37], v[118:119], v[42:43]
	s_waitcnt vmcnt(11) lgkmcnt(1)
	v_mul_f64 v[14:15], v[0:1], v[170:171]
	v_fma_f64 v[24:25], v[116:117], v[40:41], -v[36:37]
	scratch_load_dwordx4 v[40:43], off, off offset:672
	v_fmac_f64_e32 v[14:15], v[2:3], v[168:169]
	s_waitcnt vmcnt(11) lgkmcnt(0)
	v_mul_f64 v[18:19], v[4:5], v[174:175]
	ds_read_b128 v[34:37], v252 offset:1456
	ds_read_b128 v[100:103], v252 offset:1488
	v_add_f64 v[14:15], v[88:89], v[14:15]
	v_fmac_f64_e32 v[18:19], v[6:7], v[172:173]
	v_add_f64 v[14:15], v[14:15], v[18:19]
	v_mul_f64 v[18:19], v[142:143], v[46:47]
	v_fma_f64 v[20:21], v[140:141], v[44:45], -v[18:19]
	v_mul_f64 v[44:45], v[154:155], v[50:51]
	v_fma_f64 v[18:19], v[152:153], v[48:49], -v[44:45]
	scratch_load_dwordx4 v[48:51], off, off offset:688
	s_waitcnt vmcnt(2) lgkmcnt(1)
	v_mul_f64 v[22:23], v[34:35], v[10:11]
	v_accvgpr_write_b32 a159, v11
	v_mul_f64 v[44:45], v[166:167], v[54:55]
	v_fmac_f64_e32 v[22:23], v[36:37], v[8:9]
	v_accvgpr_write_b32 a158, v10
	v_accvgpr_write_b32 a157, v9
	;; [unrolled: 1-line block ×3, first 2 shown]
	v_fma_f64 v[164:165], v[164:165], v[52:53], -v[44:45]
	scratch_load_dwordx4 v[44:47], off, off offset:704
	scratch_load_dwordx4 v[52:55], off, off offset:720
	v_accvgpr_read_b32 v8, a120
	v_add_f64 v[14:15], v[14:15], v[22:23]
	v_mul_f64 v[22:23], v[178:179], v[58:59]
	v_accvgpr_read_b32 v10, a122
	v_accvgpr_read_b32 v11, a123
	v_fma_f64 v[22:23], v[176:177], v[56:57], -v[22:23]
	v_accvgpr_read_b32 v9, a121
	v_mul_f64 v[56:57], v[92:93], v[10:11]
	v_fmac_f64_e32 v[56:57], v[94:95], v[8:9]
	v_add_f64 v[14:15], v[14:15], v[56:57]
	v_mul_f64 v[56:57], v[182:183], v[62:63]
	v_fma_f64 v[166:167], v[180:181], v[60:61], -v[56:57]
	scratch_load_dwordx4 v[56:59], off, off offset:736
	v_mul_f64 v[60:61], v[186:187], v[66:67]
	v_accvgpr_read_b32 v8, a124
	v_fma_f64 v[176:177], v[184:185], v[64:65], -v[60:61]
	v_accvgpr_read_b32 v10, a126
	v_accvgpr_read_b32 v11, a127
	v_mul_f64 v[60:61], v[190:191], v[70:71]
	v_accvgpr_read_b32 v9, a125
	s_waitcnt lgkmcnt(0)
	v_mul_f64 v[64:65], v[100:101], v[10:11]
	v_fma_f64 v[178:179], v[188:189], v[68:69], -v[60:61]
	scratch_load_dwordx4 v[60:63], off, off offset:752
	v_fmac_f64_e32 v[64:65], v[102:103], v[8:9]
	v_add_f64 v[14:15], v[14:15], v[64:65]
	v_mul_f64 v[64:65], v[194:195], v[74:75]
	ds_read_b128 v[104:107], v252 offset:1504
	v_fma_f64 v[180:181], v[192:193], v[72:73], -v[64:65]
	scratch_load_dwordx4 v[68:71], off, off offset:768
	scratch_load_dwordx4 v[64:67], off, off offset:784
	v_mul_f64 v[72:73], v[198:199], v[78:79]
	v_fma_f64 v[182:183], v[196:197], v[76:77], -v[72:73]
	v_mul_f64 v[72:73], v[202:203], v[82:83]
	v_fma_f64 v[16:17], v[200:201], v[80:81], -v[72:73]
	scratch_load_dwordx4 v[72:75], off, off offset:800
	v_accvgpr_read_b32 v8, a128
	ds_read_b128 v[108:111], v252 offset:1520
	ds_read_b128 v[112:115], v252 offset:1536
	v_accvgpr_read_b32 v10, a130
	v_accvgpr_read_b32 v11, a131
	;; [unrolled: 1-line block ×3, first 2 shown]
	s_waitcnt lgkmcnt(2)
	v_mul_f64 v[116:117], v[104:105], v[10:11]
	v_fmac_f64_e32 v[116:117], v[106:107], v[8:9]
	v_accvgpr_read_b32 v8, a132
	v_mul_f64 v[76:77], v[206:207], v[86:87]
	v_accvgpr_read_b32 v10, a134
	v_accvgpr_read_b32 v11, a135
	v_fma_f64 v[12:13], v[204:205], v[84:85], -v[76:77]
	scratch_load_dwordx4 v[76:79], off, off offset:816
	v_accvgpr_read_b32 v9, a133
	s_waitcnt lgkmcnt(1)
	v_mul_f64 v[26:27], v[108:109], v[10:11]
	scratch_load_dwordx4 v[80:83], off, off offset:832
	scratch_load_dwordx4 v[84:87], off, off offset:848
	v_add_f64 v[14:15], v[14:15], v[116:117]
	v_fmac_f64_e32 v[26:27], v[110:111], v[8:9]
	v_accvgpr_read_b32 v8, a136
	ds_read_b128 v[116:119], v252 offset:1552
	v_accvgpr_read_b32 v10, a138
	v_accvgpr_read_b32 v11, a139
	v_add_f64 v[14:15], v[14:15], v[26:27]
	v_accvgpr_read_b32 v9, a137
	s_waitcnt lgkmcnt(1)
	v_mul_f64 v[26:27], v[112:113], v[10:11]
	v_fmac_f64_e32 v[26:27], v[114:115], v[8:9]
	v_accvgpr_read_b32 v8, a140
	v_mul_f64 v[30:31], v[210:211], v[98:99]
	v_add_f64 v[14:15], v[14:15], v[26:27]
	v_mul_f64 v[26:27], v[214:215], v[122:123]
	v_accvgpr_read_b32 v10, a142
	v_accvgpr_read_b32 v11, a143
	v_fma_f64 v[30:31], v[208:209], v[96:97], -v[30:31]
	v_fma_f64 v[26:27], v[212:213], v[120:121], -v[26:27]
	ds_read_b128 v[120:123], v252 offset:1568
	v_accvgpr_read_b32 v9, a141
	s_waitcnt lgkmcnt(1)
	v_mul_f64 v[96:97], v[116:117], v[10:11]
	v_fmac_f64_e32 v[96:97], v[118:119], v[8:9]
	v_add_f64 v[14:15], v[14:15], v[96:97]
	v_mul_f64 v[96:97], v[218:219], v[126:127]
	v_fma_f64 v[10:11], v[216:217], v[124:125], -v[96:97]
	scratch_load_dwordx4 v[96:99], off, off offset:864
	v_mul_f64 v[88:89], v[222:223], v[130:131]
	v_fma_f64 v[88:89], v[220:221], v[128:129], -v[88:89]
	v_accvgpr_read_b32 v128, a144
	v_accvgpr_read_b32 v130, a146
	v_accvgpr_read_b32 v131, a147
	v_accvgpr_read_b32 v129, a145
	s_waitcnt lgkmcnt(0)
	v_mul_f64 v[140:141], v[120:121], v[130:131]
	ds_read_b128 v[124:127], v252 offset:1584
	v_fmac_f64_e32 v[140:141], v[122:123], v[128:129]
	ds_read_b128 v[128:131], v252 offset:1600
	v_mul_f64 v[134:135], v[226:227], v[134:135]
	v_fma_f64 v[8:9], v[224:225], v[132:133], -v[134:135]
	v_accvgpr_read_b32 v132, a152
	v_accvgpr_read_b32 v134, a154
	;; [unrolled: 1-line block ×5, first 2 shown]
	s_waitcnt lgkmcnt(0)
	v_mul_f64 v[38:39], v[128:129], v[134:135]
	v_accvgpr_read_b32 v154, a150
	v_fmac_f64_e32 v[38:39], v[130:131], v[132:133]
	ds_read_b128 v[132:135], v252 offset:1616
	v_add_f64 v[14:15], v[14:15], v[140:141]
	v_accvgpr_read_b32 v153, a149
	v_accvgpr_read_b32 v152, a148
	v_mul_f64 v[140:141], v[124:125], v[154:155]
	v_fmac_f64_e32 v[140:141], v[126:127], v[152:153]
	v_add_f64 v[14:15], v[14:15], v[140:141]
	v_add_f64 v[14:15], v[14:15], v[38:39]
	v_mul_f64 v[38:39], v[230:231], v[138:139]
	v_fma_f64 v[38:39], v[228:229], v[136:137], -v[38:39]
	ds_read_b128 v[136:139], v252 offset:1632
	s_waitcnt vmcnt(12) lgkmcnt(1)
	v_mul_f64 v[140:141], v[132:133], v[42:43]
	v_fmac_f64_e32 v[140:141], v[134:135], v[40:41]
	v_add_f64 v[14:15], v[14:15], v[140:141]
	ds_read_b128 v[140:143], v252 offset:1648
	v_mul_f64 v[146:147], v[234:235], v[146:147]
	s_waitcnt vmcnt(11) lgkmcnt(1)
	v_mul_f64 v[152:153], v[136:137], v[50:51]
	v_fma_f64 v[232:233], v[232:233], v[144:145], -v[146:147]
	ds_read_b128 v[144:147], v252 offset:1664
	v_fmac_f64_e32 v[152:153], v[138:139], v[48:49]
	v_mul_f64 v[150:151], v[238:239], v[150:151]
	v_add_f64 v[14:15], v[14:15], v[152:153]
	s_waitcnt vmcnt(10) lgkmcnt(1)
	v_mul_f64 v[152:153], v[140:141], v[46:47]
	v_fma_f64 v[234:235], v[236:237], v[148:149], -v[150:151]
	ds_read_b128 v[148:151], v252 offset:1680
	v_fmac_f64_e32 v[152:153], v[142:143], v[44:45]
	v_add_f64 v[14:15], v[14:15], v[152:153]
	ds_read_b128 v[152:155], v252 offset:1696
	s_waitcnt vmcnt(9) lgkmcnt(2)
	v_mul_f64 v[184:185], v[144:145], v[54:55]
	v_mul_f64 v[158:159], v[244:245], v[158:159]
	v_fmac_f64_e32 v[184:185], v[146:147], v[52:53]
	v_fma_f64 v[236:237], v[242:243], v[156:157], -v[158:159]
	ds_read_b128 v[156:159], v252 offset:1712
	v_add_f64 v[14:15], v[14:15], v[184:185]
	s_waitcnt vmcnt(8) lgkmcnt(2)
	v_mul_f64 v[184:185], v[148:149], v[58:59]
	v_mul_f64 v[162:163], v[250:251], v[162:163]
	v_fmac_f64_e32 v[184:185], v[150:151], v[56:57]
	v_fma_f64 v[250:251], v[248:249], v[160:161], -v[162:163]
	ds_read_b128 v[160:163], v252 offset:1728
	v_add_f64 v[14:15], v[14:15], v[184:185]
	s_waitcnt vmcnt(7) lgkmcnt(2)
	v_mul_f64 v[184:185], v[152:153], v[62:63]
	ds_read_b128 v[242:245], v252 offset:1744
	v_fmac_f64_e32 v[184:185], v[154:155], v[60:61]
	v_add_f64 v[14:15], v[14:15], v[184:185]
	s_waitcnt vmcnt(6) lgkmcnt(2)
	v_mul_f64 v[184:185], v[156:157], v[70:71]
	v_mul_f64 v[2:3], v[2:3], v[170:171]
	v_fmac_f64_e32 v[184:185], v[158:159], v[68:69]
	v_fma_f64 v[0:1], v[0:1], v[168:169], -v[2:3]
	v_add_f64 v[14:15], v[14:15], v[184:185]
	s_waitcnt vmcnt(5) lgkmcnt(1)
	v_mul_f64 v[184:185], v[160:161], v[66:67]
	v_accvgpr_write_b32 a161, v1
	v_fmac_f64_e32 v[184:185], v[162:163], v[64:65]
	v_accvgpr_write_b32 a160, v0
	ds_read_b128 v[168:171], v252 offset:1760
	s_waitcnt vmcnt(4) lgkmcnt(1)
	v_mul_f64 v[0:1], v[242:243], v[74:75]
	v_add_f64 v[14:15], v[14:15], v[184:185]
	v_fmac_f64_e32 v[0:1], v[244:245], v[72:73]
	v_add_f64 v[14:15], v[14:15], v[0:1]
	v_mul_f64 v[0:1], v[6:7], v[174:175]
	v_fma_f64 v[248:249], v[4:5], v[172:173], -v[0:1]
	ds_read_b128 v[172:175], v252 offset:1776
	ds_read_b128 v[0:3], v252 offset:1792
	s_waitcnt vmcnt(3) lgkmcnt(2)
	v_mul_f64 v[4:5], v[168:169], v[78:79]
	v_fmac_f64_e32 v[4:5], v[170:171], v[76:77]
	v_add_f64 v[4:5], v[14:15], v[4:5]
	s_waitcnt vmcnt(2) lgkmcnt(1)
	v_mul_f64 v[6:7], v[172:173], v[82:83]
	v_fmac_f64_e32 v[6:7], v[174:175], v[80:81]
	v_add_f64 v[4:5], v[4:5], v[6:7]
	;; [unrolled: 4-line block ×3, first 2 shown]
	ds_read_b128 v[4:7], v252 offset:1808
	ds_read_b128 v[188:191], v252 offset:1824
	;; [unrolled: 1-line block ×6, first 2 shown]
	s_waitcnt vmcnt(0) lgkmcnt(5)
	v_mul_f64 v[184:185], v[4:5], v[98:99]
	v_fmac_f64_e32 v[184:185], v[6:7], v[96:97]
	v_add_f64 v[14:15], v[14:15], v[184:185]
	scratch_load_dwordx4 v[184:187], off, off offset:880
	ds_read_b128 v[228:231], v252 offset:1904
	v_mul_f64 v[2:3], v[2:3], v[86:87]
	v_fma_f64 v[0:1], v[0:1], v[84:85], -v[2:3]
	v_mul_f64 v[2:3], v[6:7], v[98:99]
	v_fma_f64 v[2:3], v[4:5], v[96:97], -v[2:3]
	s_waitcnt vmcnt(0) lgkmcnt(5)
	v_mul_f64 v[192:193], v[188:189], v[186:187]
	v_fmac_f64_e32 v[192:193], v[190:191], v[184:185]
	v_add_f64 v[14:15], v[14:15], v[192:193]
	scratch_load_dwordx4 v[192:195], off, off offset:896
	s_waitcnt vmcnt(0) lgkmcnt(4)
	v_mul_f64 v[200:201], v[196:197], v[194:195]
	v_fmac_f64_e32 v[200:201], v[198:199], v[192:193]
	v_add_f64 v[14:15], v[14:15], v[200:201]
	scratch_load_dwordx4 v[200:203], off, off offset:912
	;; [unrolled: 5-line block ×5, first 2 shown]
	s_waitcnt vmcnt(0) lgkmcnt(0)
	v_mul_f64 v[238:239], v[228:229], v[226:227]
	v_fmac_f64_e32 v[238:239], v[230:231], v[224:225]
	v_add_f64 v[14:15], v[14:15], v[238:239]
	v_add_f64 v[238:239], v[240:241], 0
	;; [unrolled: 1-line block ×27, first 2 shown]
	scratch_load_dwordx4 v[232:235], off, off offset:16
	v_add_f64 v[8:9], v[8:9], v[236:237]
	v_accvgpr_read_b32 v16, a156
	v_add_f64 v[250:251], v[8:9], v[250:251]
	v_accvgpr_read_b32 v8, a160
	v_accvgpr_read_b32 v18, a158
	v_accvgpr_read_b32 v19, a159
	v_accvgpr_read_b32 v9, a161
	v_accvgpr_read_b32 v17, a157
	v_mul_f64 v[10:11], v[36:37], v[18:19]
	v_add_f64 v[8:9], v[250:251], v[8:9]
	v_fma_f64 v[10:11], v[34:35], v[16:17], -v[10:11]
	v_accvgpr_read_b32 v16, a120
	v_add_f64 v[8:9], v[8:9], v[248:249]
	v_accvgpr_read_b32 v18, a122
	v_accvgpr_read_b32 v19, a123
	v_add_f64 v[8:9], v[8:9], v[10:11]
	v_accvgpr_read_b32 v17, a121
	v_mul_f64 v[10:11], v[94:95], v[18:19]
	v_fma_f64 v[10:11], v[92:93], v[16:17], -v[10:11]
	v_accvgpr_read_b32 v16, a124
	v_accvgpr_read_b32 v18, a126
	v_accvgpr_read_b32 v19, a127
	v_add_f64 v[8:9], v[8:9], v[10:11]
	v_accvgpr_read_b32 v17, a125
	v_mul_f64 v[10:11], v[102:103], v[18:19]
	v_fma_f64 v[10:11], v[100:101], v[16:17], -v[10:11]
	v_accvgpr_read_b32 v16, a128
	v_accvgpr_read_b32 v18, a130
	v_accvgpr_read_b32 v19, a131
	v_add_f64 v[8:9], v[8:9], v[10:11]
	v_accvgpr_read_b32 v17, a129
	v_mul_f64 v[10:11], v[106:107], v[18:19]
	v_fma_f64 v[10:11], v[104:105], v[16:17], -v[10:11]
	v_accvgpr_read_b32 v16, a132
	v_accvgpr_read_b32 v18, a134
	v_accvgpr_read_b32 v19, a135
	v_add_f64 v[8:9], v[8:9], v[10:11]
	v_accvgpr_read_b32 v17, a133
	v_mul_f64 v[10:11], v[110:111], v[18:19]
	v_fma_f64 v[10:11], v[108:109], v[16:17], -v[10:11]
	v_accvgpr_read_b32 v16, a136
	v_accvgpr_read_b32 v18, a138
	v_accvgpr_read_b32 v19, a139
	v_add_f64 v[8:9], v[8:9], v[10:11]
	v_accvgpr_read_b32 v17, a137
	v_mul_f64 v[10:11], v[114:115], v[18:19]
	v_fma_f64 v[10:11], v[112:113], v[16:17], -v[10:11]
	v_accvgpr_read_b32 v16, a140
	v_accvgpr_read_b32 v18, a142
	v_accvgpr_read_b32 v19, a143
	v_add_f64 v[8:9], v[8:9], v[10:11]
	v_accvgpr_read_b32 v17, a141
	v_mul_f64 v[10:11], v[118:119], v[18:19]
	v_fma_f64 v[10:11], v[116:117], v[16:17], -v[10:11]
	v_accvgpr_read_b32 v16, a144
	v_accvgpr_read_b32 v18, a146
	v_accvgpr_read_b32 v19, a147
	v_add_f64 v[8:9], v[8:9], v[10:11]
	v_accvgpr_read_b32 v17, a145
	v_mul_f64 v[10:11], v[122:123], v[18:19]
	v_fma_f64 v[10:11], v[120:121], v[16:17], -v[10:11]
	v_accvgpr_read_b32 v16, a148
	v_accvgpr_read_b32 v18, a150
	v_accvgpr_read_b32 v19, a151
	v_add_f64 v[8:9], v[8:9], v[10:11]
	v_accvgpr_read_b32 v17, a149
	v_mul_f64 v[10:11], v[126:127], v[18:19]
	v_fma_f64 v[10:11], v[124:125], v[16:17], -v[10:11]
	v_accvgpr_read_b32 v16, a152
	v_accvgpr_read_b32 v18, a154
	v_accvgpr_read_b32 v19, a155
	v_add_f64 v[8:9], v[8:9], v[10:11]
	v_accvgpr_read_b32 v17, a153
	v_mul_f64 v[10:11], v[130:131], v[18:19]
	v_fma_f64 v[10:11], v[128:129], v[16:17], -v[10:11]
	v_add_f64 v[8:9], v[8:9], v[10:11]
	v_mul_f64 v[10:11], v[134:135], v[42:43]
	v_fma_f64 v[10:11], v[132:133], v[40:41], -v[10:11]
	v_add_f64 v[8:9], v[8:9], v[10:11]
	;; [unrolled: 3-line block ×12, first 2 shown]
	v_add_f64 v[0:1], v[8:9], v[0:1]
	v_add_f64 v[0:1], v[0:1], v[2:3]
	v_mul_f64 v[2:3], v[190:191], v[186:187]
	v_fma_f64 v[2:3], v[188:189], v[184:185], -v[2:3]
	v_add_f64 v[0:1], v[0:1], v[2:3]
	v_mul_f64 v[2:3], v[198:199], v[194:195]
	v_fma_f64 v[2:3], v[196:197], v[192:193], -v[2:3]
	;; [unrolled: 3-line block ×6, first 2 shown]
	v_add_f64 v[0:1], v[0:1], v[2:3]
	s_waitcnt vmcnt(0)
	v_add_f64 v[0:1], v[232:233], -v[0:1]
	v_add_f64 v[2:3], v[234:235], -v[14:15]
	scratch_store_dwordx4 off, v[0:3], off offset:16
	s_cbranch_vccz .LBB123_492
; %bb.374:
	global_load_dword v0, v252, s[8:9] offset:232
	s_waitcnt vmcnt(0)
	v_readfirstlane_b32 s0, v0
	s_add_i32 s0, s0, -1
	s_cmp_lg_u32 s0, 58
	s_cbranch_scc0 .LBB123_376
; %bb.375:
	s_lshl_b32 s0, s0, 4
	s_add_i32 s0, s0, 16
	scratch_load_dwordx4 v[0:3], off, s0
	scratch_load_dwordx4 v[4:7], off, s17
	s_waitcnt vmcnt(1)
	scratch_store_dwordx4 off, v[0:3], s17
	s_waitcnt vmcnt(1)
	scratch_store_dwordx4 off, v[4:7], s0
.LBB123_376:
	v_mov_b32_e32 v0, 0
	global_load_dword v1, v0, s[8:9] offset:228
	s_waitcnt vmcnt(0)
	v_readfirstlane_b32 s0, v1
	s_add_i32 s0, s0, -1
	s_cmp_eq_u32 s0, 57
	s_cbranch_scc1 .LBB123_378
; %bb.377:
	s_lshl_b32 s0, s0, 4
	s_add_i32 s0, s0, 16
	scratch_load_dwordx4 v[2:5], off, s0
	scratch_load_dwordx4 v[6:9], off, s18
	s_waitcnt vmcnt(1)
	scratch_store_dwordx4 off, v[2:5], s18
	s_waitcnt vmcnt(1)
	scratch_store_dwordx4 off, v[6:9], s0
.LBB123_378:
	global_load_dword v0, v0, s[8:9] offset:224
	s_waitcnt vmcnt(0)
	v_readfirstlane_b32 s0, v0
	s_add_i32 s0, s0, -1
	s_cmp_eq_u32 s0, 56
	s_cbranch_scc1 .LBB123_380
; %bb.379:
	s_lshl_b32 s0, s0, 4
	s_add_i32 s0, s0, 16
	scratch_load_dwordx4 v[0:3], off, s0
	scratch_load_dwordx4 v[4:7], off, s19
	s_waitcnt vmcnt(1)
	scratch_store_dwordx4 off, v[0:3], s19
	s_waitcnt vmcnt(1)
	scratch_store_dwordx4 off, v[4:7], s0
.LBB123_380:
	v_mov_b32_e32 v0, 0
	global_load_dword v1, v0, s[8:9] offset:220
	s_waitcnt vmcnt(0)
	v_readfirstlane_b32 s0, v1
	s_add_i32 s0, s0, -1
	s_cmp_eq_u32 s0, 55
	s_cbranch_scc1 .LBB123_382
; %bb.381:
	s_lshl_b32 s0, s0, 4
	s_add_i32 s0, s0, 16
	scratch_load_dwordx4 v[2:5], off, s0
	scratch_load_dwordx4 v[6:9], off, s20
	s_waitcnt vmcnt(1)
	scratch_store_dwordx4 off, v[2:5], s20
	s_waitcnt vmcnt(1)
	scratch_store_dwordx4 off, v[6:9], s0
.LBB123_382:
	global_load_dword v0, v0, s[8:9] offset:216
	s_waitcnt vmcnt(0)
	v_readfirstlane_b32 s0, v0
	s_add_i32 s0, s0, -1
	s_cmp_eq_u32 s0, 54
	s_cbranch_scc1 .LBB123_384
; %bb.383:
	s_lshl_b32 s0, s0, 4
	s_add_i32 s0, s0, 16
	scratch_load_dwordx4 v[0:3], off, s0
	scratch_load_dwordx4 v[4:7], off, s21
	s_waitcnt vmcnt(1)
	scratch_store_dwordx4 off, v[0:3], s21
	s_waitcnt vmcnt(1)
	scratch_store_dwordx4 off, v[4:7], s0
.LBB123_384:
	;; [unrolled: 33-line block ×28, first 2 shown]
	v_mov_b32_e32 v0, 0
	global_load_dword v1, v0, s[8:9] offset:4
	s_waitcnt vmcnt(0)
	v_readfirstlane_b32 s0, v1
	s_add_i32 s0, s0, -1
	s_cmp_eq_u32 s0, 1
	s_cbranch_scc1 .LBB123_490
; %bb.489:
	s_lshl_b32 s0, s0, 4
	s_add_i32 s0, s0, 16
	scratch_load_dwordx4 v[2:5], off, s0
	scratch_load_dwordx4 v[6:9], off, s75
	s_waitcnt vmcnt(1)
	scratch_store_dwordx4 off, v[2:5], s75
	s_waitcnt vmcnt(1)
	scratch_store_dwordx4 off, v[6:9], s0
.LBB123_490:
	global_load_dword v0, v0, s[8:9]
	s_waitcnt vmcnt(0)
	v_readfirstlane_b32 s0, v0
	s_add_i32 s0, s0, -1
	s_cmp_eq_u32 s0, 0
	s_cbranch_scc1 .LBB123_492
; %bb.491:
	s_lshl_b32 s0, s0, 4
	s_add_i32 s0, s0, 16
	scratch_load_dwordx4 v[0:3], off, s0
	scratch_load_dwordx4 v[4:7], off, off offset:16
	s_waitcnt vmcnt(1)
	scratch_store_dwordx4 off, v[0:3], off offset:16
	s_waitcnt vmcnt(1)
	scratch_store_dwordx4 off, v[4:7], s0
.LBB123_492:
	scratch_load_dwordx4 v[0:3], off, off offset:16
	s_nop 0
	v_accvgpr_read_b32 v5, a1
	v_accvgpr_read_b32 v4, a0
	s_waitcnt vmcnt(0)
	flat_store_dwordx4 v[4:5], v[0:3]
	scratch_load_dwordx4 v[0:3], off, s75
	v_accvgpr_read_b32 v5, a3
	v_accvgpr_read_b32 v4, a2
	s_waitcnt vmcnt(0)
	flat_store_dwordx4 v[4:5], v[0:3]
	scratch_load_dwordx4 v[0:3], off, s74
	;; [unrolled: 5-line block ×59, first 2 shown]
	v_accvgpr_read_b32 v4, a118
	v_accvgpr_read_b32 v5, a119
	s_waitcnt vmcnt(0)
	flat_store_dwordx4 v[4:5], v[0:3]
	s_endpgm
	.section	.rodata,"a",@progbits
	.p2align	6, 0x0
	.amdhsa_kernel _ZN9rocsolver6v33100L18getri_kernel_smallILi60E19rocblas_complex_numIdEPKPS3_EEvT1_iilPiilS8_bb
		.amdhsa_group_segment_fixed_size 1928
		.amdhsa_private_segment_fixed_size 992
		.amdhsa_kernarg_size 60
		.amdhsa_user_sgpr_count 2
		.amdhsa_user_sgpr_dispatch_ptr 0
		.amdhsa_user_sgpr_queue_ptr 0
		.amdhsa_user_sgpr_kernarg_segment_ptr 1
		.amdhsa_user_sgpr_dispatch_id 0
		.amdhsa_user_sgpr_kernarg_preload_length 0
		.amdhsa_user_sgpr_kernarg_preload_offset 0
		.amdhsa_user_sgpr_private_segment_size 0
		.amdhsa_uses_dynamic_stack 0
		.amdhsa_enable_private_segment 1
		.amdhsa_system_sgpr_workgroup_id_x 1
		.amdhsa_system_sgpr_workgroup_id_y 0
		.amdhsa_system_sgpr_workgroup_id_z 0
		.amdhsa_system_sgpr_workgroup_info 0
		.amdhsa_system_vgpr_workitem_id 0
		.amdhsa_next_free_vgpr 418
		.amdhsa_next_free_sgpr 98
		.amdhsa_accum_offset 256
		.amdhsa_reserve_vcc 1
		.amdhsa_float_round_mode_32 0
		.amdhsa_float_round_mode_16_64 0
		.amdhsa_float_denorm_mode_32 3
		.amdhsa_float_denorm_mode_16_64 3
		.amdhsa_dx10_clamp 1
		.amdhsa_ieee_mode 1
		.amdhsa_fp16_overflow 0
		.amdhsa_tg_split 0
		.amdhsa_exception_fp_ieee_invalid_op 0
		.amdhsa_exception_fp_denorm_src 0
		.amdhsa_exception_fp_ieee_div_zero 0
		.amdhsa_exception_fp_ieee_overflow 0
		.amdhsa_exception_fp_ieee_underflow 0
		.amdhsa_exception_fp_ieee_inexact 0
		.amdhsa_exception_int_div_zero 0
	.end_amdhsa_kernel
	.section	.text._ZN9rocsolver6v33100L18getri_kernel_smallILi60E19rocblas_complex_numIdEPKPS3_EEvT1_iilPiilS8_bb,"axG",@progbits,_ZN9rocsolver6v33100L18getri_kernel_smallILi60E19rocblas_complex_numIdEPKPS3_EEvT1_iilPiilS8_bb,comdat
.Lfunc_end123:
	.size	_ZN9rocsolver6v33100L18getri_kernel_smallILi60E19rocblas_complex_numIdEPKPS3_EEvT1_iilPiilS8_bb, .Lfunc_end123-_ZN9rocsolver6v33100L18getri_kernel_smallILi60E19rocblas_complex_numIdEPKPS3_EEvT1_iilPiilS8_bb
                                        ; -- End function
	.set _ZN9rocsolver6v33100L18getri_kernel_smallILi60E19rocblas_complex_numIdEPKPS3_EEvT1_iilPiilS8_bb.num_vgpr, 256
	.set _ZN9rocsolver6v33100L18getri_kernel_smallILi60E19rocblas_complex_numIdEPKPS3_EEvT1_iilPiilS8_bb.num_agpr, 162
	.set _ZN9rocsolver6v33100L18getri_kernel_smallILi60E19rocblas_complex_numIdEPKPS3_EEvT1_iilPiilS8_bb.numbered_sgpr, 98
	.set _ZN9rocsolver6v33100L18getri_kernel_smallILi60E19rocblas_complex_numIdEPKPS3_EEvT1_iilPiilS8_bb.num_named_barrier, 0
	.set _ZN9rocsolver6v33100L18getri_kernel_smallILi60E19rocblas_complex_numIdEPKPS3_EEvT1_iilPiilS8_bb.private_seg_size, 992
	.set _ZN9rocsolver6v33100L18getri_kernel_smallILi60E19rocblas_complex_numIdEPKPS3_EEvT1_iilPiilS8_bb.uses_vcc, 1
	.set _ZN9rocsolver6v33100L18getri_kernel_smallILi60E19rocblas_complex_numIdEPKPS3_EEvT1_iilPiilS8_bb.uses_flat_scratch, 0
	.set _ZN9rocsolver6v33100L18getri_kernel_smallILi60E19rocblas_complex_numIdEPKPS3_EEvT1_iilPiilS8_bb.has_dyn_sized_stack, 0
	.set _ZN9rocsolver6v33100L18getri_kernel_smallILi60E19rocblas_complex_numIdEPKPS3_EEvT1_iilPiilS8_bb.has_recursion, 0
	.set _ZN9rocsolver6v33100L18getri_kernel_smallILi60E19rocblas_complex_numIdEPKPS3_EEvT1_iilPiilS8_bb.has_indirect_call, 0
	.section	.AMDGPU.csdata,"",@progbits
; Kernel info:
; codeLenInByte = 151900
; TotalNumSgprs: 104
; NumVgprs: 256
; NumAgprs: 162
; TotalNumVgprs: 418
; ScratchSize: 992
; MemoryBound: 0
; FloatMode: 240
; IeeeMode: 1
; LDSByteSize: 1928 bytes/workgroup (compile time only)
; SGPRBlocks: 12
; VGPRBlocks: 52
; NumSGPRsForWavesPerEU: 104
; NumVGPRsForWavesPerEU: 418
; AccumOffset: 256
; Occupancy: 1
; WaveLimiterHint : 1
; COMPUTE_PGM_RSRC2:SCRATCH_EN: 1
; COMPUTE_PGM_RSRC2:USER_SGPR: 2
; COMPUTE_PGM_RSRC2:TRAP_HANDLER: 0
; COMPUTE_PGM_RSRC2:TGID_X_EN: 1
; COMPUTE_PGM_RSRC2:TGID_Y_EN: 0
; COMPUTE_PGM_RSRC2:TGID_Z_EN: 0
; COMPUTE_PGM_RSRC2:TIDIG_COMP_CNT: 0
; COMPUTE_PGM_RSRC3_GFX90A:ACCUM_OFFSET: 63
; COMPUTE_PGM_RSRC3_GFX90A:TG_SPLIT: 0
	.section	.text._ZN9rocsolver6v33100L18getri_kernel_smallILi61E19rocblas_complex_numIdEPKPS3_EEvT1_iilPiilS8_bb,"axG",@progbits,_ZN9rocsolver6v33100L18getri_kernel_smallILi61E19rocblas_complex_numIdEPKPS3_EEvT1_iilPiilS8_bb,comdat
	.globl	_ZN9rocsolver6v33100L18getri_kernel_smallILi61E19rocblas_complex_numIdEPKPS3_EEvT1_iilPiilS8_bb ; -- Begin function _ZN9rocsolver6v33100L18getri_kernel_smallILi61E19rocblas_complex_numIdEPKPS3_EEvT1_iilPiilS8_bb
	.p2align	8
	.type	_ZN9rocsolver6v33100L18getri_kernel_smallILi61E19rocblas_complex_numIdEPKPS3_EEvT1_iilPiilS8_bb,@function
_ZN9rocsolver6v33100L18getri_kernel_smallILi61E19rocblas_complex_numIdEPKPS3_EEvT1_iilPiilS8_bb: ; @_ZN9rocsolver6v33100L18getri_kernel_smallILi61E19rocblas_complex_numIdEPKPS3_EEvT1_iilPiilS8_bb
; %bb.0:
	v_cmp_gt_u32_e32 vcc, 61, v0
	s_and_saveexec_b64 s[4:5], vcc
	s_cbranch_execz .LBB124_270
; %bb.1:
	s_load_dword s12, s[0:1], 0x38
	s_load_dwordx2 s[4:5], s[0:1], 0x0
	s_load_dwordx4 s[8:11], s[0:1], 0x28
                                        ; implicit-def: $vgpr255 : SGPR spill to VGPR lane
	s_waitcnt lgkmcnt(0)
	s_bitcmp1_b32 s12, 8
	s_cselect_b64 s[6:7], -1, 0
	v_writelane_b32 v255, s6, 0
	s_ashr_i32 s3, s2, 31
	s_nop 0
	v_writelane_b32 v255, s7, 1
	s_lshl_b64 s[6:7], s[2:3], 3
	s_add_u32 s4, s4, s6
	s_addc_u32 s5, s5, s7
	s_load_dwordx2 s[6:7], s[4:5], 0x0
	s_bfe_u32 s4, s12, 0x10008
	s_cmp_eq_u32 s4, 0
                                        ; implicit-def: $sgpr12_sgpr13
	s_cbranch_scc1 .LBB124_3
; %bb.2:
	s_load_dword s4, s[0:1], 0x20
	s_load_dwordx2 s[12:13], s[0:1], 0x18
	s_mul_i32 s5, s8, s3
	s_mul_hi_u32 s16, s8, s2
	s_add_i32 s16, s16, s5
	s_mul_i32 s9, s9, s2
	s_add_i32 s9, s16, s9
	s_mul_i32 s8, s8, s2
	s_waitcnt lgkmcnt(0)
	s_ashr_i32 s5, s4, 31
	s_lshl_b64 s[8:9], s[8:9], 2
	s_add_u32 s8, s12, s8
	s_addc_u32 s9, s13, s9
	s_lshl_b64 s[4:5], s[4:5], 2
	s_add_u32 s12, s8, s4
	s_addc_u32 s13, s9, s5
.LBB124_3:
	s_load_dwordx2 s[4:5], s[0:1], 0x8
	s_load_dword s8, s[0:1], 0x38
	v_lshlrev_b32_e32 v14, 4, v0
	v_mov_b32_e32 v15, 0
	s_movk_i32 s9, 0x80
	s_waitcnt lgkmcnt(0)
	s_ashr_i32 s1, s4, 31
	s_mov_b32 s0, s4
	s_lshl_b64 s[0:1], s[0:1], 4
	s_add_u32 s0, s6, s0
	s_addc_u32 s1, s7, s1
	v_lshl_add_u64 v[6:7], s[0:1], 0, v[14:15]
	flat_load_dwordx4 v[2:5], v[6:7]
	s_mov_b32 s6, s5
	s_ashr_i32 s7, s5, 31
	v_accvgpr_write_b32 a2, v6
	v_accvgpr_write_b32 a3, v7
	v_lshl_add_u64 v[6:7], s[6:7], 4, v[6:7]
	v_accvgpr_write_b32 a4, v6
	s_add_i32 s4, s5, s5
	v_accvgpr_write_b32 a5, v7
	s_movk_i32 s6, 0x60
	s_movk_i32 s7, 0x70
	;; [unrolled: 1-line block ×44, first 2 shown]
	s_movk_i32 vcc_lo, 0x360
	s_movk_i32 vcc_hi, 0x370
	s_movk_i32 s14, 0x380
	s_movk_i32 s15, 0x390
	s_movk_i32 s48, 0x3a0
	s_movk_i32 s49, 0x3b0
	s_movk_i32 s50, 0x3c0
	s_add_i32 s81, s6, 16
	s_add_i32 s80, s7, 16
	;; [unrolled: 1-line block ×20, first 2 shown]
	s_waitcnt vmcnt(0) lgkmcnt(0)
	scratch_store_dwordx4 off, v[2:5], off offset:16
	flat_load_dwordx4 v[2:5], v[6:7]
	v_add_u32_e32 v6, s4, v0
	v_ashrrev_i32_e32 v7, 31, v6
	v_lshl_add_u64 v[8:9], v[6:7], 4, s[0:1]
	v_add_u32_e32 v6, s5, v6
	v_accvgpr_write_b32 a6, v8
	v_ashrrev_i32_e32 v7, 31, v6
	v_accvgpr_write_b32 a7, v9
	s_movk_i32 s4, 0x50
	s_add_i32 s82, s4, 16
	s_add_i32 s61, s34, 16
	;; [unrolled: 1-line block ×26, first 2 shown]
	s_add_i32 s33, vcc_lo, 16
	s_add_i32 s31, vcc_hi, 16
	s_add_i32 s30, s14, 16
	s_add_i32 s29, s15, 16
	;; [unrolled: 1-line block ×5, first 2 shown]
	s_mov_b32 s86, 32
	s_mov_b32 s85, 48
	;; [unrolled: 1-line block ×3, first 2 shown]
	s_movk_i32 s83, 0x50
	s_waitcnt vmcnt(0) lgkmcnt(0)
	scratch_store_dwordx4 off, v[2:5], off offset:32
	flat_load_dwordx4 v[2:5], v[8:9]
	v_lshl_add_u64 v[8:9], v[6:7], 4, s[0:1]
	v_add_u32_e32 v6, s5, v6
	v_accvgpr_write_b32 a8, v8
	v_ashrrev_i32_e32 v7, 31, v6
	v_accvgpr_write_b32 a9, v9
	s_waitcnt vmcnt(0) lgkmcnt(0)
	scratch_store_dwordx4 off, v[2:5], off offset:48
	flat_load_dwordx4 v[2:5], v[8:9]
	v_lshl_add_u64 v[8:9], v[6:7], 4, s[0:1]
	v_add_u32_e32 v6, s5, v6
	v_accvgpr_write_b32 a11, v9
	v_ashrrev_i32_e32 v7, 31, v6
	v_accvgpr_write_b32 a10, v8
	;; [unrolled: 8-line block ×56, first 2 shown]
	s_waitcnt vmcnt(0) lgkmcnt(0)
	scratch_store_dwordx4 off, v[2:5], off offset:928
	flat_load_dwordx4 v[2:5], v[8:9]
	v_lshl_add_u64 v[8:9], v[6:7], 4, s[0:1]
	v_add_u32_e32 v6, s5, v6
	v_ashrrev_i32_e32 v7, 31, v6
	v_lshl_add_u64 v[6:7], v[6:7], 4, s[0:1]
	s_movk_i32 s0, 0x2b0
	s_movk_i32 s1, 0x2c0
	s_movk_i32 s5, 0x2d0
	v_accvgpr_write_b32 a121, v9
	v_accvgpr_write_b32 a123, v7
	s_add_i32 s44, s0, 16
	s_add_i32 s43, s1, 16
	;; [unrolled: 1-line block ×3, first 2 shown]
	v_accvgpr_write_b32 a120, v8
	v_accvgpr_write_b32 a122, v6
	s_bitcmp0_b32 s8, 0
	s_mov_b64 s[4:5], -1
	s_waitcnt vmcnt(0) lgkmcnt(0)
	scratch_store_dwordx4 off, v[2:5], off offset:944
	flat_load_dwordx4 v[2:5], v[8:9]
	s_waitcnt vmcnt(0) lgkmcnt(0)
	scratch_store_dwordx4 off, v[2:5], off offset:960
	flat_load_dwordx4 v[2:5], v[6:7]
	s_waitcnt vmcnt(0) lgkmcnt(0)
	scratch_store_dwordx4 off, v[2:5], off offset:976
	s_cbranch_scc1 .LBB124_268
; %bb.4:
	v_cmp_eq_u32_e64 s[0:1], 0, v0
	s_and_saveexec_b64 s[4:5], s[0:1]
; %bb.5:
	v_mov_b32_e32 v1, 0
	ds_write_b32 v1, v1 offset:1952
; %bb.6:
	s_or_b64 exec, exec, s[4:5]
	s_waitcnt lgkmcnt(0)
	; wave barrier
	scratch_load_dwordx4 v[2:5], v14, off offset:16
	s_waitcnt vmcnt(0)
	v_cmp_eq_f64_e32 vcc, 0, v[2:3]
	v_cmp_eq_f64_e64 s[4:5], 0, v[4:5]
	s_and_b64 s[4:5], vcc, s[4:5]
	s_and_saveexec_b64 s[6:7], s[4:5]
	s_cbranch_execz .LBB124_10
; %bb.7:
	v_mov_b32_e32 v1, 0
	ds_read_b32 v3, v1 offset:1952
	v_add_u32_e32 v2, 1, v0
	s_waitcnt lgkmcnt(0)
	v_readfirstlane_b32 s4, v3
	s_cmp_eq_u32 s4, 0
	s_cselect_b64 s[8:9], -1, 0
	v_cmp_gt_i32_e32 vcc, s4, v2
	s_or_b64 s[8:9], s[8:9], vcc
	s_and_b64 exec, exec, s[8:9]
	s_cbranch_execz .LBB124_10
; %bb.8:
	s_mov_b64 s[8:9], 0
	v_mov_b32_e32 v3, s4
.LBB124_9:                              ; =>This Inner Loop Header: Depth=1
	ds_cmpst_rtn_b32 v3, v1, v3, v2 offset:1952
	s_waitcnt lgkmcnt(0)
	v_cmp_ne_u32_e32 vcc, 0, v3
	v_cmp_le_i32_e64 s[4:5], v3, v2
	s_and_b64 s[4:5], vcc, s[4:5]
	s_and_b64 s[4:5], exec, s[4:5]
	s_or_b64 s[8:9], s[4:5], s[8:9]
	s_andn2_b64 exec, exec, s[8:9]
	s_cbranch_execnz .LBB124_9
.LBB124_10:
	s_or_b64 exec, exec, s[6:7]
	v_mov_b32_e32 v2, 0
	; wave barrier
	ds_read_b32 v1, v2 offset:1952
	s_and_saveexec_b64 s[4:5], s[0:1]
	s_cbranch_execz .LBB124_12
; %bb.11:
	s_lshl_b64 s[6:7], s[2:3], 2
	s_add_u32 s6, s10, s6
	s_addc_u32 s7, s11, s7
	s_waitcnt lgkmcnt(0)
	global_store_dword v2, v1, s[6:7]
.LBB124_12:
	s_or_b64 exec, exec, s[4:5]
	s_waitcnt lgkmcnt(0)
	v_cmp_ne_u32_e32 vcc, 0, v1
	s_mov_b64 s[4:5], 0
	s_cbranch_vccnz .LBB124_268
; %bb.13:
	v_add_u32_e32 v15, 16, v14
	scratch_load_dwordx4 v[2:5], v15, off
                                        ; implicit-def: $vgpr6_vgpr7
                                        ; implicit-def: $vgpr10_vgpr11
	s_waitcnt vmcnt(0)
	v_cmp_ngt_f64_e64 s[4:5], |v[2:3]|, |v[4:5]|
	s_and_saveexec_b64 s[6:7], s[4:5]
	s_xor_b64 s[4:5], exec, s[6:7]
	s_cbranch_execz .LBB124_15
; %bb.14:
	v_div_scale_f64 v[6:7], s[6:7], v[4:5], v[4:5], v[2:3]
	v_rcp_f64_e32 v[8:9], v[6:7]
	v_div_scale_f64 v[10:11], vcc, v[2:3], v[4:5], v[2:3]
	v_fma_f64 v[12:13], -v[6:7], v[8:9], 1.0
	v_fmac_f64_e32 v[8:9], v[8:9], v[12:13]
	v_fma_f64 v[12:13], -v[6:7], v[8:9], 1.0
	v_fmac_f64_e32 v[8:9], v[8:9], v[12:13]
	v_mul_f64 v[12:13], v[10:11], v[8:9]
	v_fma_f64 v[6:7], -v[6:7], v[12:13], v[10:11]
	v_div_fmas_f64 v[6:7], v[6:7], v[8:9], v[12:13]
	v_div_fixup_f64 v[6:7], v[6:7], v[4:5], v[2:3]
	v_fmac_f64_e32 v[4:5], v[2:3], v[6:7]
	v_div_scale_f64 v[2:3], s[6:7], v[4:5], v[4:5], 1.0
	v_rcp_f64_e32 v[8:9], v[2:3]
	s_nop 0
	v_fma_f64 v[10:11], -v[2:3], v[8:9], 1.0
	v_fmac_f64_e32 v[8:9], v[8:9], v[10:11]
	v_fma_f64 v[10:11], -v[2:3], v[8:9], 1.0
	v_fmac_f64_e32 v[8:9], v[8:9], v[10:11]
	v_div_scale_f64 v[10:11], vcc, 1.0, v[4:5], 1.0
	v_mul_f64 v[12:13], v[10:11], v[8:9]
	v_fma_f64 v[2:3], -v[2:3], v[12:13], v[10:11]
	s_nop 1
	v_div_fmas_f64 v[2:3], v[2:3], v[8:9], v[12:13]
	v_div_fixup_f64 v[8:9], v[2:3], v[4:5], 1.0
	v_mul_f64 v[6:7], v[6:7], v[8:9]
	v_xor_b32_e32 v9, 0x80000000, v9
	v_xor_b32_e32 v11, 0x80000000, v7
	v_mov_b32_e32 v10, v6
                                        ; implicit-def: $vgpr2_vgpr3
.LBB124_15:
	s_andn2_saveexec_b64 s[4:5], s[4:5]
	s_cbranch_execz .LBB124_17
; %bb.16:
	v_div_scale_f64 v[6:7], s[6:7], v[2:3], v[2:3], v[4:5]
	v_rcp_f64_e32 v[8:9], v[6:7]
	v_div_scale_f64 v[10:11], vcc, v[4:5], v[2:3], v[4:5]
	v_fma_f64 v[12:13], -v[6:7], v[8:9], 1.0
	v_fmac_f64_e32 v[8:9], v[8:9], v[12:13]
	v_fma_f64 v[12:13], -v[6:7], v[8:9], 1.0
	v_fmac_f64_e32 v[8:9], v[8:9], v[12:13]
	v_mul_f64 v[12:13], v[10:11], v[8:9]
	v_fma_f64 v[6:7], -v[6:7], v[12:13], v[10:11]
	v_div_fmas_f64 v[6:7], v[6:7], v[8:9], v[12:13]
	v_div_fixup_f64 v[8:9], v[6:7], v[2:3], v[4:5]
	v_fmac_f64_e32 v[2:3], v[4:5], v[8:9]
	v_div_scale_f64 v[4:5], s[6:7], v[2:3], v[2:3], 1.0
	v_rcp_f64_e32 v[6:7], v[4:5]
	s_nop 0
	v_fma_f64 v[10:11], -v[4:5], v[6:7], 1.0
	v_fmac_f64_e32 v[6:7], v[6:7], v[10:11]
	v_fma_f64 v[10:11], -v[4:5], v[6:7], 1.0
	v_fmac_f64_e32 v[6:7], v[6:7], v[10:11]
	v_div_scale_f64 v[10:11], vcc, 1.0, v[2:3], 1.0
	v_mul_f64 v[12:13], v[10:11], v[6:7]
	v_fma_f64 v[4:5], -v[4:5], v[12:13], v[10:11]
	s_nop 1
	v_div_fmas_f64 v[4:5], v[4:5], v[6:7], v[12:13]
	v_div_fixup_f64 v[6:7], v[4:5], v[2:3], 1.0
	v_xor_b32_e32 v11, 0x80000000, v7
	v_mov_b32_e32 v10, v6
	v_mul_f64 v[8:9], v[8:9], -v[6:7]
.LBB124_17:
	s_or_b64 exec, exec, s[4:5]
	scratch_store_dwordx4 v15, v[6:9], off
	scratch_load_dwordx4 v[2:5], off, s86
	v_xor_b32_e32 v13, 0x80000000, v9
	v_mov_b32_e32 v12, v8
	v_add_u32_e32 v1, 0x3d0, v14
	ds_write_b128 v14, v[10:13]
	s_waitcnt vmcnt(0)
	ds_write_b128 v14, v[2:5] offset:976
	s_waitcnt lgkmcnt(0)
	; wave barrier
	s_and_saveexec_b64 s[4:5], s[0:1]
	s_cbranch_execz .LBB124_19
; %bb.18:
	scratch_load_dwordx4 v[2:5], v15, off
	ds_read_b128 v[6:9], v1
	v_mov_b32_e32 v10, 0
	ds_read_b128 v[10:13], v10 offset:16
	s_waitcnt vmcnt(0) lgkmcnt(1)
	v_mul_f64 v[16:17], v[8:9], v[4:5]
	v_mul_f64 v[4:5], v[6:7], v[4:5]
	v_fma_f64 v[6:7], v[6:7], v[2:3], -v[16:17]
	v_fmac_f64_e32 v[4:5], v[8:9], v[2:3]
	v_add_f64 v[2:3], v[6:7], 0
	v_add_f64 v[6:7], v[4:5], 0
	s_waitcnt lgkmcnt(0)
	v_mul_f64 v[8:9], v[6:7], v[12:13]
	v_mul_f64 v[4:5], v[2:3], v[12:13]
	v_fma_f64 v[2:3], v[2:3], v[10:11], -v[8:9]
	v_fmac_f64_e32 v[4:5], v[6:7], v[10:11]
	scratch_store_dwordx4 off, v[2:5], off offset:32
.LBB124_19:
	s_or_b64 exec, exec, s[4:5]
	; wave barrier
	scratch_load_dwordx4 v[2:5], off, s85
	v_cmp_gt_u32_e32 vcc, 2, v0
	s_waitcnt vmcnt(0)
	ds_write_b128 v1, v[2:5]
	s_waitcnt lgkmcnt(0)
	; wave barrier
	s_and_saveexec_b64 s[4:5], vcc
	s_cbranch_execz .LBB124_23
; %bb.20:
	scratch_load_dwordx4 v[2:5], v15, off
	ds_read_b128 v[6:9], v1
	s_waitcnt vmcnt(0) lgkmcnt(0)
	v_mul_f64 v[10:11], v[8:9], v[4:5]
	v_mul_f64 v[12:13], v[6:7], v[4:5]
	v_fma_f64 v[4:5], v[6:7], v[2:3], -v[10:11]
	v_fmac_f64_e32 v[12:13], v[8:9], v[2:3]
	v_add_f64 v[4:5], v[4:5], 0
	v_add_f64 v[2:3], v[12:13], 0
	s_and_saveexec_b64 s[6:7], s[0:1]
	s_cbranch_execz .LBB124_22
; %bb.21:
	scratch_load_dwordx4 v[6:9], off, off offset:32
	v_mov_b32_e32 v10, 0
	ds_read_b128 v[10:13], v10 offset:992
	s_waitcnt vmcnt(0) lgkmcnt(0)
	v_mul_f64 v[16:17], v[10:11], v[8:9]
	v_mul_f64 v[8:9], v[12:13], v[8:9]
	v_fmac_f64_e32 v[16:17], v[12:13], v[6:7]
	v_fma_f64 v[6:7], v[10:11], v[6:7], -v[8:9]
	v_add_f64 v[2:3], v[2:3], v[16:17]
	v_add_f64 v[4:5], v[4:5], v[6:7]
.LBB124_22:
	s_or_b64 exec, exec, s[6:7]
	v_mov_b32_e32 v6, 0
	ds_read_b128 v[6:9], v6 offset:32
	s_waitcnt lgkmcnt(0)
	v_mul_f64 v[12:13], v[2:3], v[8:9]
	v_mul_f64 v[10:11], v[4:5], v[8:9]
	v_fma_f64 v[8:9], v[4:5], v[6:7], -v[12:13]
	v_fmac_f64_e32 v[10:11], v[2:3], v[6:7]
	scratch_store_dwordx4 off, v[8:11], off offset:48
.LBB124_23:
	s_or_b64 exec, exec, s[4:5]
	; wave barrier
	scratch_load_dwordx4 v[2:5], off, s84
	v_cmp_gt_u32_e64 s[4:5], 3, v0
	v_add_u32_e32 v6, -1, v0
	s_waitcnt vmcnt(0)
	ds_write_b128 v1, v[2:5]
	s_waitcnt lgkmcnt(0)
	; wave barrier
	s_and_saveexec_b64 s[6:7], s[4:5]
	s_cbranch_execz .LBB124_27
; %bb.24:
	v_add_u32_e32 v7, -1, v0
	v_add_u32_e32 v8, 0x3d0, v14
	v_add_u32_e32 v9, 16, v14
	v_mov_b64_e32 v[2:3], 0
	s_mov_b64 s[8:9], 0
	v_mov_b64_e32 v[4:5], 0
.LBB124_25:                             ; =>This Inner Loop Header: Depth=1
	scratch_load_dwordx4 v[10:13], v9, off
	ds_read_b128 v[16:19], v8
	v_add_u32_e32 v7, 1, v7
	v_cmp_lt_u32_e64 s[4:5], 1, v7
	v_add_u32_e32 v8, 16, v8
	v_add_u32_e32 v9, 16, v9
	s_or_b64 s[8:9], s[4:5], s[8:9]
	s_waitcnt vmcnt(0) lgkmcnt(0)
	v_mul_f64 v[20:21], v[18:19], v[12:13]
	v_mul_f64 v[12:13], v[16:17], v[12:13]
	v_fma_f64 v[16:17], v[16:17], v[10:11], -v[20:21]
	v_fmac_f64_e32 v[12:13], v[18:19], v[10:11]
	v_add_f64 v[4:5], v[4:5], v[16:17]
	v_add_f64 v[2:3], v[2:3], v[12:13]
	s_andn2_b64 exec, exec, s[8:9]
	s_cbranch_execnz .LBB124_25
; %bb.26:
	s_or_b64 exec, exec, s[8:9]
	v_mov_b32_e32 v7, 0
	ds_read_b128 v[8:11], v7 offset:48
	s_waitcnt lgkmcnt(0)
	v_mul_f64 v[16:17], v[2:3], v[10:11]
	v_mul_f64 v[12:13], v[4:5], v[10:11]
	v_fma_f64 v[10:11], v[4:5], v[8:9], -v[16:17]
	v_fmac_f64_e32 v[12:13], v[2:3], v[8:9]
	scratch_store_dwordx4 off, v[10:13], off offset:64
.LBB124_27:
	s_or_b64 exec, exec, s[6:7]
	; wave barrier
	scratch_load_dwordx4 v[2:5], off, s83
	v_cmp_gt_u32_e64 s[4:5], 4, v0
	s_waitcnt vmcnt(0)
	ds_write_b128 v1, v[2:5]
	s_waitcnt lgkmcnt(0)
	; wave barrier
	s_and_saveexec_b64 s[8:9], s[4:5]
	s_cbranch_execz .LBB124_31
; %bb.28:
	v_add_u32_e32 v7, -1, v0
	v_add_u32_e32 v8, 0x3d0, v14
	v_add_u32_e32 v9, 16, v14
	v_mov_b64_e32 v[2:3], 0
	s_mov_b64 s[16:17], 0
	v_mov_b64_e32 v[4:5], 0
.LBB124_29:                             ; =>This Inner Loop Header: Depth=1
	scratch_load_dwordx4 v[10:13], v9, off
	ds_read_b128 v[16:19], v8
	v_add_u32_e32 v7, 1, v7
	v_cmp_lt_u32_e64 s[6:7], 2, v7
	v_add_u32_e32 v8, 16, v8
	v_add_u32_e32 v9, 16, v9
	s_or_b64 s[16:17], s[6:7], s[16:17]
	s_waitcnt vmcnt(0) lgkmcnt(0)
	v_mul_f64 v[20:21], v[18:19], v[12:13]
	v_mul_f64 v[12:13], v[16:17], v[12:13]
	v_fma_f64 v[16:17], v[16:17], v[10:11], -v[20:21]
	v_fmac_f64_e32 v[12:13], v[18:19], v[10:11]
	v_add_f64 v[4:5], v[4:5], v[16:17]
	v_add_f64 v[2:3], v[2:3], v[12:13]
	s_andn2_b64 exec, exec, s[16:17]
	s_cbranch_execnz .LBB124_29
; %bb.30:
	s_or_b64 exec, exec, s[16:17]
	v_mov_b32_e32 v7, 0
	ds_read_b128 v[8:11], v7 offset:64
	s_waitcnt lgkmcnt(0)
	v_mul_f64 v[16:17], v[2:3], v[10:11]
	v_mul_f64 v[12:13], v[4:5], v[10:11]
	v_fma_f64 v[10:11], v[4:5], v[8:9], -v[16:17]
	v_fmac_f64_e32 v[12:13], v[2:3], v[8:9]
	scratch_store_dwordx4 off, v[10:13], off offset:80
.LBB124_31:
	s_or_b64 exec, exec, s[8:9]
	; wave barrier
	scratch_load_dwordx4 v[2:5], off, s82
	v_cmp_gt_u32_e64 s[6:7], 5, v0
	s_waitcnt vmcnt(0)
	ds_write_b128 v1, v[2:5]
	s_waitcnt lgkmcnt(0)
	; wave barrier
	s_and_saveexec_b64 s[8:9], s[6:7]
	s_cbranch_execz .LBB124_35
; %bb.32:
	v_add_u32_e32 v7, -1, v0
	v_add_u32_e32 v8, 0x3d0, v14
	v_add_u32_e32 v9, 16, v14
	v_mov_b64_e32 v[2:3], 0
	s_mov_b64 s[16:17], 0
	v_mov_b64_e32 v[4:5], 0
.LBB124_33:                             ; =>This Inner Loop Header: Depth=1
	scratch_load_dwordx4 v[10:13], v9, off
	ds_read_b128 v[16:19], v8
	v_add_u32_e32 v7, 1, v7
	v_cmp_lt_u32_e64 s[6:7], 3, v7
	v_add_u32_e32 v8, 16, v8
	v_add_u32_e32 v9, 16, v9
	s_or_b64 s[16:17], s[6:7], s[16:17]
	s_waitcnt vmcnt(0) lgkmcnt(0)
	v_mul_f64 v[20:21], v[18:19], v[12:13]
	v_mul_f64 v[12:13], v[16:17], v[12:13]
	v_fma_f64 v[16:17], v[16:17], v[10:11], -v[20:21]
	v_fmac_f64_e32 v[12:13], v[18:19], v[10:11]
	v_add_f64 v[4:5], v[4:5], v[16:17]
	v_add_f64 v[2:3], v[2:3], v[12:13]
	s_andn2_b64 exec, exec, s[16:17]
	s_cbranch_execnz .LBB124_33
; %bb.34:
	s_or_b64 exec, exec, s[16:17]
	v_mov_b32_e32 v7, 0
	ds_read_b128 v[8:11], v7 offset:80
	s_waitcnt lgkmcnt(0)
	v_mul_f64 v[16:17], v[2:3], v[10:11]
	v_mul_f64 v[12:13], v[4:5], v[10:11]
	v_fma_f64 v[10:11], v[4:5], v[8:9], -v[16:17]
	v_fmac_f64_e32 v[12:13], v[2:3], v[8:9]
	scratch_store_dwordx4 off, v[10:13], off offset:96
.LBB124_35:
	s_or_b64 exec, exec, s[8:9]
	; wave barrier
	scratch_load_dwordx4 v[2:5], off, s81
	v_cmp_gt_u32_e64 s[6:7], 6, v0
	s_waitcnt vmcnt(0)
	ds_write_b128 v1, v[2:5]
	s_waitcnt lgkmcnt(0)
	; wave barrier
	s_and_saveexec_b64 s[16:17], s[6:7]
	s_cbranch_execz .LBB124_39
; %bb.36:
	v_add_u32_e32 v7, -1, v0
	v_add_u32_e32 v8, 0x3d0, v14
	v_add_u32_e32 v9, 16, v14
	v_mov_b64_e32 v[2:3], 0
	s_mov_b64 s[18:19], 0
	v_mov_b64_e32 v[4:5], 0
.LBB124_37:                             ; =>This Inner Loop Header: Depth=1
	scratch_load_dwordx4 v[10:13], v9, off
	ds_read_b128 v[16:19], v8
	v_add_u32_e32 v7, 1, v7
	v_cmp_lt_u32_e64 s[8:9], 4, v7
	v_add_u32_e32 v8, 16, v8
	v_add_u32_e32 v9, 16, v9
	s_or_b64 s[18:19], s[8:9], s[18:19]
	s_waitcnt vmcnt(0) lgkmcnt(0)
	v_mul_f64 v[20:21], v[18:19], v[12:13]
	v_mul_f64 v[12:13], v[16:17], v[12:13]
	v_fma_f64 v[16:17], v[16:17], v[10:11], -v[20:21]
	v_fmac_f64_e32 v[12:13], v[18:19], v[10:11]
	v_add_f64 v[4:5], v[4:5], v[16:17]
	v_add_f64 v[2:3], v[2:3], v[12:13]
	s_andn2_b64 exec, exec, s[18:19]
	s_cbranch_execnz .LBB124_37
; %bb.38:
	s_or_b64 exec, exec, s[18:19]
	v_mov_b32_e32 v7, 0
	ds_read_b128 v[8:11], v7 offset:96
	s_waitcnt lgkmcnt(0)
	v_mul_f64 v[16:17], v[2:3], v[10:11]
	v_mul_f64 v[12:13], v[4:5], v[10:11]
	v_fma_f64 v[10:11], v[4:5], v[8:9], -v[16:17]
	v_fmac_f64_e32 v[12:13], v[2:3], v[8:9]
	scratch_store_dwordx4 off, v[10:13], off offset:112
.LBB124_39:
	s_or_b64 exec, exec, s[16:17]
	; wave barrier
	scratch_load_dwordx4 v[2:5], off, s80
	v_cmp_gt_u32_e64 s[8:9], 7, v0
	s_waitcnt vmcnt(0)
	ds_write_b128 v1, v[2:5]
	s_waitcnt lgkmcnt(0)
	; wave barrier
	s_and_saveexec_b64 s[16:17], s[8:9]
	s_cbranch_execz .LBB124_43
; %bb.40:
	v_add_u32_e32 v7, -1, v0
	v_add_u32_e32 v8, 0x3d0, v14
	v_add_u32_e32 v9, 16, v14
	v_mov_b64_e32 v[2:3], 0
	s_mov_b64 s[18:19], 0
	v_mov_b64_e32 v[4:5], 0
.LBB124_41:                             ; =>This Inner Loop Header: Depth=1
	scratch_load_dwordx4 v[10:13], v9, off
	ds_read_b128 v[16:19], v8
	v_add_u32_e32 v7, 1, v7
	v_cmp_lt_u32_e64 s[8:9], 5, v7
	v_add_u32_e32 v8, 16, v8
	v_add_u32_e32 v9, 16, v9
	s_or_b64 s[18:19], s[8:9], s[18:19]
	s_waitcnt vmcnt(0) lgkmcnt(0)
	v_mul_f64 v[20:21], v[18:19], v[12:13]
	v_mul_f64 v[12:13], v[16:17], v[12:13]
	v_fma_f64 v[16:17], v[16:17], v[10:11], -v[20:21]
	v_fmac_f64_e32 v[12:13], v[18:19], v[10:11]
	v_add_f64 v[4:5], v[4:5], v[16:17]
	v_add_f64 v[2:3], v[2:3], v[12:13]
	s_andn2_b64 exec, exec, s[18:19]
	s_cbranch_execnz .LBB124_41
; %bb.42:
	s_or_b64 exec, exec, s[18:19]
	v_mov_b32_e32 v7, 0
	ds_read_b128 v[8:11], v7 offset:112
	s_waitcnt lgkmcnt(0)
	v_mul_f64 v[16:17], v[2:3], v[10:11]
	v_mul_f64 v[12:13], v[4:5], v[10:11]
	v_fma_f64 v[10:11], v[4:5], v[8:9], -v[16:17]
	v_fmac_f64_e32 v[12:13], v[2:3], v[8:9]
	scratch_store_dwordx4 off, v[10:13], off offset:128
.LBB124_43:
	s_or_b64 exec, exec, s[16:17]
	; wave barrier
	scratch_load_dwordx4 v[2:5], off, s79
	v_cmp_gt_u32_e64 s[8:9], 8, v0
	s_waitcnt vmcnt(0)
	ds_write_b128 v1, v[2:5]
	s_waitcnt lgkmcnt(0)
	; wave barrier
	s_and_saveexec_b64 s[16:17], s[8:9]
	s_cbranch_execz .LBB124_59
; %bb.44:
	scratch_load_dwordx4 v[2:5], v15, off
	ds_read_b128 v[8:11], v1
	v_cmp_ne_u32_e64 s[8:9], 7, v0
	s_waitcnt vmcnt(0) lgkmcnt(0)
	v_mul_f64 v[12:13], v[10:11], v[4:5]
	v_mul_f64 v[16:17], v[8:9], v[4:5]
	v_fma_f64 v[4:5], v[8:9], v[2:3], -v[12:13]
	v_fmac_f64_e32 v[16:17], v[10:11], v[2:3]
	v_add_f64 v[4:5], v[4:5], 0
	v_add_f64 v[2:3], v[16:17], 0
	s_and_saveexec_b64 s[18:19], s[8:9]
	s_cbranch_execz .LBB124_58
; %bb.45:
	scratch_load_dwordx4 v[8:11], v15, off offset:16
	ds_read_b128 v[16:19], v1 offset:16
	s_waitcnt vmcnt(0) lgkmcnt(0)
	v_mul_f64 v[12:13], v[18:19], v[10:11]
	v_mul_f64 v[10:11], v[16:17], v[10:11]
	v_fma_f64 v[12:13], v[16:17], v[8:9], -v[12:13]
	v_fmac_f64_e32 v[10:11], v[18:19], v[8:9]
	v_add_f64 v[4:5], v[4:5], v[12:13]
	v_add_f64 v[2:3], v[2:3], v[10:11]
	s_and_saveexec_b64 s[8:9], s[6:7]
	s_cbranch_execz .LBB124_57
; %bb.46:
	scratch_load_dwordx4 v[8:11], v15, off offset:32
	ds_read_b128 v[16:19], v1 offset:32
	v_cmp_ne_u32_e64 s[6:7], 5, v0
	s_waitcnt vmcnt(0) lgkmcnt(0)
	v_mul_f64 v[12:13], v[18:19], v[10:11]
	v_mul_f64 v[10:11], v[16:17], v[10:11]
	v_fma_f64 v[12:13], v[16:17], v[8:9], -v[12:13]
	v_fmac_f64_e32 v[10:11], v[18:19], v[8:9]
	v_add_f64 v[4:5], v[4:5], v[12:13]
	v_add_f64 v[2:3], v[2:3], v[10:11]
	s_and_saveexec_b64 s[20:21], s[6:7]
	s_cbranch_execz .LBB124_56
; %bb.47:
	scratch_load_dwordx4 v[8:11], v15, off offset:48
	ds_read_b128 v[16:19], v1 offset:48
	s_waitcnt vmcnt(0) lgkmcnt(0)
	v_mul_f64 v[12:13], v[18:19], v[10:11]
	v_mul_f64 v[10:11], v[16:17], v[10:11]
	v_fma_f64 v[12:13], v[16:17], v[8:9], -v[12:13]
	v_fmac_f64_e32 v[10:11], v[18:19], v[8:9]
	v_add_f64 v[4:5], v[4:5], v[12:13]
	v_add_f64 v[2:3], v[2:3], v[10:11]
	s_and_saveexec_b64 s[6:7], s[4:5]
	s_cbranch_execz .LBB124_55
; %bb.48:
	scratch_load_dwordx4 v[8:11], v15, off offset:64
	ds_read_b128 v[16:19], v1 offset:64
	v_cmp_ne_u32_e64 s[4:5], 3, v0
	s_waitcnt vmcnt(0) lgkmcnt(0)
	v_mul_f64 v[12:13], v[18:19], v[10:11]
	v_mul_f64 v[10:11], v[16:17], v[10:11]
	v_fma_f64 v[12:13], v[16:17], v[8:9], -v[12:13]
	v_fmac_f64_e32 v[10:11], v[18:19], v[8:9]
	v_add_f64 v[4:5], v[4:5], v[12:13]
	v_add_f64 v[2:3], v[2:3], v[10:11]
	s_and_saveexec_b64 s[22:23], s[4:5]
	s_cbranch_execz .LBB124_54
; %bb.49:
	scratch_load_dwordx4 v[8:11], v15, off offset:80
	ds_read_b128 v[16:19], v1 offset:80
	s_waitcnt vmcnt(0) lgkmcnt(0)
	v_mul_f64 v[12:13], v[18:19], v[10:11]
	v_mul_f64 v[10:11], v[16:17], v[10:11]
	v_fma_f64 v[12:13], v[16:17], v[8:9], -v[12:13]
	v_fmac_f64_e32 v[10:11], v[18:19], v[8:9]
	v_add_f64 v[4:5], v[4:5], v[12:13]
	v_add_f64 v[2:3], v[2:3], v[10:11]
	s_and_saveexec_b64 s[4:5], vcc
	s_cbranch_execz .LBB124_53
; %bb.50:
	scratch_load_dwordx4 v[8:11], v15, off offset:96
	ds_read_b128 v[16:19], v1 offset:96
	s_waitcnt vmcnt(0) lgkmcnt(0)
	v_mul_f64 v[12:13], v[18:19], v[10:11]
	v_mul_f64 v[10:11], v[16:17], v[10:11]
	v_fma_f64 v[12:13], v[16:17], v[8:9], -v[12:13]
	v_fmac_f64_e32 v[10:11], v[18:19], v[8:9]
	v_add_f64 v[4:5], v[4:5], v[12:13]
	v_add_f64 v[2:3], v[2:3], v[10:11]
	s_and_saveexec_b64 s[24:25], s[0:1]
	s_cbranch_execz .LBB124_52
; %bb.51:
	scratch_load_dwordx4 v[8:11], v15, off offset:112
	ds_read_b128 v[16:19], v1 offset:112
	s_waitcnt vmcnt(0) lgkmcnt(0)
	v_mul_f64 v[12:13], v[18:19], v[10:11]
	v_mul_f64 v[10:11], v[16:17], v[10:11]
	v_fma_f64 v[12:13], v[16:17], v[8:9], -v[12:13]
	v_fmac_f64_e32 v[10:11], v[18:19], v[8:9]
	v_add_f64 v[4:5], v[4:5], v[12:13]
	v_add_f64 v[2:3], v[2:3], v[10:11]
.LBB124_52:
	s_or_b64 exec, exec, s[24:25]
.LBB124_53:
	s_or_b64 exec, exec, s[4:5]
.LBB124_54:
	s_or_b64 exec, exec, s[22:23]
.LBB124_55:
	s_or_b64 exec, exec, s[6:7]
.LBB124_56:
	s_or_b64 exec, exec, s[20:21]
.LBB124_57:
	s_or_b64 exec, exec, s[8:9]
.LBB124_58:
	s_or_b64 exec, exec, s[18:19]
	v_mov_b32_e32 v7, 0
	ds_read_b128 v[8:11], v7 offset:128
	s_waitcnt lgkmcnt(0)
	v_mul_f64 v[16:17], v[2:3], v[10:11]
	v_mul_f64 v[12:13], v[4:5], v[10:11]
	v_fma_f64 v[10:11], v[4:5], v[8:9], -v[16:17]
	v_fmac_f64_e32 v[12:13], v[2:3], v[8:9]
	scratch_store_dwordx4 off, v[10:13], off offset:144
.LBB124_59:
	s_or_b64 exec, exec, s[16:17]
	; wave barrier
	scratch_load_dwordx4 v[2:5], off, s78
	v_cmp_gt_u32_e32 vcc, 9, v0
	s_waitcnt vmcnt(0)
	ds_write_b128 v1, v[2:5]
	s_waitcnt lgkmcnt(0)
	; wave barrier
	s_and_saveexec_b64 s[0:1], vcc
	s_cbranch_execz .LBB124_63
; %bb.60:
	v_add_u32_e32 v7, -1, v0
	v_add_u32_e32 v8, 0x3d0, v14
	v_add_u32_e32 v9, 16, v14
	v_mov_b64_e32 v[2:3], 0
	s_mov_b64 s[4:5], 0
	v_mov_b64_e32 v[4:5], 0
.LBB124_61:                             ; =>This Inner Loop Header: Depth=1
	scratch_load_dwordx4 v[10:13], v9, off
	ds_read_b128 v[16:19], v8
	v_add_u32_e32 v7, 1, v7
	v_cmp_lt_u32_e32 vcc, 7, v7
	v_add_u32_e32 v8, 16, v8
	v_add_u32_e32 v9, 16, v9
	s_or_b64 s[4:5], vcc, s[4:5]
	s_waitcnt vmcnt(0) lgkmcnt(0)
	v_mul_f64 v[20:21], v[18:19], v[12:13]
	v_mul_f64 v[12:13], v[16:17], v[12:13]
	v_fma_f64 v[16:17], v[16:17], v[10:11], -v[20:21]
	v_fmac_f64_e32 v[12:13], v[18:19], v[10:11]
	v_add_f64 v[4:5], v[4:5], v[16:17]
	v_add_f64 v[2:3], v[2:3], v[12:13]
	s_andn2_b64 exec, exec, s[4:5]
	s_cbranch_execnz .LBB124_61
; %bb.62:
	s_or_b64 exec, exec, s[4:5]
	v_mov_b32_e32 v7, 0
	ds_read_b128 v[8:11], v7 offset:144
	s_waitcnt lgkmcnt(0)
	v_mul_f64 v[16:17], v[2:3], v[10:11]
	v_mul_f64 v[12:13], v[4:5], v[10:11]
	v_fma_f64 v[10:11], v[4:5], v[8:9], -v[16:17]
	v_fmac_f64_e32 v[12:13], v[2:3], v[8:9]
	scratch_store_dwordx4 off, v[10:13], off offset:160
.LBB124_63:
	s_or_b64 exec, exec, s[0:1]
	; wave barrier
	scratch_load_dwordx4 v[2:5], off, s77
	v_cmp_gt_u32_e32 vcc, 10, v0
	s_waitcnt vmcnt(0)
	ds_write_b128 v1, v[2:5]
	s_waitcnt lgkmcnt(0)
	; wave barrier
	s_and_saveexec_b64 s[0:1], vcc
	s_cbranch_execz .LBB124_67
; %bb.64:
	v_add_u32_e32 v7, -1, v0
	v_add_u32_e32 v8, 0x3d0, v14
	v_add_u32_e32 v9, 16, v14
	v_mov_b64_e32 v[2:3], 0
	s_mov_b64 s[4:5], 0
	v_mov_b64_e32 v[4:5], 0
.LBB124_65:                             ; =>This Inner Loop Header: Depth=1
	scratch_load_dwordx4 v[10:13], v9, off
	ds_read_b128 v[16:19], v8
	v_add_u32_e32 v7, 1, v7
	v_cmp_lt_u32_e32 vcc, 8, v7
	v_add_u32_e32 v8, 16, v8
	v_add_u32_e32 v9, 16, v9
	s_or_b64 s[4:5], vcc, s[4:5]
	s_waitcnt vmcnt(0) lgkmcnt(0)
	v_mul_f64 v[20:21], v[18:19], v[12:13]
	v_mul_f64 v[12:13], v[16:17], v[12:13]
	v_fma_f64 v[16:17], v[16:17], v[10:11], -v[20:21]
	v_fmac_f64_e32 v[12:13], v[18:19], v[10:11]
	v_add_f64 v[4:5], v[4:5], v[16:17]
	v_add_f64 v[2:3], v[2:3], v[12:13]
	s_andn2_b64 exec, exec, s[4:5]
	s_cbranch_execnz .LBB124_65
; %bb.66:
	s_or_b64 exec, exec, s[4:5]
	v_mov_b32_e32 v7, 0
	ds_read_b128 v[8:11], v7 offset:160
	s_waitcnt lgkmcnt(0)
	v_mul_f64 v[16:17], v[2:3], v[10:11]
	v_mul_f64 v[12:13], v[4:5], v[10:11]
	v_fma_f64 v[10:11], v[4:5], v[8:9], -v[16:17]
	v_fmac_f64_e32 v[12:13], v[2:3], v[8:9]
	scratch_store_dwordx4 off, v[10:13], off offset:176
.LBB124_67:
	;; [unrolled: 45-line block ×10, first 2 shown]
	s_or_b64 exec, exec, s[0:1]
	; wave barrier
	scratch_load_dwordx4 v[2:5], off, s68
	v_cmp_gt_u32_e32 vcc, 19, v0
	s_waitcnt vmcnt(0)
	ds_write_b128 v1, v[2:5]
	s_waitcnt lgkmcnt(0)
	; wave barrier
	s_and_saveexec_b64 s[0:1], vcc
	s_cbranch_execz .LBB124_103
; %bb.100:
	v_add_u32_e32 v7, -1, v0
	v_add_u32_e32 v8, 0x3d0, v14
	v_add_u32_e32 v9, 16, v14
	v_mov_b64_e32 v[2:3], 0
	s_mov_b64 s[4:5], 0
	v_mov_b64_e32 v[4:5], 0
.LBB124_101:                            ; =>This Inner Loop Header: Depth=1
	scratch_load_dwordx4 v[10:13], v9, off
	ds_read_b128 v[16:19], v8
	v_add_u32_e32 v7, 1, v7
	v_cmp_lt_u32_e32 vcc, 17, v7
	v_add_u32_e32 v8, 16, v8
	v_add_u32_e32 v9, 16, v9
	s_or_b64 s[4:5], vcc, s[4:5]
	s_waitcnt vmcnt(0) lgkmcnt(0)
	v_mul_f64 v[20:21], v[18:19], v[12:13]
	v_mul_f64 v[12:13], v[16:17], v[12:13]
	v_fma_f64 v[16:17], v[16:17], v[10:11], -v[20:21]
	v_fmac_f64_e32 v[12:13], v[18:19], v[10:11]
	v_add_f64 v[4:5], v[4:5], v[16:17]
	v_add_f64 v[2:3], v[2:3], v[12:13]
	s_andn2_b64 exec, exec, s[4:5]
	s_cbranch_execnz .LBB124_101
; %bb.102:
	s_or_b64 exec, exec, s[4:5]
	v_mov_b32_e32 v7, 0
	ds_read_b128 v[8:11], v7 offset:304
	s_waitcnt lgkmcnt(0)
	v_mul_f64 v[16:17], v[2:3], v[10:11]
	v_mul_f64 v[12:13], v[4:5], v[10:11]
	v_fma_f64 v[10:11], v[4:5], v[8:9], -v[16:17]
	v_fmac_f64_e32 v[12:13], v[2:3], v[8:9]
	scratch_store_dwordx4 off, v[10:13], off offset:320
.LBB124_103:
	s_or_b64 exec, exec, s[0:1]
	; wave barrier
	scratch_load_dwordx4 v[2:5], off, s67
	v_cmp_gt_u32_e32 vcc, 20, v0
	s_waitcnt vmcnt(0)
	ds_write_b128 v1, v[2:5]
	s_waitcnt lgkmcnt(0)
	; wave barrier
	s_and_saveexec_b64 s[0:1], vcc
	s_cbranch_execz .LBB124_107
; %bb.104:
	v_add_u32_e32 v7, -1, v0
	v_add_u32_e32 v8, 0x3d0, v14
	v_add_u32_e32 v9, 16, v14
	v_mov_b64_e32 v[2:3], 0
	s_mov_b64 s[4:5], 0
	v_mov_b64_e32 v[4:5], 0
.LBB124_105:                            ; =>This Inner Loop Header: Depth=1
	scratch_load_dwordx4 v[10:13], v9, off
	ds_read_b128 v[16:19], v8
	v_add_u32_e32 v7, 1, v7
	v_cmp_lt_u32_e32 vcc, 18, v7
	v_add_u32_e32 v8, 16, v8
	v_add_u32_e32 v9, 16, v9
	s_or_b64 s[4:5], vcc, s[4:5]
	s_waitcnt vmcnt(0) lgkmcnt(0)
	v_mul_f64 v[20:21], v[18:19], v[12:13]
	v_mul_f64 v[12:13], v[16:17], v[12:13]
	v_fma_f64 v[16:17], v[16:17], v[10:11], -v[20:21]
	v_fmac_f64_e32 v[12:13], v[18:19], v[10:11]
	v_add_f64 v[4:5], v[4:5], v[16:17]
	v_add_f64 v[2:3], v[2:3], v[12:13]
	s_andn2_b64 exec, exec, s[4:5]
	s_cbranch_execnz .LBB124_105
; %bb.106:
	s_or_b64 exec, exec, s[4:5]
	v_mov_b32_e32 v7, 0
	ds_read_b128 v[8:11], v7 offset:320
	s_waitcnt lgkmcnt(0)
	v_mul_f64 v[16:17], v[2:3], v[10:11]
	v_mul_f64 v[12:13], v[4:5], v[10:11]
	v_fma_f64 v[10:11], v[4:5], v[8:9], -v[16:17]
	v_fmac_f64_e32 v[12:13], v[2:3], v[8:9]
	scratch_store_dwordx4 off, v[10:13], off offset:336
.LBB124_107:
	;; [unrolled: 45-line block ×41, first 2 shown]
	s_or_b64 exec, exec, s[0:1]
	; wave barrier
	scratch_load_dwordx4 v[2:5], off, s14
	v_cmp_ne_u32_e32 vcc, 60, v0
	s_waitcnt vmcnt(0)
	ds_write_b128 v1, v[2:5]
	s_waitcnt lgkmcnt(0)
	; wave barrier
	s_and_saveexec_b64 s[0:1], vcc
	s_cbranch_execz .LBB124_267
; %bb.264:
	v_add_u32_e32 v1, 0x3d0, v14
	v_add_u32_e32 v7, 16, v14
	v_mov_b64_e32 v[2:3], 0
	s_mov_b64 s[4:5], 0
	v_mov_b64_e32 v[4:5], 0
.LBB124_265:                            ; =>This Inner Loop Header: Depth=1
	scratch_load_dwordx4 v[8:11], v7, off
	ds_read_b128 v[12:15], v1
	v_add_u32_e32 v6, 1, v6
	v_cmp_lt_u32_e32 vcc, 58, v6
	v_add_u32_e32 v1, 16, v1
	v_add_u32_e32 v7, 16, v7
	s_or_b64 s[4:5], vcc, s[4:5]
	s_waitcnt vmcnt(0) lgkmcnt(0)
	v_mul_f64 v[16:17], v[14:15], v[10:11]
	v_mul_f64 v[10:11], v[12:13], v[10:11]
	v_fma_f64 v[12:13], v[12:13], v[8:9], -v[16:17]
	v_fmac_f64_e32 v[10:11], v[14:15], v[8:9]
	v_add_f64 v[4:5], v[4:5], v[12:13]
	v_add_f64 v[2:3], v[2:3], v[10:11]
	s_andn2_b64 exec, exec, s[4:5]
	s_cbranch_execnz .LBB124_265
; %bb.266:
	s_or_b64 exec, exec, s[4:5]
	v_mov_b32_e32 v1, 0
	ds_read_b128 v[6:9], v1 offset:960
	s_waitcnt lgkmcnt(0)
	v_mul_f64 v[12:13], v[2:3], v[8:9]
	v_mul_f64 v[10:11], v[4:5], v[8:9]
	v_fma_f64 v[8:9], v[4:5], v[6:7], -v[12:13]
	v_fmac_f64_e32 v[10:11], v[2:3], v[6:7]
	scratch_store_dwordx4 off, v[8:11], off offset:976
.LBB124_267:
	s_or_b64 exec, exec, s[0:1]
	s_mov_b64 s[4:5], -1
	; wave barrier
.LBB124_268:
	s_and_b64 vcc, exec, s[4:5]
	s_cbranch_vccz .LBB124_270
; %bb.269:
	s_lshl_b64 s[0:1], s[2:3], 2
	s_add_u32 s0, s10, s0
	s_addc_u32 s1, s11, s1
	v_mov_b32_e32 v1, 0
	global_load_dword v1, v1, s[0:1]
	s_waitcnt vmcnt(0)
	v_cmp_ne_u32_e32 vcc, 0, v1
	s_cbranch_vccz .LBB124_271
.LBB124_270:
	s_endpgm
.LBB124_271:
	v_mov_b32_e32 v1, 0x3d0
	v_lshl_add_u32 v1, v0, 4, v1
	v_accvgpr_write_b32 a1, v1
	v_cmp_eq_u32_e32 vcc, 60, v0
	s_and_saveexec_b64 s[0:1], vcc
	s_cbranch_execz .LBB124_273
; %bb.272:
	scratch_load_dwordx4 v[2:5], off, s15
	v_mov_b32_e32 v6, 0
	v_mov_b32_e32 v7, v6
	;; [unrolled: 1-line block ×4, first 2 shown]
	v_accvgpr_read_b32 v1, a1
	scratch_store_dwordx4 off, v[6:9], off offset:960
	s_waitcnt vmcnt(1)
	ds_write_b128 v1, v[2:5]
.LBB124_273:
	s_or_b64 exec, exec, s[0:1]
	s_waitcnt lgkmcnt(0)
	; wave barrier
	scratch_load_dwordx4 v[4:7], off, off offset:976
	scratch_load_dwordx4 v[8:11], off, off offset:960
	v_mov_b32_e32 v2, 0
	ds_read_b128 v[12:15], v2 offset:1936
	v_cmp_lt_u32_e32 vcc, 58, v0
	s_waitcnt vmcnt(1) lgkmcnt(0)
	v_mul_f64 v[16:17], v[12:13], v[6:7]
	v_mul_f64 v[6:7], v[14:15], v[6:7]
	v_fmac_f64_e32 v[16:17], v[14:15], v[4:5]
	v_fma_f64 v[4:5], v[12:13], v[4:5], -v[6:7]
	v_add_f64 v[6:7], v[16:17], 0
	v_add_f64 v[4:5], v[4:5], 0
	s_waitcnt vmcnt(0)
	v_add_f64 v[4:5], v[8:9], -v[4:5]
	v_add_f64 v[6:7], v[10:11], -v[6:7]
	scratch_store_dwordx4 off, v[4:7], off offset:960
	s_and_saveexec_b64 s[0:1], vcc
	s_cbranch_execz .LBB124_275
; %bb.274:
	scratch_load_dwordx4 v[6:9], off, s48
	v_mov_b32_e32 v3, v2
	v_mov_b32_e32 v4, v2
	;; [unrolled: 1-line block ×3, first 2 shown]
	v_accvgpr_read_b32 v1, a1
	scratch_store_dwordx4 off, v[2:5], off offset:944
	s_waitcnt vmcnt(1)
	ds_write_b128 v1, v[6:9]
.LBB124_275:
	s_or_b64 exec, exec, s[0:1]
	s_waitcnt lgkmcnt(0)
	; wave barrier
	scratch_load_dwordx4 v[4:7], off, off offset:960
	scratch_load_dwordx4 v[8:11], off, off offset:976
	;; [unrolled: 1-line block ×3, first 2 shown]
	ds_read_b128 v[16:19], v2 offset:1920
	ds_read_b128 v[20:23], v2 offset:1936
	v_cmp_lt_u32_e32 vcc, 57, v0
	s_waitcnt vmcnt(2) lgkmcnt(1)
	v_mul_f64 v[2:3], v[16:17], v[6:7]
	v_mul_f64 v[6:7], v[18:19], v[6:7]
	s_waitcnt vmcnt(1) lgkmcnt(0)
	v_mul_f64 v[24:25], v[20:21], v[10:11]
	v_mul_f64 v[10:11], v[22:23], v[10:11]
	v_fmac_f64_e32 v[2:3], v[18:19], v[4:5]
	v_fma_f64 v[4:5], v[16:17], v[4:5], -v[6:7]
	v_fmac_f64_e32 v[24:25], v[22:23], v[8:9]
	v_fma_f64 v[6:7], v[20:21], v[8:9], -v[10:11]
	v_add_f64 v[2:3], v[2:3], 0
	v_add_f64 v[4:5], v[4:5], 0
	v_add_f64 v[8:9], v[2:3], v[24:25]
	v_add_f64 v[2:3], v[4:5], v[6:7]
	s_waitcnt vmcnt(0)
	v_add_f64 v[2:3], v[12:13], -v[2:3]
	v_add_f64 v[4:5], v[14:15], -v[8:9]
	scratch_store_dwordx4 off, v[2:5], off offset:944
	s_and_saveexec_b64 s[0:1], vcc
	s_cbranch_execz .LBB124_277
; %bb.276:
	scratch_load_dwordx4 v[2:5], off, s29
	v_mov_b32_e32 v6, 0
	v_mov_b32_e32 v7, v6
	;; [unrolled: 1-line block ×4, first 2 shown]
	v_accvgpr_read_b32 v1, a1
	scratch_store_dwordx4 off, v[6:9], off offset:928
	s_waitcnt vmcnt(1)
	ds_write_b128 v1, v[2:5]
.LBB124_277:
	s_or_b64 exec, exec, s[0:1]
	s_waitcnt lgkmcnt(0)
	; wave barrier
	scratch_load_dwordx4 v[4:7], off, off offset:944
	scratch_load_dwordx4 v[8:11], off, off offset:960
	;; [unrolled: 1-line block ×4, first 2 shown]
	v_mov_b32_e32 v2, 0
	ds_read_b128 v[20:23], v2 offset:1904
	ds_read_b128 v[24:27], v2 offset:1920
	;; [unrolled: 1-line block ×3, first 2 shown]
	v_cmp_lt_u32_e32 vcc, 56, v0
	s_waitcnt vmcnt(3) lgkmcnt(2)
	v_mul_f64 v[32:33], v[20:21], v[6:7]
	v_mul_f64 v[6:7], v[22:23], v[6:7]
	s_waitcnt vmcnt(2) lgkmcnt(1)
	v_mul_f64 v[34:35], v[24:25], v[10:11]
	v_mul_f64 v[10:11], v[26:27], v[10:11]
	v_fmac_f64_e32 v[32:33], v[22:23], v[4:5]
	v_fma_f64 v[4:5], v[20:21], v[4:5], -v[6:7]
	s_waitcnt vmcnt(1) lgkmcnt(0)
	v_mul_f64 v[36:37], v[28:29], v[14:15]
	v_mul_f64 v[14:15], v[30:31], v[14:15]
	v_fmac_f64_e32 v[34:35], v[26:27], v[8:9]
	v_fma_f64 v[6:7], v[24:25], v[8:9], -v[10:11]
	v_add_f64 v[10:11], v[32:33], 0
	v_add_f64 v[4:5], v[4:5], 0
	v_fmac_f64_e32 v[36:37], v[30:31], v[12:13]
	v_fma_f64 v[8:9], v[28:29], v[12:13], -v[14:15]
	v_add_f64 v[10:11], v[10:11], v[34:35]
	v_add_f64 v[4:5], v[4:5], v[6:7]
	;; [unrolled: 1-line block ×4, first 2 shown]
	s_waitcnt vmcnt(0)
	v_add_f64 v[4:5], v[16:17], -v[4:5]
	v_add_f64 v[6:7], v[18:19], -v[6:7]
	scratch_store_dwordx4 off, v[4:7], off offset:928
	s_and_saveexec_b64 s[0:1], vcc
	s_cbranch_execz .LBB124_279
; %bb.278:
	scratch_load_dwordx4 v[6:9], off, s30
	v_mov_b32_e32 v3, v2
	v_mov_b32_e32 v4, v2
	;; [unrolled: 1-line block ×3, first 2 shown]
	v_accvgpr_read_b32 v1, a1
	scratch_store_dwordx4 off, v[2:5], off offset:912
	s_waitcnt vmcnt(1)
	ds_write_b128 v1, v[6:9]
.LBB124_279:
	s_or_b64 exec, exec, s[0:1]
	s_waitcnt lgkmcnt(0)
	; wave barrier
	ds_read_b128 v[4:7], v2 offset:1888
	ds_read_b128 v[8:11], v2 offset:1904
	ds_read_b128 v[12:15], v2 offset:1920
	ds_read_b128 v[16:19], v2 offset:1936
	scratch_load_dwordx4 v[20:23], off, off offset:928
	scratch_load_dwordx4 v[24:27], off, off offset:944
	v_cmp_lt_u32_e32 vcc, 55, v0
	s_waitcnt vmcnt(1) lgkmcnt(3)
	v_mul_f64 v[2:3], v[4:5], v[22:23]
	v_fmac_f64_e32 v[2:3], v[6:7], v[20:21]
	s_waitcnt vmcnt(0) lgkmcnt(2)
	v_mul_f64 v[28:29], v[8:9], v[26:27]
	v_add_f64 v[2:3], v[2:3], 0
	v_fmac_f64_e32 v[28:29], v[10:11], v[24:25]
	v_add_f64 v[2:3], v[2:3], v[28:29]
	scratch_load_dwordx4 v[28:31], off, off offset:960
	s_waitcnt vmcnt(0) lgkmcnt(1)
	v_mul_f64 v[32:33], v[12:13], v[30:31]
	v_fmac_f64_e32 v[32:33], v[14:15], v[28:29]
	v_add_f64 v[2:3], v[2:3], v[32:33]
	scratch_load_dwordx4 v[32:35], off, off offset:976
	s_waitcnt vmcnt(0) lgkmcnt(0)
	v_mul_f64 v[36:37], v[16:17], v[34:35]
	v_fmac_f64_e32 v[36:37], v[18:19], v[32:33]
	v_add_f64 v[36:37], v[2:3], v[36:37]
	v_mul_f64 v[2:3], v[6:7], v[22:23]
	v_fma_f64 v[2:3], v[4:5], v[20:21], -v[2:3]
	v_mul_f64 v[4:5], v[10:11], v[26:27]
	v_add_f64 v[2:3], v[2:3], 0
	v_fma_f64 v[4:5], v[8:9], v[24:25], -v[4:5]
	v_add_f64 v[2:3], v[2:3], v[4:5]
	v_mul_f64 v[4:5], v[14:15], v[30:31]
	v_fma_f64 v[4:5], v[12:13], v[28:29], -v[4:5]
	v_add_f64 v[2:3], v[2:3], v[4:5]
	v_mul_f64 v[4:5], v[18:19], v[34:35]
	v_fma_f64 v[4:5], v[16:17], v[32:33], -v[4:5]
	v_add_f64 v[6:7], v[2:3], v[4:5]
	scratch_load_dwordx4 v[2:5], off, off offset:912
	s_waitcnt vmcnt(0)
	v_add_f64 v[2:3], v[2:3], -v[6:7]
	v_add_f64 v[4:5], v[4:5], -v[36:37]
	scratch_store_dwordx4 off, v[2:5], off offset:912
	s_and_saveexec_b64 s[0:1], vcc
	s_cbranch_execz .LBB124_281
; %bb.280:
	scratch_load_dwordx4 v[2:5], off, s31
	v_mov_b32_e32 v6, 0
	v_mov_b32_e32 v7, v6
	;; [unrolled: 1-line block ×4, first 2 shown]
	v_accvgpr_read_b32 v1, a1
	scratch_store_dwordx4 off, v[6:9], off offset:896
	s_waitcnt vmcnt(1)
	ds_write_b128 v1, v[2:5]
.LBB124_281:
	s_or_b64 exec, exec, s[0:1]
	s_waitcnt lgkmcnt(0)
	; wave barrier
	scratch_load_dwordx4 v[4:7], off, off offset:912
	scratch_load_dwordx4 v[8:11], off, off offset:928
	;; [unrolled: 1-line block ×6, first 2 shown]
	v_mov_b32_e32 v2, 0
	ds_read_b128 v[28:31], v2 offset:1872
	ds_read_b128 v[32:35], v2 offset:1888
	;; [unrolled: 1-line block ×5, first 2 shown]
	v_cmp_lt_u32_e32 vcc, 54, v0
	s_waitcnt vmcnt(5) lgkmcnt(4)
	v_mul_f64 v[48:49], v[28:29], v[6:7]
	v_mul_f64 v[6:7], v[30:31], v[6:7]
	s_waitcnt vmcnt(4) lgkmcnt(3)
	v_mul_f64 v[50:51], v[32:33], v[10:11]
	s_waitcnt vmcnt(3) lgkmcnt(2)
	v_mul_f64 v[52:53], v[36:37], v[14:15]
	v_mul_f64 v[10:11], v[34:35], v[10:11]
	;; [unrolled: 1-line block ×3, first 2 shown]
	v_fmac_f64_e32 v[48:49], v[30:31], v[4:5]
	v_fma_f64 v[4:5], v[28:29], v[4:5], -v[6:7]
	v_fmac_f64_e32 v[50:51], v[34:35], v[8:9]
	v_fma_f64 v[6:7], v[32:33], v[8:9], -v[10:11]
	v_fma_f64 v[8:9], v[36:37], v[12:13], -v[14:15]
	v_add_f64 v[14:15], v[48:49], 0
	v_add_f64 v[4:5], v[4:5], 0
	s_waitcnt vmcnt(2) lgkmcnt(1)
	v_mul_f64 v[54:55], v[40:41], v[18:19]
	v_mul_f64 v[18:19], v[42:43], v[18:19]
	v_fmac_f64_e32 v[52:53], v[38:39], v[12:13]
	v_add_f64 v[14:15], v[14:15], v[50:51]
	v_add_f64 v[4:5], v[4:5], v[6:7]
	s_waitcnt vmcnt(1) lgkmcnt(0)
	v_mul_f64 v[56:57], v[44:45], v[22:23]
	v_mul_f64 v[22:23], v[46:47], v[22:23]
	v_fmac_f64_e32 v[54:55], v[42:43], v[16:17]
	v_fma_f64 v[10:11], v[40:41], v[16:17], -v[18:19]
	v_add_f64 v[6:7], v[14:15], v[52:53]
	v_add_f64 v[4:5], v[4:5], v[8:9]
	v_fmac_f64_e32 v[56:57], v[46:47], v[20:21]
	v_fma_f64 v[12:13], v[44:45], v[20:21], -v[22:23]
	v_add_f64 v[6:7], v[6:7], v[54:55]
	v_add_f64 v[4:5], v[4:5], v[10:11]
	;; [unrolled: 1-line block ×4, first 2 shown]
	s_waitcnt vmcnt(0)
	v_add_f64 v[4:5], v[24:25], -v[4:5]
	v_add_f64 v[6:7], v[26:27], -v[6:7]
	scratch_store_dwordx4 off, v[4:7], off offset:896
	s_and_saveexec_b64 s[0:1], vcc
	s_cbranch_execz .LBB124_283
; %bb.282:
	scratch_load_dwordx4 v[6:9], off, s33
	v_mov_b32_e32 v3, v2
	v_mov_b32_e32 v4, v2
	;; [unrolled: 1-line block ×3, first 2 shown]
	v_accvgpr_read_b32 v1, a1
	scratch_store_dwordx4 off, v[2:5], off offset:880
	s_waitcnt vmcnt(1)
	ds_write_b128 v1, v[6:9]
.LBB124_283:
	s_or_b64 exec, exec, s[0:1]
	s_waitcnt lgkmcnt(0)
	; wave barrier
	scratch_load_dwordx4 v[4:7], off, off offset:896
	scratch_load_dwordx4 v[8:11], off, off offset:912
	;; [unrolled: 1-line block ×7, first 2 shown]
	ds_read_b128 v[32:35], v2 offset:1856
	ds_read_b128 v[36:39], v2 offset:1872
	;; [unrolled: 1-line block ×6, first 2 shown]
	v_cmp_lt_u32_e32 vcc, 53, v0
	s_waitcnt vmcnt(6) lgkmcnt(5)
	v_mul_f64 v[2:3], v[32:33], v[6:7]
	v_mul_f64 v[6:7], v[34:35], v[6:7]
	s_waitcnt vmcnt(5) lgkmcnt(4)
	v_mul_f64 v[56:57], v[36:37], v[10:11]
	v_mul_f64 v[10:11], v[38:39], v[10:11]
	v_fmac_f64_e32 v[2:3], v[34:35], v[4:5]
	v_fma_f64 v[4:5], v[32:33], v[4:5], -v[6:7]
	s_waitcnt vmcnt(4) lgkmcnt(3)
	v_mul_f64 v[58:59], v[40:41], v[14:15]
	v_mul_f64 v[14:15], v[42:43], v[14:15]
	v_fmac_f64_e32 v[56:57], v[38:39], v[8:9]
	v_fma_f64 v[6:7], v[36:37], v[8:9], -v[10:11]
	v_add_f64 v[2:3], v[2:3], 0
	v_add_f64 v[4:5], v[4:5], 0
	s_waitcnt vmcnt(3) lgkmcnt(2)
	v_mul_f64 v[60:61], v[44:45], v[18:19]
	v_mul_f64 v[18:19], v[46:47], v[18:19]
	v_fmac_f64_e32 v[58:59], v[42:43], v[12:13]
	v_fma_f64 v[8:9], v[40:41], v[12:13], -v[14:15]
	v_add_f64 v[2:3], v[2:3], v[56:57]
	v_add_f64 v[4:5], v[4:5], v[6:7]
	;; [unrolled: 7-line block ×4, first 2 shown]
	v_fmac_f64_e32 v[64:65], v[54:55], v[24:25]
	v_fma_f64 v[14:15], v[52:53], v[24:25], -v[26:27]
	v_add_f64 v[2:3], v[2:3], v[62:63]
	v_add_f64 v[4:5], v[4:5], v[12:13]
	v_add_f64 v[6:7], v[2:3], v[64:65]
	v_add_f64 v[2:3], v[4:5], v[14:15]
	s_waitcnt vmcnt(0)
	v_add_f64 v[2:3], v[28:29], -v[2:3]
	v_add_f64 v[4:5], v[30:31], -v[6:7]
	scratch_store_dwordx4 off, v[2:5], off offset:880
	s_and_saveexec_b64 s[0:1], vcc
	s_cbranch_execz .LBB124_285
; %bb.284:
	scratch_load_dwordx4 v[2:5], off, s34
	v_mov_b32_e32 v6, 0
	v_mov_b32_e32 v7, v6
	;; [unrolled: 1-line block ×4, first 2 shown]
	v_accvgpr_read_b32 v1, a1
	scratch_store_dwordx4 off, v[6:9], off offset:864
	s_waitcnt vmcnt(1)
	ds_write_b128 v1, v[2:5]
.LBB124_285:
	s_or_b64 exec, exec, s[0:1]
	s_waitcnt lgkmcnt(0)
	; wave barrier
	scratch_load_dwordx4 v[4:7], off, off offset:880
	scratch_load_dwordx4 v[8:11], off, off offset:896
	;; [unrolled: 1-line block ×8, first 2 shown]
	v_mov_b32_e32 v2, 0
	ds_read_b128 v[36:39], v2 offset:1840
	ds_read_b128 v[40:43], v2 offset:1856
	;; [unrolled: 1-line block ×7, first 2 shown]
	v_cmp_lt_u32_e32 vcc, 52, v0
	s_waitcnt vmcnt(7) lgkmcnt(6)
	v_mul_f64 v[64:65], v[36:37], v[6:7]
	v_mul_f64 v[6:7], v[38:39], v[6:7]
	s_waitcnt vmcnt(6) lgkmcnt(5)
	v_mul_f64 v[66:67], v[40:41], v[10:11]
	s_waitcnt vmcnt(4) lgkmcnt(3)
	v_mul_f64 v[70:71], v[48:49], v[18:19]
	v_mul_f64 v[10:11], v[42:43], v[10:11]
	;; [unrolled: 1-line block ×3, first 2 shown]
	v_fmac_f64_e32 v[64:65], v[38:39], v[4:5]
	v_fma_f64 v[4:5], v[36:37], v[4:5], -v[6:7]
	v_mul_f64 v[68:69], v[44:45], v[14:15]
	v_mul_f64 v[14:15], v[46:47], v[14:15]
	v_fmac_f64_e32 v[66:67], v[42:43], v[8:9]
	v_fma_f64 v[6:7], v[40:41], v[8:9], -v[10:11]
	v_fma_f64 v[10:11], v[48:49], v[16:17], -v[18:19]
	v_add_f64 v[18:19], v[64:65], 0
	v_add_f64 v[4:5], v[4:5], 0
	v_fmac_f64_e32 v[68:69], v[46:47], v[12:13]
	v_fma_f64 v[8:9], v[44:45], v[12:13], -v[14:15]
	v_add_f64 v[18:19], v[18:19], v[66:67]
	v_add_f64 v[4:5], v[4:5], v[6:7]
	s_waitcnt vmcnt(3) lgkmcnt(2)
	v_mul_f64 v[72:73], v[52:53], v[22:23]
	v_mul_f64 v[22:23], v[54:55], v[22:23]
	v_fmac_f64_e32 v[70:71], v[50:51], v[16:17]
	v_add_f64 v[6:7], v[18:19], v[68:69]
	v_add_f64 v[4:5], v[4:5], v[8:9]
	s_waitcnt vmcnt(2) lgkmcnt(1)
	v_mul_f64 v[74:75], v[56:57], v[26:27]
	v_mul_f64 v[26:27], v[58:59], v[26:27]
	v_fmac_f64_e32 v[72:73], v[54:55], v[20:21]
	v_fma_f64 v[12:13], v[52:53], v[20:21], -v[22:23]
	v_add_f64 v[6:7], v[6:7], v[70:71]
	v_add_f64 v[4:5], v[4:5], v[10:11]
	s_waitcnt vmcnt(1) lgkmcnt(0)
	v_mul_f64 v[76:77], v[60:61], v[30:31]
	v_mul_f64 v[30:31], v[62:63], v[30:31]
	v_fmac_f64_e32 v[74:75], v[58:59], v[24:25]
	v_fma_f64 v[14:15], v[56:57], v[24:25], -v[26:27]
	v_add_f64 v[6:7], v[6:7], v[72:73]
	v_add_f64 v[4:5], v[4:5], v[12:13]
	v_fmac_f64_e32 v[76:77], v[62:63], v[28:29]
	v_fma_f64 v[16:17], v[60:61], v[28:29], -v[30:31]
	v_add_f64 v[6:7], v[6:7], v[74:75]
	v_add_f64 v[4:5], v[4:5], v[14:15]
	;; [unrolled: 1-line block ×4, first 2 shown]
	s_waitcnt vmcnt(0)
	v_add_f64 v[4:5], v[32:33], -v[4:5]
	v_add_f64 v[6:7], v[34:35], -v[6:7]
	scratch_store_dwordx4 off, v[4:7], off offset:864
	s_and_saveexec_b64 s[0:1], vcc
	s_cbranch_execz .LBB124_287
; %bb.286:
	scratch_load_dwordx4 v[6:9], off, s35
	v_mov_b32_e32 v3, v2
	v_mov_b32_e32 v4, v2
	;; [unrolled: 1-line block ×3, first 2 shown]
	v_accvgpr_read_b32 v1, a1
	scratch_store_dwordx4 off, v[2:5], off offset:848
	s_waitcnt vmcnt(1)
	ds_write_b128 v1, v[6:9]
.LBB124_287:
	s_or_b64 exec, exec, s[0:1]
	s_waitcnt lgkmcnt(0)
	; wave barrier
	scratch_load_dwordx4 v[4:7], off, off offset:864
	scratch_load_dwordx4 v[8:11], off, off offset:880
	;; [unrolled: 1-line block ×9, first 2 shown]
	ds_read_b128 v[40:43], v2 offset:1824
	ds_read_b128 v[44:47], v2 offset:1840
	;; [unrolled: 1-line block ×8, first 2 shown]
	v_cmp_lt_u32_e32 vcc, 51, v0
	s_waitcnt vmcnt(8) lgkmcnt(7)
	v_mul_f64 v[2:3], v[40:41], v[6:7]
	v_mul_f64 v[6:7], v[42:43], v[6:7]
	s_waitcnt vmcnt(7) lgkmcnt(6)
	v_mul_f64 v[72:73], v[44:45], v[10:11]
	v_mul_f64 v[10:11], v[46:47], v[10:11]
	v_fmac_f64_e32 v[2:3], v[42:43], v[4:5]
	v_fma_f64 v[4:5], v[40:41], v[4:5], -v[6:7]
	s_waitcnt vmcnt(6) lgkmcnt(5)
	v_mul_f64 v[74:75], v[48:49], v[14:15]
	v_mul_f64 v[14:15], v[50:51], v[14:15]
	v_fmac_f64_e32 v[72:73], v[46:47], v[8:9]
	v_fma_f64 v[6:7], v[44:45], v[8:9], -v[10:11]
	v_add_f64 v[2:3], v[2:3], 0
	v_add_f64 v[4:5], v[4:5], 0
	s_waitcnt vmcnt(5) lgkmcnt(4)
	v_mul_f64 v[76:77], v[52:53], v[18:19]
	v_mul_f64 v[18:19], v[54:55], v[18:19]
	v_fmac_f64_e32 v[74:75], v[50:51], v[12:13]
	v_fma_f64 v[8:9], v[48:49], v[12:13], -v[14:15]
	v_add_f64 v[2:3], v[2:3], v[72:73]
	v_add_f64 v[4:5], v[4:5], v[6:7]
	;; [unrolled: 7-line block ×6, first 2 shown]
	v_fmac_f64_e32 v[84:85], v[70:71], v[32:33]
	v_fma_f64 v[18:19], v[68:69], v[32:33], -v[34:35]
	v_add_f64 v[2:3], v[2:3], v[82:83]
	v_add_f64 v[4:5], v[4:5], v[16:17]
	;; [unrolled: 1-line block ×4, first 2 shown]
	s_waitcnt vmcnt(0)
	v_add_f64 v[2:3], v[36:37], -v[2:3]
	v_add_f64 v[4:5], v[38:39], -v[6:7]
	scratch_store_dwordx4 off, v[2:5], off offset:848
	s_and_saveexec_b64 s[0:1], vcc
	s_cbranch_execz .LBB124_289
; %bb.288:
	scratch_load_dwordx4 v[2:5], off, s36
	v_mov_b32_e32 v6, 0
	v_mov_b32_e32 v7, v6
	;; [unrolled: 1-line block ×4, first 2 shown]
	v_accvgpr_read_b32 v1, a1
	scratch_store_dwordx4 off, v[6:9], off offset:832
	s_waitcnt vmcnt(1)
	ds_write_b128 v1, v[2:5]
.LBB124_289:
	s_or_b64 exec, exec, s[0:1]
	s_waitcnt lgkmcnt(0)
	; wave barrier
	scratch_load_dwordx4 v[4:7], off, off offset:848
	scratch_load_dwordx4 v[8:11], off, off offset:864
	;; [unrolled: 1-line block ×10, first 2 shown]
	v_mov_b32_e32 v2, 0
	ds_read_b128 v[44:47], v2 offset:1808
	ds_read_b128 v[48:51], v2 offset:1824
	;; [unrolled: 1-line block ×9, first 2 shown]
	v_cmp_lt_u32_e32 vcc, 50, v0
	s_waitcnt vmcnt(9) lgkmcnt(8)
	v_mul_f64 v[80:81], v[44:45], v[6:7]
	v_mul_f64 v[6:7], v[46:47], v[6:7]
	s_waitcnt vmcnt(8) lgkmcnt(7)
	v_mul_f64 v[82:83], v[48:49], v[10:11]
	s_waitcnt vmcnt(7) lgkmcnt(6)
	;; [unrolled: 2-line block ×3, first 2 shown]
	v_mul_f64 v[88:89], v[60:61], v[22:23]
	v_mul_f64 v[10:11], v[50:51], v[10:11]
	;; [unrolled: 1-line block ×4, first 2 shown]
	v_fmac_f64_e32 v[80:81], v[46:47], v[4:5]
	v_fma_f64 v[4:5], v[44:45], v[4:5], -v[6:7]
	v_fmac_f64_e32 v[82:83], v[50:51], v[8:9]
	v_fmac_f64_e32 v[84:85], v[54:55], v[12:13]
	v_fma_f64 v[6:7], v[48:49], v[8:9], -v[10:11]
	v_fma_f64 v[8:9], v[52:53], v[12:13], -v[14:15]
	;; [unrolled: 1-line block ×3, first 2 shown]
	v_add_f64 v[22:23], v[80:81], 0
	v_add_f64 v[4:5], v[4:5], 0
	v_mul_f64 v[86:87], v[56:57], v[18:19]
	v_mul_f64 v[18:19], v[58:59], v[18:19]
	v_add_f64 v[22:23], v[22:23], v[82:83]
	v_add_f64 v[4:5], v[4:5], v[6:7]
	v_fmac_f64_e32 v[86:87], v[58:59], v[16:17]
	v_fma_f64 v[10:11], v[56:57], v[16:17], -v[18:19]
	v_add_f64 v[6:7], v[22:23], v[84:85]
	v_add_f64 v[4:5], v[4:5], v[8:9]
	s_waitcnt vmcnt(4) lgkmcnt(3)
	v_mul_f64 v[90:91], v[64:65], v[26:27]
	v_mul_f64 v[26:27], v[66:67], v[26:27]
	v_fmac_f64_e32 v[88:89], v[62:63], v[20:21]
	v_add_f64 v[6:7], v[6:7], v[86:87]
	v_add_f64 v[4:5], v[4:5], v[10:11]
	s_waitcnt vmcnt(3) lgkmcnt(2)
	v_mul_f64 v[92:93], v[68:69], v[30:31]
	v_mul_f64 v[30:31], v[70:71], v[30:31]
	v_fmac_f64_e32 v[90:91], v[66:67], v[24:25]
	v_fma_f64 v[14:15], v[64:65], v[24:25], -v[26:27]
	v_add_f64 v[6:7], v[6:7], v[88:89]
	v_add_f64 v[4:5], v[4:5], v[12:13]
	s_waitcnt vmcnt(2) lgkmcnt(1)
	v_mul_f64 v[94:95], v[72:73], v[34:35]
	v_mul_f64 v[34:35], v[74:75], v[34:35]
	v_fmac_f64_e32 v[92:93], v[70:71], v[28:29]
	v_fma_f64 v[16:17], v[68:69], v[28:29], -v[30:31]
	;; [unrolled: 7-line block ×3, first 2 shown]
	v_add_f64 v[6:7], v[6:7], v[92:93]
	v_add_f64 v[4:5], v[4:5], v[16:17]
	v_fmac_f64_e32 v[96:97], v[78:79], v[36:37]
	v_fma_f64 v[20:21], v[76:77], v[36:37], -v[38:39]
	v_add_f64 v[6:7], v[6:7], v[94:95]
	v_add_f64 v[4:5], v[4:5], v[18:19]
	;; [unrolled: 1-line block ×4, first 2 shown]
	s_waitcnt vmcnt(0)
	v_add_f64 v[4:5], v[40:41], -v[4:5]
	v_add_f64 v[6:7], v[42:43], -v[6:7]
	scratch_store_dwordx4 off, v[4:7], off offset:832
	s_and_saveexec_b64 s[0:1], vcc
	s_cbranch_execz .LBB124_291
; %bb.290:
	scratch_load_dwordx4 v[6:9], off, s37
	v_mov_b32_e32 v3, v2
	v_mov_b32_e32 v4, v2
	;; [unrolled: 1-line block ×3, first 2 shown]
	v_accvgpr_read_b32 v1, a1
	scratch_store_dwordx4 off, v[2:5], off offset:816
	s_waitcnt vmcnt(1)
	ds_write_b128 v1, v[6:9]
.LBB124_291:
	s_or_b64 exec, exec, s[0:1]
	s_waitcnt lgkmcnt(0)
	; wave barrier
	scratch_load_dwordx4 v[4:7], off, off offset:832
	scratch_load_dwordx4 v[8:11], off, off offset:848
	;; [unrolled: 1-line block ×11, first 2 shown]
	ds_read_b128 v[48:51], v2 offset:1792
	ds_read_b128 v[52:55], v2 offset:1808
	;; [unrolled: 1-line block ×10, first 2 shown]
	v_cmp_lt_u32_e32 vcc, 49, v0
	s_waitcnt vmcnt(10) lgkmcnt(9)
	v_mul_f64 v[2:3], v[48:49], v[6:7]
	v_mul_f64 v[6:7], v[50:51], v[6:7]
	s_waitcnt vmcnt(9) lgkmcnt(8)
	v_mul_f64 v[88:89], v[52:53], v[10:11]
	v_mul_f64 v[10:11], v[54:55], v[10:11]
	v_fmac_f64_e32 v[2:3], v[50:51], v[4:5]
	v_fma_f64 v[4:5], v[48:49], v[4:5], -v[6:7]
	s_waitcnt vmcnt(8) lgkmcnt(7)
	v_mul_f64 v[90:91], v[56:57], v[14:15]
	v_mul_f64 v[14:15], v[58:59], v[14:15]
	v_fmac_f64_e32 v[88:89], v[54:55], v[8:9]
	v_fma_f64 v[6:7], v[52:53], v[8:9], -v[10:11]
	v_add_f64 v[2:3], v[2:3], 0
	v_add_f64 v[4:5], v[4:5], 0
	s_waitcnt vmcnt(7) lgkmcnt(6)
	v_mul_f64 v[92:93], v[60:61], v[18:19]
	v_mul_f64 v[18:19], v[62:63], v[18:19]
	v_fmac_f64_e32 v[90:91], v[58:59], v[12:13]
	v_fma_f64 v[8:9], v[56:57], v[12:13], -v[14:15]
	v_add_f64 v[2:3], v[2:3], v[88:89]
	v_add_f64 v[4:5], v[4:5], v[6:7]
	;; [unrolled: 7-line block ×8, first 2 shown]
	v_fmac_f64_e32 v[104:105], v[86:87], v[40:41]
	v_fma_f64 v[22:23], v[84:85], v[40:41], -v[42:43]
	v_add_f64 v[2:3], v[2:3], v[102:103]
	v_add_f64 v[4:5], v[4:5], v[20:21]
	;; [unrolled: 1-line block ×4, first 2 shown]
	s_waitcnt vmcnt(0)
	v_add_f64 v[2:3], v[44:45], -v[2:3]
	v_add_f64 v[4:5], v[46:47], -v[6:7]
	scratch_store_dwordx4 off, v[2:5], off offset:816
	s_and_saveexec_b64 s[0:1], vcc
	s_cbranch_execz .LBB124_293
; %bb.292:
	scratch_load_dwordx4 v[2:5], off, s38
	v_mov_b32_e32 v6, 0
	v_mov_b32_e32 v7, v6
	v_mov_b32_e32 v8, v6
	v_mov_b32_e32 v9, v6
	v_accvgpr_read_b32 v1, a1
	scratch_store_dwordx4 off, v[6:9], off offset:800
	s_waitcnt vmcnt(1)
	ds_write_b128 v1, v[2:5]
.LBB124_293:
	s_or_b64 exec, exec, s[0:1]
	s_waitcnt lgkmcnt(0)
	; wave barrier
	scratch_load_dwordx4 v[4:7], off, off offset:816
	scratch_load_dwordx4 v[8:11], off, off offset:832
	;; [unrolled: 1-line block ×12, first 2 shown]
	v_mov_b32_e32 v2, 0
	ds_read_b128 v[52:55], v2 offset:1776
	ds_read_b128 v[56:59], v2 offset:1792
	;; [unrolled: 1-line block ×11, first 2 shown]
	v_cmp_lt_u32_e32 vcc, 48, v0
	s_waitcnt vmcnt(11) lgkmcnt(10)
	v_mul_f64 v[96:97], v[52:53], v[6:7]
	v_mul_f64 v[6:7], v[54:55], v[6:7]
	s_waitcnt vmcnt(10) lgkmcnt(9)
	v_mul_f64 v[98:99], v[56:57], v[10:11]
	s_waitcnt vmcnt(9) lgkmcnt(8)
	v_mul_f64 v[100:101], v[60:61], v[14:15]
	v_mul_f64 v[10:11], v[58:59], v[10:11]
	s_waitcnt vmcnt(6) lgkmcnt(5)
	v_mul_f64 v[106:107], v[72:73], v[26:27]
	v_mul_f64 v[14:15], v[62:63], v[14:15]
	;; [unrolled: 1-line block ×3, first 2 shown]
	v_fmac_f64_e32 v[96:97], v[54:55], v[4:5]
	v_fma_f64 v[4:5], v[52:53], v[4:5], -v[6:7]
	v_fmac_f64_e32 v[98:99], v[58:59], v[8:9]
	v_fma_f64 v[6:7], v[56:57], v[8:9], -v[10:11]
	v_fma_f64 v[8:9], v[60:61], v[12:13], -v[14:15]
	;; [unrolled: 1-line block ×3, first 2 shown]
	v_add_f64 v[26:27], v[96:97], 0
	v_add_f64 v[4:5], v[4:5], 0
	v_mul_f64 v[102:103], v[64:65], v[18:19]
	v_mul_f64 v[18:19], v[66:67], v[18:19]
	v_fmac_f64_e32 v[100:101], v[62:63], v[12:13]
	v_add_f64 v[26:27], v[26:27], v[98:99]
	v_add_f64 v[4:5], v[4:5], v[6:7]
	v_mul_f64 v[104:105], v[68:69], v[22:23]
	v_mul_f64 v[22:23], v[70:71], v[22:23]
	v_fmac_f64_e32 v[102:103], v[66:67], v[16:17]
	v_fma_f64 v[10:11], v[64:65], v[16:17], -v[18:19]
	v_add_f64 v[6:7], v[26:27], v[100:101]
	v_add_f64 v[4:5], v[4:5], v[8:9]
	v_fmac_f64_e32 v[104:105], v[70:71], v[20:21]
	v_fma_f64 v[12:13], v[68:69], v[20:21], -v[22:23]
	v_add_f64 v[6:7], v[6:7], v[102:103]
	v_add_f64 v[4:5], v[4:5], v[10:11]
	s_waitcnt vmcnt(5) lgkmcnt(4)
	v_mul_f64 v[108:109], v[76:77], v[30:31]
	v_mul_f64 v[30:31], v[78:79], v[30:31]
	v_fmac_f64_e32 v[106:107], v[74:75], v[24:25]
	v_add_f64 v[6:7], v[6:7], v[104:105]
	v_add_f64 v[4:5], v[4:5], v[12:13]
	s_waitcnt vmcnt(4) lgkmcnt(3)
	v_mul_f64 v[110:111], v[80:81], v[34:35]
	v_mul_f64 v[34:35], v[82:83], v[34:35]
	v_fmac_f64_e32 v[108:109], v[78:79], v[28:29]
	v_fma_f64 v[16:17], v[76:77], v[28:29], -v[30:31]
	v_add_f64 v[6:7], v[6:7], v[106:107]
	v_add_f64 v[4:5], v[4:5], v[14:15]
	s_waitcnt vmcnt(3) lgkmcnt(2)
	v_mul_f64 v[112:113], v[84:85], v[38:39]
	v_mul_f64 v[38:39], v[86:87], v[38:39]
	v_fmac_f64_e32 v[110:111], v[82:83], v[32:33]
	v_fma_f64 v[18:19], v[80:81], v[32:33], -v[34:35]
	;; [unrolled: 7-line block ×4, first 2 shown]
	v_add_f64 v[6:7], v[6:7], v[112:113]
	v_add_f64 v[4:5], v[4:5], v[20:21]
	v_fmac_f64_e32 v[116:117], v[94:95], v[44:45]
	v_fma_f64 v[24:25], v[92:93], v[44:45], -v[46:47]
	v_add_f64 v[6:7], v[6:7], v[114:115]
	v_add_f64 v[4:5], v[4:5], v[22:23]
	;; [unrolled: 1-line block ×4, first 2 shown]
	s_waitcnt vmcnt(0)
	v_add_f64 v[4:5], v[48:49], -v[4:5]
	v_add_f64 v[6:7], v[50:51], -v[6:7]
	scratch_store_dwordx4 off, v[4:7], off offset:800
	s_and_saveexec_b64 s[0:1], vcc
	s_cbranch_execz .LBB124_295
; %bb.294:
	scratch_load_dwordx4 v[6:9], off, s39
	v_mov_b32_e32 v3, v2
	v_mov_b32_e32 v4, v2
	;; [unrolled: 1-line block ×3, first 2 shown]
	v_accvgpr_read_b32 v1, a1
	scratch_store_dwordx4 off, v[2:5], off offset:784
	s_waitcnt vmcnt(1)
	ds_write_b128 v1, v[6:9]
.LBB124_295:
	s_or_b64 exec, exec, s[0:1]
	s_waitcnt lgkmcnt(0)
	; wave barrier
	scratch_load_dwordx4 v[4:7], off, off offset:800
	scratch_load_dwordx4 v[8:11], off, off offset:816
	;; [unrolled: 1-line block ×12, first 2 shown]
	ds_read_b128 v[52:55], v2 offset:1760
	ds_read_b128 v[56:59], v2 offset:1776
	ds_read_b128 v[60:63], v2 offset:1792
	ds_read_b128 v[64:67], v2 offset:1808
	scratch_load_dwordx4 v[68:71], off, off offset:784
	ds_read_b128 v[72:75], v2 offset:1824
	ds_read_b128 v[76:79], v2 offset:1840
	;; [unrolled: 1-line block ×8, first 2 shown]
	v_cmp_lt_u32_e32 vcc, 47, v0
	s_waitcnt vmcnt(12) lgkmcnt(11)
	v_mul_f64 v[2:3], v[52:53], v[6:7]
	s_waitcnt vmcnt(11) lgkmcnt(10)
	v_mul_f64 v[104:105], v[56:57], v[10:11]
	v_fmac_f64_e32 v[2:3], v[54:55], v[4:5]
	s_waitcnt vmcnt(10) lgkmcnt(9)
	v_mul_f64 v[106:107], v[60:61], v[14:15]
	v_mul_f64 v[6:7], v[54:55], v[6:7]
	v_fmac_f64_e32 v[104:105], v[58:59], v[8:9]
	v_add_f64 v[2:3], v[2:3], 0
	s_waitcnt vmcnt(9) lgkmcnt(8)
	v_mul_f64 v[108:109], v[64:65], v[18:19]
	v_mul_f64 v[10:11], v[58:59], v[10:11]
	v_fmac_f64_e32 v[106:107], v[62:63], v[12:13]
	v_fma_f64 v[4:5], v[52:53], v[4:5], -v[6:7]
	v_add_f64 v[2:3], v[2:3], v[104:105]
	s_waitcnt vmcnt(8) lgkmcnt(7)
	v_mul_f64 v[110:111], v[72:73], v[22:23]
	v_mul_f64 v[14:15], v[62:63], v[14:15]
	v_fmac_f64_e32 v[108:109], v[66:67], v[16:17]
	v_fma_f64 v[6:7], v[56:57], v[8:9], -v[10:11]
	v_add_f64 v[4:5], v[4:5], 0
	v_add_f64 v[2:3], v[2:3], v[106:107]
	s_waitcnt vmcnt(7) lgkmcnt(6)
	v_mul_f64 v[112:113], v[76:77], v[26:27]
	v_mul_f64 v[18:19], v[66:67], v[18:19]
	v_fmac_f64_e32 v[110:111], v[74:75], v[20:21]
	v_fma_f64 v[8:9], v[60:61], v[12:13], -v[14:15]
	v_add_f64 v[4:5], v[4:5], v[6:7]
	;; [unrolled: 7-line block ×8, first 2 shown]
	v_add_f64 v[2:3], v[2:3], v[120:121]
	v_mul_f64 v[46:47], v[98:99], v[46:47]
	v_fmac_f64_e32 v[124:125], v[102:103], v[48:49]
	v_fma_f64 v[22:23], v[92:93], v[40:41], -v[42:43]
	v_add_f64 v[4:5], v[4:5], v[20:21]
	v_add_f64 v[2:3], v[2:3], v[122:123]
	;; [unrolled: 1-line block ×4, first 2 shown]
	v_fma_f64 v[2:3], v[96:97], v[44:45], -v[46:47]
	v_add_f64 v[2:3], v[4:5], v[2:3]
	v_mul_f64 v[4:5], v[102:103], v[50:51]
	v_fma_f64 v[4:5], v[100:101], v[48:49], -v[4:5]
	v_add_f64 v[2:3], v[2:3], v[4:5]
	s_waitcnt vmcnt(0)
	v_add_f64 v[2:3], v[68:69], -v[2:3]
	v_add_f64 v[4:5], v[70:71], -v[6:7]
	scratch_store_dwordx4 off, v[2:5], off offset:784
	s_and_saveexec_b64 s[0:1], vcc
	s_cbranch_execz .LBB124_297
; %bb.296:
	scratch_load_dwordx4 v[2:5], off, s40
	v_mov_b32_e32 v6, 0
	v_mov_b32_e32 v7, v6
	;; [unrolled: 1-line block ×4, first 2 shown]
	v_accvgpr_read_b32 v1, a1
	scratch_store_dwordx4 off, v[6:9], off offset:768
	s_waitcnt vmcnt(1)
	ds_write_b128 v1, v[2:5]
.LBB124_297:
	s_or_b64 exec, exec, s[0:1]
	v_mov_b32_e32 v2, 0
	s_waitcnt lgkmcnt(0)
	; wave barrier
	ds_read_b128 v[16:19], v2 offset:1744
	ds_read_b128 v[12:15], v2 offset:1760
	;; [unrolled: 1-line block ×4, first 2 shown]
	scratch_load_dwordx4 v[20:23], off, off offset:784
	scratch_load_dwordx4 v[42:45], off, off offset:848
	;; [unrolled: 1-line block ×7, first 2 shown]
	v_cmp_lt_u32_e32 vcc, 46, v0
	scratch_load_dwordx4 v[50:53], off, off offset:864
	scratch_load_dwordx4 v[58:61], off, off offset:880
	;; [unrolled: 1-line block ×3, first 2 shown]
	s_waitcnt vmcnt(9) lgkmcnt(3)
	v_mul_f64 v[24:25], v[16:17], v[22:23]
	v_fmac_f64_e32 v[24:25], v[18:19], v[20:21]
	v_add_f64 v[28:29], v[24:25], 0
	scratch_load_dwordx4 v[24:27], off, off offset:800
	v_mul_f64 v[18:19], v[18:19], v[22:23]
	v_fma_f64 v[16:17], v[16:17], v[20:21], -v[18:19]
	v_add_f64 v[16:17], v[16:17], 0
	s_waitcnt vmcnt(0) lgkmcnt(2)
	v_mul_f64 v[30:31], v[12:13], v[26:27]
	v_fmac_f64_e32 v[30:31], v[14:15], v[24:25]
	v_add_f64 v[32:33], v[28:29], v[30:31]
	scratch_load_dwordx4 v[28:31], off, off offset:816
	v_mul_f64 v[14:15], v[14:15], v[26:27]
	v_fma_f64 v[12:13], v[12:13], v[24:25], -v[14:15]
	v_add_f64 v[12:13], v[16:17], v[12:13]
	;; [unrolled: 8-line block ×3, first 2 shown]
	s_waitcnt vmcnt(0) lgkmcnt(0)
	v_mul_f64 v[38:39], v[4:5], v[36:37]
	v_fmac_f64_e32 v[38:39], v[6:7], v[34:35]
	v_add_f64 v[32:33], v[32:33], v[38:39]
	ds_read_b128 v[38:41], v2 offset:1808
	v_mul_f64 v[6:7], v[6:7], v[36:37]
	v_fma_f64 v[4:5], v[4:5], v[34:35], -v[6:7]
	v_add_f64 v[4:5], v[8:9], v[4:5]
	s_waitcnt lgkmcnt(0)
	v_mul_f64 v[46:47], v[38:39], v[44:45]
	v_fmac_f64_e32 v[46:47], v[40:41], v[42:43]
	v_add_f64 v[32:33], v[32:33], v[46:47]
	ds_read_b128 v[46:49], v2 offset:1824
	v_mul_f64 v[6:7], v[40:41], v[44:45]
	v_fma_f64 v[6:7], v[38:39], v[42:43], -v[6:7]
	v_add_f64 v[4:5], v[4:5], v[6:7]
	s_waitcnt lgkmcnt(0)
	;; [unrolled: 8-line block ×9, first 2 shown]
	v_mul_f64 v[6:7], v[104:105], v[108:109]
	v_fma_f64 v[6:7], v[102:103], v[106:107], -v[6:7]
	v_add_f64 v[8:9], v[4:5], v[6:7]
	scratch_load_dwordx4 v[4:7], off, off offset:768
	v_mul_f64 v[110:111], v[102:103], v[108:109]
	v_fmac_f64_e32 v[110:111], v[104:105], v[106:107]
	v_add_f64 v[32:33], v[32:33], v[110:111]
	s_waitcnt vmcnt(0)
	v_add_f64 v[4:5], v[4:5], -v[8:9]
	v_add_f64 v[6:7], v[6:7], -v[32:33]
	scratch_store_dwordx4 off, v[4:7], off offset:768
	s_and_saveexec_b64 s[0:1], vcc
	s_cbranch_execz .LBB124_299
; %bb.298:
	scratch_load_dwordx4 v[6:9], off, s41
	v_mov_b32_e32 v3, v2
	v_mov_b32_e32 v4, v2
	v_mov_b32_e32 v5, v2
	v_accvgpr_read_b32 v1, a1
	scratch_store_dwordx4 off, v[2:5], off offset:752
	s_waitcnt vmcnt(1)
	ds_write_b128 v1, v[6:9]
.LBB124_299:
	s_or_b64 exec, exec, s[0:1]
	s_waitcnt lgkmcnt(0)
	; wave barrier
	ds_read_b128 v[16:19], v2 offset:1728
	ds_read_b128 v[12:15], v2 offset:1744
	;; [unrolled: 1-line block ×4, first 2 shown]
	scratch_load_dwordx4 v[20:23], off, off offset:768
	scratch_load_dwordx4 v[42:45], off, off offset:832
	;; [unrolled: 1-line block ×8, first 2 shown]
	v_cmp_lt_u32_e32 vcc, 45, v0
	scratch_load_dwordx4 v[50:53], off, off offset:848
	scratch_load_dwordx4 v[58:61], off, off offset:864
	scratch_load_dwordx4 v[66:69], off, off offset:880
	s_waitcnt vmcnt(10) lgkmcnt(3)
	v_mul_f64 v[24:25], v[16:17], v[22:23]
	v_fmac_f64_e32 v[24:25], v[18:19], v[20:21]
	v_add_f64 v[28:29], v[24:25], 0
	scratch_load_dwordx4 v[24:27], off, off offset:784
	s_waitcnt vmcnt(0) lgkmcnt(2)
	v_mul_f64 v[30:31], v[12:13], v[26:27]
	v_fmac_f64_e32 v[30:31], v[14:15], v[24:25]
	v_add_f64 v[32:33], v[28:29], v[30:31]
	scratch_load_dwordx4 v[28:31], off, off offset:800
	v_mul_f64 v[14:15], v[14:15], v[26:27]
	v_fma_f64 v[12:13], v[12:13], v[24:25], -v[14:15]
	s_waitcnt vmcnt(0) lgkmcnt(1)
	v_mul_f64 v[34:35], v[8:9], v[30:31]
	v_fmac_f64_e32 v[34:35], v[10:11], v[28:29]
	v_add_f64 v[36:37], v[32:33], v[34:35]
	scratch_load_dwordx4 v[32:35], off, off offset:816
	v_mul_f64 v[10:11], v[10:11], v[30:31]
	v_fma_f64 v[8:9], v[8:9], v[28:29], -v[10:11]
	s_waitcnt vmcnt(0) lgkmcnt(0)
	v_mul_f64 v[38:39], v[4:5], v[34:35]
	v_fmac_f64_e32 v[38:39], v[6:7], v[32:33]
	v_add_f64 v[40:41], v[36:37], v[38:39]
	ds_read_b128 v[36:39], v2 offset:1792
	v_mul_f64 v[6:7], v[6:7], v[34:35]
	v_fma_f64 v[4:5], v[4:5], v[32:33], -v[6:7]
	s_waitcnt lgkmcnt(0)
	v_mul_f64 v[46:47], v[36:37], v[44:45]
	v_fmac_f64_e32 v[46:47], v[38:39], v[42:43]
	v_add_f64 v[40:41], v[40:41], v[46:47]
	ds_read_b128 v[46:49], v2 offset:1808
	s_waitcnt lgkmcnt(0)
	v_mul_f64 v[54:55], v[46:47], v[52:53]
	v_fmac_f64_e32 v[54:55], v[48:49], v[50:51]
	v_add_f64 v[40:41], v[40:41], v[54:55]
	ds_read_b128 v[54:57], v2 offset:1824
	;; [unrolled: 5-line block ×9, first 2 shown]
	s_waitcnt lgkmcnt(0)
	v_mul_f64 v[2:3], v[110:111], v[116:117]
	v_fmac_f64_e32 v[2:3], v[112:113], v[114:115]
	v_add_f64 v[40:41], v[40:41], v[2:3]
	v_mul_f64 v[2:3], v[18:19], v[22:23]
	v_fma_f64 v[2:3], v[16:17], v[20:21], -v[2:3]
	v_add_f64 v[2:3], v[2:3], 0
	v_add_f64 v[2:3], v[2:3], v[12:13]
	;; [unrolled: 1-line block ×4, first 2 shown]
	v_mul_f64 v[4:5], v[38:39], v[44:45]
	v_fma_f64 v[4:5], v[36:37], v[42:43], -v[4:5]
	v_add_f64 v[2:3], v[2:3], v[4:5]
	v_mul_f64 v[4:5], v[48:49], v[52:53]
	v_fma_f64 v[4:5], v[46:47], v[50:51], -v[4:5]
	v_add_f64 v[2:3], v[2:3], v[4:5]
	;; [unrolled: 3-line block ×10, first 2 shown]
	scratch_load_dwordx4 v[2:5], off, off offset:752
	s_waitcnt vmcnt(0)
	v_add_f64 v[2:3], v[2:3], -v[6:7]
	v_add_f64 v[4:5], v[4:5], -v[40:41]
	scratch_store_dwordx4 off, v[2:5], off offset:752
	s_and_saveexec_b64 s[0:1], vcc
	s_cbranch_execz .LBB124_301
; %bb.300:
	scratch_load_dwordx4 v[2:5], off, s42
	v_mov_b32_e32 v6, 0
	v_mov_b32_e32 v7, v6
	;; [unrolled: 1-line block ×4, first 2 shown]
	v_accvgpr_read_b32 v1, a1
	scratch_store_dwordx4 off, v[6:9], off offset:736
	s_waitcnt vmcnt(1)
	ds_write_b128 v1, v[2:5]
.LBB124_301:
	s_or_b64 exec, exec, s[0:1]
	v_mov_b32_e32 v2, 0
	s_waitcnt lgkmcnt(0)
	; wave barrier
	ds_read_b128 v[16:19], v2 offset:1712
	ds_read_b128 v[12:15], v2 offset:1728
	;; [unrolled: 1-line block ×4, first 2 shown]
	scratch_load_dwordx4 v[20:23], off, off offset:752
	scratch_load_dwordx4 v[40:43], off, off offset:816
	;; [unrolled: 1-line block ×9, first 2 shown]
	v_cmp_lt_u32_e32 vcc, 44, v0
	scratch_load_dwordx4 v[48:51], off, off offset:832
	scratch_load_dwordx4 v[58:61], off, off offset:848
	;; [unrolled: 1-line block ×3, first 2 shown]
	s_waitcnt vmcnt(11) lgkmcnt(3)
	v_mul_f64 v[24:25], v[16:17], v[22:23]
	v_fmac_f64_e32 v[24:25], v[18:19], v[20:21]
	v_add_f64 v[28:29], v[24:25], 0
	scratch_load_dwordx4 v[24:27], off, off offset:768
	v_mul_f64 v[18:19], v[18:19], v[22:23]
	v_fma_f64 v[16:17], v[16:17], v[20:21], -v[18:19]
	v_add_f64 v[16:17], v[16:17], 0
	s_waitcnt vmcnt(0) lgkmcnt(2)
	v_mul_f64 v[30:31], v[12:13], v[26:27]
	v_fmac_f64_e32 v[30:31], v[14:15], v[24:25]
	v_add_f64 v[32:33], v[28:29], v[30:31]
	scratch_load_dwordx4 v[28:31], off, off offset:784
	v_mul_f64 v[14:15], v[14:15], v[26:27]
	v_fma_f64 v[12:13], v[12:13], v[24:25], -v[14:15]
	v_add_f64 v[12:13], v[16:17], v[12:13]
	s_waitcnt vmcnt(0) lgkmcnt(1)
	v_mul_f64 v[34:35], v[8:9], v[30:31]
	v_fmac_f64_e32 v[34:35], v[10:11], v[28:29]
	v_add_f64 v[36:37], v[32:33], v[34:35]
	scratch_load_dwordx4 v[32:35], off, off offset:800
	v_mul_f64 v[10:11], v[10:11], v[30:31]
	v_fma_f64 v[8:9], v[8:9], v[28:29], -v[10:11]
	v_add_f64 v[8:9], v[12:13], v[8:9]
	s_waitcnt vmcnt(0) lgkmcnt(0)
	v_mul_f64 v[38:39], v[4:5], v[34:35]
	v_fmac_f64_e32 v[38:39], v[6:7], v[32:33]
	v_add_f64 v[44:45], v[36:37], v[38:39]
	ds_read_b128 v[36:39], v2 offset:1776
	v_mul_f64 v[6:7], v[6:7], v[34:35]
	v_fma_f64 v[4:5], v[4:5], v[32:33], -v[6:7]
	v_add_f64 v[4:5], v[8:9], v[4:5]
	s_waitcnt lgkmcnt(0)
	v_mul_f64 v[46:47], v[36:37], v[42:43]
	v_fmac_f64_e32 v[46:47], v[38:39], v[40:41]
	v_add_f64 v[52:53], v[44:45], v[46:47]
	ds_read_b128 v[44:47], v2 offset:1792
	v_mul_f64 v[6:7], v[38:39], v[42:43]
	v_fma_f64 v[6:7], v[36:37], v[40:41], -v[6:7]
	v_add_f64 v[4:5], v[4:5], v[6:7]
	s_waitcnt lgkmcnt(0)
	;; [unrolled: 8-line block ×11, first 2 shown]
	v_mul_f64 v[6:7], v[120:121], v[124:125]
	v_fma_f64 v[6:7], v[118:119], v[122:123], -v[6:7]
	v_add_f64 v[8:9], v[4:5], v[6:7]
	scratch_load_dwordx4 v[4:7], off, off offset:736
	v_mul_f64 v[126:127], v[118:119], v[124:125]
	v_fmac_f64_e32 v[126:127], v[120:121], v[122:123]
	v_add_f64 v[56:57], v[56:57], v[126:127]
	s_waitcnt vmcnt(0)
	v_add_f64 v[4:5], v[4:5], -v[8:9]
	v_add_f64 v[6:7], v[6:7], -v[56:57]
	scratch_store_dwordx4 off, v[4:7], off offset:736
	s_and_saveexec_b64 s[0:1], vcc
	s_cbranch_execz .LBB124_303
; %bb.302:
	scratch_load_dwordx4 v[6:9], off, s43
	v_mov_b32_e32 v3, v2
	v_mov_b32_e32 v4, v2
	;; [unrolled: 1-line block ×3, first 2 shown]
	v_accvgpr_read_b32 v1, a1
	scratch_store_dwordx4 off, v[2:5], off offset:720
	s_waitcnt vmcnt(1)
	ds_write_b128 v1, v[6:9]
.LBB124_303:
	s_or_b64 exec, exec, s[0:1]
	s_waitcnt lgkmcnt(0)
	; wave barrier
	ds_read_b128 v[16:19], v2 offset:1696
	ds_read_b128 v[12:15], v2 offset:1712
	;; [unrolled: 1-line block ×4, first 2 shown]
	scratch_load_dwordx4 v[20:23], off, off offset:736
	scratch_load_dwordx4 v[40:43], off, off offset:800
	;; [unrolled: 1-line block ×10, first 2 shown]
	v_cmp_lt_u32_e32 vcc, 43, v0
	scratch_load_dwordx4 v[48:51], off, off offset:816
	scratch_load_dwordx4 v[56:59], off, off offset:832
	;; [unrolled: 1-line block ×3, first 2 shown]
	s_waitcnt vmcnt(12) lgkmcnt(3)
	v_mul_f64 v[24:25], v[16:17], v[22:23]
	v_fmac_f64_e32 v[24:25], v[18:19], v[20:21]
	v_add_f64 v[28:29], v[24:25], 0
	scratch_load_dwordx4 v[24:27], off, off offset:752
	s_waitcnt vmcnt(0) lgkmcnt(2)
	v_mul_f64 v[30:31], v[12:13], v[26:27]
	v_fmac_f64_e32 v[30:31], v[14:15], v[24:25]
	v_add_f64 v[32:33], v[28:29], v[30:31]
	scratch_load_dwordx4 v[28:31], off, off offset:768
	v_mul_f64 v[14:15], v[14:15], v[26:27]
	v_fma_f64 v[12:13], v[12:13], v[24:25], -v[14:15]
	s_waitcnt vmcnt(0) lgkmcnt(1)
	v_mul_f64 v[34:35], v[8:9], v[30:31]
	v_fmac_f64_e32 v[34:35], v[10:11], v[28:29]
	v_add_f64 v[36:37], v[32:33], v[34:35]
	scratch_load_dwordx4 v[32:35], off, off offset:784
	v_mul_f64 v[10:11], v[10:11], v[30:31]
	v_fma_f64 v[8:9], v[8:9], v[28:29], -v[10:11]
	s_waitcnt vmcnt(0) lgkmcnt(0)
	v_mul_f64 v[38:39], v[4:5], v[34:35]
	v_fmac_f64_e32 v[38:39], v[6:7], v[32:33]
	v_add_f64 v[44:45], v[36:37], v[38:39]
	ds_read_b128 v[36:39], v2 offset:1760
	v_mul_f64 v[6:7], v[6:7], v[34:35]
	v_fma_f64 v[4:5], v[4:5], v[32:33], -v[6:7]
	s_waitcnt lgkmcnt(0)
	v_mul_f64 v[46:47], v[36:37], v[42:43]
	v_fmac_f64_e32 v[46:47], v[38:39], v[40:41]
	v_add_f64 v[52:53], v[44:45], v[46:47]
	ds_read_b128 v[44:47], v2 offset:1776
	s_waitcnt lgkmcnt(0)
	v_mul_f64 v[54:55], v[44:45], v[50:51]
	v_fmac_f64_e32 v[54:55], v[46:47], v[48:49]
	v_add_f64 v[60:61], v[52:53], v[54:55]
	ds_read_b128 v[52:55], v2 offset:1792
	;; [unrolled: 5-line block ×11, first 2 shown]
	s_waitcnt lgkmcnt(0)
	v_mul_f64 v[2:3], v[126:127], v[132:133]
	v_fmac_f64_e32 v[2:3], v[128:129], v[130:131]
	v_add_f64 v[64:65], v[64:65], v[2:3]
	v_mul_f64 v[2:3], v[18:19], v[22:23]
	v_fma_f64 v[2:3], v[16:17], v[20:21], -v[2:3]
	v_add_f64 v[2:3], v[2:3], 0
	v_add_f64 v[2:3], v[2:3], v[12:13]
	;; [unrolled: 1-line block ×4, first 2 shown]
	v_mul_f64 v[4:5], v[38:39], v[42:43]
	v_fma_f64 v[4:5], v[36:37], v[40:41], -v[4:5]
	v_add_f64 v[2:3], v[2:3], v[4:5]
	v_mul_f64 v[4:5], v[46:47], v[50:51]
	v_fma_f64 v[4:5], v[44:45], v[48:49], -v[4:5]
	v_add_f64 v[2:3], v[2:3], v[4:5]
	;; [unrolled: 3-line block ×12, first 2 shown]
	scratch_load_dwordx4 v[2:5], off, off offset:720
	s_waitcnt vmcnt(0)
	v_add_f64 v[2:3], v[2:3], -v[6:7]
	v_add_f64 v[4:5], v[4:5], -v[64:65]
	scratch_store_dwordx4 off, v[2:5], off offset:720
	s_and_saveexec_b64 s[0:1], vcc
	s_cbranch_execz .LBB124_305
; %bb.304:
	scratch_load_dwordx4 v[2:5], off, s44
	v_mov_b32_e32 v6, 0
	v_mov_b32_e32 v7, v6
	;; [unrolled: 1-line block ×4, first 2 shown]
	v_accvgpr_read_b32 v1, a1
	scratch_store_dwordx4 off, v[6:9], off offset:704
	s_waitcnt vmcnt(1)
	ds_write_b128 v1, v[2:5]
.LBB124_305:
	s_or_b64 exec, exec, s[0:1]
	v_mov_b32_e32 v2, 0
	s_waitcnt lgkmcnt(0)
	; wave barrier
	ds_read_b128 v[16:19], v2 offset:1680
	ds_read_b128 v[12:15], v2 offset:1696
	;; [unrolled: 1-line block ×4, first 2 shown]
	scratch_load_dwordx4 v[20:23], off, off offset:720
	scratch_load_dwordx4 v[40:43], off, off offset:784
	;; [unrolled: 1-line block ×11, first 2 shown]
	v_cmp_lt_u32_e32 vcc, 42, v0
	scratch_load_dwordx4 v[48:51], off, off offset:800
	scratch_load_dwordx4 v[56:59], off, off offset:816
	;; [unrolled: 1-line block ×3, first 2 shown]
	s_waitcnt vmcnt(13) lgkmcnt(3)
	v_mul_f64 v[24:25], v[16:17], v[22:23]
	v_fmac_f64_e32 v[24:25], v[18:19], v[20:21]
	v_add_f64 v[28:29], v[24:25], 0
	scratch_load_dwordx4 v[24:27], off, off offset:736
	v_mul_f64 v[18:19], v[18:19], v[22:23]
	v_fma_f64 v[16:17], v[16:17], v[20:21], -v[18:19]
	v_add_f64 v[16:17], v[16:17], 0
	s_waitcnt vmcnt(0) lgkmcnt(2)
	v_mul_f64 v[30:31], v[12:13], v[26:27]
	v_fmac_f64_e32 v[30:31], v[14:15], v[24:25]
	v_add_f64 v[32:33], v[28:29], v[30:31]
	scratch_load_dwordx4 v[28:31], off, off offset:752
	v_mul_f64 v[14:15], v[14:15], v[26:27]
	v_fma_f64 v[12:13], v[12:13], v[24:25], -v[14:15]
	v_add_f64 v[12:13], v[16:17], v[12:13]
	;; [unrolled: 8-line block ×3, first 2 shown]
	s_waitcnt vmcnt(0) lgkmcnt(0)
	v_mul_f64 v[38:39], v[4:5], v[34:35]
	v_fmac_f64_e32 v[38:39], v[6:7], v[32:33]
	v_add_f64 v[44:45], v[36:37], v[38:39]
	ds_read_b128 v[36:39], v2 offset:1744
	v_mul_f64 v[6:7], v[6:7], v[34:35]
	v_fma_f64 v[4:5], v[4:5], v[32:33], -v[6:7]
	v_add_f64 v[4:5], v[8:9], v[4:5]
	s_waitcnt lgkmcnt(0)
	v_mul_f64 v[46:47], v[36:37], v[42:43]
	v_fmac_f64_e32 v[46:47], v[38:39], v[40:41]
	v_add_f64 v[52:53], v[44:45], v[46:47]
	ds_read_b128 v[44:47], v2 offset:1760
	v_mul_f64 v[6:7], v[38:39], v[42:43]
	v_fma_f64 v[6:7], v[36:37], v[40:41], -v[6:7]
	v_add_f64 v[4:5], v[4:5], v[6:7]
	s_waitcnt lgkmcnt(0)
	v_mul_f64 v[54:55], v[44:45], v[50:51]
	v_fmac_f64_e32 v[54:55], v[46:47], v[48:49]
	v_add_f64 v[60:61], v[52:53], v[54:55]
	ds_read_b128 v[52:55], v2 offset:1776
	v_mul_f64 v[6:7], v[46:47], v[50:51]
	v_fma_f64 v[6:7], v[44:45], v[48:49], -v[6:7]
	v_add_f64 v[4:5], v[4:5], v[6:7]
	s_waitcnt lgkmcnt(0)
	v_mul_f64 v[62:63], v[52:53], v[58:59]
	v_fmac_f64_e32 v[62:63], v[54:55], v[56:57]
	v_add_f64 v[68:69], v[60:61], v[62:63]
	ds_read_b128 v[60:63], v2 offset:1792
	v_mul_f64 v[6:7], v[54:55], v[58:59]
	v_fma_f64 v[6:7], v[52:53], v[56:57], -v[6:7]
	v_add_f64 v[4:5], v[4:5], v[6:7]
	s_waitcnt lgkmcnt(0)
	v_mul_f64 v[70:71], v[60:61], v[66:67]
	v_fmac_f64_e32 v[70:71], v[62:63], v[64:65]
	v_add_f64 v[72:73], v[68:69], v[70:71]
	ds_read_b128 v[68:71], v2 offset:1808
	v_mul_f64 v[6:7], v[62:63], v[66:67]
	v_fma_f64 v[6:7], v[60:61], v[64:65], -v[6:7]
	v_add_f64 v[4:5], v[4:5], v[6:7]
	s_waitcnt lgkmcnt(0)
	v_mul_f64 v[78:79], v[68:69], v[76:77]
	v_fmac_f64_e32 v[78:79], v[70:71], v[74:75]
	v_add_f64 v[72:73], v[72:73], v[78:79]
	ds_read_b128 v[78:81], v2 offset:1824
	v_mul_f64 v[6:7], v[70:71], v[76:77]
	v_fma_f64 v[6:7], v[68:69], v[74:75], -v[6:7]
	v_add_f64 v[4:5], v[4:5], v[6:7]
	s_waitcnt lgkmcnt(0)
	v_mul_f64 v[86:87], v[78:79], v[84:85]
	v_fmac_f64_e32 v[86:87], v[80:81], v[82:83]
	v_add_f64 v[72:73], v[72:73], v[86:87]
	ds_read_b128 v[86:89], v2 offset:1840
	v_mul_f64 v[6:7], v[80:81], v[84:85]
	v_fma_f64 v[6:7], v[78:79], v[82:83], -v[6:7]
	v_add_f64 v[4:5], v[4:5], v[6:7]
	s_waitcnt lgkmcnt(0)
	v_mul_f64 v[94:95], v[86:87], v[92:93]
	v_fmac_f64_e32 v[94:95], v[88:89], v[90:91]
	v_add_f64 v[72:73], v[72:73], v[94:95]
	ds_read_b128 v[94:97], v2 offset:1856
	v_mul_f64 v[6:7], v[88:89], v[92:93]
	v_fma_f64 v[6:7], v[86:87], v[90:91], -v[6:7]
	v_add_f64 v[4:5], v[4:5], v[6:7]
	s_waitcnt lgkmcnt(0)
	v_mul_f64 v[102:103], v[94:95], v[100:101]
	v_fmac_f64_e32 v[102:103], v[96:97], v[98:99]
	v_add_f64 v[72:73], v[72:73], v[102:103]
	ds_read_b128 v[102:105], v2 offset:1872
	v_mul_f64 v[6:7], v[96:97], v[100:101]
	v_fma_f64 v[6:7], v[94:95], v[98:99], -v[6:7]
	v_add_f64 v[4:5], v[4:5], v[6:7]
	s_waitcnt lgkmcnt(0)
	v_mul_f64 v[110:111], v[102:103], v[108:109]
	v_fmac_f64_e32 v[110:111], v[104:105], v[106:107]
	v_add_f64 v[72:73], v[72:73], v[110:111]
	ds_read_b128 v[110:113], v2 offset:1888
	v_mul_f64 v[6:7], v[104:105], v[108:109]
	v_fma_f64 v[6:7], v[102:103], v[106:107], -v[6:7]
	v_add_f64 v[4:5], v[4:5], v[6:7]
	s_waitcnt lgkmcnt(0)
	v_mul_f64 v[118:119], v[110:111], v[116:117]
	v_fmac_f64_e32 v[118:119], v[112:113], v[114:115]
	v_add_f64 v[72:73], v[72:73], v[118:119]
	ds_read_b128 v[118:121], v2 offset:1904
	v_mul_f64 v[6:7], v[112:113], v[116:117]
	v_fma_f64 v[6:7], v[110:111], v[114:115], -v[6:7]
	v_add_f64 v[4:5], v[4:5], v[6:7]
	s_waitcnt lgkmcnt(0)
	v_mul_f64 v[126:127], v[118:119], v[124:125]
	v_fmac_f64_e32 v[126:127], v[120:121], v[122:123]
	v_add_f64 v[72:73], v[72:73], v[126:127]
	ds_read_b128 v[126:129], v2 offset:1920
	v_mul_f64 v[6:7], v[120:121], v[124:125]
	v_fma_f64 v[6:7], v[118:119], v[122:123], -v[6:7]
	v_add_f64 v[4:5], v[4:5], v[6:7]
	s_waitcnt lgkmcnt(0)
	v_mul_f64 v[134:135], v[126:127], v[132:133]
	v_fmac_f64_e32 v[134:135], v[128:129], v[130:131]
	v_add_f64 v[72:73], v[72:73], v[134:135]
	ds_read_b128 v[134:137], v2 offset:1936
	v_mul_f64 v[6:7], v[128:129], v[132:133]
	v_fma_f64 v[6:7], v[126:127], v[130:131], -v[6:7]
	v_add_f64 v[4:5], v[4:5], v[6:7]
	s_waitcnt lgkmcnt(0)
	v_mul_f64 v[6:7], v[136:137], v[140:141]
	v_fma_f64 v[6:7], v[134:135], v[138:139], -v[6:7]
	v_add_f64 v[8:9], v[4:5], v[6:7]
	scratch_load_dwordx4 v[4:7], off, off offset:704
	v_mul_f64 v[142:143], v[134:135], v[140:141]
	v_fmac_f64_e32 v[142:143], v[136:137], v[138:139]
	v_add_f64 v[72:73], v[72:73], v[142:143]
	s_waitcnt vmcnt(0)
	v_add_f64 v[4:5], v[4:5], -v[8:9]
	v_add_f64 v[6:7], v[6:7], -v[72:73]
	scratch_store_dwordx4 off, v[4:7], off offset:704
	s_and_saveexec_b64 s[0:1], vcc
	s_cbranch_execz .LBB124_307
; %bb.306:
	scratch_load_dwordx4 v[6:9], off, s45
	v_mov_b32_e32 v3, v2
	v_mov_b32_e32 v4, v2
	;; [unrolled: 1-line block ×3, first 2 shown]
	v_accvgpr_read_b32 v1, a1
	scratch_store_dwordx4 off, v[2:5], off offset:688
	s_waitcnt vmcnt(1)
	ds_write_b128 v1, v[6:9]
.LBB124_307:
	s_or_b64 exec, exec, s[0:1]
	s_waitcnt lgkmcnt(0)
	; wave barrier
	ds_read_b128 v[16:19], v2 offset:1664
	ds_read_b128 v[12:15], v2 offset:1680
	ds_read_b128 v[8:11], v2 offset:1696
	ds_read_b128 v[4:7], v2 offset:1712
	scratch_load_dwordx4 v[20:23], off, off offset:704
	scratch_load_dwordx4 v[40:43], off, off offset:768
	;; [unrolled: 1-line block ×12, first 2 shown]
	v_cmp_lt_u32_e32 vcc, 41, v0
	scratch_load_dwordx4 v[48:51], off, off offset:784
	scratch_load_dwordx4 v[56:59], off, off offset:800
	;; [unrolled: 1-line block ×3, first 2 shown]
	s_waitcnt vmcnt(14) lgkmcnt(3)
	v_mul_f64 v[24:25], v[16:17], v[22:23]
	v_fmac_f64_e32 v[24:25], v[18:19], v[20:21]
	v_add_f64 v[28:29], v[24:25], 0
	scratch_load_dwordx4 v[24:27], off, off offset:720
	s_waitcnt vmcnt(0) lgkmcnt(2)
	v_mul_f64 v[30:31], v[12:13], v[26:27]
	v_fmac_f64_e32 v[30:31], v[14:15], v[24:25]
	v_add_f64 v[32:33], v[28:29], v[30:31]
	scratch_load_dwordx4 v[28:31], off, off offset:736
	v_mul_f64 v[14:15], v[14:15], v[26:27]
	v_fma_f64 v[12:13], v[12:13], v[24:25], -v[14:15]
	s_waitcnt vmcnt(0) lgkmcnt(1)
	v_mul_f64 v[34:35], v[8:9], v[30:31]
	v_fmac_f64_e32 v[34:35], v[10:11], v[28:29]
	v_add_f64 v[36:37], v[32:33], v[34:35]
	scratch_load_dwordx4 v[32:35], off, off offset:752
	v_mul_f64 v[10:11], v[10:11], v[30:31]
	v_fma_f64 v[8:9], v[8:9], v[28:29], -v[10:11]
	s_waitcnt vmcnt(0) lgkmcnt(0)
	v_mul_f64 v[38:39], v[4:5], v[34:35]
	v_fmac_f64_e32 v[38:39], v[6:7], v[32:33]
	v_add_f64 v[44:45], v[36:37], v[38:39]
	ds_read_b128 v[36:39], v2 offset:1728
	v_mul_f64 v[6:7], v[6:7], v[34:35]
	v_fma_f64 v[4:5], v[4:5], v[32:33], -v[6:7]
	s_waitcnt lgkmcnt(0)
	v_mul_f64 v[46:47], v[36:37], v[42:43]
	v_fmac_f64_e32 v[46:47], v[38:39], v[40:41]
	v_add_f64 v[52:53], v[44:45], v[46:47]
	ds_read_b128 v[44:47], v2 offset:1744
	s_waitcnt lgkmcnt(0)
	v_mul_f64 v[54:55], v[44:45], v[50:51]
	v_fmac_f64_e32 v[54:55], v[46:47], v[48:49]
	v_add_f64 v[60:61], v[52:53], v[54:55]
	ds_read_b128 v[52:55], v2 offset:1760
	;; [unrolled: 5-line block ×13, first 2 shown]
	s_waitcnt lgkmcnt(0)
	v_mul_f64 v[2:3], v[142:143], v[148:149]
	v_fmac_f64_e32 v[2:3], v[144:145], v[146:147]
	v_add_f64 v[80:81], v[80:81], v[2:3]
	v_mul_f64 v[2:3], v[18:19], v[22:23]
	v_fma_f64 v[2:3], v[16:17], v[20:21], -v[2:3]
	v_add_f64 v[2:3], v[2:3], 0
	v_add_f64 v[2:3], v[2:3], v[12:13]
	;; [unrolled: 1-line block ×4, first 2 shown]
	v_mul_f64 v[4:5], v[38:39], v[42:43]
	v_fma_f64 v[4:5], v[36:37], v[40:41], -v[4:5]
	v_add_f64 v[2:3], v[2:3], v[4:5]
	v_mul_f64 v[4:5], v[46:47], v[50:51]
	v_fma_f64 v[4:5], v[44:45], v[48:49], -v[4:5]
	v_add_f64 v[2:3], v[2:3], v[4:5]
	;; [unrolled: 3-line block ×14, first 2 shown]
	scratch_load_dwordx4 v[2:5], off, off offset:688
	s_waitcnt vmcnt(0)
	v_add_f64 v[2:3], v[2:3], -v[6:7]
	v_add_f64 v[4:5], v[4:5], -v[80:81]
	scratch_store_dwordx4 off, v[2:5], off offset:688
	s_and_saveexec_b64 s[0:1], vcc
	s_cbranch_execz .LBB124_309
; %bb.308:
	scratch_load_dwordx4 v[2:5], off, s46
	v_mov_b32_e32 v6, 0
	v_mov_b32_e32 v7, v6
	;; [unrolled: 1-line block ×4, first 2 shown]
	v_accvgpr_read_b32 v1, a1
	scratch_store_dwordx4 off, v[6:9], off offset:672
	s_waitcnt vmcnt(1)
	ds_write_b128 v1, v[2:5]
.LBB124_309:
	s_or_b64 exec, exec, s[0:1]
	v_mov_b32_e32 v2, 0
	s_waitcnt lgkmcnt(0)
	; wave barrier
	ds_read_b128 v[16:19], v2 offset:1648
	ds_read_b128 v[12:15], v2 offset:1664
	;; [unrolled: 1-line block ×4, first 2 shown]
	scratch_load_dwordx4 v[20:23], off, off offset:688
	scratch_load_dwordx4 v[40:43], off, off offset:752
	;; [unrolled: 1-line block ×13, first 2 shown]
	v_cmp_lt_u32_e32 vcc, 40, v0
	scratch_load_dwordx4 v[48:51], off, off offset:768
	scratch_load_dwordx4 v[56:59], off, off offset:784
	;; [unrolled: 1-line block ×3, first 2 shown]
	s_waitcnt vmcnt(15) lgkmcnt(3)
	v_mul_f64 v[24:25], v[16:17], v[22:23]
	v_fmac_f64_e32 v[24:25], v[18:19], v[20:21]
	v_add_f64 v[28:29], v[24:25], 0
	scratch_load_dwordx4 v[24:27], off, off offset:704
	v_mul_f64 v[18:19], v[18:19], v[22:23]
	v_fma_f64 v[16:17], v[16:17], v[20:21], -v[18:19]
	v_add_f64 v[16:17], v[16:17], 0
	s_waitcnt vmcnt(0) lgkmcnt(2)
	v_mul_f64 v[30:31], v[12:13], v[26:27]
	v_fmac_f64_e32 v[30:31], v[14:15], v[24:25]
	v_add_f64 v[32:33], v[28:29], v[30:31]
	scratch_load_dwordx4 v[28:31], off, off offset:720
	v_mul_f64 v[14:15], v[14:15], v[26:27]
	v_fma_f64 v[12:13], v[12:13], v[24:25], -v[14:15]
	v_add_f64 v[12:13], v[16:17], v[12:13]
	;; [unrolled: 8-line block ×3, first 2 shown]
	s_waitcnt vmcnt(0) lgkmcnt(0)
	v_mul_f64 v[38:39], v[4:5], v[34:35]
	v_fmac_f64_e32 v[38:39], v[6:7], v[32:33]
	v_add_f64 v[44:45], v[36:37], v[38:39]
	ds_read_b128 v[36:39], v2 offset:1712
	v_mul_f64 v[6:7], v[6:7], v[34:35]
	v_fma_f64 v[4:5], v[4:5], v[32:33], -v[6:7]
	v_add_f64 v[4:5], v[8:9], v[4:5]
	s_waitcnt lgkmcnt(0)
	v_mul_f64 v[46:47], v[36:37], v[42:43]
	v_fmac_f64_e32 v[46:47], v[38:39], v[40:41]
	v_add_f64 v[52:53], v[44:45], v[46:47]
	ds_read_b128 v[44:47], v2 offset:1728
	v_mul_f64 v[6:7], v[38:39], v[42:43]
	v_fma_f64 v[6:7], v[36:37], v[40:41], -v[6:7]
	v_add_f64 v[4:5], v[4:5], v[6:7]
	s_waitcnt lgkmcnt(0)
	;; [unrolled: 8-line block ×15, first 2 shown]
	v_mul_f64 v[6:7], v[152:153], v[156:157]
	v_fma_f64 v[6:7], v[150:151], v[154:155], -v[6:7]
	v_add_f64 v[8:9], v[4:5], v[6:7]
	scratch_load_dwordx4 v[4:7], off, off offset:672
	v_mul_f64 v[158:159], v[150:151], v[156:157]
	v_fmac_f64_e32 v[158:159], v[152:153], v[154:155]
	v_add_f64 v[88:89], v[88:89], v[158:159]
	s_waitcnt vmcnt(0)
	v_add_f64 v[4:5], v[4:5], -v[8:9]
	v_add_f64 v[6:7], v[6:7], -v[88:89]
	scratch_store_dwordx4 off, v[4:7], off offset:672
	s_and_saveexec_b64 s[0:1], vcc
	s_cbranch_execz .LBB124_311
; %bb.310:
	scratch_load_dwordx4 v[6:9], off, s47
	v_mov_b32_e32 v3, v2
	v_mov_b32_e32 v4, v2
	;; [unrolled: 1-line block ×3, first 2 shown]
	v_accvgpr_read_b32 v1, a1
	scratch_store_dwordx4 off, v[2:5], off offset:656
	s_waitcnt vmcnt(1)
	ds_write_b128 v1, v[6:9]
.LBB124_311:
	s_or_b64 exec, exec, s[0:1]
	s_waitcnt lgkmcnt(0)
	; wave barrier
	ds_read_b128 v[16:19], v2 offset:1632
	ds_read_b128 v[12:15], v2 offset:1648
	;; [unrolled: 1-line block ×4, first 2 shown]
	scratch_load_dwordx4 v[20:23], off, off offset:672
	scratch_load_dwordx4 v[40:43], off, off offset:736
	;; [unrolled: 1-line block ×14, first 2 shown]
	v_cmp_lt_u32_e32 vcc, 39, v0
	scratch_load_dwordx4 v[48:51], off, off offset:752
	scratch_load_dwordx4 v[56:59], off, off offset:768
	scratch_load_dwordx4 v[64:67], off, off offset:784
	s_waitcnt vmcnt(16) lgkmcnt(3)
	v_mul_f64 v[24:25], v[16:17], v[22:23]
	v_fmac_f64_e32 v[24:25], v[18:19], v[20:21]
	v_add_f64 v[28:29], v[24:25], 0
	scratch_load_dwordx4 v[24:27], off, off offset:688
	s_waitcnt vmcnt(0) lgkmcnt(2)
	v_mul_f64 v[30:31], v[12:13], v[26:27]
	v_fmac_f64_e32 v[30:31], v[14:15], v[24:25]
	v_add_f64 v[32:33], v[28:29], v[30:31]
	scratch_load_dwordx4 v[28:31], off, off offset:704
	v_mul_f64 v[14:15], v[14:15], v[26:27]
	v_fma_f64 v[12:13], v[12:13], v[24:25], -v[14:15]
	s_waitcnt vmcnt(0) lgkmcnt(1)
	v_mul_f64 v[34:35], v[8:9], v[30:31]
	v_fmac_f64_e32 v[34:35], v[10:11], v[28:29]
	v_add_f64 v[36:37], v[32:33], v[34:35]
	scratch_load_dwordx4 v[32:35], off, off offset:720
	v_mul_f64 v[10:11], v[10:11], v[30:31]
	v_fma_f64 v[8:9], v[8:9], v[28:29], -v[10:11]
	s_waitcnt vmcnt(0) lgkmcnt(0)
	v_mul_f64 v[38:39], v[4:5], v[34:35]
	v_fmac_f64_e32 v[38:39], v[6:7], v[32:33]
	v_add_f64 v[44:45], v[36:37], v[38:39]
	ds_read_b128 v[36:39], v2 offset:1696
	v_mul_f64 v[6:7], v[6:7], v[34:35]
	v_fma_f64 v[4:5], v[4:5], v[32:33], -v[6:7]
	s_waitcnt lgkmcnt(0)
	v_mul_f64 v[46:47], v[36:37], v[42:43]
	v_fmac_f64_e32 v[46:47], v[38:39], v[40:41]
	v_add_f64 v[52:53], v[44:45], v[46:47]
	ds_read_b128 v[44:47], v2 offset:1712
	s_waitcnt lgkmcnt(0)
	v_mul_f64 v[54:55], v[44:45], v[50:51]
	v_fmac_f64_e32 v[54:55], v[46:47], v[48:49]
	v_add_f64 v[60:61], v[52:53], v[54:55]
	ds_read_b128 v[52:55], v2 offset:1728
	;; [unrolled: 5-line block ×15, first 2 shown]
	s_waitcnt lgkmcnt(0)
	v_mul_f64 v[2:3], v[158:159], v[164:165]
	v_fmac_f64_e32 v[2:3], v[160:161], v[162:163]
	v_add_f64 v[96:97], v[96:97], v[2:3]
	v_mul_f64 v[2:3], v[18:19], v[22:23]
	v_fma_f64 v[2:3], v[16:17], v[20:21], -v[2:3]
	v_add_f64 v[2:3], v[2:3], 0
	v_add_f64 v[2:3], v[2:3], v[12:13]
	;; [unrolled: 1-line block ×4, first 2 shown]
	v_mul_f64 v[4:5], v[38:39], v[42:43]
	v_fma_f64 v[4:5], v[36:37], v[40:41], -v[4:5]
	v_add_f64 v[2:3], v[2:3], v[4:5]
	v_mul_f64 v[4:5], v[46:47], v[50:51]
	v_fma_f64 v[4:5], v[44:45], v[48:49], -v[4:5]
	v_add_f64 v[2:3], v[2:3], v[4:5]
	;; [unrolled: 3-line block ×16, first 2 shown]
	scratch_load_dwordx4 v[2:5], off, off offset:656
	s_waitcnt vmcnt(0)
	v_add_f64 v[2:3], v[2:3], -v[6:7]
	v_add_f64 v[4:5], v[4:5], -v[96:97]
	scratch_store_dwordx4 off, v[2:5], off offset:656
	s_and_saveexec_b64 s[0:1], vcc
	s_cbranch_execz .LBB124_313
; %bb.312:
	scratch_load_dwordx4 v[2:5], off, s26
	v_mov_b32_e32 v6, 0
	v_mov_b32_e32 v7, v6
	;; [unrolled: 1-line block ×4, first 2 shown]
	v_accvgpr_read_b32 v1, a1
	scratch_store_dwordx4 off, v[6:9], off offset:640
	s_waitcnt vmcnt(1)
	ds_write_b128 v1, v[2:5]
.LBB124_313:
	s_or_b64 exec, exec, s[0:1]
	v_mov_b32_e32 v2, 0
	s_waitcnt lgkmcnt(0)
	; wave barrier
	ds_read_b128 v[16:19], v2 offset:1616
	ds_read_b128 v[12:15], v2 offset:1632
	;; [unrolled: 1-line block ×4, first 2 shown]
	scratch_load_dwordx4 v[20:23], off, off offset:656
	scratch_load_dwordx4 v[40:43], off, off offset:720
	;; [unrolled: 1-line block ×15, first 2 shown]
	v_cmp_lt_u32_e32 vcc, 38, v0
	scratch_load_dwordx4 v[48:51], off, off offset:736
	scratch_load_dwordx4 v[56:59], off, off offset:752
	;; [unrolled: 1-line block ×3, first 2 shown]
	s_waitcnt vmcnt(17) lgkmcnt(3)
	v_mul_f64 v[24:25], v[16:17], v[22:23]
	v_fmac_f64_e32 v[24:25], v[18:19], v[20:21]
	v_add_f64 v[28:29], v[24:25], 0
	scratch_load_dwordx4 v[24:27], off, off offset:672
	v_mul_f64 v[18:19], v[18:19], v[22:23]
	v_fma_f64 v[16:17], v[16:17], v[20:21], -v[18:19]
	v_add_f64 v[16:17], v[16:17], 0
	s_waitcnt vmcnt(0) lgkmcnt(2)
	v_mul_f64 v[30:31], v[12:13], v[26:27]
	v_fmac_f64_e32 v[30:31], v[14:15], v[24:25]
	v_add_f64 v[32:33], v[28:29], v[30:31]
	scratch_load_dwordx4 v[28:31], off, off offset:688
	v_mul_f64 v[14:15], v[14:15], v[26:27]
	v_fma_f64 v[12:13], v[12:13], v[24:25], -v[14:15]
	v_add_f64 v[12:13], v[16:17], v[12:13]
	;; [unrolled: 8-line block ×3, first 2 shown]
	s_waitcnt vmcnt(0) lgkmcnt(0)
	v_mul_f64 v[38:39], v[4:5], v[34:35]
	v_fmac_f64_e32 v[38:39], v[6:7], v[32:33]
	v_add_f64 v[44:45], v[36:37], v[38:39]
	ds_read_b128 v[36:39], v2 offset:1680
	v_mul_f64 v[6:7], v[6:7], v[34:35]
	v_fma_f64 v[4:5], v[4:5], v[32:33], -v[6:7]
	v_add_f64 v[4:5], v[8:9], v[4:5]
	s_waitcnt lgkmcnt(0)
	v_mul_f64 v[46:47], v[36:37], v[42:43]
	v_fmac_f64_e32 v[46:47], v[38:39], v[40:41]
	v_add_f64 v[52:53], v[44:45], v[46:47]
	ds_read_b128 v[44:47], v2 offset:1696
	v_mul_f64 v[6:7], v[38:39], v[42:43]
	v_fma_f64 v[6:7], v[36:37], v[40:41], -v[6:7]
	v_add_f64 v[4:5], v[4:5], v[6:7]
	s_waitcnt lgkmcnt(0)
	;; [unrolled: 8-line block ×17, first 2 shown]
	v_mul_f64 v[6:7], v[168:169], v[172:173]
	v_fma_f64 v[6:7], v[166:167], v[170:171], -v[6:7]
	v_add_f64 v[8:9], v[4:5], v[6:7]
	scratch_load_dwordx4 v[4:7], off, off offset:640
	v_mul_f64 v[174:175], v[166:167], v[172:173]
	v_fmac_f64_e32 v[174:175], v[168:169], v[170:171]
	v_add_f64 v[104:105], v[104:105], v[174:175]
	s_waitcnt vmcnt(0)
	v_add_f64 v[4:5], v[4:5], -v[8:9]
	v_add_f64 v[6:7], v[6:7], -v[104:105]
	scratch_store_dwordx4 off, v[4:7], off offset:640
	s_and_saveexec_b64 s[0:1], vcc
	s_cbranch_execz .LBB124_315
; %bb.314:
	scratch_load_dwordx4 v[6:9], off, s27
	v_mov_b32_e32 v3, v2
	v_mov_b32_e32 v4, v2
	;; [unrolled: 1-line block ×3, first 2 shown]
	v_accvgpr_read_b32 v1, a1
	scratch_store_dwordx4 off, v[2:5], off offset:624
	s_waitcnt vmcnt(1)
	ds_write_b128 v1, v[6:9]
.LBB124_315:
	s_or_b64 exec, exec, s[0:1]
	s_waitcnt lgkmcnt(0)
	; wave barrier
	ds_read_b128 v[16:19], v2 offset:1600
	ds_read_b128 v[12:15], v2 offset:1616
	ds_read_b128 v[8:11], v2 offset:1632
	ds_read_b128 v[4:7], v2 offset:1648
	scratch_load_dwordx4 v[20:23], off, off offset:640
	scratch_load_dwordx4 v[40:43], off, off offset:704
	;; [unrolled: 1-line block ×16, first 2 shown]
	v_cmp_lt_u32_e32 vcc, 37, v0
	scratch_load_dwordx4 v[48:51], off, off offset:720
	scratch_load_dwordx4 v[56:59], off, off offset:736
	;; [unrolled: 1-line block ×3, first 2 shown]
	s_waitcnt vmcnt(18) lgkmcnt(3)
	v_mul_f64 v[24:25], v[16:17], v[22:23]
	v_fmac_f64_e32 v[24:25], v[18:19], v[20:21]
	v_add_f64 v[28:29], v[24:25], 0
	scratch_load_dwordx4 v[24:27], off, off offset:656
	s_waitcnt vmcnt(0) lgkmcnt(2)
	v_mul_f64 v[30:31], v[12:13], v[26:27]
	v_fmac_f64_e32 v[30:31], v[14:15], v[24:25]
	v_add_f64 v[32:33], v[28:29], v[30:31]
	scratch_load_dwordx4 v[28:31], off, off offset:672
	v_mul_f64 v[14:15], v[14:15], v[26:27]
	v_fma_f64 v[12:13], v[12:13], v[24:25], -v[14:15]
	s_waitcnt vmcnt(0) lgkmcnt(1)
	v_mul_f64 v[34:35], v[8:9], v[30:31]
	v_fmac_f64_e32 v[34:35], v[10:11], v[28:29]
	v_add_f64 v[36:37], v[32:33], v[34:35]
	scratch_load_dwordx4 v[32:35], off, off offset:688
	v_mul_f64 v[10:11], v[10:11], v[30:31]
	v_fma_f64 v[8:9], v[8:9], v[28:29], -v[10:11]
	s_waitcnt vmcnt(0) lgkmcnt(0)
	v_mul_f64 v[38:39], v[4:5], v[34:35]
	v_fmac_f64_e32 v[38:39], v[6:7], v[32:33]
	v_add_f64 v[44:45], v[36:37], v[38:39]
	ds_read_b128 v[36:39], v2 offset:1664
	v_mul_f64 v[6:7], v[6:7], v[34:35]
	v_fma_f64 v[4:5], v[4:5], v[32:33], -v[6:7]
	s_waitcnt lgkmcnt(0)
	v_mul_f64 v[46:47], v[36:37], v[42:43]
	v_fmac_f64_e32 v[46:47], v[38:39], v[40:41]
	v_add_f64 v[52:53], v[44:45], v[46:47]
	ds_read_b128 v[44:47], v2 offset:1680
	s_waitcnt lgkmcnt(0)
	v_mul_f64 v[54:55], v[44:45], v[50:51]
	v_fmac_f64_e32 v[54:55], v[46:47], v[48:49]
	v_add_f64 v[60:61], v[52:53], v[54:55]
	ds_read_b128 v[52:55], v2 offset:1696
	;; [unrolled: 5-line block ×17, first 2 shown]
	s_waitcnt lgkmcnt(0)
	v_mul_f64 v[2:3], v[174:175], v[180:181]
	v_fmac_f64_e32 v[2:3], v[176:177], v[178:179]
	v_add_f64 v[120:121], v[120:121], v[2:3]
	v_mul_f64 v[2:3], v[18:19], v[22:23]
	v_fma_f64 v[2:3], v[16:17], v[20:21], -v[2:3]
	v_add_f64 v[2:3], v[2:3], 0
	v_add_f64 v[2:3], v[2:3], v[12:13]
	;; [unrolled: 1-line block ×4, first 2 shown]
	v_mul_f64 v[4:5], v[38:39], v[42:43]
	v_fma_f64 v[4:5], v[36:37], v[40:41], -v[4:5]
	v_add_f64 v[2:3], v[2:3], v[4:5]
	v_mul_f64 v[4:5], v[46:47], v[50:51]
	v_fma_f64 v[4:5], v[44:45], v[48:49], -v[4:5]
	v_add_f64 v[2:3], v[2:3], v[4:5]
	;; [unrolled: 3-line block ×18, first 2 shown]
	scratch_load_dwordx4 v[2:5], off, off offset:624
	s_waitcnt vmcnt(0)
	v_add_f64 v[2:3], v[2:3], -v[6:7]
	v_add_f64 v[4:5], v[4:5], -v[120:121]
	scratch_store_dwordx4 off, v[2:5], off offset:624
	s_and_saveexec_b64 s[0:1], vcc
	s_cbranch_execz .LBB124_317
; %bb.316:
	scratch_load_dwordx4 v[2:5], off, s28
	v_mov_b32_e32 v6, 0
	v_mov_b32_e32 v7, v6
	;; [unrolled: 1-line block ×4, first 2 shown]
	v_accvgpr_read_b32 v1, a1
	scratch_store_dwordx4 off, v[6:9], off offset:608
	s_waitcnt vmcnt(1)
	ds_write_b128 v1, v[2:5]
.LBB124_317:
	s_or_b64 exec, exec, s[0:1]
	v_mov_b32_e32 v2, 0
	s_waitcnt lgkmcnt(0)
	; wave barrier
	ds_read_b128 v[16:19], v2 offset:1584
	ds_read_b128 v[12:15], v2 offset:1600
	;; [unrolled: 1-line block ×4, first 2 shown]
	scratch_load_dwordx4 v[20:23], off, off offset:624
	scratch_load_dwordx4 v[40:43], off, off offset:688
	;; [unrolled: 1-line block ×17, first 2 shown]
	v_cmp_lt_u32_e32 vcc, 36, v0
	scratch_load_dwordx4 v[48:51], off, off offset:704
	scratch_load_dwordx4 v[56:59], off, off offset:720
	;; [unrolled: 1-line block ×3, first 2 shown]
	s_waitcnt vmcnt(19) lgkmcnt(3)
	v_mul_f64 v[24:25], v[16:17], v[22:23]
	v_fmac_f64_e32 v[24:25], v[18:19], v[20:21]
	v_add_f64 v[28:29], v[24:25], 0
	scratch_load_dwordx4 v[24:27], off, off offset:640
	v_mul_f64 v[18:19], v[18:19], v[22:23]
	v_fma_f64 v[16:17], v[16:17], v[20:21], -v[18:19]
	v_add_f64 v[16:17], v[16:17], 0
	s_waitcnt vmcnt(0) lgkmcnt(2)
	v_mul_f64 v[30:31], v[12:13], v[26:27]
	v_fmac_f64_e32 v[30:31], v[14:15], v[24:25]
	v_add_f64 v[32:33], v[28:29], v[30:31]
	scratch_load_dwordx4 v[28:31], off, off offset:656
	v_mul_f64 v[14:15], v[14:15], v[26:27]
	v_fma_f64 v[12:13], v[12:13], v[24:25], -v[14:15]
	v_add_f64 v[12:13], v[16:17], v[12:13]
	;; [unrolled: 8-line block ×3, first 2 shown]
	s_waitcnt vmcnt(0) lgkmcnt(0)
	v_mul_f64 v[38:39], v[4:5], v[34:35]
	v_fmac_f64_e32 v[38:39], v[6:7], v[32:33]
	v_add_f64 v[44:45], v[36:37], v[38:39]
	ds_read_b128 v[36:39], v2 offset:1648
	v_mul_f64 v[6:7], v[6:7], v[34:35]
	v_fma_f64 v[4:5], v[4:5], v[32:33], -v[6:7]
	v_add_f64 v[4:5], v[8:9], v[4:5]
	s_waitcnt lgkmcnt(0)
	v_mul_f64 v[46:47], v[36:37], v[42:43]
	v_fmac_f64_e32 v[46:47], v[38:39], v[40:41]
	v_add_f64 v[52:53], v[44:45], v[46:47]
	ds_read_b128 v[44:47], v2 offset:1664
	v_mul_f64 v[6:7], v[38:39], v[42:43]
	v_fma_f64 v[6:7], v[36:37], v[40:41], -v[6:7]
	v_add_f64 v[4:5], v[4:5], v[6:7]
	s_waitcnt lgkmcnt(0)
	;; [unrolled: 8-line block ×19, first 2 shown]
	v_mul_f64 v[6:7], v[184:185], v[188:189]
	v_fma_f64 v[6:7], v[182:183], v[186:187], -v[6:7]
	v_add_f64 v[8:9], v[4:5], v[6:7]
	scratch_load_dwordx4 v[4:7], off, off offset:608
	v_mul_f64 v[190:191], v[182:183], v[188:189]
	v_fmac_f64_e32 v[190:191], v[184:185], v[186:187]
	v_add_f64 v[128:129], v[128:129], v[190:191]
	s_waitcnt vmcnt(0)
	v_add_f64 v[4:5], v[4:5], -v[8:9]
	v_add_f64 v[6:7], v[6:7], -v[128:129]
	scratch_store_dwordx4 off, v[4:7], off offset:608
	s_and_saveexec_b64 s[0:1], vcc
	s_cbranch_execz .LBB124_319
; %bb.318:
	scratch_load_dwordx4 v[6:9], off, s51
	v_mov_b32_e32 v3, v2
	v_mov_b32_e32 v4, v2
	;; [unrolled: 1-line block ×3, first 2 shown]
	v_accvgpr_read_b32 v1, a1
	scratch_store_dwordx4 off, v[2:5], off offset:592
	s_waitcnt vmcnt(1)
	ds_write_b128 v1, v[6:9]
.LBB124_319:
	s_or_b64 exec, exec, s[0:1]
	s_waitcnt lgkmcnt(0)
	; wave barrier
	ds_read_b128 v[16:19], v2 offset:1568
	ds_read_b128 v[12:15], v2 offset:1584
	;; [unrolled: 1-line block ×4, first 2 shown]
	scratch_load_dwordx4 v[20:23], off, off offset:608
	scratch_load_dwordx4 v[40:43], off, off offset:672
	;; [unrolled: 1-line block ×18, first 2 shown]
	v_cmp_lt_u32_e32 vcc, 35, v0
	scratch_load_dwordx4 v[48:51], off, off offset:688
	scratch_load_dwordx4 v[56:59], off, off offset:704
	;; [unrolled: 1-line block ×3, first 2 shown]
	s_waitcnt vmcnt(20) lgkmcnt(3)
	v_mul_f64 v[24:25], v[16:17], v[22:23]
	v_fmac_f64_e32 v[24:25], v[18:19], v[20:21]
	v_add_f64 v[28:29], v[24:25], 0
	scratch_load_dwordx4 v[24:27], off, off offset:624
	s_waitcnt vmcnt(0) lgkmcnt(2)
	v_mul_f64 v[30:31], v[12:13], v[26:27]
	v_fmac_f64_e32 v[30:31], v[14:15], v[24:25]
	v_add_f64 v[32:33], v[28:29], v[30:31]
	scratch_load_dwordx4 v[28:31], off, off offset:640
	v_mul_f64 v[14:15], v[14:15], v[26:27]
	v_fma_f64 v[12:13], v[12:13], v[24:25], -v[14:15]
	s_waitcnt vmcnt(0) lgkmcnt(1)
	v_mul_f64 v[34:35], v[8:9], v[30:31]
	v_fmac_f64_e32 v[34:35], v[10:11], v[28:29]
	v_add_f64 v[36:37], v[32:33], v[34:35]
	scratch_load_dwordx4 v[32:35], off, off offset:656
	v_mul_f64 v[10:11], v[10:11], v[30:31]
	v_fma_f64 v[8:9], v[8:9], v[28:29], -v[10:11]
	s_waitcnt vmcnt(0) lgkmcnt(0)
	v_mul_f64 v[38:39], v[4:5], v[34:35]
	v_fmac_f64_e32 v[38:39], v[6:7], v[32:33]
	v_add_f64 v[44:45], v[36:37], v[38:39]
	ds_read_b128 v[36:39], v2 offset:1632
	v_mul_f64 v[6:7], v[6:7], v[34:35]
	v_fma_f64 v[4:5], v[4:5], v[32:33], -v[6:7]
	s_waitcnt lgkmcnt(0)
	v_mul_f64 v[46:47], v[36:37], v[42:43]
	v_fmac_f64_e32 v[46:47], v[38:39], v[40:41]
	v_add_f64 v[52:53], v[44:45], v[46:47]
	ds_read_b128 v[44:47], v2 offset:1648
	s_waitcnt lgkmcnt(0)
	v_mul_f64 v[54:55], v[44:45], v[50:51]
	v_fmac_f64_e32 v[54:55], v[46:47], v[48:49]
	v_add_f64 v[60:61], v[52:53], v[54:55]
	ds_read_b128 v[52:55], v2 offset:1664
	;; [unrolled: 5-line block ×19, first 2 shown]
	s_waitcnt lgkmcnt(0)
	v_mul_f64 v[2:3], v[190:191], v[196:197]
	v_fmac_f64_e32 v[2:3], v[192:193], v[194:195]
	v_add_f64 v[152:153], v[152:153], v[2:3]
	v_mul_f64 v[2:3], v[18:19], v[22:23]
	v_fma_f64 v[2:3], v[16:17], v[20:21], -v[2:3]
	v_add_f64 v[2:3], v[2:3], 0
	v_add_f64 v[2:3], v[2:3], v[12:13]
	;; [unrolled: 1-line block ×4, first 2 shown]
	v_mul_f64 v[4:5], v[38:39], v[42:43]
	v_fma_f64 v[4:5], v[36:37], v[40:41], -v[4:5]
	v_add_f64 v[2:3], v[2:3], v[4:5]
	v_mul_f64 v[4:5], v[46:47], v[50:51]
	v_fma_f64 v[4:5], v[44:45], v[48:49], -v[4:5]
	v_add_f64 v[2:3], v[2:3], v[4:5]
	;; [unrolled: 3-line block ×20, first 2 shown]
	scratch_load_dwordx4 v[2:5], off, off offset:592
	s_waitcnt vmcnt(0)
	v_add_f64 v[2:3], v[2:3], -v[6:7]
	v_add_f64 v[4:5], v[4:5], -v[152:153]
	scratch_store_dwordx4 off, v[2:5], off offset:592
	s_and_saveexec_b64 s[0:1], vcc
	s_cbranch_execz .LBB124_321
; %bb.320:
	scratch_load_dwordx4 v[2:5], off, s52
	v_mov_b32_e32 v6, 0
	v_mov_b32_e32 v7, v6
	;; [unrolled: 1-line block ×4, first 2 shown]
	v_accvgpr_read_b32 v1, a1
	scratch_store_dwordx4 off, v[6:9], off offset:576
	s_waitcnt vmcnt(1)
	ds_write_b128 v1, v[2:5]
.LBB124_321:
	s_or_b64 exec, exec, s[0:1]
	v_mov_b32_e32 v2, 0
	s_waitcnt lgkmcnt(0)
	; wave barrier
	ds_read_b128 v[16:19], v2 offset:1552
	ds_read_b128 v[12:15], v2 offset:1568
	ds_read_b128 v[8:11], v2 offset:1584
	ds_read_b128 v[4:7], v2 offset:1600
	scratch_load_dwordx4 v[20:23], off, off offset:592
	scratch_load_dwordx4 v[40:43], off, off offset:656
	;; [unrolled: 1-line block ×19, first 2 shown]
	v_cmp_lt_u32_e32 vcc, 34, v0
	scratch_load_dwordx4 v[48:51], off, off offset:672
	scratch_load_dwordx4 v[56:59], off, off offset:688
	scratch_load_dwordx4 v[64:67], off, off offset:704
	s_waitcnt vmcnt(21) lgkmcnt(3)
	v_mul_f64 v[24:25], v[16:17], v[22:23]
	v_fmac_f64_e32 v[24:25], v[18:19], v[20:21]
	v_add_f64 v[28:29], v[24:25], 0
	scratch_load_dwordx4 v[24:27], off, off offset:608
	v_mul_f64 v[18:19], v[18:19], v[22:23]
	v_fma_f64 v[16:17], v[16:17], v[20:21], -v[18:19]
	v_add_f64 v[16:17], v[16:17], 0
	s_waitcnt vmcnt(0) lgkmcnt(2)
	v_mul_f64 v[30:31], v[12:13], v[26:27]
	v_fmac_f64_e32 v[30:31], v[14:15], v[24:25]
	v_add_f64 v[32:33], v[28:29], v[30:31]
	scratch_load_dwordx4 v[28:31], off, off offset:624
	v_mul_f64 v[14:15], v[14:15], v[26:27]
	v_fma_f64 v[12:13], v[12:13], v[24:25], -v[14:15]
	v_add_f64 v[12:13], v[16:17], v[12:13]
	;; [unrolled: 8-line block ×3, first 2 shown]
	s_waitcnt vmcnt(0) lgkmcnt(0)
	v_mul_f64 v[38:39], v[4:5], v[34:35]
	v_fmac_f64_e32 v[38:39], v[6:7], v[32:33]
	v_add_f64 v[44:45], v[36:37], v[38:39]
	ds_read_b128 v[36:39], v2 offset:1616
	v_mul_f64 v[6:7], v[6:7], v[34:35]
	v_fma_f64 v[4:5], v[4:5], v[32:33], -v[6:7]
	v_add_f64 v[4:5], v[8:9], v[4:5]
	s_waitcnt lgkmcnt(0)
	v_mul_f64 v[46:47], v[36:37], v[42:43]
	v_fmac_f64_e32 v[46:47], v[38:39], v[40:41]
	v_add_f64 v[52:53], v[44:45], v[46:47]
	ds_read_b128 v[44:47], v2 offset:1632
	v_mul_f64 v[6:7], v[38:39], v[42:43]
	v_fma_f64 v[6:7], v[36:37], v[40:41], -v[6:7]
	v_add_f64 v[4:5], v[4:5], v[6:7]
	s_waitcnt lgkmcnt(0)
	v_mul_f64 v[54:55], v[44:45], v[50:51]
	v_fmac_f64_e32 v[54:55], v[46:47], v[48:49]
	v_add_f64 v[60:61], v[52:53], v[54:55]
	ds_read_b128 v[52:55], v2 offset:1648
	v_mul_f64 v[6:7], v[46:47], v[50:51]
	v_fma_f64 v[6:7], v[44:45], v[48:49], -v[6:7]
	v_add_f64 v[4:5], v[4:5], v[6:7]
	s_waitcnt lgkmcnt(0)
	v_mul_f64 v[62:63], v[52:53], v[58:59]
	v_fmac_f64_e32 v[62:63], v[54:55], v[56:57]
	v_add_f64 v[68:69], v[60:61], v[62:63]
	ds_read_b128 v[60:63], v2 offset:1664
	v_mul_f64 v[6:7], v[54:55], v[58:59]
	v_fma_f64 v[6:7], v[52:53], v[56:57], -v[6:7]
	v_add_f64 v[4:5], v[4:5], v[6:7]
	s_waitcnt lgkmcnt(0)
	v_mul_f64 v[70:71], v[60:61], v[66:67]
	v_fmac_f64_e32 v[70:71], v[62:63], v[64:65]
	v_add_f64 v[76:77], v[68:69], v[70:71]
	ds_read_b128 v[68:71], v2 offset:1680
	v_mul_f64 v[6:7], v[62:63], v[66:67]
	v_fma_f64 v[6:7], v[60:61], v[64:65], -v[6:7]
	v_add_f64 v[4:5], v[4:5], v[6:7]
	s_waitcnt lgkmcnt(0)
	v_mul_f64 v[78:79], v[68:69], v[74:75]
	v_fmac_f64_e32 v[78:79], v[70:71], v[72:73]
	v_add_f64 v[84:85], v[76:77], v[78:79]
	ds_read_b128 v[76:79], v2 offset:1696
	v_mul_f64 v[6:7], v[70:71], v[74:75]
	v_fma_f64 v[6:7], v[68:69], v[72:73], -v[6:7]
	v_add_f64 v[4:5], v[4:5], v[6:7]
	s_waitcnt lgkmcnt(0)
	v_mul_f64 v[86:87], v[76:77], v[82:83]
	v_fmac_f64_e32 v[86:87], v[78:79], v[80:81]
	v_add_f64 v[92:93], v[84:85], v[86:87]
	ds_read_b128 v[84:87], v2 offset:1712
	v_mul_f64 v[6:7], v[78:79], v[82:83]
	v_fma_f64 v[6:7], v[76:77], v[80:81], -v[6:7]
	v_add_f64 v[4:5], v[4:5], v[6:7]
	s_waitcnt lgkmcnt(0)
	v_mul_f64 v[94:95], v[84:85], v[90:91]
	v_fmac_f64_e32 v[94:95], v[86:87], v[88:89]
	v_add_f64 v[100:101], v[92:93], v[94:95]
	ds_read_b128 v[92:95], v2 offset:1728
	v_mul_f64 v[6:7], v[86:87], v[90:91]
	v_fma_f64 v[6:7], v[84:85], v[88:89], -v[6:7]
	v_add_f64 v[4:5], v[4:5], v[6:7]
	s_waitcnt lgkmcnt(0)
	v_mul_f64 v[102:103], v[92:93], v[98:99]
	v_fmac_f64_e32 v[102:103], v[94:95], v[96:97]
	v_add_f64 v[108:109], v[100:101], v[102:103]
	ds_read_b128 v[100:103], v2 offset:1744
	v_mul_f64 v[6:7], v[94:95], v[98:99]
	v_fma_f64 v[6:7], v[92:93], v[96:97], -v[6:7]
	v_add_f64 v[4:5], v[4:5], v[6:7]
	s_waitcnt lgkmcnt(0)
	v_mul_f64 v[110:111], v[100:101], v[106:107]
	v_fmac_f64_e32 v[110:111], v[102:103], v[104:105]
	v_add_f64 v[116:117], v[108:109], v[110:111]
	ds_read_b128 v[108:111], v2 offset:1760
	v_mul_f64 v[6:7], v[102:103], v[106:107]
	v_fma_f64 v[6:7], v[100:101], v[104:105], -v[6:7]
	v_add_f64 v[4:5], v[4:5], v[6:7]
	s_waitcnt lgkmcnt(0)
	v_mul_f64 v[118:119], v[108:109], v[114:115]
	v_fmac_f64_e32 v[118:119], v[110:111], v[112:113]
	v_add_f64 v[124:125], v[116:117], v[118:119]
	ds_read_b128 v[116:119], v2 offset:1776
	v_mul_f64 v[6:7], v[110:111], v[114:115]
	v_fma_f64 v[6:7], v[108:109], v[112:113], -v[6:7]
	v_add_f64 v[4:5], v[4:5], v[6:7]
	s_waitcnt lgkmcnt(0)
	v_mul_f64 v[126:127], v[116:117], v[122:123]
	v_fmac_f64_e32 v[126:127], v[118:119], v[120:121]
	v_add_f64 v[132:133], v[124:125], v[126:127]
	ds_read_b128 v[124:127], v2 offset:1792
	v_mul_f64 v[6:7], v[118:119], v[122:123]
	v_fma_f64 v[6:7], v[116:117], v[120:121], -v[6:7]
	v_add_f64 v[4:5], v[4:5], v[6:7]
	s_waitcnt lgkmcnt(0)
	v_mul_f64 v[134:135], v[124:125], v[130:131]
	v_fmac_f64_e32 v[134:135], v[126:127], v[128:129]
	v_add_f64 v[140:141], v[132:133], v[134:135]
	ds_read_b128 v[132:135], v2 offset:1808
	v_mul_f64 v[6:7], v[126:127], v[130:131]
	v_fma_f64 v[6:7], v[124:125], v[128:129], -v[6:7]
	v_add_f64 v[4:5], v[4:5], v[6:7]
	s_waitcnt lgkmcnt(0)
	v_mul_f64 v[142:143], v[132:133], v[138:139]
	v_fmac_f64_e32 v[142:143], v[134:135], v[136:137]
	v_add_f64 v[144:145], v[140:141], v[142:143]
	ds_read_b128 v[140:143], v2 offset:1824
	v_mul_f64 v[6:7], v[134:135], v[138:139]
	v_fma_f64 v[6:7], v[132:133], v[136:137], -v[6:7]
	v_add_f64 v[4:5], v[4:5], v[6:7]
	s_waitcnt lgkmcnt(0)
	v_mul_f64 v[150:151], v[140:141], v[148:149]
	v_fmac_f64_e32 v[150:151], v[142:143], v[146:147]
	v_add_f64 v[144:145], v[144:145], v[150:151]
	ds_read_b128 v[150:153], v2 offset:1840
	v_mul_f64 v[6:7], v[142:143], v[148:149]
	v_fma_f64 v[6:7], v[140:141], v[146:147], -v[6:7]
	v_add_f64 v[4:5], v[4:5], v[6:7]
	s_waitcnt lgkmcnt(0)
	v_mul_f64 v[158:159], v[150:151], v[156:157]
	v_fmac_f64_e32 v[158:159], v[152:153], v[154:155]
	v_add_f64 v[144:145], v[144:145], v[158:159]
	ds_read_b128 v[158:161], v2 offset:1856
	v_mul_f64 v[6:7], v[152:153], v[156:157]
	v_fma_f64 v[6:7], v[150:151], v[154:155], -v[6:7]
	v_add_f64 v[4:5], v[4:5], v[6:7]
	s_waitcnt lgkmcnt(0)
	v_mul_f64 v[166:167], v[158:159], v[164:165]
	v_fmac_f64_e32 v[166:167], v[160:161], v[162:163]
	v_add_f64 v[144:145], v[144:145], v[166:167]
	ds_read_b128 v[166:169], v2 offset:1872
	v_mul_f64 v[6:7], v[160:161], v[164:165]
	v_fma_f64 v[6:7], v[158:159], v[162:163], -v[6:7]
	v_add_f64 v[4:5], v[4:5], v[6:7]
	s_waitcnt lgkmcnt(0)
	v_mul_f64 v[174:175], v[166:167], v[172:173]
	v_fmac_f64_e32 v[174:175], v[168:169], v[170:171]
	v_add_f64 v[144:145], v[144:145], v[174:175]
	ds_read_b128 v[174:177], v2 offset:1888
	v_mul_f64 v[6:7], v[168:169], v[172:173]
	v_fma_f64 v[6:7], v[166:167], v[170:171], -v[6:7]
	v_add_f64 v[4:5], v[4:5], v[6:7]
	s_waitcnt lgkmcnt(0)
	v_mul_f64 v[182:183], v[174:175], v[180:181]
	v_fmac_f64_e32 v[182:183], v[176:177], v[178:179]
	v_add_f64 v[144:145], v[144:145], v[182:183]
	ds_read_b128 v[182:185], v2 offset:1904
	v_mul_f64 v[6:7], v[176:177], v[180:181]
	v_fma_f64 v[6:7], v[174:175], v[178:179], -v[6:7]
	v_add_f64 v[4:5], v[4:5], v[6:7]
	s_waitcnt lgkmcnt(0)
	v_mul_f64 v[190:191], v[182:183], v[188:189]
	v_fmac_f64_e32 v[190:191], v[184:185], v[186:187]
	v_add_f64 v[144:145], v[144:145], v[190:191]
	ds_read_b128 v[190:193], v2 offset:1920
	v_mul_f64 v[6:7], v[184:185], v[188:189]
	v_fma_f64 v[6:7], v[182:183], v[186:187], -v[6:7]
	v_add_f64 v[4:5], v[4:5], v[6:7]
	s_waitcnt lgkmcnt(0)
	v_mul_f64 v[198:199], v[190:191], v[196:197]
	v_fmac_f64_e32 v[198:199], v[192:193], v[194:195]
	v_add_f64 v[144:145], v[144:145], v[198:199]
	ds_read_b128 v[198:201], v2 offset:1936
	v_mul_f64 v[6:7], v[192:193], v[196:197]
	v_fma_f64 v[6:7], v[190:191], v[194:195], -v[6:7]
	v_add_f64 v[4:5], v[4:5], v[6:7]
	s_waitcnt lgkmcnt(0)
	v_mul_f64 v[6:7], v[200:201], v[204:205]
	v_fma_f64 v[6:7], v[198:199], v[202:203], -v[6:7]
	v_add_f64 v[8:9], v[4:5], v[6:7]
	scratch_load_dwordx4 v[4:7], off, off offset:576
	v_mul_f64 v[206:207], v[198:199], v[204:205]
	v_fmac_f64_e32 v[206:207], v[200:201], v[202:203]
	v_add_f64 v[144:145], v[144:145], v[206:207]
	s_waitcnt vmcnt(0)
	v_add_f64 v[4:5], v[4:5], -v[8:9]
	v_add_f64 v[6:7], v[6:7], -v[144:145]
	scratch_store_dwordx4 off, v[4:7], off offset:576
	s_and_saveexec_b64 s[0:1], vcc
	s_cbranch_execz .LBB124_323
; %bb.322:
	scratch_load_dwordx4 v[6:9], off, s53
	v_mov_b32_e32 v3, v2
	v_mov_b32_e32 v4, v2
	;; [unrolled: 1-line block ×3, first 2 shown]
	v_accvgpr_read_b32 v1, a1
	scratch_store_dwordx4 off, v[2:5], off offset:560
	s_waitcnt vmcnt(1)
	ds_write_b128 v1, v[6:9]
.LBB124_323:
	s_or_b64 exec, exec, s[0:1]
	s_waitcnt lgkmcnt(0)
	; wave barrier
	ds_read_b128 v[16:19], v2 offset:1536
	ds_read_b128 v[12:15], v2 offset:1552
	;; [unrolled: 1-line block ×4, first 2 shown]
	scratch_load_dwordx4 v[20:23], off, off offset:576
	scratch_load_dwordx4 v[40:43], off, off offset:640
	;; [unrolled: 1-line block ×20, first 2 shown]
	v_cmp_lt_u32_e32 vcc, 33, v0
	scratch_load_dwordx4 v[48:51], off, off offset:656
	scratch_load_dwordx4 v[56:59], off, off offset:672
	;; [unrolled: 1-line block ×3, first 2 shown]
	s_waitcnt vmcnt(22) lgkmcnt(3)
	v_mul_f64 v[24:25], v[16:17], v[22:23]
	v_fmac_f64_e32 v[24:25], v[18:19], v[20:21]
	v_add_f64 v[28:29], v[24:25], 0
	scratch_load_dwordx4 v[24:27], off, off offset:592
	s_waitcnt vmcnt(0) lgkmcnt(2)
	v_mul_f64 v[30:31], v[12:13], v[26:27]
	v_fmac_f64_e32 v[30:31], v[14:15], v[24:25]
	v_add_f64 v[32:33], v[28:29], v[30:31]
	scratch_load_dwordx4 v[28:31], off, off offset:608
	v_mul_f64 v[14:15], v[14:15], v[26:27]
	v_fma_f64 v[12:13], v[12:13], v[24:25], -v[14:15]
	s_waitcnt vmcnt(0) lgkmcnt(1)
	v_mul_f64 v[34:35], v[8:9], v[30:31]
	v_fmac_f64_e32 v[34:35], v[10:11], v[28:29]
	v_add_f64 v[36:37], v[32:33], v[34:35]
	scratch_load_dwordx4 v[32:35], off, off offset:624
	v_mul_f64 v[10:11], v[10:11], v[30:31]
	v_fma_f64 v[8:9], v[8:9], v[28:29], -v[10:11]
	s_waitcnt vmcnt(0) lgkmcnt(0)
	v_mul_f64 v[38:39], v[4:5], v[34:35]
	v_fmac_f64_e32 v[38:39], v[6:7], v[32:33]
	v_add_f64 v[44:45], v[36:37], v[38:39]
	ds_read_b128 v[36:39], v2 offset:1600
	v_mul_f64 v[6:7], v[6:7], v[34:35]
	v_fma_f64 v[4:5], v[4:5], v[32:33], -v[6:7]
	s_waitcnt lgkmcnt(0)
	v_mul_f64 v[46:47], v[36:37], v[42:43]
	v_fmac_f64_e32 v[46:47], v[38:39], v[40:41]
	v_add_f64 v[52:53], v[44:45], v[46:47]
	ds_read_b128 v[44:47], v2 offset:1616
	s_waitcnt lgkmcnt(0)
	v_mul_f64 v[54:55], v[44:45], v[50:51]
	v_fmac_f64_e32 v[54:55], v[46:47], v[48:49]
	v_add_f64 v[60:61], v[52:53], v[54:55]
	ds_read_b128 v[52:55], v2 offset:1632
	;; [unrolled: 5-line block ×21, first 2 shown]
	s_waitcnt lgkmcnt(0)
	v_mul_f64 v[2:3], v[206:207], v[212:213]
	v_fmac_f64_e32 v[2:3], v[208:209], v[210:211]
	v_add_f64 v[168:169], v[168:169], v[2:3]
	v_mul_f64 v[2:3], v[18:19], v[22:23]
	v_fma_f64 v[2:3], v[16:17], v[20:21], -v[2:3]
	v_add_f64 v[2:3], v[2:3], 0
	v_add_f64 v[2:3], v[2:3], v[12:13]
	;; [unrolled: 1-line block ×4, first 2 shown]
	v_mul_f64 v[4:5], v[38:39], v[42:43]
	v_fma_f64 v[4:5], v[36:37], v[40:41], -v[4:5]
	v_add_f64 v[2:3], v[2:3], v[4:5]
	v_mul_f64 v[4:5], v[46:47], v[50:51]
	v_fma_f64 v[4:5], v[44:45], v[48:49], -v[4:5]
	v_add_f64 v[2:3], v[2:3], v[4:5]
	;; [unrolled: 3-line block ×22, first 2 shown]
	scratch_load_dwordx4 v[2:5], off, off offset:560
	s_waitcnt vmcnt(0)
	v_add_f64 v[2:3], v[2:3], -v[6:7]
	v_add_f64 v[4:5], v[4:5], -v[168:169]
	scratch_store_dwordx4 off, v[2:5], off offset:560
	s_and_saveexec_b64 s[0:1], vcc
	s_cbranch_execz .LBB124_325
; %bb.324:
	scratch_load_dwordx4 v[2:5], off, s54
	v_mov_b32_e32 v6, 0
	v_mov_b32_e32 v7, v6
	;; [unrolled: 1-line block ×4, first 2 shown]
	v_accvgpr_read_b32 v1, a1
	scratch_store_dwordx4 off, v[6:9], off offset:544
	s_waitcnt vmcnt(1)
	ds_write_b128 v1, v[2:5]
.LBB124_325:
	s_or_b64 exec, exec, s[0:1]
	v_mov_b32_e32 v2, 0
	s_waitcnt lgkmcnt(0)
	; wave barrier
	ds_read_b128 v[16:19], v2 offset:1520
	ds_read_b128 v[12:15], v2 offset:1536
	;; [unrolled: 1-line block ×4, first 2 shown]
	scratch_load_dwordx4 v[20:23], off, off offset:560
	scratch_load_dwordx4 v[40:43], off, off offset:624
	;; [unrolled: 1-line block ×21, first 2 shown]
	v_cmp_lt_u32_e32 vcc, 32, v0
	scratch_load_dwordx4 v[48:51], off, off offset:640
	scratch_load_dwordx4 v[56:59], off, off offset:656
	;; [unrolled: 1-line block ×3, first 2 shown]
	s_waitcnt vmcnt(23) lgkmcnt(3)
	v_mul_f64 v[24:25], v[16:17], v[22:23]
	v_fmac_f64_e32 v[24:25], v[18:19], v[20:21]
	v_add_f64 v[28:29], v[24:25], 0
	scratch_load_dwordx4 v[24:27], off, off offset:576
	v_mul_f64 v[18:19], v[18:19], v[22:23]
	v_fma_f64 v[16:17], v[16:17], v[20:21], -v[18:19]
	v_add_f64 v[16:17], v[16:17], 0
	s_waitcnt vmcnt(0) lgkmcnt(2)
	v_mul_f64 v[30:31], v[12:13], v[26:27]
	v_fmac_f64_e32 v[30:31], v[14:15], v[24:25]
	v_add_f64 v[32:33], v[28:29], v[30:31]
	scratch_load_dwordx4 v[28:31], off, off offset:592
	v_mul_f64 v[14:15], v[14:15], v[26:27]
	v_fma_f64 v[12:13], v[12:13], v[24:25], -v[14:15]
	v_add_f64 v[12:13], v[16:17], v[12:13]
	s_waitcnt vmcnt(0) lgkmcnt(1)
	v_mul_f64 v[34:35], v[8:9], v[30:31]
	v_fmac_f64_e32 v[34:35], v[10:11], v[28:29]
	v_add_f64 v[36:37], v[32:33], v[34:35]
	scratch_load_dwordx4 v[32:35], off, off offset:608
	v_mul_f64 v[10:11], v[10:11], v[30:31]
	v_fma_f64 v[8:9], v[8:9], v[28:29], -v[10:11]
	v_add_f64 v[8:9], v[12:13], v[8:9]
	s_waitcnt vmcnt(0) lgkmcnt(0)
	v_mul_f64 v[38:39], v[4:5], v[34:35]
	v_fmac_f64_e32 v[38:39], v[6:7], v[32:33]
	v_add_f64 v[44:45], v[36:37], v[38:39]
	ds_read_b128 v[36:39], v2 offset:1584
	v_mul_f64 v[6:7], v[6:7], v[34:35]
	v_fma_f64 v[4:5], v[4:5], v[32:33], -v[6:7]
	v_add_f64 v[4:5], v[8:9], v[4:5]
	s_waitcnt lgkmcnt(0)
	v_mul_f64 v[46:47], v[36:37], v[42:43]
	v_fmac_f64_e32 v[46:47], v[38:39], v[40:41]
	v_add_f64 v[52:53], v[44:45], v[46:47]
	ds_read_b128 v[44:47], v2 offset:1600
	v_mul_f64 v[6:7], v[38:39], v[42:43]
	v_fma_f64 v[6:7], v[36:37], v[40:41], -v[6:7]
	v_add_f64 v[4:5], v[4:5], v[6:7]
	s_waitcnt lgkmcnt(0)
	;; [unrolled: 8-line block ×23, first 2 shown]
	v_mul_f64 v[6:7], v[216:217], v[220:221]
	v_fma_f64 v[6:7], v[214:215], v[218:219], -v[6:7]
	v_add_f64 v[8:9], v[4:5], v[6:7]
	scratch_load_dwordx4 v[4:7], off, off offset:544
	v_mul_f64 v[222:223], v[214:215], v[220:221]
	v_fmac_f64_e32 v[222:223], v[216:217], v[218:219]
	v_add_f64 v[160:161], v[160:161], v[222:223]
	s_waitcnt vmcnt(0)
	v_add_f64 v[4:5], v[4:5], -v[8:9]
	v_add_f64 v[6:7], v[6:7], -v[160:161]
	scratch_store_dwordx4 off, v[4:7], off offset:544
	s_and_saveexec_b64 s[0:1], vcc
	s_cbranch_execz .LBB124_327
; %bb.326:
	scratch_load_dwordx4 v[6:9], off, s55
	v_mov_b32_e32 v3, v2
	v_mov_b32_e32 v4, v2
	;; [unrolled: 1-line block ×3, first 2 shown]
	v_accvgpr_read_b32 v1, a1
	scratch_store_dwordx4 off, v[2:5], off offset:528
	s_waitcnt vmcnt(1)
	ds_write_b128 v1, v[6:9]
.LBB124_327:
	s_or_b64 exec, exec, s[0:1]
	s_waitcnt lgkmcnt(0)
	; wave barrier
	ds_read_b128 v[16:19], v2 offset:1504
	ds_read_b128 v[12:15], v2 offset:1520
	;; [unrolled: 1-line block ×4, first 2 shown]
	scratch_load_dwordx4 v[20:23], off, off offset:544
	scratch_load_dwordx4 v[40:43], off, off offset:608
	;; [unrolled: 1-line block ×22, first 2 shown]
	v_cmp_lt_u32_e32 vcc, 31, v0
	scratch_load_dwordx4 v[48:51], off, off offset:624
	scratch_load_dwordx4 v[56:59], off, off offset:640
	;; [unrolled: 1-line block ×3, first 2 shown]
	s_waitcnt vmcnt(24) lgkmcnt(3)
	v_mul_f64 v[24:25], v[16:17], v[22:23]
	v_fmac_f64_e32 v[24:25], v[18:19], v[20:21]
	v_add_f64 v[28:29], v[24:25], 0
	scratch_load_dwordx4 v[24:27], off, off offset:560
	s_waitcnt vmcnt(0) lgkmcnt(2)
	v_mul_f64 v[30:31], v[12:13], v[26:27]
	v_fmac_f64_e32 v[30:31], v[14:15], v[24:25]
	v_add_f64 v[32:33], v[28:29], v[30:31]
	scratch_load_dwordx4 v[28:31], off, off offset:576
	v_mul_f64 v[14:15], v[14:15], v[26:27]
	v_fma_f64 v[12:13], v[12:13], v[24:25], -v[14:15]
	s_waitcnt vmcnt(0) lgkmcnt(1)
	v_mul_f64 v[34:35], v[8:9], v[30:31]
	v_fmac_f64_e32 v[34:35], v[10:11], v[28:29]
	v_add_f64 v[36:37], v[32:33], v[34:35]
	scratch_load_dwordx4 v[32:35], off, off offset:592
	v_mul_f64 v[10:11], v[10:11], v[30:31]
	v_fma_f64 v[8:9], v[8:9], v[28:29], -v[10:11]
	s_waitcnt vmcnt(0) lgkmcnt(0)
	v_mul_f64 v[38:39], v[4:5], v[34:35]
	v_fmac_f64_e32 v[38:39], v[6:7], v[32:33]
	v_add_f64 v[44:45], v[36:37], v[38:39]
	ds_read_b128 v[36:39], v2 offset:1568
	v_mul_f64 v[6:7], v[6:7], v[34:35]
	v_fma_f64 v[4:5], v[4:5], v[32:33], -v[6:7]
	s_waitcnt lgkmcnt(0)
	v_mul_f64 v[46:47], v[36:37], v[42:43]
	v_fmac_f64_e32 v[46:47], v[38:39], v[40:41]
	v_add_f64 v[52:53], v[44:45], v[46:47]
	ds_read_b128 v[44:47], v2 offset:1584
	s_waitcnt lgkmcnt(0)
	v_mul_f64 v[54:55], v[44:45], v[50:51]
	v_fmac_f64_e32 v[54:55], v[46:47], v[48:49]
	v_add_f64 v[60:61], v[52:53], v[54:55]
	ds_read_b128 v[52:55], v2 offset:1600
	;; [unrolled: 5-line block ×23, first 2 shown]
	s_waitcnt lgkmcnt(0)
	v_mul_f64 v[2:3], v[222:223], v[228:229]
	v_fmac_f64_e32 v[2:3], v[224:225], v[226:227]
	v_add_f64 v[176:177], v[176:177], v[2:3]
	v_mul_f64 v[2:3], v[18:19], v[22:23]
	v_fma_f64 v[2:3], v[16:17], v[20:21], -v[2:3]
	v_add_f64 v[2:3], v[2:3], 0
	v_add_f64 v[2:3], v[2:3], v[12:13]
	;; [unrolled: 1-line block ×4, first 2 shown]
	v_mul_f64 v[4:5], v[38:39], v[42:43]
	v_fma_f64 v[4:5], v[36:37], v[40:41], -v[4:5]
	v_add_f64 v[2:3], v[2:3], v[4:5]
	v_mul_f64 v[4:5], v[46:47], v[50:51]
	v_fma_f64 v[4:5], v[44:45], v[48:49], -v[4:5]
	v_add_f64 v[2:3], v[2:3], v[4:5]
	;; [unrolled: 3-line block ×24, first 2 shown]
	scratch_load_dwordx4 v[2:5], off, off offset:528
	s_waitcnt vmcnt(0)
	v_add_f64 v[2:3], v[2:3], -v[6:7]
	v_add_f64 v[4:5], v[4:5], -v[176:177]
	scratch_store_dwordx4 off, v[2:5], off offset:528
	s_and_saveexec_b64 s[0:1], vcc
	s_cbranch_execz .LBB124_329
; %bb.328:
	scratch_load_dwordx4 v[2:5], off, s56
	v_mov_b32_e32 v6, 0
	v_mov_b32_e32 v7, v6
	;; [unrolled: 1-line block ×4, first 2 shown]
	v_accvgpr_read_b32 v1, a1
	scratch_store_dwordx4 off, v[6:9], off offset:512
	s_waitcnt vmcnt(1)
	ds_write_b128 v1, v[2:5]
.LBB124_329:
	s_or_b64 exec, exec, s[0:1]
	v_mov_b32_e32 v2, 0
	s_waitcnt lgkmcnt(0)
	; wave barrier
	ds_read_b128 v[16:19], v2 offset:1488
	ds_read_b128 v[12:15], v2 offset:1504
	;; [unrolled: 1-line block ×4, first 2 shown]
	scratch_load_dwordx4 v[20:23], off, off offset:528
	scratch_load_dwordx4 v[40:43], off, off offset:592
	;; [unrolled: 1-line block ×23, first 2 shown]
	v_cmp_lt_u32_e32 vcc, 30, v0
	scratch_load_dwordx4 v[48:51], off, off offset:608
	scratch_load_dwordx4 v[56:59], off, off offset:624
	;; [unrolled: 1-line block ×3, first 2 shown]
	s_waitcnt vmcnt(25) lgkmcnt(3)
	v_mul_f64 v[24:25], v[16:17], v[22:23]
	v_fmac_f64_e32 v[24:25], v[18:19], v[20:21]
	v_add_f64 v[28:29], v[24:25], 0
	scratch_load_dwordx4 v[24:27], off, off offset:544
	v_mul_f64 v[18:19], v[18:19], v[22:23]
	v_fma_f64 v[16:17], v[16:17], v[20:21], -v[18:19]
	v_add_f64 v[16:17], v[16:17], 0
	s_waitcnt vmcnt(0) lgkmcnt(2)
	v_mul_f64 v[30:31], v[12:13], v[26:27]
	v_fmac_f64_e32 v[30:31], v[14:15], v[24:25]
	v_add_f64 v[32:33], v[28:29], v[30:31]
	scratch_load_dwordx4 v[28:31], off, off offset:560
	v_mul_f64 v[14:15], v[14:15], v[26:27]
	v_fma_f64 v[12:13], v[12:13], v[24:25], -v[14:15]
	v_add_f64 v[12:13], v[16:17], v[12:13]
	;; [unrolled: 8-line block ×3, first 2 shown]
	s_waitcnt vmcnt(0) lgkmcnt(0)
	v_mul_f64 v[38:39], v[4:5], v[34:35]
	v_fmac_f64_e32 v[38:39], v[6:7], v[32:33]
	v_add_f64 v[44:45], v[36:37], v[38:39]
	ds_read_b128 v[36:39], v2 offset:1552
	v_mul_f64 v[6:7], v[6:7], v[34:35]
	v_fma_f64 v[4:5], v[4:5], v[32:33], -v[6:7]
	v_add_f64 v[4:5], v[8:9], v[4:5]
	s_waitcnt lgkmcnt(0)
	v_mul_f64 v[46:47], v[36:37], v[42:43]
	v_fmac_f64_e32 v[46:47], v[38:39], v[40:41]
	v_add_f64 v[52:53], v[44:45], v[46:47]
	ds_read_b128 v[44:47], v2 offset:1568
	v_mul_f64 v[6:7], v[38:39], v[42:43]
	v_fma_f64 v[6:7], v[36:37], v[40:41], -v[6:7]
	v_add_f64 v[4:5], v[4:5], v[6:7]
	s_waitcnt lgkmcnt(0)
	;; [unrolled: 8-line block ×25, first 2 shown]
	v_mul_f64 v[6:7], v[232:233], v[236:237]
	v_fma_f64 v[6:7], v[230:231], v[234:235], -v[6:7]
	v_add_f64 v[8:9], v[4:5], v[6:7]
	scratch_load_dwordx4 v[4:7], off, off offset:512
	v_mul_f64 v[238:239], v[230:231], v[236:237]
	v_fmac_f64_e32 v[238:239], v[232:233], v[234:235]
	v_add_f64 v[176:177], v[176:177], v[238:239]
	s_waitcnt vmcnt(0)
	v_add_f64 v[4:5], v[4:5], -v[8:9]
	v_add_f64 v[6:7], v[6:7], -v[176:177]
	scratch_store_dwordx4 off, v[4:7], off offset:512
	s_and_saveexec_b64 s[0:1], vcc
	s_cbranch_execz .LBB124_331
; %bb.330:
	scratch_load_dwordx4 v[6:9], off, s57
	v_mov_b32_e32 v3, v2
	v_mov_b32_e32 v4, v2
	;; [unrolled: 1-line block ×3, first 2 shown]
	v_accvgpr_read_b32 v1, a1
	scratch_store_dwordx4 off, v[2:5], off offset:496
	s_waitcnt vmcnt(1)
	ds_write_b128 v1, v[6:9]
.LBB124_331:
	s_or_b64 exec, exec, s[0:1]
	s_waitcnt lgkmcnt(0)
	; wave barrier
	ds_read_b128 v[16:19], v2 offset:1472
	ds_read_b128 v[12:15], v2 offset:1488
	;; [unrolled: 1-line block ×4, first 2 shown]
	scratch_load_dwordx4 v[20:23], off, off offset:512
	scratch_load_dwordx4 v[40:43], off, off offset:576
	;; [unrolled: 1-line block ×24, first 2 shown]
	v_cmp_lt_u32_e32 vcc, 29, v0
	scratch_load_dwordx4 v[48:51], off, off offset:592
	scratch_load_dwordx4 v[56:59], off, off offset:608
	;; [unrolled: 1-line block ×3, first 2 shown]
	ds_read_b128 v[242:245], v2 offset:1936
	s_waitcnt vmcnt(26) lgkmcnt(4)
	v_mul_f64 v[24:25], v[16:17], v[22:23]
	v_fmac_f64_e32 v[24:25], v[18:19], v[20:21]
	v_add_f64 v[28:29], v[24:25], 0
	scratch_load_dwordx4 v[24:27], off, off offset:528
	s_waitcnt vmcnt(0) lgkmcnt(3)
	v_mul_f64 v[30:31], v[12:13], v[26:27]
	v_fmac_f64_e32 v[30:31], v[14:15], v[24:25]
	v_add_f64 v[32:33], v[28:29], v[30:31]
	scratch_load_dwordx4 v[28:31], off, off offset:544
	v_mul_f64 v[14:15], v[14:15], v[26:27]
	v_fma_f64 v[12:13], v[12:13], v[24:25], -v[14:15]
	s_waitcnt vmcnt(0) lgkmcnt(2)
	v_mul_f64 v[34:35], v[8:9], v[30:31]
	v_fmac_f64_e32 v[34:35], v[10:11], v[28:29]
	v_add_f64 v[36:37], v[32:33], v[34:35]
	scratch_load_dwordx4 v[32:35], off, off offset:560
	v_mul_f64 v[10:11], v[10:11], v[30:31]
	v_fma_f64 v[8:9], v[8:9], v[28:29], -v[10:11]
	s_waitcnt vmcnt(0) lgkmcnt(1)
	v_mul_f64 v[38:39], v[4:5], v[34:35]
	v_fmac_f64_e32 v[38:39], v[6:7], v[32:33]
	v_add_f64 v[44:45], v[36:37], v[38:39]
	ds_read_b128 v[36:39], v2 offset:1536
	v_mul_f64 v[6:7], v[6:7], v[34:35]
	v_fma_f64 v[4:5], v[4:5], v[32:33], -v[6:7]
	s_waitcnt lgkmcnt(0)
	v_mul_f64 v[46:47], v[36:37], v[42:43]
	v_fmac_f64_e32 v[46:47], v[38:39], v[40:41]
	v_add_f64 v[52:53], v[44:45], v[46:47]
	ds_read_b128 v[44:47], v2 offset:1552
	s_waitcnt lgkmcnt(0)
	v_mul_f64 v[54:55], v[44:45], v[50:51]
	v_fmac_f64_e32 v[54:55], v[46:47], v[48:49]
	v_add_f64 v[60:61], v[52:53], v[54:55]
	ds_read_b128 v[52:55], v2 offset:1568
	;; [unrolled: 5-line block ×24, first 2 shown]
	v_mul_f64 v[2:3], v[242:243], v[248:249]
	v_fmac_f64_e32 v[2:3], v[244:245], v[246:247]
	s_waitcnt lgkmcnt(0)
	v_mul_f64 v[238:239], v[230:231], v[236:237]
	v_fmac_f64_e32 v[238:239], v[232:233], v[234:235]
	v_add_f64 v[188:189], v[188:189], v[238:239]
	v_add_f64 v[188:189], v[188:189], v[2:3]
	v_mul_f64 v[2:3], v[18:19], v[22:23]
	v_fma_f64 v[2:3], v[16:17], v[20:21], -v[2:3]
	v_add_f64 v[2:3], v[2:3], 0
	v_add_f64 v[2:3], v[2:3], v[12:13]
	;; [unrolled: 1-line block ×4, first 2 shown]
	v_mul_f64 v[4:5], v[38:39], v[42:43]
	v_fma_f64 v[4:5], v[36:37], v[40:41], -v[4:5]
	v_add_f64 v[2:3], v[2:3], v[4:5]
	v_mul_f64 v[4:5], v[46:47], v[50:51]
	v_fma_f64 v[4:5], v[44:45], v[48:49], -v[4:5]
	v_add_f64 v[2:3], v[2:3], v[4:5]
	;; [unrolled: 3-line block ×26, first 2 shown]
	scratch_load_dwordx4 v[2:5], off, off offset:496
	s_waitcnt vmcnt(0)
	v_add_f64 v[2:3], v[2:3], -v[6:7]
	v_add_f64 v[4:5], v[4:5], -v[188:189]
	scratch_store_dwordx4 off, v[2:5], off offset:496
	s_and_saveexec_b64 s[0:1], vcc
	s_cbranch_execz .LBB124_333
; %bb.332:
	scratch_load_dwordx4 v[2:5], off, s58
	v_mov_b32_e32 v6, 0
	v_mov_b32_e32 v7, v6
	;; [unrolled: 1-line block ×4, first 2 shown]
	v_accvgpr_read_b32 v1, a1
	scratch_store_dwordx4 off, v[6:9], off offset:480
	s_waitcnt vmcnt(1)
	ds_write_b128 v1, v[2:5]
.LBB124_333:
	s_or_b64 exec, exec, s[0:1]
	s_waitcnt lgkmcnt(0)
	; wave barrier
	scratch_load_dwordx4 v[16:19], off, off offset:496
	scratch_load_dwordx4 v[12:15], off, off offset:512
	;; [unrolled: 1-line block ×32, first 2 shown]
	v_mov_b32_e32 v2, 0
	ds_read_b128 v[132:135], v2 offset:1456
	ds_read_b128 v[136:139], v2 offset:1472
	ds_read_b128 v[140:143], v2 offset:1488
	ds_read_b128 v[144:147], v2 offset:1504
	ds_read_b128 v[148:151], v2 offset:1520
	ds_read_b128 v[152:155], v2 offset:1536
	ds_read_b128 v[156:159], v2 offset:1552
	ds_read_b128 v[160:163], v2 offset:1568
	ds_read_b128 v[164:167], v2 offset:1584
	ds_read_b128 v[168:171], v2 offset:1600
	ds_read_b128 v[172:175], v2 offset:1616
	ds_read_b128 v[176:179], v2 offset:1632
	ds_read_b128 v[180:183], v2 offset:1648
	ds_read_b128 v[184:187], v2 offset:1664
	ds_read_b128 v[188:191], v2 offset:1680
	ds_read_b128 v[192:195], v2 offset:1696
	ds_read_b128 v[196:199], v2 offset:1712
	v_cmp_lt_u32_e32 vcc, 28, v0
	s_waitcnt vmcnt(31) lgkmcnt(14)
	v_mul_f64 v[200:201], v[132:133], v[18:19]
	s_waitcnt vmcnt(30)
	v_mul_f64 v[202:203], v[136:137], v[14:15]
	v_fmac_f64_e32 v[200:201], v[134:135], v[16:17]
	s_waitcnt vmcnt(29)
	v_mul_f64 v[204:205], v[140:141], v[10:11]
	v_fmac_f64_e32 v[202:203], v[138:139], v[12:13]
	v_add_f64 v[200:201], v[200:201], 0
	s_waitcnt vmcnt(28) lgkmcnt(13)
	v_mul_f64 v[206:207], v[144:145], v[6:7]
	v_fmac_f64_e32 v[204:205], v[142:143], v[8:9]
	v_add_f64 v[200:201], v[200:201], v[202:203]
	s_waitcnt vmcnt(27) lgkmcnt(12)
	v_mul_f64 v[208:209], v[148:149], v[22:23]
	v_fmac_f64_e32 v[206:207], v[146:147], v[4:5]
	v_add_f64 v[200:201], v[200:201], v[204:205]
	s_waitcnt vmcnt(26) lgkmcnt(11)
	v_mul_f64 v[210:211], v[152:153], v[26:27]
	v_fmac_f64_e32 v[208:209], v[150:151], v[20:21]
	v_add_f64 v[200:201], v[200:201], v[206:207]
	s_waitcnt vmcnt(25) lgkmcnt(10)
	v_mul_f64 v[212:213], v[156:157], v[30:31]
	v_fmac_f64_e32 v[210:211], v[154:155], v[24:25]
	v_add_f64 v[200:201], v[200:201], v[208:209]
	s_waitcnt vmcnt(24) lgkmcnt(9)
	v_mul_f64 v[214:215], v[160:161], v[34:35]
	v_fmac_f64_e32 v[212:213], v[158:159], v[28:29]
	v_add_f64 v[200:201], v[200:201], v[210:211]
	s_waitcnt vmcnt(23) lgkmcnt(8)
	v_mul_f64 v[216:217], v[164:165], v[38:39]
	v_fmac_f64_e32 v[214:215], v[162:163], v[32:33]
	v_add_f64 v[200:201], v[200:201], v[212:213]
	s_waitcnt vmcnt(22) lgkmcnt(7)
	v_mul_f64 v[218:219], v[168:169], v[42:43]
	v_fmac_f64_e32 v[216:217], v[166:167], v[36:37]
	v_add_f64 v[200:201], v[200:201], v[214:215]
	s_waitcnt vmcnt(21) lgkmcnt(6)
	v_mul_f64 v[220:221], v[172:173], v[46:47]
	v_fmac_f64_e32 v[218:219], v[170:171], v[40:41]
	v_add_f64 v[200:201], v[200:201], v[216:217]
	s_waitcnt vmcnt(20) lgkmcnt(5)
	v_mul_f64 v[222:223], v[176:177], v[50:51]
	v_fmac_f64_e32 v[220:221], v[174:175], v[44:45]
	v_add_f64 v[200:201], v[200:201], v[218:219]
	s_waitcnt vmcnt(19) lgkmcnt(4)
	v_mul_f64 v[224:225], v[180:181], v[54:55]
	v_fmac_f64_e32 v[222:223], v[178:179], v[48:49]
	v_add_f64 v[200:201], v[200:201], v[220:221]
	s_waitcnt vmcnt(18) lgkmcnt(3)
	v_mul_f64 v[226:227], v[184:185], v[58:59]
	v_fmac_f64_e32 v[224:225], v[182:183], v[52:53]
	v_add_f64 v[200:201], v[200:201], v[222:223]
	s_waitcnt vmcnt(17) lgkmcnt(2)
	v_mul_f64 v[228:229], v[188:189], v[62:63]
	v_fmac_f64_e32 v[226:227], v[186:187], v[56:57]
	v_add_f64 v[200:201], v[200:201], v[224:225]
	v_fmac_f64_e32 v[228:229], v[190:191], v[60:61]
	v_add_f64 v[200:201], v[200:201], v[226:227]
	s_waitcnt vmcnt(16) lgkmcnt(1)
	v_mul_f64 v[202:203], v[192:193], v[66:67]
	v_add_f64 v[200:201], v[200:201], v[228:229]
	v_fmac_f64_e32 v[202:203], v[194:195], v[64:65]
	s_waitcnt vmcnt(15) lgkmcnt(0)
	v_mul_f64 v[206:207], v[196:197], v[70:71]
	v_add_f64 v[204:205], v[200:201], v[202:203]
	ds_read_b128 v[200:203], v2 offset:1728
	v_fmac_f64_e32 v[206:207], v[198:199], v[68:69]
	v_add_f64 v[208:209], v[204:205], v[206:207]
	ds_read_b128 v[204:207], v2 offset:1744
	v_mul_f64 v[18:19], v[134:135], v[18:19]
	s_waitcnt vmcnt(14) lgkmcnt(1)
	v_mul_f64 v[210:211], v[200:201], v[74:75]
	v_fmac_f64_e32 v[210:211], v[202:203], v[72:73]
	v_add_f64 v[212:213], v[208:209], v[210:211]
	s_waitcnt vmcnt(13) lgkmcnt(0)
	v_mul_f64 v[214:215], v[204:205], v[78:79]
	ds_read_b128 v[208:211], v2 offset:1760
	v_fmac_f64_e32 v[214:215], v[206:207], v[76:77]
	v_add_f64 v[216:217], v[212:213], v[214:215]
	ds_read_b128 v[212:215], v2 offset:1776
	v_fma_f64 v[244:245], v[132:133], v[16:17], -v[18:19]
	s_waitcnt vmcnt(12) lgkmcnt(1)
	v_mul_f64 v[218:219], v[208:209], v[82:83]
	v_fmac_f64_e32 v[218:219], v[210:211], v[80:81]
	v_add_f64 v[220:221], v[216:217], v[218:219]
	s_waitcnt vmcnt(11) lgkmcnt(0)
	v_mul_f64 v[222:223], v[212:213], v[86:87]
	ds_read_b128 v[216:219], v2 offset:1792
	v_fmac_f64_e32 v[222:223], v[214:215], v[84:85]
	v_add_f64 v[224:225], v[220:221], v[222:223]
	ds_read_b128 v[220:223], v2 offset:1808
	ds_read_b128 v[16:19], v2 offset:1888
	s_waitcnt vmcnt(10) lgkmcnt(2)
	v_mul_f64 v[226:227], v[216:217], v[90:91]
	v_fmac_f64_e32 v[226:227], v[218:219], v[88:89]
	v_add_f64 v[228:229], v[224:225], v[226:227]
	s_waitcnt vmcnt(9) lgkmcnt(1)
	v_mul_f64 v[230:231], v[220:221], v[94:95]
	ds_read_b128 v[224:227], v2 offset:1824
	v_fmac_f64_e32 v[230:231], v[222:223], v[92:93]
	v_add_f64 v[232:233], v[228:229], v[230:231]
	ds_read_b128 v[228:231], v2 offset:1840
	v_mul_f64 v[14:15], v[138:139], v[14:15]
	s_waitcnt vmcnt(8) lgkmcnt(1)
	v_mul_f64 v[234:235], v[224:225], v[98:99]
	v_fmac_f64_e32 v[234:235], v[226:227], v[96:97]
	v_add_f64 v[236:237], v[232:233], v[234:235]
	s_waitcnt vmcnt(7) lgkmcnt(0)
	v_mul_f64 v[238:239], v[228:229], v[102:103]
	ds_read_b128 v[232:235], v2 offset:1856
	v_fmac_f64_e32 v[238:239], v[230:231], v[100:101]
	v_add_f64 v[242:243], v[236:237], v[238:239]
	ds_read_b128 v[236:239], v2 offset:1872
	v_fma_f64 v[136:137], v[136:137], v[12:13], -v[14:15]
	s_waitcnt vmcnt(6) lgkmcnt(1)
	v_mul_f64 v[132:133], v[232:233], v[106:107]
	v_fmac_f64_e32 v[132:133], v[234:235], v[104:105]
	v_add_f64 v[132:133], v[242:243], v[132:133]
	s_waitcnt vmcnt(5) lgkmcnt(0)
	v_mul_f64 v[134:135], v[236:237], v[110:111]
	v_fmac_f64_e32 v[134:135], v[238:239], v[108:109]
	v_add_f64 v[132:133], v[132:133], v[134:135]
	ds_read_b128 v[12:15], v2 offset:1904
	s_waitcnt vmcnt(4)
	v_mul_f64 v[134:135], v[16:17], v[114:115]
	v_fmac_f64_e32 v[134:135], v[18:19], v[112:113]
	v_add_f64 v[138:139], v[132:133], v[134:135]
	ds_read_b128 v[132:135], v2 offset:1920
	v_mul_f64 v[10:11], v[142:143], v[10:11]
	v_fma_f64 v[140:141], v[140:141], v[8:9], -v[10:11]
	ds_read_b128 v[8:11], v2 offset:1936
	s_waitcnt vmcnt(3) lgkmcnt(2)
	v_mul_f64 v[142:143], v[12:13], v[118:119]
	v_fmac_f64_e32 v[142:143], v[14:15], v[116:117]
	v_add_f64 v[138:139], v[138:139], v[142:143]
	s_waitcnt vmcnt(2) lgkmcnt(1)
	v_mul_f64 v[142:143], v[132:133], v[122:123]
	v_fmac_f64_e32 v[142:143], v[134:135], v[120:121]
	v_add_f64 v[138:139], v[138:139], v[142:143]
	;; [unrolled: 4-line block ×3, first 2 shown]
	v_add_f64 v[142:143], v[244:245], 0
	v_add_f64 v[136:137], v[142:143], v[136:137]
	v_mul_f64 v[6:7], v[146:147], v[6:7]
	v_add_f64 v[136:137], v[136:137], v[140:141]
	v_fma_f64 v[4:5], v[144:145], v[4:5], -v[6:7]
	v_mul_f64 v[6:7], v[150:151], v[22:23]
	v_add_f64 v[4:5], v[136:137], v[4:5]
	v_fma_f64 v[6:7], v[148:149], v[20:21], -v[6:7]
	v_add_f64 v[4:5], v[4:5], v[6:7]
	v_mul_f64 v[6:7], v[154:155], v[26:27]
	v_fma_f64 v[6:7], v[152:153], v[24:25], -v[6:7]
	v_add_f64 v[4:5], v[4:5], v[6:7]
	v_mul_f64 v[6:7], v[158:159], v[30:31]
	;; [unrolled: 3-line block ×26, first 2 shown]
	v_fma_f64 v[6:7], v[8:9], v[124:125], -v[6:7]
	v_add_f64 v[4:5], v[4:5], v[6:7]
	s_waitcnt vmcnt(0)
	v_add_f64 v[4:5], v[128:129], -v[4:5]
	v_add_f64 v[6:7], v[130:131], -v[138:139]
	scratch_store_dwordx4 off, v[4:7], off offset:480
	s_and_saveexec_b64 s[0:1], vcc
	s_cbranch_execz .LBB124_335
; %bb.334:
	scratch_load_dwordx4 v[6:9], off, s59
	v_mov_b32_e32 v3, v2
	v_mov_b32_e32 v4, v2
	v_mov_b32_e32 v5, v2
	v_accvgpr_read_b32 v1, a1
	scratch_store_dwordx4 off, v[2:5], off offset:464
	s_waitcnt vmcnt(1)
	ds_write_b128 v1, v[6:9]
.LBB124_335:
	s_or_b64 exec, exec, s[0:1]
	s_waitcnt lgkmcnt(0)
	; wave barrier
	scratch_load_dwordx4 v[140:143], off, off offset:480
	scratch_load_dwordx4 v[148:151], off, off offset:496
	;; [unrolled: 1-line block ×16, first 2 shown]
	ds_read_b128 v[188:191], v2 offset:1440
	ds_read_b128 v[184:187], v2 offset:1456
	scratch_load_dwordx4 v[56:59], off, off offset:736
	ds_read_b128 v[192:195], v2 offset:1472
	ds_read_b128 v[68:71], v2 offset:1488
	scratch_load_dwordx4 v[60:63], off, off offset:752
	ds_read_b128 v[88:91], v2 offset:1504
	ds_read_b128 v[84:87], v2 offset:1520
	;; [unrolled: 1-line block ×4, first 2 shown]
	scratch_load_dwordx4 v[64:67], off, off offset:768
	ds_read_b128 v[100:103], v2 offset:1568
	ds_read_b128 v[96:99], v2 offset:1584
	scratch_load_dwordx4 v[72:75], off, off offset:784
	ds_read_b128 v[116:119], v2 offset:1600
	ds_read_b128 v[112:115], v2 offset:1616
	;; [unrolled: 1-line block ×4, first 2 shown]
	scratch_load_dwordx4 v[92:95], off, off offset:800
	ds_read_b128 v[132:135], v2 offset:1664
	ds_read_b128 v[128:131], v2 offset:1680
	;; [unrolled: 1-line block ×3, first 2 shown]
	scratch_load_dwordx4 v[120:123], off, off offset:816
	scratch_load_dwordx4 v[136:139], off, off offset:832
	;; [unrolled: 1-line block ×11, first 2 shown]
	v_cmp_lt_u32_e32 vcc, 27, v0
	s_waitcnt vmcnt(31) lgkmcnt(14)
	v_mul_f64 v[200:201], v[188:189], v[142:143]
	s_waitcnt vmcnt(30)
	v_mul_f64 v[202:203], v[184:185], v[150:151]
	v_fmac_f64_e32 v[200:201], v[190:191], v[140:141]
	s_waitcnt vmcnt(29)
	v_mul_f64 v[204:205], v[192:193], v[154:155]
	v_fmac_f64_e32 v[202:203], v[186:187], v[148:149]
	v_add_f64 v[200:201], v[200:201], 0
	s_waitcnt vmcnt(28) lgkmcnt(13)
	v_mul_f64 v[206:207], v[68:69], v[6:7]
	v_fmac_f64_e32 v[204:205], v[194:195], v[152:153]
	v_add_f64 v[200:201], v[200:201], v[202:203]
	s_waitcnt vmcnt(27) lgkmcnt(12)
	;; [unrolled: 4-line block ×13, first 2 shown]
	v_mul_f64 v[230:231], v[128:129], v[54:55]
	v_fmac_f64_e32 v[228:229], v[134:135], v[48:49]
	v_add_f64 v[200:201], v[200:201], v[226:227]
	v_add_f64 v[200:201], v[200:201], v[228:229]
	v_fmac_f64_e32 v[230:231], v[130:131], v[52:53]
	v_add_f64 v[204:205], v[200:201], v[230:231]
	ds_read_b128 v[200:203], v2 offset:1712
	s_waitcnt vmcnt(15) lgkmcnt(1)
	v_mul_f64 v[206:207], v[124:125], v[58:59]
	v_fmac_f64_e32 v[206:207], v[126:127], v[56:57]
	v_add_f64 v[208:209], v[204:205], v[206:207]
	ds_read_b128 v[204:207], v2 offset:1728
	s_waitcnt vmcnt(14) lgkmcnt(1)
	v_mul_f64 v[210:211], v[200:201], v[62:63]
	;; [unrolled: 5-line block ×10, first 2 shown]
	v_fmac_f64_e32 v[244:245], v[234:235], v[160:161]
	v_mul_f64 v[142:143], v[190:191], v[142:143]
	v_add_f64 v[244:245], v[242:243], v[244:245]
	v_fma_f64 v[242:243], v[188:189], v[140:141], -v[142:143]
	ds_read_b128 v[140:143], v2 offset:1872
	s_waitcnt vmcnt(5) lgkmcnt(1)
	v_mul_f64 v[188:189], v[236:237], v[166:167]
	v_fmac_f64_e32 v[188:189], v[238:239], v[164:165]
	v_mul_f64 v[150:151], v[186:187], v[150:151]
	v_add_f64 v[188:189], v[244:245], v[188:189]
	v_fma_f64 v[244:245], v[184:185], v[148:149], -v[150:151]
	ds_read_b128 v[148:151], v2 offset:1888
	s_waitcnt vmcnt(4) lgkmcnt(1)
	v_mul_f64 v[184:185], v[140:141], v[170:171]
	v_fmac_f64_e32 v[184:185], v[142:143], v[168:169]
	v_add_f64 v[188:189], v[188:189], v[184:185]
	ds_read_b128 v[184:187], v2 offset:1904
	v_mul_f64 v[154:155], v[194:195], v[154:155]
	s_waitcnt vmcnt(3) lgkmcnt(1)
	v_mul_f64 v[190:191], v[148:149], v[174:175]
	v_fma_f64 v[248:249], v[192:193], v[152:153], -v[154:155]
	ds_read_b128 v[152:155], v2 offset:1920
	v_fmac_f64_e32 v[190:191], v[150:151], v[172:173]
	v_add_f64 v[246:247], v[188:189], v[190:191]
	ds_read_b128 v[188:191], v2 offset:1936
	s_waitcnt vmcnt(2) lgkmcnt(2)
	v_mul_f64 v[192:193], v[184:185], v[178:179]
	v_fmac_f64_e32 v[192:193], v[186:187], v[176:177]
	v_add_f64 v[2:3], v[246:247], v[192:193]
	s_waitcnt vmcnt(1) lgkmcnt(1)
	v_mul_f64 v[192:193], v[152:153], v[182:183]
	v_fmac_f64_e32 v[192:193], v[154:155], v[180:181]
	v_add_f64 v[2:3], v[2:3], v[192:193]
	;; [unrolled: 4-line block ×3, first 2 shown]
	scratch_load_dwordx4 v[192:195], off, off offset:464
	v_add_f64 v[242:243], v[242:243], 0
	v_add_f64 v[242:243], v[242:243], v[244:245]
	v_mul_f64 v[6:7], v[70:71], v[6:7]
	v_add_f64 v[242:243], v[242:243], v[248:249]
	v_fma_f64 v[4:5], v[68:69], v[4:5], -v[6:7]
	v_mul_f64 v[6:7], v[90:91], v[10:11]
	v_add_f64 v[4:5], v[242:243], v[4:5]
	v_fma_f64 v[6:7], v[88:89], v[8:9], -v[6:7]
	v_add_f64 v[4:5], v[4:5], v[6:7]
	v_mul_f64 v[6:7], v[86:87], v[14:15]
	v_fma_f64 v[6:7], v[84:85], v[12:13], -v[6:7]
	v_add_f64 v[4:5], v[4:5], v[6:7]
	v_mul_f64 v[6:7], v[82:83], v[18:19]
	;; [unrolled: 3-line block ×27, first 2 shown]
	v_fma_f64 v[6:7], v[188:189], v[196:197], -v[6:7]
	v_add_f64 v[4:5], v[4:5], v[6:7]
	s_waitcnt vmcnt(0)
	v_add_f64 v[4:5], v[192:193], -v[4:5]
	v_add_f64 v[6:7], v[194:195], -v[2:3]
	scratch_store_dwordx4 off, v[4:7], off offset:464
	s_and_saveexec_b64 s[0:1], vcc
	s_cbranch_execz .LBB124_337
; %bb.336:
	scratch_load_dwordx4 v[2:5], off, s60
	v_mov_b32_e32 v6, 0
	v_mov_b32_e32 v7, v6
	;; [unrolled: 1-line block ×4, first 2 shown]
	v_accvgpr_read_b32 v1, a1
	scratch_store_dwordx4 off, v[6:9], off offset:448
	s_waitcnt vmcnt(1)
	ds_write_b128 v1, v[2:5]
.LBB124_337:
	s_or_b64 exec, exec, s[0:1]
	s_waitcnt lgkmcnt(0)
	; wave barrier
	scratch_load_dwordx4 v[108:111], off, off offset:464
	scratch_load_dwordx4 v[116:119], off, off offset:480
	;; [unrolled: 1-line block ×33, first 2 shown]
	v_mov_b32_e32 v2, 0
	ds_read_b128 v[220:223], v2 offset:1424
	ds_read_b128 v[224:227], v2 offset:1440
	;; [unrolled: 1-line block ×16, first 2 shown]
	v_cmp_lt_u32_e32 vcc, 26, v0
	s_waitcnt vmcnt(32) lgkmcnt(14)
	v_mul_f64 v[180:181], v[220:221], v[110:111]
	s_waitcnt vmcnt(31)
	v_mul_f64 v[182:183], v[224:225], v[118:119]
	v_fmac_f64_e32 v[180:181], v[222:223], v[108:109]
	s_waitcnt vmcnt(30) lgkmcnt(13)
	v_mul_f64 v[184:185], v[234:235], v[122:123]
	v_fmac_f64_e32 v[182:183], v[226:227], v[116:117]
	v_add_f64 v[180:181], v[180:181], 0
	s_waitcnt vmcnt(29) lgkmcnt(12)
	v_mul_f64 v[186:187], v[242:243], v[126:127]
	v_fmac_f64_e32 v[184:185], v[236:237], v[120:121]
	v_add_f64 v[180:181], v[180:181], v[182:183]
	;; [unrolled: 4-line block ×13, first 2 shown]
	v_fmac_f64_e32 v[208:209], v[142:143], v[40:41]
	v_add_f64 v[180:181], v[180:181], v[206:207]
	v_add_f64 v[184:185], v[180:181], v[208:209]
	ds_read_b128 v[180:183], v2 offset:1680
	s_waitcnt vmcnt(17) lgkmcnt(1)
	v_mul_f64 v[186:187], v[136:137], v[46:47]
	v_fmac_f64_e32 v[186:187], v[138:139], v[44:45]
	v_add_f64 v[188:189], v[184:185], v[186:187]
	ds_read_b128 v[184:187], v2 offset:1696
	s_waitcnt vmcnt(16) lgkmcnt(1)
	v_mul_f64 v[190:191], v[180:181], v[50:51]
	v_fmac_f64_e32 v[190:191], v[182:183], v[48:49]
	;; [unrolled: 5-line block ×10, first 2 shown]
	v_mul_f64 v[110:111], v[222:223], v[110:111]
	v_add_f64 v[228:229], v[228:229], v[230:231]
	v_fma_f64 v[230:231], v[220:221], v[108:109], -v[110:111]
	ds_read_b128 v[108:111], v2 offset:1840
	s_waitcnt vmcnt(7) lgkmcnt(1)
	v_mul_f64 v[220:221], v[216:217], v[86:87]
	v_mul_f64 v[118:119], v[226:227], v[118:119]
	v_fmac_f64_e32 v[220:221], v[218:219], v[84:85]
	v_fma_f64 v[232:233], v[224:225], v[116:117], -v[118:119]
	ds_read_b128 v[116:119], v2 offset:1856
	s_waitcnt vmcnt(6) lgkmcnt(1)
	v_mul_f64 v[222:223], v[108:109], v[90:91]
	v_add_f64 v[220:221], v[228:229], v[220:221]
	v_fmac_f64_e32 v[222:223], v[110:111], v[88:89]
	v_add_f64 v[224:225], v[220:221], v[222:223]
	ds_read_b128 v[220:223], v2 offset:1872
	v_mul_f64 v[122:123], v[236:237], v[122:123]
	v_fma_f64 v[234:235], v[234:235], v[120:121], -v[122:123]
	ds_read_b128 v[120:123], v2 offset:1888
	s_waitcnt vmcnt(5) lgkmcnt(2)
	v_mul_f64 v[226:227], v[116:117], v[94:95]
	v_fmac_f64_e32 v[226:227], v[118:119], v[92:93]
	v_mul_f64 v[126:127], v[244:245], v[126:127]
	v_add_f64 v[224:225], v[224:225], v[226:227]
	s_waitcnt vmcnt(4) lgkmcnt(1)
	v_mul_f64 v[226:227], v[220:221], v[98:99]
	v_fma_f64 v[236:237], v[242:243], v[124:125], -v[126:127]
	ds_read_b128 v[124:127], v2 offset:1904
	v_fmac_f64_e32 v[226:227], v[222:223], v[96:97]
	v_add_f64 v[228:229], v[224:225], v[226:227]
	s_waitcnt vmcnt(3) lgkmcnt(1)
	v_mul_f64 v[238:239], v[120:121], v[102:103]
	ds_read_b128 v[224:227], v2 offset:1920
	v_fmac_f64_e32 v[238:239], v[122:123], v[100:101]
	v_mul_f64 v[130:131], v[248:249], v[130:131]
	v_add_f64 v[228:229], v[228:229], v[238:239]
	v_fma_f64 v[238:239], v[246:247], v[128:129], -v[130:131]
	ds_read_b128 v[128:131], v2 offset:1936
	s_waitcnt vmcnt(2) lgkmcnt(2)
	v_mul_f64 v[242:243], v[124:125], v[106:107]
	v_fmac_f64_e32 v[242:243], v[126:127], v[104:105]
	v_add_f64 v[228:229], v[228:229], v[242:243]
	s_waitcnt vmcnt(1) lgkmcnt(1)
	v_mul_f64 v[242:243], v[224:225], v[114:115]
	v_fmac_f64_e32 v[242:243], v[226:227], v[112:113]
	v_add_f64 v[228:229], v[228:229], v[242:243]
	s_waitcnt vmcnt(0) lgkmcnt(0)
	v_mul_f64 v[242:243], v[128:129], v[134:135]
	v_fmac_f64_e32 v[242:243], v[130:131], v[132:133]
	v_add_f64 v[228:229], v[228:229], v[242:243]
	scratch_load_dwordx4 v[242:245], off, off offset:448
	v_add_f64 v[230:231], v[230:231], 0
	v_add_f64 v[230:231], v[230:231], v[232:233]
	;; [unrolled: 1-line block ×4, first 2 shown]
	v_mul_f64 v[6:7], v[178:179], v[6:7]
	v_add_f64 v[230:231], v[230:231], v[238:239]
	v_fma_f64 v[4:5], v[176:177], v[4:5], -v[6:7]
	v_mul_f64 v[6:7], v[174:175], v[10:11]
	v_add_f64 v[4:5], v[230:231], v[4:5]
	v_fma_f64 v[6:7], v[172:173], v[8:9], -v[6:7]
	v_add_f64 v[4:5], v[4:5], v[6:7]
	v_mul_f64 v[6:7], v[170:171], v[14:15]
	v_fma_f64 v[6:7], v[168:169], v[12:13], -v[6:7]
	v_add_f64 v[4:5], v[4:5], v[6:7]
	v_mul_f64 v[6:7], v[166:167], v[18:19]
	;; [unrolled: 3-line block ×26, first 2 shown]
	v_fma_f64 v[6:7], v[128:129], v[132:133], -v[6:7]
	v_add_f64 v[4:5], v[4:5], v[6:7]
	s_waitcnt vmcnt(0)
	v_add_f64 v[4:5], v[242:243], -v[4:5]
	v_add_f64 v[6:7], v[244:245], -v[228:229]
	scratch_store_dwordx4 off, v[4:7], off offset:448
	s_and_saveexec_b64 s[0:1], vcc
	s_cbranch_execz .LBB124_339
; %bb.338:
	scratch_load_dwordx4 v[6:9], off, s61
	v_mov_b32_e32 v3, v2
	v_mov_b32_e32 v4, v2
	;; [unrolled: 1-line block ×3, first 2 shown]
	v_accvgpr_read_b32 v1, a1
	scratch_store_dwordx4 off, v[2:5], off offset:432
	s_waitcnt vmcnt(1)
	ds_write_b128 v1, v[6:9]
.LBB124_339:
	s_or_b64 exec, exec, s[0:1]
	s_waitcnt lgkmcnt(0)
	; wave barrier
	scratch_load_dwordx4 v[144:147], off, off offset:448
	scratch_load_dwordx4 v[152:155], off, off offset:464
	;; [unrolled: 1-line block ×16, first 2 shown]
	ds_read_b128 v[196:199], v2 offset:1408
	ds_read_b128 v[188:191], v2 offset:1424
	ds_read_b128 v[180:183], v2 offset:1440
	scratch_load_dwordx4 v[48:51], off, off offset:704
	ds_read_b128 v[192:195], v2 offset:1456
	ds_read_b128 v[184:187], v2 offset:1472
	ds_read_b128 v[64:67], v2 offset:1488
	scratch_load_dwordx4 v[52:55], off, off offset:720
	;; [unrolled: 4-line block ×5, first 2 shown]
	ds_read_b128 v[116:119], v2 offset:1648
	ds_read_b128 v[112:115], v2 offset:1664
	scratch_load_dwordx4 v[108:111], off, off offset:784
	scratch_load_dwordx4 v[120:123], off, off offset:800
	scratch_load_dwordx4 v[124:127], off, off offset:816
	scratch_load_dwordx4 v[128:131], off, off offset:832
	scratch_load_dwordx4 v[132:135], off, off offset:848
	scratch_load_dwordx4 v[136:139], off, off offset:864
	scratch_load_dwordx4 v[140:143], off, off offset:880
	scratch_load_dwordx4 v[148:151], off, off offset:896
	scratch_load_dwordx4 v[164:167], off, off offset:912
	scratch_load_dwordx4 v[172:175], off, off offset:928
	scratch_load_dwordx4 v[176:179], off, off offset:944
	scratch_load_dwordx4 v[200:203], off, off offset:960
	v_cmp_lt_u32_e32 vcc, 25, v0
	s_waitcnt vmcnt(32) lgkmcnt(14)
	v_mul_f64 v[204:205], v[196:197], v[146:147]
	s_waitcnt vmcnt(31)
	v_mul_f64 v[206:207], v[188:189], v[154:155]
	v_fmac_f64_e32 v[204:205], v[198:199], v[144:145]
	s_waitcnt vmcnt(30)
	v_mul_f64 v[208:209], v[180:181], v[158:159]
	v_fmac_f64_e32 v[206:207], v[190:191], v[152:153]
	v_add_f64 v[204:205], v[204:205], 0
	s_waitcnt vmcnt(29) lgkmcnt(13)
	v_mul_f64 v[210:211], v[192:193], v[162:163]
	v_fmac_f64_e32 v[208:209], v[182:183], v[156:157]
	v_add_f64 v[204:205], v[204:205], v[206:207]
	s_waitcnt vmcnt(28) lgkmcnt(12)
	;; [unrolled: 4-line block ×12, first 2 shown]
	v_mul_f64 v[232:233], v[96:97], v[42:43]
	v_fmac_f64_e32 v[230:231], v[102:103], v[36:37]
	v_add_f64 v[204:205], v[204:205], v[228:229]
	v_fmac_f64_e32 v[232:233], v[98:99], v[40:41]
	v_add_f64 v[204:205], v[204:205], v[230:231]
	s_waitcnt vmcnt(17) lgkmcnt(1)
	v_mul_f64 v[206:207], v[116:117], v[46:47]
	v_add_f64 v[204:205], v[204:205], v[232:233]
	v_fmac_f64_e32 v[206:207], v[118:119], v[44:45]
	s_waitcnt vmcnt(16) lgkmcnt(0)
	v_mul_f64 v[210:211], v[112:113], v[50:51]
	v_add_f64 v[208:209], v[204:205], v[206:207]
	ds_read_b128 v[204:207], v2 offset:1680
	v_fmac_f64_e32 v[210:211], v[114:115], v[48:49]
	v_add_f64 v[212:213], v[208:209], v[210:211]
	ds_read_b128 v[208:211], v2 offset:1696
	v_mul_f64 v[146:147], v[198:199], v[146:147]
	s_waitcnt vmcnt(15) lgkmcnt(1)
	v_mul_f64 v[214:215], v[204:205], v[54:55]
	v_fmac_f64_e32 v[214:215], v[206:207], v[52:53]
	v_add_f64 v[216:217], v[212:213], v[214:215]
	s_waitcnt vmcnt(14) lgkmcnt(0)
	v_mul_f64 v[218:219], v[208:209], v[58:59]
	ds_read_b128 v[212:215], v2 offset:1712
	v_fmac_f64_e32 v[218:219], v[210:211], v[56:57]
	v_add_f64 v[220:221], v[216:217], v[218:219]
	ds_read_b128 v[216:219], v2 offset:1728
	v_mul_f64 v[154:155], v[190:191], v[154:155]
	s_waitcnt vmcnt(13) lgkmcnt(1)
	v_mul_f64 v[222:223], v[212:213], v[62:63]
	v_fmac_f64_e32 v[222:223], v[214:215], v[60:61]
	v_add_f64 v[224:225], v[220:221], v[222:223]
	s_waitcnt vmcnt(12) lgkmcnt(0)
	v_mul_f64 v[226:227], v[216:217], v[94:95]
	ds_read_b128 v[220:223], v2 offset:1744
	v_fmac_f64_e32 v[226:227], v[218:219], v[92:93]
	v_add_f64 v[228:229], v[224:225], v[226:227]
	ds_read_b128 v[224:227], v2 offset:1760
	v_fma_f64 v[246:247], v[188:189], v[152:153], -v[154:155]
	s_waitcnt vmcnt(11) lgkmcnt(1)
	v_mul_f64 v[230:231], v[220:221], v[110:111]
	v_fmac_f64_e32 v[230:231], v[222:223], v[108:109]
	v_add_f64 v[232:233], v[228:229], v[230:231]
	s_waitcnt vmcnt(10) lgkmcnt(0)
	v_mul_f64 v[234:235], v[224:225], v[122:123]
	ds_read_b128 v[228:231], v2 offset:1776
	v_fmac_f64_e32 v[234:235], v[226:227], v[120:121]
	v_add_f64 v[236:237], v[232:233], v[234:235]
	ds_read_b128 v[232:235], v2 offset:1792
	ds_read_b128 v[152:155], v2 offset:1840
	s_waitcnt vmcnt(9) lgkmcnt(2)
	v_mul_f64 v[238:239], v[228:229], v[126:127]
	v_fmac_f64_e32 v[238:239], v[230:231], v[124:125]
	v_add_f64 v[242:243], v[236:237], v[238:239]
	s_waitcnt vmcnt(8) lgkmcnt(1)
	v_mul_f64 v[244:245], v[232:233], v[130:131]
	ds_read_b128 v[236:239], v2 offset:1808
	v_fmac_f64_e32 v[244:245], v[234:235], v[128:129]
	v_add_f64 v[242:243], v[242:243], v[244:245]
	v_fma_f64 v[244:245], v[196:197], v[144:145], -v[146:147]
	ds_read_b128 v[144:147], v2 offset:1824
	s_waitcnt vmcnt(7) lgkmcnt(1)
	v_mul_f64 v[196:197], v[236:237], v[134:135]
	v_fmac_f64_e32 v[196:197], v[238:239], v[132:133]
	v_add_f64 v[188:189], v[242:243], v[196:197]
	v_mul_f64 v[158:159], v[182:183], v[158:159]
	s_waitcnt vmcnt(6) lgkmcnt(0)
	v_mul_f64 v[190:191], v[144:145], v[138:139]
	v_fmac_f64_e32 v[190:191], v[146:147], v[136:137]
	v_add_f64 v[196:197], v[188:189], v[190:191]
	ds_read_b128 v[188:191], v2 offset:1856
	v_fma_f64 v[242:243], v[180:181], v[156:157], -v[158:159]
	ds_read_b128 v[156:159], v2 offset:1872
	s_waitcnt vmcnt(5)
	v_mul_f64 v[198:199], v[152:153], v[142:143]
	v_fmac_f64_e32 v[198:199], v[154:155], v[140:141]
	s_waitcnt vmcnt(4) lgkmcnt(1)
	v_mul_f64 v[180:181], v[188:189], v[150:151]
	v_add_f64 v[196:197], v[196:197], v[198:199]
	v_fmac_f64_e32 v[180:181], v[190:191], v[148:149]
	v_mul_f64 v[162:163], v[194:195], v[162:163]
	v_add_f64 v[198:199], v[196:197], v[180:181]
	v_fma_f64 v[196:197], v[192:193], v[160:161], -v[162:163]
	ds_read_b128 v[160:163], v2 offset:1888
	s_waitcnt vmcnt(3) lgkmcnt(1)
	v_mul_f64 v[192:193], v[156:157], v[166:167]
	ds_read_b128 v[180:183], v2 offset:1904
	v_fmac_f64_e32 v[192:193], v[158:159], v[164:165]
	v_mul_f64 v[170:171], v[186:187], v[170:171]
	v_add_f64 v[192:193], v[198:199], v[192:193]
	v_fma_f64 v[198:199], v[184:185], v[168:169], -v[170:171]
	ds_read_b128 v[168:171], v2 offset:1920
	s_waitcnt vmcnt(2) lgkmcnt(2)
	v_mul_f64 v[184:185], v[160:161], v[174:175]
	v_fmac_f64_e32 v[184:185], v[162:163], v[172:173]
	s_waitcnt vmcnt(1) lgkmcnt(1)
	v_mul_f64 v[186:187], v[180:181], v[178:179]
	v_add_f64 v[184:185], v[192:193], v[184:185]
	v_fmac_f64_e32 v[186:187], v[182:183], v[176:177]
	v_add_f64 v[184:185], v[184:185], v[186:187]
	s_waitcnt vmcnt(0) lgkmcnt(0)
	v_mul_f64 v[186:187], v[168:169], v[202:203]
	v_fmac_f64_e32 v[186:187], v[170:171], v[200:201]
	v_add_f64 v[248:249], v[184:185], v[186:187]
	scratch_load_dwordx4 v[184:187], off, off offset:976
	v_add_f64 v[244:245], v[244:245], 0
	v_add_f64 v[244:245], v[244:245], v[246:247]
	;; [unrolled: 1-line block ×3, first 2 shown]
	scratch_load_dwordx4 v[244:247], off, off offset:432
	v_add_f64 v[196:197], v[242:243], v[196:197]
	v_mul_f64 v[6:7], v[66:67], v[6:7]
	v_add_f64 v[196:197], v[196:197], v[198:199]
	v_fma_f64 v[4:5], v[64:65], v[4:5], -v[6:7]
	v_mul_f64 v[6:7], v[78:79], v[10:11]
	v_add_f64 v[4:5], v[196:197], v[4:5]
	v_fma_f64 v[6:7], v[76:77], v[8:9], -v[6:7]
	v_add_f64 v[4:5], v[4:5], v[6:7]
	v_mul_f64 v[6:7], v[74:75], v[14:15]
	v_fma_f64 v[6:7], v[72:73], v[12:13], -v[6:7]
	v_add_f64 v[4:5], v[4:5], v[6:7]
	v_mul_f64 v[6:7], v[70:71], v[18:19]
	;; [unrolled: 3-line block ×24, first 2 shown]
	ds_read_b128 v[192:195], v2 offset:1936
	v_fma_f64 v[6:7], v[160:161], v[172:173], -v[6:7]
	v_add_f64 v[4:5], v[4:5], v[6:7]
	v_mul_f64 v[6:7], v[182:183], v[178:179]
	v_fma_f64 v[6:7], v[180:181], v[176:177], -v[6:7]
	v_add_f64 v[4:5], v[4:5], v[6:7]
	v_mul_f64 v[6:7], v[170:171], v[202:203]
	v_fma_f64 v[6:7], v[168:169], v[200:201], -v[6:7]
	s_waitcnt vmcnt(1) lgkmcnt(0)
	v_mul_f64 v[2:3], v[192:193], v[186:187]
	v_add_f64 v[4:5], v[4:5], v[6:7]
	v_mul_f64 v[6:7], v[194:195], v[186:187]
	v_fmac_f64_e32 v[2:3], v[194:195], v[184:185]
	v_fma_f64 v[6:7], v[192:193], v[184:185], -v[6:7]
	v_add_f64 v[2:3], v[248:249], v[2:3]
	v_add_f64 v[4:5], v[4:5], v[6:7]
	s_waitcnt vmcnt(0)
	v_add_f64 v[4:5], v[244:245], -v[4:5]
	v_add_f64 v[6:7], v[246:247], -v[2:3]
	scratch_store_dwordx4 off, v[4:7], off offset:432
	s_and_saveexec_b64 s[0:1], vcc
	s_cbranch_execz .LBB124_341
; %bb.340:
	scratch_load_dwordx4 v[2:5], off, s62
	v_mov_b32_e32 v6, 0
	v_mov_b32_e32 v7, v6
	;; [unrolled: 1-line block ×4, first 2 shown]
	v_accvgpr_read_b32 v1, a1
	scratch_store_dwordx4 off, v[6:9], off offset:416
	s_waitcnt vmcnt(1)
	ds_write_b128 v1, v[2:5]
.LBB124_341:
	s_or_b64 exec, exec, s[0:1]
	s_waitcnt lgkmcnt(0)
	; wave barrier
	scratch_load_dwordx4 v[184:187], off, off offset:432
	scratch_load_dwordx4 v[188:191], off, off offset:448
	;; [unrolled: 1-line block ×32, first 2 shown]
	v_mov_b32_e32 v2, 0
	ds_read_b128 v[192:195], v2 offset:1392
	ds_read_b128 v[204:207], v2 offset:1408
	;; [unrolled: 1-line block ×16, first 2 shown]
	v_cmp_lt_u32_e32 vcc, 24, v0
	s_waitcnt vmcnt(31) lgkmcnt(14)
	v_mul_f64 v[104:105], v[192:193], v[186:187]
	s_waitcnt vmcnt(30)
	v_mul_f64 v[106:107], v[204:205], v[190:191]
	v_fmac_f64_e32 v[104:105], v[194:195], v[184:185]
	s_waitcnt vmcnt(29) lgkmcnt(13)
	v_mul_f64 v[112:113], v[216:217], v[198:199]
	v_fmac_f64_e32 v[106:107], v[206:207], v[188:189]
	v_add_f64 v[104:105], v[104:105], 0
	s_waitcnt vmcnt(28) lgkmcnt(12)
	v_mul_f64 v[114:115], v[224:225], v[202:203]
	v_fmac_f64_e32 v[112:113], v[218:219], v[196:197]
	v_add_f64 v[104:105], v[104:105], v[106:107]
	s_waitcnt vmcnt(27) lgkmcnt(11)
	v_mul_f64 v[128:129], v[228:229], v[210:211]
	v_fmac_f64_e32 v[114:115], v[226:227], v[200:201]
	v_add_f64 v[104:105], v[104:105], v[112:113]
	s_waitcnt vmcnt(26) lgkmcnt(10)
	v_mul_f64 v[130:131], v[242:243], v[214:215]
	v_fmac_f64_e32 v[128:129], v[230:231], v[208:209]
	v_add_f64 v[104:105], v[104:105], v[114:115]
	s_waitcnt vmcnt(25) lgkmcnt(9)
	v_mul_f64 v[152:153], v[246:247], v[222:223]
	v_fmac_f64_e32 v[130:131], v[244:245], v[212:213]
	v_add_f64 v[104:105], v[104:105], v[128:129]
	s_waitcnt vmcnt(24) lgkmcnt(8)
	v_mul_f64 v[154:155], v[148:149], v[6:7]
	v_fmac_f64_e32 v[152:153], v[248:249], v[220:221]
	v_add_f64 v[104:105], v[104:105], v[130:131]
	s_waitcnt vmcnt(23) lgkmcnt(7)
	v_mul_f64 v[156:157], v[144:145], v[10:11]
	v_fmac_f64_e32 v[154:155], v[150:151], v[4:5]
	v_add_f64 v[104:105], v[104:105], v[152:153]
	s_waitcnt vmcnt(22) lgkmcnt(6)
	v_mul_f64 v[158:159], v[140:141], v[14:15]
	v_fmac_f64_e32 v[156:157], v[146:147], v[8:9]
	v_add_f64 v[104:105], v[104:105], v[154:155]
	s_waitcnt vmcnt(21) lgkmcnt(5)
	v_mul_f64 v[160:161], v[136:137], v[18:19]
	v_fmac_f64_e32 v[158:159], v[142:143], v[12:13]
	v_add_f64 v[104:105], v[104:105], v[156:157]
	s_waitcnt vmcnt(20) lgkmcnt(4)
	v_mul_f64 v[162:163], v[132:133], v[22:23]
	v_fmac_f64_e32 v[160:161], v[138:139], v[16:17]
	v_add_f64 v[104:105], v[104:105], v[158:159]
	ds_read_b128 v[152:155], v2 offset:1648
	ds_read_b128 v[156:159], v2 offset:1664
	s_waitcnt vmcnt(19) lgkmcnt(5)
	v_mul_f64 v[164:165], v[124:125], v[26:27]
	v_fmac_f64_e32 v[162:163], v[134:135], v[20:21]
	v_add_f64 v[104:105], v[104:105], v[160:161]
	s_waitcnt vmcnt(18) lgkmcnt(4)
	v_mul_f64 v[166:167], v[120:121], v[30:31]
	v_fmac_f64_e32 v[164:165], v[126:127], v[24:25]
	v_add_f64 v[104:105], v[104:105], v[162:163]
	;; [unrolled: 4-line block ×4, first 2 shown]
	v_add_f64 v[112:113], v[104:105], v[168:169]
	v_fmac_f64_e32 v[170:171], v[110:111], v[36:37]
	scratch_load_dwordx4 v[104:107], off, off offset:944
	s_waitcnt vmcnt(16) lgkmcnt(1)
	v_mul_f64 v[114:115], v[152:153], v[42:43]
	v_add_f64 v[112:113], v[112:113], v[170:171]
	v_fmac_f64_e32 v[114:115], v[154:155], v[40:41]
	v_add_f64 v[128:129], v[112:113], v[114:115]
	scratch_load_dwordx4 v[112:115], off, off offset:960
	s_waitcnt vmcnt(16) lgkmcnt(0)
	v_mul_f64 v[130:131], v[156:157], v[46:47]
	v_fmac_f64_e32 v[130:131], v[158:159], v[44:45]
	v_add_f64 v[168:169], v[128:129], v[130:131]
	scratch_load_dwordx4 v[128:131], off, off offset:976
	ds_read_b128 v[160:163], v2 offset:1680
	ds_read_b128 v[164:167], v2 offset:1696
	v_mul_f64 v[186:187], v[194:195], v[186:187]
	v_fma_f64 v[250:251], v[192:193], v[184:185], -v[186:187]
	ds_read_b128 v[184:187], v2 offset:1776
	s_waitcnt vmcnt(16) lgkmcnt(2)
	v_mul_f64 v[170:171], v[160:161], v[50:51]
	v_fmac_f64_e32 v[170:171], v[162:163], v[48:49]
	s_waitcnt vmcnt(15) lgkmcnt(1)
	v_mul_f64 v[174:175], v[164:165], v[54:55]
	v_add_f64 v[172:173], v[168:169], v[170:171]
	ds_read_b128 v[168:171], v2 offset:1712
	v_fmac_f64_e32 v[174:175], v[166:167], v[52:53]
	v_add_f64 v[176:177], v[172:173], v[174:175]
	ds_read_b128 v[172:175], v2 offset:1728
	v_mul_f64 v[190:191], v[206:207], v[190:191]
	s_waitcnt vmcnt(14) lgkmcnt(1)
	v_mul_f64 v[178:179], v[168:169], v[58:59]
	v_fmac_f64_e32 v[178:179], v[170:171], v[56:57]
	v_add_f64 v[180:181], v[176:177], v[178:179]
	s_waitcnt vmcnt(13) lgkmcnt(0)
	v_mul_f64 v[182:183], v[172:173], v[62:63]
	ds_read_b128 v[176:179], v2 offset:1744
	v_fmac_f64_e32 v[182:183], v[174:175], v[60:61]
	v_add_f64 v[232:233], v[180:181], v[182:183]
	ds_read_b128 v[180:183], v2 offset:1760
	v_fma_f64 v[252:253], v[204:205], v[188:189], -v[190:191]
	s_waitcnt vmcnt(12) lgkmcnt(1)
	v_mul_f64 v[234:235], v[176:177], v[66:67]
	v_fmac_f64_e32 v[234:235], v[178:179], v[64:65]
	v_add_f64 v[232:233], v[232:233], v[234:235]
	s_waitcnt vmcnt(11) lgkmcnt(0)
	v_mul_f64 v[192:193], v[180:181], v[70:71]
	v_fmac_f64_e32 v[192:193], v[182:183], v[68:69]
	ds_read_b128 v[188:191], v2 offset:1792
	s_waitcnt vmcnt(10)
	v_mul_f64 v[194:195], v[184:185], v[74:75]
	v_add_f64 v[192:193], v[232:233], v[192:193]
	v_fmac_f64_e32 v[194:195], v[186:187], v[72:73]
	v_add_f64 v[204:205], v[192:193], v[194:195]
	ds_read_b128 v[192:195], v2 offset:1808
	v_mul_f64 v[198:199], v[218:219], v[198:199]
	v_fma_f64 v[240:241], v[216:217], v[196:197], -v[198:199]
	ds_read_b128 v[196:199], v2 offset:1824
	s_waitcnt vmcnt(9) lgkmcnt(2)
	v_mul_f64 v[206:207], v[188:189], v[78:79]
	v_fmac_f64_e32 v[206:207], v[190:191], v[76:77]
	v_add_f64 v[204:205], v[204:205], v[206:207]
	s_waitcnt vmcnt(8) lgkmcnt(1)
	v_mul_f64 v[206:207], v[192:193], v[82:83]
	v_fmac_f64_e32 v[206:207], v[194:195], v[80:81]
	v_mul_f64 v[202:203], v[226:227], v[202:203]
	v_add_f64 v[204:205], v[204:205], v[206:207]
	v_fma_f64 v[234:235], v[224:225], v[200:201], -v[202:203]
	ds_read_b128 v[200:203], v2 offset:1840
	s_waitcnt vmcnt(7) lgkmcnt(1)
	v_mul_f64 v[206:207], v[196:197], v[86:87]
	v_fmac_f64_e32 v[206:207], v[198:199], v[84:85]
	v_add_f64 v[216:217], v[204:205], v[206:207]
	ds_read_b128 v[204:207], v2 offset:1856
	v_mul_f64 v[210:211], v[230:231], v[210:211]
	v_fma_f64 v[236:237], v[228:229], v[208:209], -v[210:211]
	ds_read_b128 v[208:211], v2 offset:1872
	s_waitcnt vmcnt(6) lgkmcnt(2)
	v_mul_f64 v[218:219], v[200:201], v[90:91]
	v_fmac_f64_e32 v[218:219], v[202:203], v[88:89]
	v_add_f64 v[216:217], v[216:217], v[218:219]
	s_waitcnt vmcnt(5) lgkmcnt(1)
	v_mul_f64 v[218:219], v[204:205], v[94:95]
	v_fmac_f64_e32 v[218:219], v[206:207], v[92:93]
	v_mul_f64 v[214:215], v[244:245], v[214:215]
	v_fma_f64 v[238:239], v[242:243], v[212:213], -v[214:215]
	ds_read_b128 v[212:215], v2 offset:1888
	v_add_f64 v[216:217], v[216:217], v[218:219]
	s_waitcnt vmcnt(4) lgkmcnt(1)
	v_mul_f64 v[218:219], v[208:209], v[102:103]
	v_fmac_f64_e32 v[218:219], v[210:211], v[100:101]
	v_add_f64 v[224:225], v[216:217], v[218:219]
	ds_read_b128 v[216:219], v2 offset:1904
	v_mul_f64 v[222:223], v[248:249], v[222:223]
	v_fma_f64 v[242:243], v[246:247], v[220:221], -v[222:223]
	ds_read_b128 v[220:223], v2 offset:1920
	s_waitcnt vmcnt(3) lgkmcnt(2)
	v_mul_f64 v[226:227], v[212:213], v[98:99]
	v_fmac_f64_e32 v[226:227], v[214:215], v[96:97]
	v_add_f64 v[224:225], v[224:225], v[226:227]
	s_waitcnt vmcnt(2) lgkmcnt(1)
	v_mul_f64 v[226:227], v[216:217], v[106:107]
	v_fmac_f64_e32 v[226:227], v[218:219], v[104:105]
	v_add_f64 v[224:225], v[224:225], v[226:227]
	s_waitcnt vmcnt(1) lgkmcnt(0)
	v_mul_f64 v[226:227], v[220:221], v[114:115]
	v_fmac_f64_e32 v[226:227], v[222:223], v[112:113]
	v_add_f64 v[228:229], v[224:225], v[226:227]
	ds_read_b128 v[224:227], v2 offset:1936
	v_mul_f64 v[6:7], v[150:151], v[6:7]
	v_fma_f64 v[4:5], v[148:149], v[4:5], -v[6:7]
	v_mul_f64 v[6:7], v[146:147], v[10:11]
	v_fma_f64 v[6:7], v[144:145], v[8:9], -v[6:7]
	s_waitcnt vmcnt(0) lgkmcnt(0)
	v_mul_f64 v[230:231], v[224:225], v[130:131]
	v_fmac_f64_e32 v[230:231], v[226:227], v[128:129]
	v_add_f64 v[232:233], v[228:229], v[230:231]
	v_add_f64 v[228:229], v[250:251], 0
	;; [unrolled: 1-line block ×4, first 2 shown]
	scratch_load_dwordx4 v[228:231], off, off offset:416
	v_add_f64 v[234:235], v[244:245], v[234:235]
	v_add_f64 v[234:235], v[234:235], v[236:237]
	;; [unrolled: 1-line block ×6, first 2 shown]
	v_mul_f64 v[6:7], v[142:143], v[14:15]
	v_fma_f64 v[6:7], v[140:141], v[12:13], -v[6:7]
	v_add_f64 v[4:5], v[4:5], v[6:7]
	v_mul_f64 v[6:7], v[138:139], v[18:19]
	v_fma_f64 v[6:7], v[136:137], v[16:17], -v[6:7]
	v_add_f64 v[4:5], v[4:5], v[6:7]
	;; [unrolled: 3-line block ×26, first 2 shown]
	s_waitcnt vmcnt(0)
	v_add_f64 v[4:5], v[228:229], -v[4:5]
	v_add_f64 v[6:7], v[230:231], -v[232:233]
	scratch_store_dwordx4 off, v[4:7], off offset:416
	s_and_saveexec_b64 s[0:1], vcc
	s_cbranch_execz .LBB124_343
; %bb.342:
	scratch_load_dwordx4 v[6:9], off, s63
	v_mov_b32_e32 v3, v2
	v_mov_b32_e32 v4, v2
	;; [unrolled: 1-line block ×3, first 2 shown]
	v_accvgpr_read_b32 v1, a1
	scratch_store_dwordx4 off, v[2:5], off offset:400
	s_waitcnt vmcnt(1)
	ds_write_b128 v1, v[6:9]
.LBB124_343:
	s_or_b64 exec, exec, s[0:1]
	s_waitcnt lgkmcnt(0)
	; wave barrier
	scratch_load_dwordx4 v[140:143], off, off offset:416
	scratch_load_dwordx4 v[144:147], off, off offset:432
	;; [unrolled: 1-line block ×16, first 2 shown]
	ds_read_b128 v[208:211], v2 offset:1376
	ds_read_b128 v[200:203], v2 offset:1392
	;; [unrolled: 1-line block ×3, first 2 shown]
	scratch_load_dwordx4 v[40:43], off, off offset:672
	ds_read_b128 v[204:207], v2 offset:1424
	ds_read_b128 v[192:195], v2 offset:1440
	;; [unrolled: 1-line block ×3, first 2 shown]
	scratch_load_dwordx4 v[44:47], off, off offset:688
	ds_read_b128 v[196:199], v2 offset:1472
	ds_read_b128 v[64:67], v2 offset:1488
	ds_read_b128 v[60:63], v2 offset:1504
	ds_read_b128 v[52:55], v2 offset:1520
	scratch_load_dwordx4 v[48:51], off, off offset:704
	ds_read_b128 v[72:75], v2 offset:1536
	ds_read_b128 v[68:71], v2 offset:1552
	scratch_load_dwordx4 v[56:59], off, off offset:720
	ds_read_b128 v[92:95], v2 offset:1568
	ds_read_b128 v[88:91], v2 offset:1584
	;; [unrolled: 1-line block ×4, first 2 shown]
	scratch_load_dwordx4 v[76:79], off, off offset:736
	scratch_load_dwordx4 v[96:99], off, off offset:752
	;; [unrolled: 1-line block ×12, first 2 shown]
	ds_read_b128 v[168:171], v2 offset:1632
	v_mov_b32_e32 v254, v0
	v_cmp_lt_u32_e32 vcc, 23, v0
	s_waitcnt vmcnt(31) lgkmcnt(14)
	v_mul_f64 v[172:173], v[208:209], v[142:143]
	s_waitcnt vmcnt(30)
	v_mul_f64 v[174:175], v[200:201], v[146:147]
	v_fmac_f64_e32 v[172:173], v[210:211], v[140:141]
	s_waitcnt vmcnt(29)
	v_mul_f64 v[176:177], v[188:189], v[150:151]
	v_fmac_f64_e32 v[174:175], v[202:203], v[144:145]
	v_add_f64 v[172:173], v[172:173], 0
	s_waitcnt vmcnt(28) lgkmcnt(13)
	v_mul_f64 v[178:179], v[204:205], v[154:155]
	v_fmac_f64_e32 v[176:177], v[190:191], v[148:149]
	v_add_f64 v[172:173], v[172:173], v[174:175]
	s_waitcnt vmcnt(27) lgkmcnt(12)
	;; [unrolled: 4-line block ×10, first 2 shown]
	v_mul_f64 v[224:225], v[92:93], v[26:27]
	v_fmac_f64_e32 v[222:223], v[70:71], v[20:21]
	v_add_f64 v[172:173], v[172:173], v[220:221]
	ds_read_b128 v[212:215], v2 offset:1648
	s_waitcnt vmcnt(18) lgkmcnt(4)
	v_mul_f64 v[226:227], v[88:89], v[30:31]
	v_fmac_f64_e32 v[224:225], v[94:95], v[24:25]
	v_add_f64 v[172:173], v[172:173], v[222:223]
	ds_read_b128 v[216:219], v2 offset:1664
	ds_read_b128 v[220:223], v2 offset:1680
	s_waitcnt vmcnt(17) lgkmcnt(5)
	v_mul_f64 v[228:229], v[84:85], v[34:35]
	v_fmac_f64_e32 v[226:227], v[90:91], v[28:29]
	v_add_f64 v[172:173], v[172:173], v[224:225]
	s_waitcnt vmcnt(16) lgkmcnt(4)
	v_mul_f64 v[230:231], v[80:81], v[38:39]
	v_fmac_f64_e32 v[228:229], v[86:87], v[32:33]
	v_add_f64 v[172:173], v[172:173], v[226:227]
	v_add_f64 v[176:177], v[172:173], v[228:229]
	v_fmac_f64_e32 v[230:231], v[82:83], v[36:37]
	s_waitcnt vmcnt(15) lgkmcnt(3)
	v_mul_f64 v[178:179], v[168:169], v[42:43]
	v_add_f64 v[176:177], v[176:177], v[230:231]
	v_fmac_f64_e32 v[178:179], v[170:171], v[40:41]
	s_waitcnt vmcnt(14) lgkmcnt(2)
	v_mul_f64 v[182:183], v[212:213], v[46:47]
	;; [unrolled: 4-line block ×3, first 2 shown]
	v_add_f64 v[224:225], v[180:181], v[182:183]
	v_fmac_f64_e32 v[226:227], v[218:219], v[48:49]
	v_add_f64 v[228:229], v[224:225], v[226:227]
	ds_read_b128 v[224:227], v2 offset:1696
	s_waitcnt vmcnt(12) lgkmcnt(1)
	v_mul_f64 v[230:231], v[220:221], v[58:59]
	v_fmac_f64_e32 v[230:231], v[222:223], v[56:57]
	v_add_f64 v[232:233], v[228:229], v[230:231]
	ds_read_b128 v[228:231], v2 offset:1712
	s_waitcnt vmcnt(11) lgkmcnt(1)
	v_mul_f64 v[234:235], v[224:225], v[78:79]
	;; [unrolled: 5-line block ×4, first 2 shown]
	v_fmac_f64_e32 v[242:243], v[234:235], v[100:101]
	v_mul_f64 v[142:143], v[210:211], v[142:143]
	v_add_f64 v[240:241], v[240:241], v[242:243]
	v_fma_f64 v[242:243], v[208:209], v[140:141], -v[142:143]
	ds_read_b128 v[140:143], v2 offset:1760
	s_waitcnt vmcnt(8) lgkmcnt(1)
	v_mul_f64 v[208:209], v[236:237], v[106:107]
	v_fmac_f64_e32 v[208:209], v[238:239], v[104:105]
	v_mul_f64 v[146:147], v[202:203], v[146:147]
	v_add_f64 v[208:209], v[240:241], v[208:209]
	v_fma_f64 v[240:241], v[200:201], v[144:145], -v[146:147]
	ds_read_b128 v[144:147], v2 offset:1776
	s_waitcnt vmcnt(7) lgkmcnt(1)
	v_mul_f64 v[200:201], v[140:141], v[110:111]
	scratch_load_dwordx4 v[172:175], off, off offset:928
	v_fmac_f64_e32 v[200:201], v[142:143], v[108:109]
	v_add_f64 v[208:209], v[208:209], v[200:201]
	ds_read_b128 v[200:203], v2 offset:1792
	v_mul_f64 v[150:151], v[190:191], v[150:151]
	scratch_load_dwordx4 v[176:179], off, off offset:944
	scratch_load_dwordx4 v[180:183], off, off offset:960
	v_fma_f64 v[244:245], v[188:189], v[148:149], -v[150:151]
	ds_read_b128 v[148:151], v2 offset:1808
	s_waitcnt vmcnt(9) lgkmcnt(2)
	v_mul_f64 v[210:211], v[144:145], v[114:115]
	v_fmac_f64_e32 v[210:211], v[146:147], v[112:113]
	s_waitcnt vmcnt(8) lgkmcnt(1)
	v_mul_f64 v[188:189], v[200:201], v[118:119]
	v_add_f64 v[208:209], v[208:209], v[210:211]
	v_fmac_f64_e32 v[188:189], v[202:203], v[116:117]
	v_mul_f64 v[154:155], v[206:207], v[154:155]
	s_waitcnt vmcnt(7) lgkmcnt(0)
	v_mul_f64 v[190:191], v[148:149], v[122:123]
	v_add_f64 v[188:189], v[208:209], v[188:189]
	v_fma_f64 v[246:247], v[204:205], v[152:153], -v[154:155]
	ds_read_b128 v[152:155], v2 offset:1824
	v_fmac_f64_e32 v[190:191], v[150:151], v[120:121]
	v_add_f64 v[204:205], v[188:189], v[190:191]
	ds_read_b128 v[188:191], v2 offset:1840
	v_mul_f64 v[158:159], v[194:195], v[158:159]
	s_waitcnt vmcnt(6) lgkmcnt(1)
	v_mul_f64 v[206:207], v[152:153], v[126:127]
	v_fmac_f64_e32 v[206:207], v[154:155], v[124:125]
	v_fma_f64 v[248:249], v[192:193], v[156:157], -v[158:159]
	s_waitcnt vmcnt(5) lgkmcnt(0)
	v_mul_f64 v[192:193], v[188:189], v[130:131]
	v_add_f64 v[204:205], v[204:205], v[206:207]
	v_fmac_f64_e32 v[192:193], v[190:191], v[128:129]
	v_mul_f64 v[162:163], v[186:187], v[162:163]
	v_fma_f64 v[208:209], v[184:185], v[160:161], -v[162:163]
	v_add_f64 v[184:185], v[204:205], v[192:193]
	scratch_load_dwordx4 v[204:207], off, off offset:976
	v_add_f64 v[242:243], v[242:243], 0
	v_add_f64 v[240:241], v[242:243], v[240:241]
	;; [unrolled: 1-line block ×4, first 2 shown]
	scratch_load_dwordx4 v[244:247], off, off offset:400
	v_mul_f64 v[166:167], v[198:199], v[166:167]
	v_add_f64 v[242:243], v[240:241], v[248:249]
	v_fma_f64 v[210:211], v[196:197], v[164:165], -v[166:167]
	v_add_f64 v[208:209], v[242:243], v[208:209]
	v_mul_f64 v[6:7], v[66:67], v[6:7]
	v_add_f64 v[208:209], v[208:209], v[210:211]
	v_fma_f64 v[4:5], v[64:65], v[4:5], -v[6:7]
	v_mul_f64 v[6:7], v[62:63], v[10:11]
	v_add_f64 v[4:5], v[208:209], v[4:5]
	v_fma_f64 v[6:7], v[60:61], v[8:9], -v[6:7]
	v_add_f64 v[4:5], v[4:5], v[6:7]
	v_mul_f64 v[6:7], v[54:55], v[14:15]
	v_fma_f64 v[6:7], v[52:53], v[12:13], -v[6:7]
	v_add_f64 v[4:5], v[4:5], v[6:7]
	v_mul_f64 v[6:7], v[74:75], v[18:19]
	;; [unrolled: 3-line block ×12, first 2 shown]
	v_fma_f64 v[6:7], v[224:225], v[76:77], -v[6:7]
	ds_read_b128 v[156:159], v2 offset:1856
	ds_read_b128 v[160:163], v2 offset:1872
	v_add_f64 v[4:5], v[4:5], v[6:7]
	v_mul_f64 v[6:7], v[230:231], v[98:99]
	v_fma_f64 v[6:7], v[228:229], v[96:97], -v[6:7]
	v_add_f64 v[4:5], v[4:5], v[6:7]
	v_mul_f64 v[6:7], v[234:235], v[102:103]
	v_fma_f64 v[6:7], v[232:233], v[100:101], -v[6:7]
	v_add_f64 v[4:5], v[4:5], v[6:7]
	v_mul_f64 v[6:7], v[238:239], v[106:107]
	s_waitcnt vmcnt(6) lgkmcnt(1)
	v_mul_f64 v[186:187], v[156:157], v[138:139]
	v_fma_f64 v[6:7], v[236:237], v[104:105], -v[6:7]
	v_fmac_f64_e32 v[186:187], v[158:159], v[136:137]
	v_add_f64 v[4:5], v[4:5], v[6:7]
	v_mul_f64 v[6:7], v[142:143], v[110:111]
	v_add_f64 v[192:193], v[184:185], v[186:187]
	ds_read_b128 v[184:187], v2 offset:1888
	ds_read_b128 v[164:167], v2 offset:1904
	v_fma_f64 v[6:7], v[140:141], v[108:109], -v[6:7]
	v_add_f64 v[4:5], v[4:5], v[6:7]
	v_mul_f64 v[6:7], v[146:147], v[114:115]
	v_fma_f64 v[6:7], v[144:145], v[112:113], -v[6:7]
	s_waitcnt vmcnt(5) lgkmcnt(2)
	v_mul_f64 v[194:195], v[160:161], v[134:135]
	v_add_f64 v[4:5], v[4:5], v[6:7]
	v_mul_f64 v[6:7], v[202:203], v[118:119]
	v_fmac_f64_e32 v[194:195], v[162:163], v[132:133]
	v_fma_f64 v[6:7], v[200:201], v[116:117], -v[6:7]
	v_add_f64 v[192:193], v[192:193], v[194:195]
	s_waitcnt vmcnt(4) lgkmcnt(1)
	v_mul_f64 v[194:195], v[184:185], v[174:175]
	v_add_f64 v[4:5], v[4:5], v[6:7]
	v_mul_f64 v[6:7], v[150:151], v[122:123]
	v_fmac_f64_e32 v[194:195], v[186:187], v[172:173]
	v_fma_f64 v[6:7], v[148:149], v[120:121], -v[6:7]
	v_add_f64 v[192:193], v[192:193], v[194:195]
	s_waitcnt vmcnt(3) lgkmcnt(0)
	v_mul_f64 v[194:195], v[164:165], v[178:179]
	v_add_f64 v[4:5], v[4:5], v[6:7]
	v_mul_f64 v[6:7], v[154:155], v[126:127]
	v_fmac_f64_e32 v[194:195], v[166:167], v[176:177]
	v_fma_f64 v[6:7], v[152:153], v[124:125], -v[6:7]
	v_add_f64 v[196:197], v[192:193], v[194:195]
	ds_read_b128 v[192:195], v2 offset:1920
	v_add_f64 v[4:5], v[4:5], v[6:7]
	v_mul_f64 v[6:7], v[190:191], v[130:131]
	v_fma_f64 v[6:7], v[188:189], v[128:129], -v[6:7]
	v_add_f64 v[4:5], v[4:5], v[6:7]
	v_mul_f64 v[6:7], v[158:159], v[138:139]
	v_fma_f64 v[6:7], v[156:157], v[136:137], -v[6:7]
	v_add_f64 v[4:5], v[4:5], v[6:7]
	v_mul_f64 v[6:7], v[162:163], v[134:135]
	s_waitcnt vmcnt(2) lgkmcnt(0)
	v_mul_f64 v[198:199], v[192:193], v[182:183]
	v_fma_f64 v[6:7], v[160:161], v[132:133], -v[6:7]
	v_fmac_f64_e32 v[198:199], v[194:195], v[180:181]
	v_add_f64 v[4:5], v[4:5], v[6:7]
	v_mul_f64 v[6:7], v[186:187], v[174:175]
	v_add_f64 v[250:251], v[196:197], v[198:199]
	ds_read_b128 v[196:199], v2 offset:1936
	v_fma_f64 v[6:7], v[184:185], v[172:173], -v[6:7]
	v_add_f64 v[4:5], v[4:5], v[6:7]
	v_mul_f64 v[6:7], v[166:167], v[178:179]
	v_fma_f64 v[6:7], v[164:165], v[176:177], -v[6:7]
	v_add_f64 v[4:5], v[4:5], v[6:7]
	v_mul_f64 v[6:7], v[194:195], v[182:183]
	v_fma_f64 v[6:7], v[192:193], v[180:181], -v[6:7]
	s_waitcnt vmcnt(1) lgkmcnt(0)
	v_mul_f64 v[2:3], v[196:197], v[206:207]
	v_add_f64 v[4:5], v[4:5], v[6:7]
	v_mul_f64 v[6:7], v[198:199], v[206:207]
	v_fmac_f64_e32 v[2:3], v[198:199], v[204:205]
	v_fma_f64 v[6:7], v[196:197], v[204:205], -v[6:7]
	v_add_f64 v[2:3], v[250:251], v[2:3]
	v_add_f64 v[4:5], v[4:5], v[6:7]
	s_waitcnt vmcnt(0)
	v_add_f64 v[4:5], v[244:245], -v[4:5]
	v_add_f64 v[6:7], v[246:247], -v[2:3]
	scratch_store_dwordx4 off, v[4:7], off offset:400
	s_and_saveexec_b64 s[0:1], vcc
	s_cbranch_execz .LBB124_345
; %bb.344:
	scratch_load_dwordx4 v[2:5], off, s64
	v_mov_b32_e32 v6, 0
	v_mov_b32_e32 v7, v6
	;; [unrolled: 1-line block ×4, first 2 shown]
	v_accvgpr_read_b32 v0, a1
	scratch_store_dwordx4 off, v[6:9], off offset:384
	s_waitcnt vmcnt(1)
	ds_write_b128 v0, v[2:5]
.LBB124_345:
	s_or_b64 exec, exec, s[0:1]
	s_waitcnt lgkmcnt(0)
	; wave barrier
	scratch_load_dwordx4 v[168:171], off, off offset:400
	scratch_load_dwordx4 v[172:175], off, off offset:416
	;; [unrolled: 1-line block ×32, first 2 shown]
	v_mov_b32_e32 v2, 0
	ds_read_b128 v[176:179], v2 offset:1360
	ds_read_b128 v[188:191], v2 offset:1376
	;; [unrolled: 1-line block ×17, first 2 shown]
	v_cmp_lt_u32_e32 vcc, 22, v254
	s_waitcnt vmcnt(31) lgkmcnt(14)
	v_mul_f64 v[104:105], v[176:177], v[170:171]
	s_waitcnt vmcnt(30)
	v_mul_f64 v[106:107], v[188:189], v[174:175]
	v_fmac_f64_e32 v[104:105], v[178:179], v[168:169]
	s_waitcnt vmcnt(29)
	v_mul_f64 v[108:109], v[200:201], v[182:183]
	v_fmac_f64_e32 v[106:107], v[190:191], v[172:173]
	v_add_f64 v[104:105], v[104:105], 0
	s_waitcnt vmcnt(28) lgkmcnt(13)
	v_mul_f64 v[110:111], v[212:213], v[186:187]
	v_fmac_f64_e32 v[108:109], v[202:203], v[180:181]
	v_add_f64 v[104:105], v[104:105], v[106:107]
	s_waitcnt vmcnt(27) lgkmcnt(12)
	;; [unrolled: 4-line block ×12, first 2 shown]
	v_mul_f64 v[156:157], v[112:113], v[26:27]
	v_fmac_f64_e32 v[154:155], v[118:119], v[20:21]
	v_add_f64 v[104:105], v[104:105], v[152:153]
	v_fmac_f64_e32 v[156:157], v[114:115], v[24:25]
	v_add_f64 v[104:105], v[104:105], v[154:155]
	s_waitcnt vmcnt(16) lgkmcnt(1)
	v_mul_f64 v[106:107], v[100:101], v[30:31]
	v_add_f64 v[104:105], v[104:105], v[156:157]
	v_fmac_f64_e32 v[106:107], v[102:103], v[28:29]
	v_add_f64 v[108:109], v[104:105], v[106:107]
	ds_read_b128 v[144:147], v2 offset:1632
	ds_read_b128 v[148:151], v2 offset:1648
	scratch_load_dwordx4 v[104:107], off, off offset:912
	s_waitcnt vmcnt(16) lgkmcnt(2)
	v_mul_f64 v[110:111], v[96:97], v[34:35]
	v_fmac_f64_e32 v[110:111], v[98:99], v[32:33]
	v_add_f64 v[120:121], v[108:109], v[110:111]
	scratch_load_dwordx4 v[108:111], off, off offset:928
	s_waitcnt vmcnt(16) lgkmcnt(1)
	v_mul_f64 v[122:123], v[144:145], v[38:39]
	v_fmac_f64_e32 v[122:123], v[146:147], v[36:37]
	v_add_f64 v[132:133], v[120:121], v[122:123]
	s_waitcnt vmcnt(15) lgkmcnt(0)
	v_mul_f64 v[134:135], v[148:149], v[42:43]
	scratch_load_dwordx4 v[120:123], off, off offset:944
	v_fmac_f64_e32 v[134:135], v[150:151], v[40:41]
	v_add_f64 v[160:161], v[132:133], v[134:135]
	scratch_load_dwordx4 v[132:135], off, off offset:960
	ds_read_b128 v[152:155], v2 offset:1664
	ds_read_b128 v[156:159], v2 offset:1680
	v_mul_f64 v[170:171], v[178:179], v[170:171]
	v_fma_f64 v[240:241], v[176:177], v[168:169], -v[170:171]
	ds_read_b128 v[168:171], v2 offset:1728
	s_waitcnt vmcnt(16) lgkmcnt(2)
	v_mul_f64 v[162:163], v[152:153], v[46:47]
	v_fmac_f64_e32 v[162:163], v[154:155], v[44:45]
	s_waitcnt vmcnt(15) lgkmcnt(1)
	v_mul_f64 v[166:167], v[156:157], v[50:51]
	v_add_f64 v[164:165], v[160:161], v[162:163]
	ds_read_b128 v[160:163], v2 offset:1696
	v_fmac_f64_e32 v[166:167], v[158:159], v[48:49]
	v_add_f64 v[232:233], v[164:165], v[166:167]
	ds_read_b128 v[164:167], v2 offset:1712
	v_mul_f64 v[174:175], v[190:191], v[174:175]
	s_waitcnt vmcnt(14) lgkmcnt(1)
	v_mul_f64 v[234:235], v[160:161], v[54:55]
	v_fmac_f64_e32 v[234:235], v[162:163], v[52:53]
	v_add_f64 v[232:233], v[232:233], v[234:235]
	s_waitcnt vmcnt(13) lgkmcnt(0)
	v_mul_f64 v[176:177], v[164:165], v[58:59]
	v_fmac_f64_e32 v[176:177], v[166:167], v[56:57]
	v_fma_f64 v[250:251], v[188:189], v[172:173], -v[174:175]
	ds_read_b128 v[172:175], v2 offset:1744
	s_waitcnt vmcnt(12)
	v_mul_f64 v[178:179], v[168:169], v[62:63]
	v_add_f64 v[176:177], v[232:233], v[176:177]
	v_fmac_f64_e32 v[178:179], v[170:171], v[60:61]
	v_add_f64 v[188:189], v[176:177], v[178:179]
	ds_read_b128 v[176:179], v2 offset:1760
	v_mul_f64 v[182:183], v[202:203], v[182:183]
	v_fma_f64 v[252:253], v[200:201], v[180:181], -v[182:183]
	ds_read_b128 v[180:183], v2 offset:1776
	s_waitcnt vmcnt(11) lgkmcnt(2)
	v_mul_f64 v[190:191], v[172:173], v[66:67]
	v_fmac_f64_e32 v[190:191], v[174:175], v[64:65]
	v_add_f64 v[188:189], v[188:189], v[190:191]
	s_waitcnt vmcnt(10) lgkmcnt(1)
	v_mul_f64 v[190:191], v[176:177], v[70:71]
	v_fmac_f64_e32 v[190:191], v[178:179], v[68:69]
	v_mul_f64 v[186:187], v[214:215], v[186:187]
	v_fma_f64 v[232:233], v[212:213], v[184:185], -v[186:187]
	ds_read_b128 v[184:187], v2 offset:1792
	v_add_f64 v[188:189], v[188:189], v[190:191]
	s_waitcnt vmcnt(9) lgkmcnt(1)
	v_mul_f64 v[190:191], v[180:181], v[74:75]
	v_fmac_f64_e32 v[190:191], v[182:183], v[72:73]
	v_add_f64 v[200:201], v[188:189], v[190:191]
	ds_read_b128 v[188:191], v2 offset:1808
	v_mul_f64 v[194:195], v[222:223], v[194:195]
	v_fma_f64 v[0:1], v[220:221], v[192:193], -v[194:195]
	ds_read_b128 v[192:195], v2 offset:1824
	s_waitcnt vmcnt(8) lgkmcnt(2)
	v_mul_f64 v[202:203], v[184:185], v[78:79]
	v_fmac_f64_e32 v[202:203], v[186:187], v[76:77]
	v_add_f64 v[200:201], v[200:201], v[202:203]
	s_waitcnt vmcnt(7) lgkmcnt(1)
	v_mul_f64 v[202:203], v[188:189], v[82:83]
	v_fmac_f64_e32 v[202:203], v[190:191], v[80:81]
	v_mul_f64 v[198:199], v[226:227], v[198:199]
	v_add_f64 v[200:201], v[200:201], v[202:203]
	v_fma_f64 v[234:235], v[224:225], v[196:197], -v[198:199]
	ds_read_b128 v[196:199], v2 offset:1840
	s_waitcnt vmcnt(6) lgkmcnt(1)
	v_mul_f64 v[202:203], v[192:193], v[86:87]
	v_fmac_f64_e32 v[202:203], v[194:195], v[84:85]
	v_add_f64 v[212:213], v[200:201], v[202:203]
	ds_read_b128 v[200:203], v2 offset:1856
	v_mul_f64 v[206:207], v[230:231], v[206:207]
	v_fma_f64 v[236:237], v[228:229], v[204:205], -v[206:207]
	ds_read_b128 v[204:207], v2 offset:1872
	s_waitcnt vmcnt(5) lgkmcnt(2)
	v_mul_f64 v[214:215], v[196:197], v[94:95]
	v_fmac_f64_e32 v[214:215], v[198:199], v[92:93]
	v_add_f64 v[212:213], v[212:213], v[214:215]
	s_waitcnt vmcnt(4) lgkmcnt(1)
	v_mul_f64 v[214:215], v[200:201], v[90:91]
	v_fmac_f64_e32 v[214:215], v[202:203], v[88:89]
	v_mul_f64 v[210:211], v[244:245], v[210:211]
	v_fma_f64 v[238:239], v[242:243], v[208:209], -v[210:211]
	ds_read_b128 v[208:211], v2 offset:1888
	v_add_f64 v[212:213], v[212:213], v[214:215]
	s_waitcnt vmcnt(3) lgkmcnt(1)
	v_mul_f64 v[214:215], v[204:205], v[106:107]
	v_fmac_f64_e32 v[214:215], v[206:207], v[104:105]
	v_add_f64 v[220:221], v[212:213], v[214:215]
	ds_read_b128 v[212:215], v2 offset:1904
	v_mul_f64 v[218:219], v[248:249], v[218:219]
	v_fma_f64 v[242:243], v[246:247], v[216:217], -v[218:219]
	ds_read_b128 v[216:219], v2 offset:1920
	ds_read_b128 v[224:227], v2 offset:1936
	s_waitcnt vmcnt(2) lgkmcnt(3)
	v_mul_f64 v[222:223], v[208:209], v[110:111]
	v_fmac_f64_e32 v[222:223], v[210:211], v[108:109]
	v_add_f64 v[220:221], v[220:221], v[222:223]
	s_waitcnt vmcnt(1) lgkmcnt(2)
	v_mul_f64 v[222:223], v[212:213], v[122:123]
	v_fmac_f64_e32 v[222:223], v[214:215], v[120:121]
	v_add_f64 v[220:221], v[220:221], v[222:223]
	;; [unrolled: 4-line block ×3, first 2 shown]
	scratch_load_dwordx4 v[220:223], off, off offset:976
	v_mul_f64 v[6:7], v[142:143], v[6:7]
	v_fma_f64 v[4:5], v[140:141], v[4:5], -v[6:7]
	s_waitcnt vmcnt(0) lgkmcnt(0)
	v_mul_f64 v[230:231], v[224:225], v[222:223]
	v_fmac_f64_e32 v[230:231], v[226:227], v[220:221]
	v_add_f64 v[246:247], v[228:229], v[230:231]
	v_add_f64 v[228:229], v[240:241], 0
	;; [unrolled: 1-line block ×6, first 2 shown]
	scratch_load_dwordx4 v[228:231], off, off offset:384
	v_add_f64 v[0:1], v[244:245], v[234:235]
	v_add_f64 v[0:1], v[0:1], v[236:237]
	v_add_f64 v[0:1], v[0:1], v[238:239]
	v_add_f64 v[0:1], v[0:1], v[242:243]
	v_add_f64 v[0:1], v[0:1], v[4:5]
	v_mul_f64 v[4:5], v[138:139], v[10:11]
	v_fma_f64 v[4:5], v[136:137], v[8:9], -v[4:5]
	v_add_f64 v[0:1], v[0:1], v[4:5]
	v_mul_f64 v[4:5], v[130:131], v[14:15]
	v_fma_f64 v[4:5], v[128:129], v[12:13], -v[4:5]
	v_add_f64 v[0:1], v[0:1], v[4:5]
	;; [unrolled: 3-line block ×27, first 2 shown]
	s_waitcnt vmcnt(0)
	v_add_f64 v[4:5], v[228:229], -v[0:1]
	v_add_f64 v[6:7], v[230:231], -v[246:247]
	scratch_store_dwordx4 off, v[4:7], off offset:384
	s_and_saveexec_b64 s[0:1], vcc
	s_cbranch_execz .LBB124_347
; %bb.346:
	scratch_load_dwordx4 v[6:9], off, s65
	v_mov_b32_e32 v3, v2
	v_mov_b32_e32 v4, v2
	;; [unrolled: 1-line block ×3, first 2 shown]
	v_accvgpr_read_b32 v0, a1
	scratch_store_dwordx4 off, v[2:5], off offset:368
	s_waitcnt vmcnt(1)
	ds_write_b128 v0, v[6:9]
.LBB124_347:
	s_or_b64 exec, exec, s[0:1]
	s_waitcnt lgkmcnt(0)
	; wave barrier
	scratch_load_dwordx4 v[168:171], off, off offset:384
	scratch_load_dwordx4 v[172:175], off, off offset:400
	;; [unrolled: 1-line block ×16, first 2 shown]
	ds_read_b128 v[232:235], v2 offset:1344
	ds_read_b128 v[176:179], v2 offset:1360
	scratch_load_dwordx4 v[32:35], off, off offset:640
	ds_read_b128 v[236:239], v2 offset:1376
	ds_read_b128 v[188:191], v2 offset:1392
	;; [unrolled: 1-line block ×5, first 2 shown]
	scratch_load_dwordx4 v[36:39], off, off offset:656
	ds_read_b128 v[224:227], v2 offset:1456
	ds_read_b128 v[220:223], v2 offset:1472
	;; [unrolled: 1-line block ×3, first 2 shown]
	scratch_load_dwordx4 v[40:43], off, off offset:672
	ds_read_b128 v[64:67], v2 offset:1504
	ds_read_b128 v[60:63], v2 offset:1520
	ds_read_b128 v[56:59], v2 offset:1536
	ds_read_b128 v[52:55], v2 offset:1552
	scratch_load_dwordx4 v[48:51], off, off offset:688
	ds_read_b128 v[80:83], v2 offset:1568
	ds_read_b128 v[72:75], v2 offset:1584
	;; [unrolled: 1-line block ×3, first 2 shown]
	scratch_load_dwordx4 v[76:79], off, off offset:704
	scratch_load_dwordx4 v[84:87], off, off offset:720
	;; [unrolled: 1-line block ×12, first 2 shown]
	v_cmp_lt_u32_e32 vcc, 21, v254
	s_waitcnt vmcnt(31) lgkmcnt(14)
	v_mul_f64 v[128:129], v[232:233], v[170:171]
	s_waitcnt vmcnt(30)
	v_mul_f64 v[130:131], v[176:177], v[174:175]
	v_fmac_f64_e32 v[128:129], v[234:235], v[168:169]
	s_waitcnt vmcnt(29)
	v_mul_f64 v[132:133], v[236:237], v[182:183]
	v_fmac_f64_e32 v[130:131], v[178:179], v[172:173]
	v_add_f64 v[128:129], v[128:129], 0
	s_waitcnt vmcnt(28) lgkmcnt(13)
	v_mul_f64 v[134:135], v[188:189], v[186:187]
	v_fmac_f64_e32 v[132:133], v[238:239], v[180:181]
	v_add_f64 v[128:129], v[128:129], v[130:131]
	s_waitcnt vmcnt(27) lgkmcnt(12)
	;; [unrolled: 4-line block ×13, first 2 shown]
	v_mul_f64 v[158:159], v[72:73], v[30:31]
	v_fmac_f64_e32 v[156:157], v[82:83], v[24:25]
	v_add_f64 v[128:129], v[128:129], v[154:155]
	v_add_f64 v[128:129], v[128:129], v[156:157]
	v_fmac_f64_e32 v[158:159], v[74:75], v[28:29]
	v_add_f64 v[132:133], v[128:129], v[158:159]
	ds_read_b128 v[144:147], v2 offset:1616
	ds_read_b128 v[148:151], v2 offset:1632
	scratch_load_dwordx4 v[128:131], off, off offset:896
	s_waitcnt vmcnt(16) lgkmcnt(2)
	v_mul_f64 v[134:135], v[68:69], v[34:35]
	v_fmac_f64_e32 v[134:135], v[70:71], v[32:33]
	s_waitcnt vmcnt(15) lgkmcnt(1)
	v_mul_f64 v[138:139], v[144:145], v[38:39]
	v_add_f64 v[136:137], v[132:133], v[134:135]
	scratch_load_dwordx4 v[132:135], off, off offset:912
	v_fmac_f64_e32 v[138:139], v[146:147], v[36:37]
	v_add_f64 v[140:141], v[136:137], v[138:139]
	s_waitcnt vmcnt(15) lgkmcnt(0)
	v_mul_f64 v[142:143], v[148:149], v[42:43]
	scratch_load_dwordx4 v[136:139], off, off offset:928
	v_fmac_f64_e32 v[142:143], v[150:151], v[40:41]
	v_add_f64 v[160:161], v[140:141], v[142:143]
	scratch_load_dwordx4 v[140:143], off, off offset:944
	ds_read_b128 v[152:155], v2 offset:1648
	ds_read_b128 v[156:159], v2 offset:1664
	v_mul_f64 v[170:171], v[234:235], v[170:171]
	v_fma_f64 v[246:247], v[232:233], v[168:169], -v[170:171]
	ds_read_b128 v[168:171], v2 offset:1712
	s_waitcnt vmcnt(16) lgkmcnt(2)
	v_mul_f64 v[162:163], v[152:153], v[50:51]
	v_fmac_f64_e32 v[162:163], v[154:155], v[48:49]
	s_waitcnt vmcnt(15) lgkmcnt(1)
	v_mul_f64 v[166:167], v[156:157], v[78:79]
	v_add_f64 v[164:165], v[160:161], v[162:163]
	ds_read_b128 v[160:163], v2 offset:1680
	v_fmac_f64_e32 v[166:167], v[158:159], v[76:77]
	v_add_f64 v[240:241], v[164:165], v[166:167]
	ds_read_b128 v[164:167], v2 offset:1696
	v_mul_f64 v[174:175], v[178:179], v[174:175]
	s_waitcnt vmcnt(14) lgkmcnt(1)
	v_mul_f64 v[242:243], v[160:161], v[86:87]
	v_fmac_f64_e32 v[242:243], v[162:163], v[84:85]
	v_add_f64 v[240:241], v[240:241], v[242:243]
	s_waitcnt vmcnt(13) lgkmcnt(0)
	v_mul_f64 v[232:233], v[164:165], v[90:91]
	v_fmac_f64_e32 v[232:233], v[166:167], v[88:89]
	v_add_f64 v[232:233], v[240:241], v[232:233]
	v_fma_f64 v[240:241], v[176:177], v[172:173], -v[174:175]
	ds_read_b128 v[172:175], v2 offset:1728
	s_waitcnt vmcnt(12)
	v_mul_f64 v[176:177], v[168:169], v[94:95]
	v_fmac_f64_e32 v[176:177], v[170:171], v[92:93]
	v_add_f64 v[232:233], v[232:233], v[176:177]
	ds_read_b128 v[176:179], v2 offset:1744
	v_mul_f64 v[182:183], v[238:239], v[182:183]
	v_fma_f64 v[236:237], v[236:237], v[180:181], -v[182:183]
	ds_read_b128 v[180:183], v2 offset:1760
	s_waitcnt vmcnt(11) lgkmcnt(2)
	v_mul_f64 v[234:235], v[172:173], v[98:99]
	v_fmac_f64_e32 v[234:235], v[174:175], v[96:97]
	v_add_f64 v[232:233], v[232:233], v[234:235]
	s_waitcnt vmcnt(10) lgkmcnt(1)
	v_mul_f64 v[234:235], v[176:177], v[102:103]
	v_fmac_f64_e32 v[234:235], v[178:179], v[100:101]
	v_mul_f64 v[186:187], v[190:191], v[186:187]
	s_waitcnt vmcnt(9) lgkmcnt(0)
	v_mul_f64 v[190:191], v[180:181], v[106:107]
	v_fma_f64 v[238:239], v[188:189], v[184:185], -v[186:187]
	ds_read_b128 v[184:187], v2 offset:1776
	v_add_f64 v[188:189], v[232:233], v[234:235]
	v_fmac_f64_e32 v[190:191], v[182:183], v[104:105]
	v_add_f64 v[232:233], v[188:189], v[190:191]
	ds_read_b128 v[188:191], v2 offset:1792
	v_mul_f64 v[194:195], v[230:231], v[194:195]
	v_fma_f64 v[248:249], v[228:229], v[192:193], -v[194:195]
	ds_read_b128 v[192:195], v2 offset:1808
	s_waitcnt vmcnt(8) lgkmcnt(2)
	v_mul_f64 v[234:235], v[184:185], v[110:111]
	v_fmac_f64_e32 v[234:235], v[186:187], v[108:109]
	s_waitcnt vmcnt(7) lgkmcnt(1)
	v_mul_f64 v[228:229], v[188:189], v[114:115]
	v_mul_f64 v[198:199], v[202:203], v[198:199]
	v_add_f64 v[232:233], v[232:233], v[234:235]
	v_fmac_f64_e32 v[228:229], v[190:191], v[112:113]
	v_fma_f64 v[250:251], v[200:201], v[196:197], -v[198:199]
	ds_read_b128 v[196:199], v2 offset:1824
	s_waitcnt vmcnt(6) lgkmcnt(1)
	v_mul_f64 v[200:201], v[192:193], v[118:119]
	v_add_f64 v[228:229], v[232:233], v[228:229]
	v_fmac_f64_e32 v[200:201], v[194:195], v[116:117]
	v_add_f64 v[228:229], v[228:229], v[200:201]
	ds_read_b128 v[200:203], v2 offset:1840
	v_mul_f64 v[206:207], v[214:215], v[206:207]
	v_fma_f64 v[252:253], v[212:213], v[204:205], -v[206:207]
	ds_read_b128 v[204:207], v2 offset:1856
	s_waitcnt vmcnt(5) lgkmcnt(2)
	v_mul_f64 v[230:231], v[196:197], v[126:127]
	v_fmac_f64_e32 v[230:231], v[198:199], v[124:125]
	s_waitcnt vmcnt(4) lgkmcnt(1)
	v_mul_f64 v[212:213], v[200:201], v[122:123]
	v_add_f64 v[228:229], v[228:229], v[230:231]
	v_fmac_f64_e32 v[212:213], v[202:203], v[120:121]
	v_mul_f64 v[210:211], v[226:227], v[210:211]
	s_waitcnt vmcnt(3) lgkmcnt(0)
	v_mul_f64 v[214:215], v[204:205], v[130:131]
	v_fma_f64 v[242:243], v[224:225], v[208:209], -v[210:211]
	ds_read_b128 v[208:211], v2 offset:1872
	v_add_f64 v[212:213], v[228:229], v[212:213]
	v_fmac_f64_e32 v[214:215], v[206:207], v[128:129]
	v_add_f64 v[224:225], v[212:213], v[214:215]
	ds_read_b128 v[212:215], v2 offset:1888
	v_mul_f64 v[218:219], v[222:223], v[218:219]
	v_fma_f64 v[244:245], v[220:221], v[216:217], -v[218:219]
	ds_read_b128 v[216:219], v2 offset:1904
	s_waitcnt vmcnt(2) lgkmcnt(2)
	v_mul_f64 v[220:221], v[208:209], v[134:135]
	v_fmac_f64_e32 v[220:221], v[210:211], v[132:133]
	s_waitcnt vmcnt(1) lgkmcnt(1)
	v_mul_f64 v[222:223], v[212:213], v[138:139]
	v_add_f64 v[220:221], v[224:225], v[220:221]
	v_fmac_f64_e32 v[222:223], v[214:215], v[136:137]
	v_add_f64 v[220:221], v[220:221], v[222:223]
	ds_read_b128 v[224:227], v2 offset:1920
	s_waitcnt vmcnt(0) lgkmcnt(1)
	v_mul_f64 v[222:223], v[216:217], v[142:143]
	v_fmac_f64_e32 v[222:223], v[218:219], v[140:141]
	v_add_f64 v[228:229], v[220:221], v[222:223]
	scratch_load_dwordx4 v[220:223], off, off offset:960
	scratch_load_dwordx4 v[232:235], off, off offset:976
	v_mul_f64 v[6:7], v[46:47], v[6:7]
	v_fma_f64 v[4:5], v[44:45], v[4:5], -v[6:7]
	s_waitcnt vmcnt(1) lgkmcnt(0)
	v_mul_f64 v[230:231], v[224:225], v[222:223]
	v_fmac_f64_e32 v[230:231], v[226:227], v[220:221]
	v_add_f64 v[0:1], v[228:229], v[230:231]
	ds_read_b128 v[228:231], v2 offset:1936
	s_waitcnt vmcnt(0) lgkmcnt(0)
	v_mul_f64 v[2:3], v[228:229], v[234:235]
	v_fmac_f64_e32 v[2:3], v[230:231], v[232:233]
	v_add_f64 v[2:3], v[0:1], v[2:3]
	v_add_f64 v[0:1], v[246:247], 0
	;; [unrolled: 1-line block ×5, first 2 shown]
	scratch_load_dwordx4 v[236:239], off, off offset:368
	v_add_f64 v[0:1], v[0:1], v[248:249]
	v_add_f64 v[0:1], v[0:1], v[250:251]
	;; [unrolled: 1-line block ×6, first 2 shown]
	v_mul_f64 v[4:5], v[66:67], v[10:11]
	v_fma_f64 v[4:5], v[64:65], v[8:9], -v[4:5]
	v_add_f64 v[0:1], v[0:1], v[4:5]
	v_mul_f64 v[4:5], v[62:63], v[14:15]
	v_fma_f64 v[4:5], v[60:61], v[12:13], -v[4:5]
	v_add_f64 v[0:1], v[0:1], v[4:5]
	;; [unrolled: 3-line block ×28, first 2 shown]
	s_waitcnt vmcnt(0)
	v_add_f64 v[4:5], v[236:237], -v[0:1]
	v_add_f64 v[6:7], v[238:239], -v[2:3]
	scratch_store_dwordx4 off, v[4:7], off offset:368
	s_and_saveexec_b64 s[0:1], vcc
	s_cbranch_execz .LBB124_349
; %bb.348:
	scratch_load_dwordx4 v[2:5], off, s66
	v_mov_b32_e32 v6, 0
	v_mov_b32_e32 v7, v6
	;; [unrolled: 1-line block ×4, first 2 shown]
	v_accvgpr_read_b32 v0, a1
	scratch_store_dwordx4 off, v[6:9], off offset:352
	s_waitcnt vmcnt(1)
	ds_write_b128 v0, v[2:5]
.LBB124_349:
	s_or_b64 exec, exec, s[0:1]
	s_waitcnt lgkmcnt(0)
	; wave barrier
	scratch_load_dwordx4 v[80:83], off, off offset:368
	scratch_load_dwordx4 v[84:87], off, off offset:384
	;; [unrolled: 1-line block ×31, first 2 shown]
	v_mov_b32_e32 v2, 0
	ds_read_b128 v[196:199], v2 offset:1328
	ds_read_b128 v[200:203], v2 offset:1344
	;; [unrolled: 1-line block ×20, first 2 shown]
	v_cmp_lt_u32_e32 vcc, 20, v254
	s_waitcnt vmcnt(30) lgkmcnt(14)
	v_mul_f64 v[0:1], v[196:197], v[82:83]
	s_waitcnt vmcnt(29)
	v_mul_f64 v[140:141], v[200:201], v[86:87]
	v_fmac_f64_e32 v[0:1], v[198:199], v[80:81]
	s_waitcnt vmcnt(28)
	v_mul_f64 v[142:143], v[204:205], v[90:91]
	v_fmac_f64_e32 v[140:141], v[202:203], v[84:85]
	v_add_f64 v[0:1], v[0:1], 0
	s_waitcnt vmcnt(27)
	v_mul_f64 v[152:153], v[208:209], v[94:95]
	v_fmac_f64_e32 v[142:143], v[206:207], v[88:89]
	v_add_f64 v[0:1], v[0:1], v[140:141]
	;; [unrolled: 4-line block ×4, first 2 shown]
	s_waitcnt vmcnt(24) lgkmcnt(13)
	v_mul_f64 v[162:163], v[220:221], v[106:107]
	v_fmac_f64_e32 v[160:161], v[218:219], v[100:101]
	v_add_f64 v[0:1], v[0:1], v[154:155]
	s_waitcnt vmcnt(23) lgkmcnt(12)
	v_mul_f64 v[164:165], v[224:225], v[110:111]
	v_fmac_f64_e32 v[162:163], v[222:223], v[104:105]
	v_add_f64 v[0:1], v[0:1], v[160:161]
	;; [unrolled: 4-line block ×9, first 2 shown]
	v_fmac_f64_e32 v[178:179], v[138:139], v[16:17]
	v_add_f64 v[0:1], v[0:1], v[176:177]
	scratch_load_dwordx4 v[140:143], off, off offset:864
	v_add_f64 v[0:1], v[0:1], v[178:179]
	ds_read_b128 v[176:179], v2 offset:1600
	s_waitcnt vmcnt(16) lgkmcnt(5)
	v_mul_f64 v[180:181], v[132:133], v[22:23]
	v_fmac_f64_e32 v[180:181], v[134:135], v[20:21]
	s_waitcnt vmcnt(15) lgkmcnt(4)
	v_mul_f64 v[152:153], v[128:129], v[26:27]
	v_add_f64 v[0:1], v[0:1], v[180:181]
	v_fmac_f64_e32 v[152:153], v[130:131], v[24:25]
	v_add_f64 v[0:1], v[0:1], v[152:153]
	ds_read_b128 v[180:183], v2 offset:1616
	s_waitcnt vmcnt(14) lgkmcnt(1)
	v_mul_f64 v[160:161], v[176:177], v[30:31]
	scratch_load_dwordx4 v[152:155], off, off offset:880
	v_fmac_f64_e32 v[160:161], v[178:179], v[28:29]
	v_add_f64 v[0:1], v[0:1], v[160:161]
	scratch_load_dwordx4 v[160:163], off, off offset:896
	s_waitcnt vmcnt(15) lgkmcnt(0)
	v_mul_f64 v[164:165], v[180:181], v[34:35]
	v_fmac_f64_e32 v[164:165], v[182:183], v[32:33]
	v_add_f64 v[0:1], v[0:1], v[164:165]
	s_waitcnt vmcnt(14)
	v_mul_f64 v[168:169], v[184:185], v[38:39]
	scratch_load_dwordx4 v[164:167], off, off offset:912
	v_fmac_f64_e32 v[168:169], v[186:187], v[36:37]
	v_add_f64 v[0:1], v[0:1], v[168:169]
	s_waitcnt vmcnt(14)
	v_mul_f64 v[168:169], v[188:189], v[42:43]
	scratch_load_dwordx4 v[172:175], off, off offset:928
	v_fmac_f64_e32 v[168:169], v[190:191], v[40:41]
	v_add_f64 v[0:1], v[0:1], v[168:169]
	scratch_load_dwordx4 v[168:171], off, off offset:944
	v_mul_f64 v[82:83], v[198:199], v[82:83]
	v_fma_f64 v[240:241], v[196:197], v[80:81], -v[82:83]
	ds_read_b128 v[196:199], v2 offset:1680
	s_waitcnt vmcnt(15)
	v_mul_f64 v[80:81], v[192:193], v[46:47]
	v_fmac_f64_e32 v[80:81], v[194:195], v[44:45]
	v_add_f64 v[0:1], v[0:1], v[80:81]
	v_mul_f64 v[80:81], v[202:203], v[86:87]
	v_fma_f64 v[250:251], v[200:201], v[84:85], -v[80:81]
	scratch_load_dwordx4 v[80:83], off, off offset:960
	ds_read_b128 v[84:87], v2 offset:1696
	v_mul_f64 v[90:91], v[206:207], v[90:91]
	v_fma_f64 v[252:253], v[204:205], v[88:89], -v[90:91]
	ds_read_b128 v[88:91], v2 offset:1712
	s_waitcnt vmcnt(15) lgkmcnt(2)
	v_mul_f64 v[200:201], v[196:197], v[50:51]
	v_fmac_f64_e32 v[200:201], v[198:199], v[48:49]
	v_add_f64 v[0:1], v[0:1], v[200:201]
	s_waitcnt vmcnt(14) lgkmcnt(1)
	v_mul_f64 v[200:201], v[84:85], v[54:55]
	v_fmac_f64_e32 v[200:201], v[86:87], v[52:53]
	v_mul_f64 v[94:95], v[210:211], v[94:95]
	v_add_f64 v[0:1], v[0:1], v[200:201]
	s_waitcnt vmcnt(13) lgkmcnt(0)
	v_mul_f64 v[200:201], v[88:89], v[58:59]
	v_fma_f64 v[232:233], v[208:209], v[92:93], -v[94:95]
	ds_read_b128 v[92:95], v2 offset:1728
	v_fmac_f64_e32 v[200:201], v[90:91], v[56:57]
	v_add_f64 v[0:1], v[0:1], v[200:201]
	ds_read_b128 v[200:203], v2 offset:1744
	v_accvgpr_write_b32 a127, v7
	s_waitcnt vmcnt(12) lgkmcnt(1)
	v_mul_f64 v[204:205], v[92:93], v[62:63]
	v_accvgpr_write_b32 a126, v6
	v_accvgpr_write_b32 a125, v5
	;; [unrolled: 1-line block ×3, first 2 shown]
	v_fmac_f64_e32 v[204:205], v[94:95], v[60:61]
	v_mul_f64 v[98:99], v[214:215], v[98:99]
	s_waitcnt vmcnt(11) lgkmcnt(0)
	v_mul_f64 v[6:7], v[200:201], v[66:67]
	v_add_f64 v[0:1], v[0:1], v[204:205]
	v_fma_f64 v[8:9], v[212:213], v[96:97], -v[98:99]
	ds_read_b128 v[96:99], v2 offset:1760
	v_fmac_f64_e32 v[6:7], v[202:203], v[64:65]
	v_add_f64 v[0:1], v[0:1], v[6:7]
	v_mul_f64 v[6:7], v[218:219], v[102:103]
	v_fma_f64 v[4:5], v[216:217], v[100:101], -v[6:7]
	ds_read_b128 v[100:103], v2 offset:1776
	s_waitcnt vmcnt(10) lgkmcnt(1)
	v_mul_f64 v[6:7], v[96:97], v[70:71]
	v_fmac_f64_e32 v[6:7], v[98:99], v[68:69]
	v_add_f64 v[0:1], v[0:1], v[6:7]
	ds_read_b128 v[204:207], v2 offset:1792
	s_waitcnt vmcnt(9) lgkmcnt(1)
	v_mul_f64 v[6:7], v[100:101], v[74:75]
	v_fmac_f64_e32 v[6:7], v[102:103], v[72:73]
	v_add_f64 v[0:1], v[0:1], v[6:7]
	v_mul_f64 v[6:7], v[222:223], v[106:107]
	v_fma_f64 v[10:11], v[220:221], v[104:105], -v[6:7]
	ds_read_b128 v[104:107], v2 offset:1808
	v_mul_f64 v[6:7], v[226:227], v[110:111]
	v_fma_f64 v[6:7], v[224:225], v[108:109], -v[6:7]
	ds_read_b128 v[108:111], v2 offset:1824
	s_waitcnt vmcnt(8) lgkmcnt(2)
	v_mul_f64 v[208:209], v[204:205], v[78:79]
	v_fmac_f64_e32 v[208:209], v[206:207], v[76:77]
	v_add_f64 v[0:1], v[0:1], v[208:209]
	s_waitcnt vmcnt(7) lgkmcnt(1)
	v_mul_f64 v[208:209], v[104:105], v[126:127]
	v_fmac_f64_e32 v[208:209], v[106:107], v[124:125]
	v_add_f64 v[0:1], v[0:1], v[208:209]
	ds_read_b128 v[208:211], v2 offset:1840
	s_waitcnt vmcnt(6) lgkmcnt(1)
	v_mul_f64 v[212:213], v[108:109], v[142:143]
	v_fmac_f64_e32 v[212:213], v[110:111], v[140:141]
	v_add_f64 v[212:213], v[0:1], v[212:213]
	v_mul_f64 v[0:1], v[230:231], v[114:115]
	v_fma_f64 v[0:1], v[228:229], v[112:113], -v[0:1]
	ds_read_b128 v[112:115], v2 offset:1856
	s_waitcnt vmcnt(5) lgkmcnt(1)
	v_mul_f64 v[214:215], v[208:209], v[154:155]
	v_fmac_f64_e32 v[214:215], v[210:211], v[152:153]
	v_mul_f64 v[118:119], v[244:245], v[118:119]
	v_add_f64 v[212:213], v[212:213], v[214:215]
	v_fma_f64 v[238:239], v[242:243], v[116:117], -v[118:119]
	ds_read_b128 v[116:119], v2 offset:1872
	s_waitcnt vmcnt(4) lgkmcnt(1)
	v_mul_f64 v[214:215], v[112:113], v[162:163]
	v_fmac_f64_e32 v[214:215], v[114:115], v[160:161]
	v_add_f64 v[216:217], v[212:213], v[214:215]
	ds_read_b128 v[212:215], v2 offset:1888
	v_mul_f64 v[122:123], v[248:249], v[122:123]
	v_fma_f64 v[242:243], v[246:247], v[120:121], -v[122:123]
	ds_read_b128 v[120:123], v2 offset:1904
	s_waitcnt vmcnt(3) lgkmcnt(2)
	v_mul_f64 v[218:219], v[116:117], v[166:167]
	v_fmac_f64_e32 v[218:219], v[118:119], v[164:165]
	v_add_f64 v[216:217], v[216:217], v[218:219]
	s_waitcnt vmcnt(2) lgkmcnt(1)
	v_mul_f64 v[218:219], v[212:213], v[174:175]
	v_fmac_f64_e32 v[218:219], v[214:215], v[172:173]
	v_add_f64 v[216:217], v[216:217], v[218:219]
	;; [unrolled: 4-line block ×3, first 2 shown]
	ds_read_b128 v[216:219], v2 offset:1920
	ds_read_b128 v[224:227], v2 offset:1936
	s_waitcnt vmcnt(0) lgkmcnt(1)
	v_mul_f64 v[222:223], v[216:217], v[82:83]
	v_fmac_f64_e32 v[222:223], v[218:219], v[80:81]
	v_add_f64 v[228:229], v[220:221], v[222:223]
	scratch_load_dwordx4 v[220:223], off, off offset:976
	s_waitcnt vmcnt(0) lgkmcnt(0)
	v_mul_f64 v[230:231], v[224:225], v[222:223]
	v_fmac_f64_e32 v[230:231], v[226:227], v[220:221]
	v_add_f64 v[246:247], v[228:229], v[230:231]
	v_add_f64 v[228:229], v[240:241], 0
	;; [unrolled: 1-line block ×6, first 2 shown]
	scratch_load_dwordx4 v[228:231], off, off offset:352
	v_add_f64 v[4:5], v[8:9], v[4:5]
	v_add_f64 v[244:245], v[4:5], v[10:11]
	;; [unrolled: 1-line block ×3, first 2 shown]
	v_accvgpr_read_b32 v6, a124
	v_add_f64 v[0:1], v[4:5], v[0:1]
	v_accvgpr_read_b32 v8, a126
	v_accvgpr_read_b32 v9, a127
	v_add_f64 v[0:1], v[0:1], v[238:239]
	v_accvgpr_read_b32 v7, a125
	v_mul_f64 v[4:5], v[158:159], v[8:9]
	v_add_f64 v[0:1], v[0:1], v[242:243]
	v_fma_f64 v[4:5], v[156:157], v[6:7], -v[4:5]
	v_add_f64 v[0:1], v[0:1], v[4:5]
	v_mul_f64 v[4:5], v[150:151], v[236:237]
	v_fma_f64 v[4:5], v[148:149], v[234:235], -v[4:5]
	v_add_f64 v[0:1], v[0:1], v[4:5]
	v_mul_f64 v[4:5], v[146:147], v[14:15]
	;; [unrolled: 3-line block ×27, first 2 shown]
	v_fma_f64 v[4:5], v[224:225], v[220:221], -v[4:5]
	v_add_f64 v[0:1], v[0:1], v[4:5]
	s_waitcnt vmcnt(0)
	v_add_f64 v[4:5], v[228:229], -v[0:1]
	v_add_f64 v[6:7], v[230:231], -v[246:247]
	scratch_store_dwordx4 off, v[4:7], off offset:352
	s_and_saveexec_b64 s[0:1], vcc
	s_cbranch_execz .LBB124_351
; %bb.350:
	scratch_load_dwordx4 v[6:9], off, s67
	v_mov_b32_e32 v3, v2
	v_mov_b32_e32 v4, v2
	;; [unrolled: 1-line block ×3, first 2 shown]
	v_accvgpr_read_b32 v0, a1
	scratch_store_dwordx4 off, v[2:5], off offset:336
	s_waitcnt vmcnt(1)
	ds_write_b128 v0, v[6:9]
.LBB124_351:
	s_or_b64 exec, exec, s[0:1]
	s_waitcnt lgkmcnt(0)
	; wave barrier
	scratch_load_dwordx4 v[132:135], off, off offset:352
	scratch_load_dwordx4 v[160:163], off, off offset:368
	;; [unrolled: 1-line block ×16, first 2 shown]
	ds_read_b128 v[156:159], v2 offset:1312
	ds_read_b128 v[172:175], v2 offset:1328
	scratch_load_dwordx4 v[24:27], off, off offset:608
	ds_read_b128 v[232:235], v2 offset:1344
	ds_read_b128 v[228:231], v2 offset:1360
	scratch_load_dwordx4 v[28:31], off, off offset:624
	ds_read_b128 v[236:239], v2 offset:1376
	ds_read_b128 v[184:187], v2 offset:1392
	;; [unrolled: 1-line block ×5, first 2 shown]
	scratch_load_dwordx4 v[32:35], off, off offset:640
	ds_read_b128 v[220:223], v2 offset:1456
	ds_read_b128 v[216:219], v2 offset:1472
	;; [unrolled: 1-line block ×3, first 2 shown]
	scratch_load_dwordx4 v[36:39], off, off offset:656
	ds_read_b128 v[64:67], v2 offset:1504
	ds_read_b128 v[60:63], v2 offset:1520
	ds_read_b128 v[56:59], v2 offset:1536
	ds_read_b128 v[48:51], v2 offset:1552
	ds_read_b128 v[44:47], v2 offset:1568
	scratch_load_dwordx4 v[52:55], off, off offset:672
	scratch_load_dwordx4 v[68:71], off, off offset:688
	;; [unrolled: 1-line block ×11, first 2 shown]
	ds_read_b128 v[144:147], v2 offset:1616
	ds_read_b128 v[148:151], v2 offset:1632
	;; [unrolled: 1-line block ×3, first 2 shown]
	v_cmp_lt_u32_e32 vcc, 19, v254
	s_waitcnt vmcnt(30) lgkmcnt(14)
	v_mul_f64 v[0:1], v[156:157], v[134:135]
	s_waitcnt vmcnt(29)
	v_mul_f64 v[108:109], v[172:173], v[162:163]
	v_fmac_f64_e32 v[0:1], v[158:159], v[132:133]
	s_waitcnt vmcnt(28)
	v_mul_f64 v[110:111], v[232:233], v[166:167]
	v_fmac_f64_e32 v[108:109], v[174:175], v[160:161]
	v_add_f64 v[0:1], v[0:1], 0
	s_waitcnt vmcnt(27)
	v_mul_f64 v[112:113], v[228:229], v[170:171]
	v_fmac_f64_e32 v[110:111], v[234:235], v[164:165]
	v_add_f64 v[0:1], v[0:1], v[108:109]
	;; [unrolled: 4-line block ×4, first 2 shown]
	s_waitcnt vmcnt(24) lgkmcnt(13)
	v_mul_f64 v[118:119], v[224:225], v[190:191]
	v_fmac_f64_e32 v[116:117], v[186:187], v[180:181]
	v_add_f64 v[0:1], v[0:1], v[114:115]
	s_waitcnt vmcnt(23) lgkmcnt(12)
	v_mul_f64 v[120:121], v[196:197], v[194:195]
	v_fmac_f64_e32 v[118:119], v[226:227], v[188:189]
	v_add_f64 v[0:1], v[0:1], v[116:117]
	s_waitcnt vmcnt(22) lgkmcnt(11)
	v_mul_f64 v[122:123], v[208:209], v[202:203]
	v_fmac_f64_e32 v[120:121], v[198:199], v[192:193]
	v_add_f64 v[0:1], v[0:1], v[118:119]
	s_waitcnt vmcnt(21) lgkmcnt(10)
	v_mul_f64 v[124:125], v[220:221], v[206:207]
	v_fmac_f64_e32 v[122:123], v[210:211], v[200:201]
	v_add_f64 v[0:1], v[0:1], v[120:121]
	s_waitcnt vmcnt(20) lgkmcnt(9)
	v_mul_f64 v[126:127], v[216:217], v[214:215]
	v_fmac_f64_e32 v[124:125], v[222:223], v[204:205]
	v_add_f64 v[0:1], v[0:1], v[122:123]
	s_waitcnt vmcnt(19) lgkmcnt(8)
	v_mul_f64 v[128:129], v[40:41], v[6:7]
	v_fmac_f64_e32 v[126:127], v[218:219], v[212:213]
	v_add_f64 v[0:1], v[0:1], v[124:125]
	s_waitcnt vmcnt(18) lgkmcnt(7)
	v_mul_f64 v[130:131], v[64:65], v[10:11]
	v_fmac_f64_e32 v[128:129], v[42:43], v[4:5]
	v_add_f64 v[0:1], v[0:1], v[126:127]
	s_waitcnt vmcnt(17) lgkmcnt(6)
	v_mul_f64 v[136:137], v[60:61], v[14:15]
	v_fmac_f64_e32 v[130:131], v[66:67], v[8:9]
	v_add_f64 v[0:1], v[0:1], v[128:129]
	s_waitcnt vmcnt(16) lgkmcnt(5)
	v_mul_f64 v[138:139], v[56:57], v[18:19]
	v_fmac_f64_e32 v[136:137], v[62:63], v[12:13]
	v_add_f64 v[0:1], v[0:1], v[130:131]
	v_fmac_f64_e32 v[138:139], v[58:59], v[16:17]
	v_add_f64 v[0:1], v[0:1], v[136:137]
	v_add_f64 v[0:1], v[0:1], v[138:139]
	ds_read_b128 v[136:139], v2 offset:1584
	s_waitcnt vmcnt(15) lgkmcnt(5)
	v_mul_f64 v[140:141], v[48:49], v[22:23]
	v_fmac_f64_e32 v[140:141], v[50:51], v[20:21]
	s_waitcnt vmcnt(14) lgkmcnt(4)
	v_mul_f64 v[112:113], v[44:45], v[26:27]
	scratch_load_dwordx4 v[108:111], off, off offset:848
	v_add_f64 v[0:1], v[0:1], v[140:141]
	v_fmac_f64_e32 v[112:113], v[46:47], v[24:25]
	v_add_f64 v[0:1], v[0:1], v[112:113]
	scratch_load_dwordx4 v[112:115], off, off offset:864
	ds_read_b128 v[140:143], v2 offset:1600
	s_waitcnt vmcnt(15) lgkmcnt(1)
	v_mul_f64 v[116:117], v[136:137], v[30:31]
	v_fmac_f64_e32 v[116:117], v[138:139], v[28:29]
	v_add_f64 v[0:1], v[0:1], v[116:117]
	scratch_load_dwordx4 v[116:119], off, off offset:880
	s_waitcnt vmcnt(15) lgkmcnt(0)
	v_mul_f64 v[120:121], v[140:141], v[34:35]
	v_fmac_f64_e32 v[120:121], v[142:143], v[32:33]
	v_add_f64 v[0:1], v[0:1], v[120:121]
	s_waitcnt vmcnt(14)
	v_mul_f64 v[124:125], v[144:145], v[38:39]
	scratch_load_dwordx4 v[120:123], off, off offset:896
	v_fmac_f64_e32 v[124:125], v[146:147], v[36:37]
	v_add_f64 v[0:1], v[0:1], v[124:125]
	s_waitcnt vmcnt(14)
	v_mul_f64 v[124:125], v[148:149], v[54:55]
	scratch_load_dwordx4 v[128:131], off, off offset:912
	v_fmac_f64_e32 v[124:125], v[150:151], v[52:53]
	v_add_f64 v[0:1], v[0:1], v[124:125]
	scratch_load_dwordx4 v[124:127], off, off offset:928
	v_mul_f64 v[134:135], v[158:159], v[134:135]
	v_fma_f64 v[240:241], v[156:157], v[132:133], -v[134:135]
	ds_read_b128 v[156:159], v2 offset:1664
	s_waitcnt vmcnt(15)
	v_mul_f64 v[132:133], v[152:153], v[70:71]
	v_fmac_f64_e32 v[132:133], v[154:155], v[68:69]
	v_add_f64 v[0:1], v[0:1], v[132:133]
	v_mul_f64 v[132:133], v[174:175], v[162:163]
	v_fma_f64 v[246:247], v[172:173], v[160:161], -v[132:133]
	scratch_load_dwordx4 v[132:135], off, off offset:944
	ds_read_b128 v[160:163], v2 offset:1680
	v_mul_f64 v[166:167], v[234:235], v[166:167]
	v_fma_f64 v[248:249], v[232:233], v[164:165], -v[166:167]
	ds_read_b128 v[164:167], v2 offset:1696
	s_waitcnt vmcnt(15) lgkmcnt(2)
	v_mul_f64 v[172:173], v[156:157], v[74:75]
	v_fmac_f64_e32 v[172:173], v[158:159], v[72:73]
	v_add_f64 v[0:1], v[0:1], v[172:173]
	s_waitcnt vmcnt(14) lgkmcnt(1)
	v_mul_f64 v[172:173], v[160:161], v[78:79]
	v_fmac_f64_e32 v[172:173], v[162:163], v[76:77]
	v_mul_f64 v[170:171], v[230:231], v[170:171]
	v_fma_f64 v[250:251], v[228:229], v[168:169], -v[170:171]
	ds_read_b128 v[168:171], v2 offset:1712
	v_add_f64 v[0:1], v[0:1], v[172:173]
	s_waitcnt vmcnt(13) lgkmcnt(1)
	v_mul_f64 v[172:173], v[164:165], v[82:83]
	v_fmac_f64_e32 v[172:173], v[166:167], v[80:81]
	v_add_f64 v[0:1], v[0:1], v[172:173]
	ds_read_b128 v[172:175], v2 offset:1728
	v_mul_f64 v[178:179], v[238:239], v[178:179]
	v_fma_f64 v[236:237], v[236:237], v[176:177], -v[178:179]
	ds_read_b128 v[176:179], v2 offset:1744
	s_waitcnt vmcnt(12) lgkmcnt(2)
	v_mul_f64 v[228:229], v[168:169], v[86:87]
	v_fmac_f64_e32 v[228:229], v[170:171], v[84:85]
	v_add_f64 v[0:1], v[0:1], v[228:229]
	s_waitcnt vmcnt(11) lgkmcnt(1)
	v_mul_f64 v[228:229], v[172:173], v[90:91]
	v_mul_f64 v[182:183], v[186:187], v[182:183]
	v_fmac_f64_e32 v[228:229], v[174:175], v[88:89]
	v_fma_f64 v[238:239], v[184:185], v[180:181], -v[182:183]
	ds_read_b128 v[180:183], v2 offset:1760
	s_waitcnt vmcnt(10) lgkmcnt(1)
	v_mul_f64 v[184:185], v[176:177], v[94:95]
	v_add_f64 v[0:1], v[0:1], v[228:229]
	v_fmac_f64_e32 v[184:185], v[178:179], v[92:93]
	v_add_f64 v[0:1], v[0:1], v[184:185]
	ds_read_b128 v[184:187], v2 offset:1776
	v_mul_f64 v[190:191], v[226:227], v[190:191]
	v_fma_f64 v[252:253], v[224:225], v[188:189], -v[190:191]
	ds_read_b128 v[188:191], v2 offset:1792
	s_waitcnt vmcnt(9) lgkmcnt(2)
	v_mul_f64 v[228:229], v[180:181], v[98:99]
	v_fmac_f64_e32 v[228:229], v[182:183], v[96:97]
	s_waitcnt vmcnt(8) lgkmcnt(1)
	v_mul_f64 v[224:225], v[184:185], v[102:103]
	v_mul_f64 v[194:195], v[198:199], v[194:195]
	v_add_f64 v[0:1], v[0:1], v[228:229]
	v_fmac_f64_e32 v[224:225], v[186:187], v[100:101]
	v_fma_f64 v[242:243], v[196:197], v[192:193], -v[194:195]
	s_waitcnt vmcnt(7) lgkmcnt(0)
	v_mul_f64 v[196:197], v[188:189], v[106:107]
	ds_read_b128 v[192:195], v2 offset:1808
	v_add_f64 v[0:1], v[0:1], v[224:225]
	v_fmac_f64_e32 v[196:197], v[190:191], v[104:105]
	v_add_f64 v[0:1], v[0:1], v[196:197]
	ds_read_b128 v[196:199], v2 offset:1824
	v_accvgpr_write_b32 a127, v7
	v_mul_f64 v[202:203], v[210:211], v[202:203]
	v_accvgpr_write_b32 a126, v6
	v_accvgpr_write_b32 a125, v5
	;; [unrolled: 1-line block ×3, first 2 shown]
	v_fma_f64 v[4:5], v[208:209], v[200:201], -v[202:203]
	ds_read_b128 v[200:203], v2 offset:1840
	s_waitcnt vmcnt(6) lgkmcnt(2)
	v_mul_f64 v[224:225], v[192:193], v[110:111]
	v_fmac_f64_e32 v[224:225], v[194:195], v[108:109]
	s_waitcnt vmcnt(5) lgkmcnt(1)
	v_mul_f64 v[6:7], v[196:197], v[114:115]
	v_add_f64 v[0:1], v[0:1], v[224:225]
	v_fmac_f64_e32 v[6:7], v[198:199], v[112:113]
	v_add_f64 v[6:7], v[0:1], v[6:7]
	v_mul_f64 v[0:1], v[222:223], v[206:207]
	v_fma_f64 v[0:1], v[220:221], v[204:205], -v[0:1]
	ds_read_b128 v[204:207], v2 offset:1856
	s_waitcnt vmcnt(4) lgkmcnt(1)
	v_mul_f64 v[208:209], v[200:201], v[118:119]
	v_fmac_f64_e32 v[208:209], v[202:203], v[116:117]
	v_add_f64 v[6:7], v[6:7], v[208:209]
	ds_read_b128 v[208:211], v2 offset:1872
	v_mul_f64 v[214:215], v[218:219], v[214:215]
	v_fma_f64 v[244:245], v[216:217], v[212:213], -v[214:215]
	ds_read_b128 v[212:215], v2 offset:1888
	s_waitcnt vmcnt(3) lgkmcnt(2)
	v_mul_f64 v[216:217], v[204:205], v[122:123]
	v_fmac_f64_e32 v[216:217], v[206:207], v[120:121]
	v_add_f64 v[6:7], v[6:7], v[216:217]
	s_waitcnt vmcnt(2) lgkmcnt(1)
	v_mul_f64 v[216:217], v[208:209], v[130:131]
	v_fmac_f64_e32 v[216:217], v[210:211], v[128:129]
	v_add_f64 v[6:7], v[6:7], v[216:217]
	;; [unrolled: 4-line block ×3, first 2 shown]
	ds_read_b128 v[216:219], v2 offset:1904
	ds_read_b128 v[224:227], v2 offset:1920
	scratch_load_dwordx4 v[232:235], off, off offset:976
	s_waitcnt vmcnt(1) lgkmcnt(1)
	v_mul_f64 v[220:221], v[216:217], v[134:135]
	v_fmac_f64_e32 v[220:221], v[218:219], v[132:133]
	v_add_f64 v[6:7], v[6:7], v[220:221]
	scratch_load_dwordx4 v[220:223], off, off offset:960
	s_waitcnt vmcnt(0) lgkmcnt(0)
	v_mul_f64 v[228:229], v[224:225], v[222:223]
	v_fmac_f64_e32 v[228:229], v[226:227], v[220:221]
	v_add_f64 v[6:7], v[6:7], v[228:229]
	ds_read_b128 v[228:231], v2 offset:1936
	s_waitcnt lgkmcnt(0)
	v_mul_f64 v[2:3], v[228:229], v[234:235]
	v_fmac_f64_e32 v[2:3], v[230:231], v[232:233]
	v_add_f64 v[2:3], v[6:7], v[2:3]
	v_add_f64 v[6:7], v[240:241], 0
	;; [unrolled: 1-line block ×7, first 2 shown]
	scratch_load_dwordx4 v[236:239], off, off offset:336
	v_add_f64 v[6:7], v[6:7], v[252:253]
	v_add_f64 v[6:7], v[6:7], v[242:243]
	v_accvgpr_read_b32 v243, a127
	v_add_f64 v[246:247], v[6:7], v[4:5]
	v_accvgpr_read_b32 v242, a126
	;; [unrolled: 2-line block ×3, first 2 shown]
	v_accvgpr_read_b32 v240, a124
	v_mul_f64 v[4:5], v[42:43], v[242:243]
	v_add_f64 v[0:1], v[0:1], v[244:245]
	v_fma_f64 v[4:5], v[40:41], v[240:241], -v[4:5]
	v_add_f64 v[0:1], v[0:1], v[4:5]
	v_mul_f64 v[4:5], v[66:67], v[10:11]
	v_fma_f64 v[4:5], v[64:65], v[8:9], -v[4:5]
	v_add_f64 v[0:1], v[0:1], v[4:5]
	v_mul_f64 v[4:5], v[62:63], v[14:15]
	;; [unrolled: 3-line block ×28, first 2 shown]
	v_fma_f64 v[4:5], v[228:229], v[232:233], -v[4:5]
	v_add_f64 v[0:1], v[0:1], v[4:5]
	s_waitcnt vmcnt(0)
	v_add_f64 v[4:5], v[236:237], -v[0:1]
	v_add_f64 v[6:7], v[238:239], -v[2:3]
	scratch_store_dwordx4 off, v[4:7], off offset:336
	s_and_saveexec_b64 s[0:1], vcc
	s_cbranch_execz .LBB124_353
; %bb.352:
	scratch_load_dwordx4 v[2:5], off, s68
	v_mov_b32_e32 v6, 0
	v_mov_b32_e32 v7, v6
	;; [unrolled: 1-line block ×4, first 2 shown]
	v_accvgpr_read_b32 v0, a1
	scratch_store_dwordx4 off, v[6:9], off offset:320
	s_waitcnt vmcnt(1)
	ds_write_b128 v0, v[2:5]
.LBB124_353:
	s_or_b64 exec, exec, s[0:1]
	s_waitcnt lgkmcnt(0)
	; wave barrier
	scratch_load_dwordx4 v[112:115], off, off offset:336
	scratch_load_dwordx4 v[116:119], off, off offset:352
	scratch_load_dwordx4 v[120:123], off, off offset:368
	scratch_load_dwordx4 v[152:155], off, off offset:384
	scratch_load_dwordx4 v[160:163], off, off offset:400
	scratch_load_dwordx4 v[164:167], off, off offset:416
	scratch_load_dwordx4 v[172:175], off, off offset:432
	scratch_load_dwordx4 v[176:179], off, off offset:448
	scratch_load_dwordx4 v[184:187], off, off offset:464
	scratch_load_dwordx4 v[188:191], off, off offset:480
	scratch_load_dwordx4 v[196:199], off, off offset:496
	scratch_load_dwordx4 v[200:203], off, off offset:512
	scratch_load_dwordx4 v[208:211], off, off offset:528
	scratch_load_dwordx4 v[4:7], off, off offset:544
	scratch_load_dwordx4 v[8:11], off, off offset:560
	scratch_load_dwordx4 v[234:237], off, off offset:576
	scratch_load_dwordx4 v[16:19], off, off offset:592
	scratch_load_dwordx4 v[20:23], off, off offset:608
	scratch_load_dwordx4 v[24:27], off, off offset:624
	scratch_load_dwordx4 v[28:31], off, off offset:640
	scratch_load_dwordx4 v[32:35], off, off offset:656
	scratch_load_dwordx4 v[36:39], off, off offset:672
	scratch_load_dwordx4 v[40:43], off, off offset:688
	scratch_load_dwordx4 v[44:47], off, off offset:704
	scratch_load_dwordx4 v[48:51], off, off offset:720
	scratch_load_dwordx4 v[52:55], off, off offset:736
	scratch_load_dwordx4 v[56:59], off, off offset:752
	scratch_load_dwordx4 v[60:63], off, off offset:768
	scratch_load_dwordx4 v[64:67], off, off offset:784
	scratch_load_dwordx4 v[68:71], off, off offset:800
	v_mov_b32_e32 v2, 0
	ds_read_b128 v[144:147], v2 offset:1296
	ds_read_b128 v[156:159], v2 offset:1312
	ds_read_b128 v[168:171], v2 offset:1328
	ds_read_b128 v[180:183], v2 offset:1344
	ds_read_b128 v[192:195], v2 offset:1360
	ds_read_b128 v[204:207], v2 offset:1376
	ds_read_b128 v[212:215], v2 offset:1392
	ds_read_b128 v[216:219], v2 offset:1408
	ds_read_b128 v[220:223], v2 offset:1424
	ds_read_b128 v[224:227], v2 offset:1440
	ds_read_b128 v[228:231], v2 offset:1456
	ds_read_b128 v[242:245], v2 offset:1472
	ds_read_b128 v[246:249], v2 offset:1488
	ds_read_b128 v[84:87], v2 offset:1504
	ds_read_b128 v[80:83], v2 offset:1520
	ds_read_b128 v[76:79], v2 offset:1536
	ds_read_b128 v[72:75], v2 offset:1552
	ds_read_b128 v[132:135], v2 offset:1600
	ds_read_b128 v[136:139], v2 offset:1616
	ds_read_b128 v[140:143], v2 offset:1632
	v_cmp_lt_u32_e32 vcc, 18, v254
	s_waitcnt vmcnt(29) lgkmcnt(14)
	v_mul_f64 v[0:1], v[144:145], v[114:115]
	s_waitcnt vmcnt(28)
	v_mul_f64 v[88:89], v[156:157], v[118:119]
	v_fmac_f64_e32 v[0:1], v[146:147], v[112:113]
	s_waitcnt vmcnt(27)
	v_mul_f64 v[90:91], v[168:169], v[122:123]
	v_fmac_f64_e32 v[88:89], v[158:159], v[116:117]
	v_add_f64 v[0:1], v[0:1], 0
	s_waitcnt vmcnt(26)
	v_mul_f64 v[92:93], v[180:181], v[154:155]
	v_fmac_f64_e32 v[90:91], v[170:171], v[120:121]
	v_add_f64 v[0:1], v[0:1], v[88:89]
	;; [unrolled: 4-line block ×4, first 2 shown]
	s_waitcnt vmcnt(23) lgkmcnt(13)
	v_mul_f64 v[98:99], v[212:213], v[174:175]
	v_fmac_f64_e32 v[96:97], v[206:207], v[164:165]
	v_add_f64 v[0:1], v[0:1], v[94:95]
	s_waitcnt vmcnt(22) lgkmcnt(12)
	v_mul_f64 v[100:101], v[216:217], v[178:179]
	v_fmac_f64_e32 v[98:99], v[214:215], v[172:173]
	v_add_f64 v[0:1], v[0:1], v[96:97]
	;; [unrolled: 4-line block ×9, first 2 shown]
	v_fmac_f64_e32 v[126:127], v[82:83], v[8:9]
	v_add_f64 v[0:1], v[0:1], v[124:125]
	scratch_load_dwordx4 v[88:91], off, off offset:816
	s_waitcnt vmcnt(15) lgkmcnt(4)
	v_mul_f64 v[128:129], v[76:77], v[236:237]
	v_add_f64 v[0:1], v[0:1], v[126:127]
	ds_read_b128 v[124:127], v2 offset:1568
	v_fmac_f64_e32 v[128:129], v[78:79], v[234:235]
	v_add_f64 v[0:1], v[0:1], v[128:129]
	ds_read_b128 v[128:131], v2 offset:1584
	s_waitcnt vmcnt(14) lgkmcnt(5)
	v_mul_f64 v[92:93], v[72:73], v[18:19]
	v_fmac_f64_e32 v[92:93], v[74:75], v[16:17]
	v_add_f64 v[0:1], v[0:1], v[92:93]
	s_waitcnt vmcnt(13) lgkmcnt(1)
	v_mul_f64 v[96:97], v[124:125], v[22:23]
	scratch_load_dwordx4 v[92:95], off, off offset:832
	v_fmac_f64_e32 v[96:97], v[126:127], v[20:21]
	v_add_f64 v[0:1], v[0:1], v[96:97]
	s_waitcnt vmcnt(13) lgkmcnt(0)
	v_mul_f64 v[100:101], v[128:129], v[26:27]
	scratch_load_dwordx4 v[96:99], off, off offset:848
	v_fmac_f64_e32 v[100:101], v[130:131], v[24:25]
	v_add_f64 v[0:1], v[0:1], v[100:101]
	scratch_load_dwordx4 v[100:103], off, off offset:864
	s_waitcnt vmcnt(14)
	v_mul_f64 v[104:105], v[132:133], v[30:31]
	v_fmac_f64_e32 v[104:105], v[134:135], v[28:29]
	v_add_f64 v[0:1], v[0:1], v[104:105]
	s_waitcnt vmcnt(13)
	v_mul_f64 v[104:105], v[136:137], v[34:35]
	v_fmac_f64_e32 v[104:105], v[138:139], v[32:33]
	v_add_f64 v[0:1], v[0:1], v[104:105]
	scratch_load_dwordx4 v[104:107], off, off offset:880
	s_waitcnt vmcnt(13)
	v_mul_f64 v[108:109], v[140:141], v[38:39]
	v_fmac_f64_e32 v[108:109], v[142:143], v[36:37]
	v_add_f64 v[0:1], v[0:1], v[108:109]
	scratch_load_dwordx4 v[108:111], off, off offset:896
	v_mul_f64 v[114:115], v[146:147], v[114:115]
	v_fma_f64 v[240:241], v[144:145], v[112:113], -v[114:115]
	v_mul_f64 v[112:113], v[158:159], v[118:119]
	ds_read_b128 v[148:151], v2 offset:1648
	ds_read_b128 v[144:147], v2 offset:1664
	v_fma_f64 v[250:251], v[156:157], v[116:117], -v[112:113]
	scratch_load_dwordx4 v[116:119], off, off offset:912
	scratch_load_dwordx4 v[112:115], off, off offset:928
	v_mul_f64 v[122:123], v[170:171], v[122:123]
	v_fma_f64 v[252:253], v[168:169], v[120:121], -v[122:123]
	scratch_load_dwordx4 v[120:123], off, off offset:944
	s_waitcnt vmcnt(16) lgkmcnt(1)
	v_mul_f64 v[156:157], v[148:149], v[42:43]
	v_fmac_f64_e32 v[156:157], v[150:151], v[40:41]
	v_add_f64 v[0:1], v[0:1], v[156:157]
	v_mul_f64 v[154:155], v[182:183], v[154:155]
	s_waitcnt vmcnt(15) lgkmcnt(0)
	v_mul_f64 v[156:157], v[144:145], v[46:47]
	v_fma_f64 v[232:233], v[180:181], v[152:153], -v[154:155]
	ds_read_b128 v[152:155], v2 offset:1680
	v_fmac_f64_e32 v[156:157], v[146:147], v[44:45]
	v_add_f64 v[0:1], v[0:1], v[156:157]
	ds_read_b128 v[156:159], v2 offset:1696
	v_accvgpr_write_b32 a127, v7
	s_waitcnt vmcnt(14) lgkmcnt(1)
	v_mul_f64 v[168:169], v[152:153], v[50:51]
	v_mul_f64 v[162:163], v[194:195], v[162:163]
	v_accvgpr_write_b32 a126, v6
	v_accvgpr_write_b32 a125, v5
	;; [unrolled: 1-line block ×3, first 2 shown]
	v_fmac_f64_e32 v[168:169], v[154:155], v[48:49]
	v_fma_f64 v[12:13], v[192:193], v[160:161], -v[162:163]
	ds_read_b128 v[160:163], v2 offset:1712
	s_waitcnt vmcnt(13) lgkmcnt(1)
	v_mul_f64 v[6:7], v[156:157], v[54:55]
	v_add_f64 v[0:1], v[0:1], v[168:169]
	v_fmac_f64_e32 v[6:7], v[158:159], v[52:53]
	v_accvgpr_write_b32 a131, v11
	v_add_f64 v[0:1], v[0:1], v[6:7]
	v_mul_f64 v[6:7], v[206:207], v[166:167]
	v_accvgpr_write_b32 a130, v10
	v_accvgpr_write_b32 a129, v9
	;; [unrolled: 1-line block ×3, first 2 shown]
	v_fma_f64 v[8:9], v[204:205], v[164:165], -v[6:7]
	ds_read_b128 v[164:167], v2 offset:1728
	s_waitcnt vmcnt(12) lgkmcnt(1)
	v_mul_f64 v[6:7], v[160:161], v[58:59]
	ds_read_b128 v[168:171], v2 offset:1744
	v_fmac_f64_e32 v[6:7], v[162:163], v[56:57]
	v_add_f64 v[0:1], v[0:1], v[6:7]
	v_mul_f64 v[6:7], v[214:215], v[174:175]
	v_fma_f64 v[10:11], v[212:213], v[172:173], -v[6:7]
	s_waitcnt vmcnt(11) lgkmcnt(1)
	v_mul_f64 v[6:7], v[164:165], v[62:63]
	v_fmac_f64_e32 v[6:7], v[166:167], v[60:61]
	ds_read_b128 v[172:175], v2 offset:1760
	v_add_f64 v[0:1], v[0:1], v[6:7]
	s_waitcnt vmcnt(10) lgkmcnt(1)
	v_mul_f64 v[6:7], v[168:169], v[66:67]
	v_fmac_f64_e32 v[6:7], v[170:171], v[64:65]
	v_add_f64 v[0:1], v[0:1], v[6:7]
	v_mul_f64 v[6:7], v[218:219], v[178:179]
	v_fma_f64 v[4:5], v[216:217], v[176:177], -v[6:7]
	ds_read_b128 v[176:179], v2 offset:1776
	ds_read_b128 v[180:183], v2 offset:1792
	s_waitcnt vmcnt(9) lgkmcnt(2)
	v_mul_f64 v[6:7], v[172:173], v[70:71]
	v_fmac_f64_e32 v[6:7], v[174:175], v[68:69]
	v_add_f64 v[0:1], v[0:1], v[6:7]
	s_waitcnt vmcnt(8) lgkmcnt(1)
	v_mul_f64 v[6:7], v[176:177], v[90:91]
	v_fmac_f64_e32 v[6:7], v[178:179], v[88:89]
	v_add_f64 v[0:1], v[0:1], v[6:7]
	v_mul_f64 v[6:7], v[222:223], v[186:187]
	v_fma_f64 v[14:15], v[220:221], v[184:185], -v[6:7]
	ds_read_b128 v[184:187], v2 offset:1808
	v_mul_f64 v[6:7], v[226:227], v[190:191]
	v_fma_f64 v[6:7], v[224:225], v[188:189], -v[6:7]
	ds_read_b128 v[188:191], v2 offset:1824
	s_waitcnt vmcnt(7) lgkmcnt(2)
	v_mul_f64 v[192:193], v[180:181], v[94:95]
	v_fmac_f64_e32 v[192:193], v[182:183], v[92:93]
	v_add_f64 v[0:1], v[0:1], v[192:193]
	s_waitcnt vmcnt(6) lgkmcnt(1)
	v_mul_f64 v[192:193], v[184:185], v[98:99]
	v_fmac_f64_e32 v[192:193], v[186:187], v[96:97]
	v_add_f64 v[0:1], v[0:1], v[192:193]
	s_waitcnt vmcnt(5) lgkmcnt(0)
	v_mul_f64 v[204:205], v[188:189], v[102:103]
	ds_read_b128 v[192:195], v2 offset:1840
	v_fmac_f64_e32 v[204:205], v[190:191], v[100:101]
	v_add_f64 v[204:205], v[0:1], v[204:205]
	v_mul_f64 v[0:1], v[230:231], v[198:199]
	v_fma_f64 v[0:1], v[228:229], v[196:197], -v[0:1]
	ds_read_b128 v[196:199], v2 offset:1856
	v_mul_f64 v[202:203], v[244:245], v[202:203]
	s_waitcnt vmcnt(4) lgkmcnt(1)
	v_mul_f64 v[206:207], v[192:193], v[106:107]
	v_fma_f64 v[238:239], v[242:243], v[200:201], -v[202:203]
	ds_read_b128 v[200:203], v2 offset:1872
	v_fmac_f64_e32 v[206:207], v[194:195], v[104:105]
	v_add_f64 v[212:213], v[204:205], v[206:207]
	ds_read_b128 v[204:207], v2 offset:1888
	s_waitcnt vmcnt(3) lgkmcnt(2)
	v_mul_f64 v[214:215], v[196:197], v[110:111]
	v_mul_f64 v[210:211], v[248:249], v[210:211]
	v_fmac_f64_e32 v[214:215], v[198:199], v[108:109]
	v_fma_f64 v[242:243], v[246:247], v[208:209], -v[210:211]
	ds_read_b128 v[208:211], v2 offset:1904
	ds_read_b128 v[216:219], v2 offset:1920
	v_add_f64 v[212:213], v[212:213], v[214:215]
	s_waitcnt vmcnt(2) lgkmcnt(3)
	v_mul_f64 v[214:215], v[200:201], v[118:119]
	v_fmac_f64_e32 v[214:215], v[202:203], v[116:117]
	v_add_f64 v[212:213], v[212:213], v[214:215]
	s_waitcnt vmcnt(1) lgkmcnt(2)
	v_mul_f64 v[214:215], v[204:205], v[114:115]
	v_fmac_f64_e32 v[214:215], v[206:207], v[112:113]
	;; [unrolled: 4-line block ×3, first 2 shown]
	v_add_f64 v[220:221], v[212:213], v[214:215]
	scratch_load_dwordx4 v[212:215], off, off offset:960
	ds_read_b128 v[224:227], v2 offset:1936
	s_waitcnt vmcnt(0) lgkmcnt(1)
	v_mul_f64 v[222:223], v[216:217], v[214:215]
	v_fmac_f64_e32 v[222:223], v[218:219], v[212:213]
	v_add_f64 v[228:229], v[220:221], v[222:223]
	scratch_load_dwordx4 v[220:223], off, off offset:976
	s_waitcnt vmcnt(0) lgkmcnt(0)
	v_mul_f64 v[230:231], v[224:225], v[222:223]
	v_fmac_f64_e32 v[230:231], v[226:227], v[220:221]
	v_add_f64 v[246:247], v[228:229], v[230:231]
	v_add_f64 v[228:229], v[240:241], 0
	;; [unrolled: 1-line block ×6, first 2 shown]
	scratch_load_dwordx4 v[228:231], off, off offset:320
	v_add_f64 v[8:9], v[12:13], v[8:9]
	v_add_f64 v[8:9], v[8:9], v[10:11]
	;; [unrolled: 1-line block ×5, first 2 shown]
	v_accvgpr_read_b32 v6, a124
	v_accvgpr_read_b32 v8, a126
	;; [unrolled: 1-line block ×3, first 2 shown]
	v_add_f64 v[0:1], v[4:5], v[0:1]
	v_accvgpr_read_b32 v7, a125
	v_mul_f64 v[4:5], v[86:87], v[8:9]
	v_add_f64 v[0:1], v[0:1], v[238:239]
	v_fma_f64 v[4:5], v[84:85], v[6:7], -v[4:5]
	v_accvgpr_read_b32 v6, a128
	v_add_f64 v[0:1], v[0:1], v[242:243]
	v_accvgpr_read_b32 v8, a130
	v_accvgpr_read_b32 v9, a131
	v_add_f64 v[0:1], v[0:1], v[4:5]
	v_accvgpr_read_b32 v7, a129
	v_mul_f64 v[4:5], v[82:83], v[8:9]
	v_fma_f64 v[4:5], v[80:81], v[6:7], -v[4:5]
	v_add_f64 v[0:1], v[0:1], v[4:5]
	v_mul_f64 v[4:5], v[78:79], v[236:237]
	v_fma_f64 v[4:5], v[76:77], v[234:235], -v[4:5]
	v_add_f64 v[0:1], v[0:1], v[4:5]
	;; [unrolled: 3-line block ×27, first 2 shown]
	s_waitcnt vmcnt(0)
	v_add_f64 v[4:5], v[228:229], -v[0:1]
	v_add_f64 v[6:7], v[230:231], -v[246:247]
	scratch_store_dwordx4 off, v[4:7], off offset:320
	s_and_saveexec_b64 s[0:1], vcc
	s_cbranch_execz .LBB124_355
; %bb.354:
	scratch_load_dwordx4 v[6:9], off, s69
	v_mov_b32_e32 v3, v2
	v_mov_b32_e32 v4, v2
	;; [unrolled: 1-line block ×3, first 2 shown]
	v_accvgpr_read_b32 v0, a1
	scratch_store_dwordx4 off, v[2:5], off offset:304
	s_waitcnt vmcnt(1)
	ds_write_b128 v0, v[6:9]
.LBB124_355:
	s_or_b64 exec, exec, s[0:1]
	s_waitcnt lgkmcnt(0)
	; wave barrier
	scratch_load_dwordx4 v[88:91], off, off offset:320
	scratch_load_dwordx4 v[92:95], off, off offset:336
	scratch_load_dwordx4 v[96:99], off, off offset:352
	scratch_load_dwordx4 v[100:103], off, off offset:368
	scratch_load_dwordx4 v[104:107], off, off offset:384
	scratch_load_dwordx4 v[108:111], off, off offset:400
	scratch_load_dwordx4 v[112:115], off, off offset:416
	scratch_load_dwordx4 v[116:119], off, off offset:432
	scratch_load_dwordx4 v[120:123], off, off offset:448
	scratch_load_dwordx4 v[124:127], off, off offset:464
	scratch_load_dwordx4 v[128:131], off, off offset:480
	scratch_load_dwordx4 v[132:135], off, off offset:496
	scratch_load_dwordx4 v[136:139], off, off offset:512
	scratch_load_dwordx4 v[4:7], off, off offset:528
	scratch_load_dwordx4 v[8:11], off, off offset:544
	scratch_load_dwordx4 v[12:15], off, off offset:560
	scratch_load_dwordx4 v[16:19], off, off offset:576
	ds_read_b128 v[212:215], v2 offset:1280
	ds_read_b128 v[204:207], v2 offset:1296
	ds_read_b128 v[196:199], v2 offset:1312
	scratch_load_dwordx4 v[20:23], off, off offset:592
	ds_read_b128 v[216:219], v2 offset:1328
	ds_read_b128 v[208:211], v2 offset:1344
	;; [unrolled: 1-line block ×5, first 2 shown]
	scratch_load_dwordx4 v[24:27], off, off offset:608
	ds_read_b128 v[180:183], v2 offset:1408
	ds_read_b128 v[160:163], v2 offset:1424
	;; [unrolled: 1-line block ×3, first 2 shown]
	scratch_load_dwordx4 v[28:31], off, off offset:624
	ds_read_b128 v[172:175], v2 offset:1456
	ds_read_b128 v[148:151], v2 offset:1472
	;; [unrolled: 1-line block ×5, first 2 shown]
	scratch_load_dwordx4 v[36:39], off, off offset:640
	ds_read_b128 v[48:51], v2 offset:1536
	scratch_load_dwordx4 v[52:55], off, off offset:656
	scratch_load_dwordx4 v[56:59], off, off offset:672
	;; [unrolled: 1-line block ×9, first 2 shown]
	ds_read_b128 v[140:143], v2 offset:1552
	ds_read_b128 v[232:235], v2 offset:1616
	v_cmp_lt_u32_e32 vcc, 17, v254
	ds_read_b128 v[228:231], v2 offset:1600
	s_waitcnt vmcnt(29) lgkmcnt(14)
	v_mul_f64 v[0:1], v[212:213], v[90:91]
	s_waitcnt vmcnt(28)
	v_mul_f64 v[152:153], v[204:205], v[94:95]
	v_fmac_f64_e32 v[0:1], v[214:215], v[88:89]
	s_waitcnt vmcnt(27)
	v_mul_f64 v[154:155], v[196:197], v[98:99]
	v_fmac_f64_e32 v[152:153], v[206:207], v[92:93]
	v_add_f64 v[0:1], v[0:1], 0
	s_waitcnt vmcnt(26)
	v_mul_f64 v[164:165], v[216:217], v[102:103]
	v_fmac_f64_e32 v[154:155], v[198:199], v[96:97]
	v_add_f64 v[0:1], v[0:1], v[152:153]
	;; [unrolled: 4-line block ×4, first 2 shown]
	s_waitcnt vmcnt(23) lgkmcnt(13)
	v_mul_f64 v[170:171], v[184:185], v[114:115]
	v_fmac_f64_e32 v[168:169], v[202:203], v[108:109]
	v_add_f64 v[0:1], v[0:1], v[166:167]
	s_waitcnt vmcnt(22) lgkmcnt(12)
	v_mul_f64 v[176:177], v[156:157], v[118:119]
	v_fmac_f64_e32 v[170:171], v[186:187], v[112:113]
	v_add_f64 v[0:1], v[0:1], v[168:169]
	;; [unrolled: 4-line block ×9, first 2 shown]
	v_fmac_f64_e32 v[222:223], v[42:43], v[8:9]
	v_add_f64 v[0:1], v[0:1], v[220:221]
	s_waitcnt vmcnt(14) lgkmcnt(4)
	v_mul_f64 v[224:225], v[32:33], v[14:15]
	v_add_f64 v[0:1], v[0:1], v[222:223]
	ds_read_b128 v[220:223], v2 offset:1568
	v_fmac_f64_e32 v[224:225], v[34:35], v[12:13]
	s_waitcnt vmcnt(13) lgkmcnt(4)
	v_mul_f64 v[164:165], v[48:49], v[18:19]
	v_add_f64 v[0:1], v[0:1], v[224:225]
	scratch_load_dwordx4 v[152:155], off, off offset:800
	v_fmac_f64_e32 v[164:165], v[50:51], v[16:17]
	ds_read_b128 v[224:227], v2 offset:1584
	v_add_f64 v[0:1], v[0:1], v[164:165]
	s_waitcnt vmcnt(13) lgkmcnt(4)
	v_mul_f64 v[168:169], v[140:141], v[22:23]
	scratch_load_dwordx4 v[164:167], off, off offset:816
	v_fmac_f64_e32 v[168:169], v[142:143], v[20:21]
	v_add_f64 v[0:1], v[0:1], v[168:169]
	s_waitcnt vmcnt(13) lgkmcnt(1)
	v_mul_f64 v[176:177], v[220:221], v[26:27]
	scratch_load_dwordx4 v[168:171], off, off offset:832
	v_fmac_f64_e32 v[176:177], v[222:223], v[24:25]
	;; [unrolled: 5-line block ×3, first 2 shown]
	v_add_f64 v[0:1], v[0:1], v[188:189]
	s_waitcnt vmcnt(13)
	v_mul_f64 v[188:189], v[228:229], v[38:39]
	v_fmac_f64_e32 v[188:189], v[230:231], v[36:37]
	v_add_f64 v[0:1], v[0:1], v[188:189]
	scratch_load_dwordx4 v[188:191], off, off offset:864
	s_waitcnt vmcnt(13)
	v_mul_f64 v[192:193], v[232:233], v[54:55]
	v_fmac_f64_e32 v[192:193], v[234:235], v[52:53]
	v_add_f64 v[0:1], v[0:1], v[192:193]
	scratch_load_dwordx4 v[192:195], off, off offset:880
	v_mul_f64 v[90:91], v[214:215], v[90:91]
	v_fma_f64 v[240:241], v[212:213], v[88:89], -v[90:91]
	v_mul_f64 v[88:89], v[206:207], v[94:95]
	ds_read_b128 v[236:239], v2 offset:1632
	ds_read_b128 v[212:215], v2 offset:1648
	v_fma_f64 v[246:247], v[204:205], v[92:93], -v[88:89]
	scratch_load_dwordx4 v[92:95], off, off offset:896
	scratch_load_dwordx4 v[88:91], off, off offset:912
	v_mul_f64 v[98:99], v[198:199], v[98:99]
	v_fma_f64 v[248:249], v[196:197], v[96:97], -v[98:99]
	scratch_load_dwordx4 v[96:99], off, off offset:928
	s_waitcnt vmcnt(16) lgkmcnt(1)
	v_mul_f64 v[204:205], v[236:237], v[58:59]
	v_mul_f64 v[102:103], v[218:219], v[102:103]
	v_fmac_f64_e32 v[204:205], v[238:239], v[56:57]
	v_fma_f64 v[216:217], v[216:217], v[100:101], -v[102:103]
	ds_read_b128 v[100:103], v2 offset:1664
	s_waitcnt vmcnt(15) lgkmcnt(1)
	v_mul_f64 v[196:197], v[212:213], v[62:63]
	v_add_f64 v[0:1], v[0:1], v[204:205]
	v_fmac_f64_e32 v[196:197], v[214:215], v[60:61]
	v_add_f64 v[0:1], v[0:1], v[196:197]
	ds_read_b128 v[196:199], v2 offset:1680
	v_mul_f64 v[106:107], v[210:211], v[106:107]
	v_fma_f64 v[218:219], v[208:209], v[104:105], -v[106:107]
	ds_read_b128 v[104:107], v2 offset:1696
	s_waitcnt vmcnt(14) lgkmcnt(2)
	v_mul_f64 v[204:205], v[100:101], v[66:67]
	v_fmac_f64_e32 v[204:205], v[102:103], v[64:65]
	v_add_f64 v[0:1], v[0:1], v[204:205]
	s_waitcnt vmcnt(13) lgkmcnt(1)
	v_mul_f64 v[204:205], v[196:197], v[70:71]
	v_mul_f64 v[110:111], v[202:203], v[110:111]
	v_fmac_f64_e32 v[204:205], v[198:199], v[68:69]
	v_fma_f64 v[250:251], v[200:201], v[108:109], -v[110:111]
	ds_read_b128 v[108:111], v2 offset:1712
	s_waitcnt vmcnt(12) lgkmcnt(1)
	v_mul_f64 v[200:201], v[104:105], v[74:75]
	v_add_f64 v[0:1], v[0:1], v[204:205]
	v_fmac_f64_e32 v[200:201], v[106:107], v[72:73]
	v_add_f64 v[0:1], v[0:1], v[200:201]
	ds_read_b128 v[200:203], v2 offset:1728
	v_mul_f64 v[114:115], v[186:187], v[114:115]
	v_fma_f64 v[252:253], v[184:185], v[112:113], -v[114:115]
	ds_read_b128 v[112:115], v2 offset:1744
	s_waitcnt vmcnt(11) lgkmcnt(2)
	v_mul_f64 v[184:185], v[108:109], v[78:79]
	v_fmac_f64_e32 v[184:185], v[110:111], v[76:77]
	v_add_f64 v[0:1], v[0:1], v[184:185]
	s_waitcnt vmcnt(10) lgkmcnt(1)
	v_mul_f64 v[184:185], v[200:201], v[82:83]
	v_mul_f64 v[118:119], v[158:159], v[118:119]
	v_fmac_f64_e32 v[184:185], v[202:203], v[80:81]
	v_fma_f64 v[242:243], v[156:157], v[116:117], -v[118:119]
	s_waitcnt vmcnt(9) lgkmcnt(0)
	v_mul_f64 v[156:157], v[112:113], v[86:87]
	v_add_f64 v[0:1], v[0:1], v[184:185]
	ds_read_b128 v[116:119], v2 offset:1760
	v_fmac_f64_e32 v[156:157], v[114:115], v[84:85]
	v_add_f64 v[0:1], v[0:1], v[156:157]
	ds_read_b128 v[156:159], v2 offset:1776
	v_accvgpr_write_b32 a131, v11
	v_mul_f64 v[122:123], v[182:183], v[122:123]
	v_accvgpr_write_b32 a130, v10
	v_accvgpr_write_b32 a129, v9
	;; [unrolled: 1-line block ×3, first 2 shown]
	v_fma_f64 v[8:9], v[180:181], v[120:121], -v[122:123]
	ds_read_b128 v[120:123], v2 offset:1792
	v_mul_f64 v[126:127], v[162:163], v[126:127]
	v_accvgpr_write_b32 a127, v7
	s_waitcnt vmcnt(8) lgkmcnt(2)
	v_mul_f64 v[184:185], v[116:117], v[154:155]
	v_fma_f64 v[244:245], v[160:161], v[124:125], -v[126:127]
	ds_read_b128 v[124:127], v2 offset:1808
	v_accvgpr_write_b32 a126, v6
	v_accvgpr_write_b32 a125, v5
	;; [unrolled: 1-line block ×3, first 2 shown]
	v_fmac_f64_e32 v[184:185], v[118:119], v[152:153]
	s_waitcnt vmcnt(7) lgkmcnt(2)
	v_mul_f64 v[6:7], v[156:157], v[166:167]
	v_add_f64 v[0:1], v[0:1], v[184:185]
	v_fmac_f64_e32 v[6:7], v[158:159], v[164:165]
	v_add_f64 v[0:1], v[0:1], v[6:7]
	s_waitcnt vmcnt(6) lgkmcnt(1)
	v_mul_f64 v[6:7], v[120:121], v[170:171]
	v_fmac_f64_e32 v[6:7], v[122:123], v[168:169]
	ds_read_b128 v[160:163], v2 offset:1824
	v_add_f64 v[0:1], v[0:1], v[6:7]
	s_waitcnt vmcnt(5) lgkmcnt(1)
	v_mul_f64 v[6:7], v[124:125], v[178:179]
	v_fmac_f64_e32 v[6:7], v[126:127], v[176:177]
	v_add_f64 v[0:1], v[0:1], v[6:7]
	v_mul_f64 v[6:7], v[146:147], v[130:131]
	v_fma_f64 v[4:5], v[144:145], v[128:129], -v[6:7]
	ds_read_b128 v[128:131], v2 offset:1840
	s_waitcnt vmcnt(4) lgkmcnt(1)
	v_mul_f64 v[6:7], v[160:161], v[190:191]
	v_fmac_f64_e32 v[6:7], v[162:163], v[188:189]
	v_add_f64 v[6:7], v[0:1], v[6:7]
	v_mul_f64 v[0:1], v[174:175], v[134:135]
	v_fma_f64 v[0:1], v[172:173], v[132:133], -v[0:1]
	ds_read_b128 v[132:135], v2 offset:1856
	ds_read_b128 v[144:147], v2 offset:1872
	s_waitcnt vmcnt(3) lgkmcnt(2)
	v_mul_f64 v[10:11], v[128:129], v[194:195]
	v_fmac_f64_e32 v[10:11], v[130:131], v[192:193]
	v_add_f64 v[10:11], v[6:7], v[10:11]
	v_mul_f64 v[6:7], v[150:151], v[138:139]
	v_fma_f64 v[6:7], v[148:149], v[136:137], -v[6:7]
	ds_read_b128 v[136:139], v2 offset:1888
	ds_read_b128 v[172:175], v2 offset:1904
	s_waitcnt vmcnt(2) lgkmcnt(3)
	v_mul_f64 v[148:149], v[132:133], v[94:95]
	v_fmac_f64_e32 v[148:149], v[134:135], v[92:93]
	v_add_f64 v[10:11], v[10:11], v[148:149]
	s_waitcnt vmcnt(1) lgkmcnt(2)
	v_mul_f64 v[148:149], v[144:145], v[90:91]
	v_fmac_f64_e32 v[148:149], v[146:147], v[88:89]
	v_add_f64 v[10:11], v[10:11], v[148:149]
	scratch_load_dwordx4 v[208:211], off, off offset:976
	s_waitcnt vmcnt(1) lgkmcnt(1)
	v_mul_f64 v[148:149], v[136:137], v[98:99]
	v_fmac_f64_e32 v[148:149], v[138:139], v[96:97]
	v_add_f64 v[10:11], v[10:11], v[148:149]
	scratch_load_dwordx4 v[148:151], off, off offset:944
	ds_read_b128 v[184:187], v2 offset:1920
	s_waitcnt vmcnt(0) lgkmcnt(1)
	v_mul_f64 v[180:181], v[172:173], v[150:151]
	v_fmac_f64_e32 v[180:181], v[174:175], v[148:149]
	v_add_f64 v[10:11], v[10:11], v[180:181]
	scratch_load_dwordx4 v[180:183], off, off offset:960
	s_waitcnt vmcnt(0) lgkmcnt(0)
	v_mul_f64 v[204:205], v[184:185], v[182:183]
	v_fmac_f64_e32 v[204:205], v[186:187], v[180:181]
	v_add_f64 v[10:11], v[10:11], v[204:205]
	ds_read_b128 v[204:207], v2 offset:1936
	s_waitcnt lgkmcnt(0)
	v_mul_f64 v[2:3], v[204:205], v[210:211]
	v_fmac_f64_e32 v[2:3], v[206:207], v[208:209]
	v_add_f64 v[2:3], v[10:11], v[2:3]
	v_add_f64 v[10:11], v[240:241], 0
	;; [unrolled: 1-line block ×6, first 2 shown]
	scratch_load_dwordx4 v[216:219], off, off offset:304
	v_add_f64 v[10:11], v[10:11], v[250:251]
	v_add_f64 v[10:11], v[10:11], v[252:253]
	;; [unrolled: 1-line block ×8, first 2 shown]
	v_accvgpr_read_b32 v6, a124
	v_accvgpr_read_b32 v8, a126
	;; [unrolled: 1-line block ×4, first 2 shown]
	v_mul_f64 v[4:5], v[46:47], v[8:9]
	v_fma_f64 v[4:5], v[44:45], v[6:7], -v[4:5]
	v_accvgpr_read_b32 v6, a128
	v_accvgpr_read_b32 v8, a130
	;; [unrolled: 1-line block ×3, first 2 shown]
	v_add_f64 v[0:1], v[0:1], v[4:5]
	v_accvgpr_read_b32 v7, a129
	v_mul_f64 v[4:5], v[42:43], v[8:9]
	v_fma_f64 v[4:5], v[40:41], v[6:7], -v[4:5]
	v_add_f64 v[0:1], v[0:1], v[4:5]
	v_mul_f64 v[4:5], v[34:35], v[14:15]
	v_fma_f64 v[4:5], v[32:33], v[12:13], -v[4:5]
	v_add_f64 v[0:1], v[0:1], v[4:5]
	;; [unrolled: 3-line block ×28, first 2 shown]
	s_waitcnt vmcnt(0)
	v_add_f64 v[4:5], v[216:217], -v[0:1]
	v_add_f64 v[6:7], v[218:219], -v[2:3]
	scratch_store_dwordx4 off, v[4:7], off offset:304
	s_and_saveexec_b64 s[0:1], vcc
	s_cbranch_execz .LBB124_357
; %bb.356:
	scratch_load_dwordx4 v[2:5], off, s70
	v_mov_b32_e32 v6, 0
	v_mov_b32_e32 v7, v6
	;; [unrolled: 1-line block ×4, first 2 shown]
	v_accvgpr_read_b32 v0, a1
	scratch_store_dwordx4 off, v[6:9], off offset:288
	s_waitcnt vmcnt(1)
	ds_write_b128 v0, v[2:5]
.LBB124_357:
	s_or_b64 exec, exec, s[0:1]
	s_waitcnt lgkmcnt(0)
	; wave barrier
	scratch_load_dwordx4 v[96:99], off, off offset:304
	scratch_load_dwordx4 v[100:103], off, off offset:320
	scratch_load_dwordx4 v[104:107], off, off offset:336
	scratch_load_dwordx4 v[108:111], off, off offset:352
	scratch_load_dwordx4 v[112:115], off, off offset:368
	scratch_load_dwordx4 v[152:155], off, off offset:384
	scratch_load_dwordx4 v[156:159], off, off offset:400
	scratch_load_dwordx4 v[160:163], off, off offset:416
	scratch_load_dwordx4 v[168:171], off, off offset:432
	scratch_load_dwordx4 v[172:175], off, off offset:448
	scratch_load_dwordx4 v[180:183], off, off offset:464
	scratch_load_dwordx4 v[184:187], off, off offset:480
	scratch_load_dwordx4 v[192:195], off, off offset:496
	scratch_load_dwordx4 v[196:199], off, off offset:512
	scratch_load_dwordx4 v[204:207], off, off offset:528
	scratch_load_dwordx4 v[4:7], off, off offset:544
	scratch_load_dwordx4 v[8:11], off, off offset:560
	scratch_load_dwordx4 v[12:15], off, off offset:576
	scratch_load_dwordx4 v[234:237], off, off offset:592
	scratch_load_dwordx4 v[20:23], off, off offset:608
	scratch_load_dwordx4 v[24:27], off, off offset:624
	scratch_load_dwordx4 v[28:31], off, off offset:640
	scratch_load_dwordx4 v[32:35], off, off offset:656
	scratch_load_dwordx4 v[36:39], off, off offset:672
	scratch_load_dwordx4 v[40:43], off, off offset:688
	scratch_load_dwordx4 v[44:47], off, off offset:704
	scratch_load_dwordx4 v[48:51], off, off offset:720
	scratch_load_dwordx4 v[52:55], off, off offset:736
	scratch_load_dwordx4 v[60:63], off, off offset:752
	scratch_load_dwordx4 v[56:59], off, off offset:768
	v_mov_b32_e32 v2, 0
	ds_read_b128 v[136:139], v2 offset:1264
	ds_read_b128 v[144:147], v2 offset:1280
	;; [unrolled: 1-line block ×20, first 2 shown]
	v_cmp_lt_u32_e32 vcc, 16, v254
	s_waitcnt vmcnt(29) lgkmcnt(14)
	v_mul_f64 v[0:1], v[136:137], v[98:99]
	s_waitcnt vmcnt(28)
	v_mul_f64 v[72:73], v[144:145], v[102:103]
	v_fmac_f64_e32 v[0:1], v[138:139], v[96:97]
	s_waitcnt vmcnt(27)
	v_mul_f64 v[74:75], v[148:149], v[106:107]
	v_fmac_f64_e32 v[72:73], v[146:147], v[100:101]
	v_add_f64 v[0:1], v[0:1], 0
	s_waitcnt vmcnt(26)
	v_mul_f64 v[76:77], v[164:165], v[110:111]
	v_fmac_f64_e32 v[74:75], v[150:151], v[104:105]
	v_add_f64 v[0:1], v[0:1], v[72:73]
	s_waitcnt vmcnt(25)
	v_mul_f64 v[78:79], v[176:177], v[114:115]
	v_fmac_f64_e32 v[76:77], v[166:167], v[108:109]
	v_add_f64 v[0:1], v[0:1], v[74:75]
	s_waitcnt vmcnt(24)
	v_mul_f64 v[80:81], v[188:189], v[154:155]
	v_fmac_f64_e32 v[78:79], v[178:179], v[112:113]
	v_add_f64 v[0:1], v[0:1], v[76:77]
	s_waitcnt vmcnt(23) lgkmcnt(13)
	v_mul_f64 v[82:83], v[200:201], v[158:159]
	v_fmac_f64_e32 v[80:81], v[190:191], v[152:153]
	v_add_f64 v[0:1], v[0:1], v[78:79]
	s_waitcnt vmcnt(22) lgkmcnt(12)
	v_mul_f64 v[84:85], v[208:209], v[162:163]
	v_fmac_f64_e32 v[82:83], v[202:203], v[156:157]
	v_add_f64 v[0:1], v[0:1], v[80:81]
	;; [unrolled: 4-line block ×9, first 2 shown]
	s_waitcnt vmcnt(14) lgkmcnt(4)
	v_mul_f64 v[120:121], v[68:69], v[6:7]
	v_fmac_f64_e32 v[118:119], v[248:249], v[204:205]
	v_accvgpr_write_b32 a127, v7
	v_add_f64 v[0:1], v[0:1], v[116:117]
	v_fmac_f64_e32 v[120:121], v[70:71], v[4:5]
	v_accvgpr_write_b32 a126, v6
	v_accvgpr_write_b32 a125, v5
	v_accvgpr_write_b32 a124, v4
	v_add_f64 v[0:1], v[0:1], v[118:119]
	ds_read_b128 v[116:119], v2 offset:1536
	s_waitcnt vmcnt(13)
	v_mov_b64_e32 v[4:5], v[8:9]
	v_mov_b64_e32 v[6:7], v[10:11]
	s_waitcnt lgkmcnt(4)
	v_mul_f64 v[76:77], v[64:65], v[6:7]
	scratch_load_dwordx4 v[72:75], off, off offset:784
	v_add_f64 v[0:1], v[0:1], v[120:121]
	v_fmac_f64_e32 v[76:77], v[66:67], v[4:5]
	s_waitcnt vmcnt(13)
	v_mov_b64_e32 v[4:5], v[12:13]
	v_add_f64 v[0:1], v[0:1], v[76:77]
	v_mov_b64_e32 v[6:7], v[14:15]
	scratch_load_dwordx4 v[76:79], off, off offset:800
	ds_read_b128 v[120:123], v2 offset:1552
	s_waitcnt lgkmcnt(1)
	v_mul_f64 v[80:81], v[116:117], v[6:7]
	v_fmac_f64_e32 v[80:81], v[118:119], v[4:5]
	v_add_f64 v[0:1], v[0:1], v[80:81]
	scratch_load_dwordx4 v[80:83], off, off offset:816
	s_waitcnt vmcnt(14) lgkmcnt(0)
	v_mul_f64 v[84:85], v[120:121], v[236:237]
	v_fmac_f64_e32 v[84:85], v[122:123], v[234:235]
	s_waitcnt vmcnt(13)
	v_mul_f64 v[88:89], v[124:125], v[22:23]
	v_add_f64 v[0:1], v[0:1], v[84:85]
	v_fmac_f64_e32 v[88:89], v[126:127], v[20:21]
	scratch_load_dwordx4 v[84:87], off, off offset:832
	v_add_f64 v[0:1], v[0:1], v[88:89]
	s_waitcnt vmcnt(13)
	v_mul_f64 v[88:89], v[128:129], v[26:27]
	v_fmac_f64_e32 v[88:89], v[130:131], v[24:25]
	v_add_f64 v[0:1], v[0:1], v[88:89]
	scratch_load_dwordx4 v[88:91], off, off offset:848
	s_waitcnt vmcnt(13)
	v_mul_f64 v[92:93], v[132:133], v[30:31]
	v_fmac_f64_e32 v[92:93], v[134:135], v[28:29]
	v_add_f64 v[0:1], v[0:1], v[92:93]
	scratch_load_dwordx4 v[92:95], off, off offset:864
	v_mul_f64 v[98:99], v[138:139], v[98:99]
	v_fma_f64 v[240:241], v[136:137], v[96:97], -v[98:99]
	v_mul_f64 v[96:97], v[146:147], v[102:103]
	ds_read_b128 v[140:143], v2 offset:1616
	ds_read_b128 v[136:139], v2 offset:1632
	v_fma_f64 v[250:251], v[144:145], v[100:101], -v[96:97]
	scratch_load_dwordx4 v[100:103], off, off offset:880
	scratch_load_dwordx4 v[96:99], off, off offset:896
	v_mul_f64 v[106:107], v[150:151], v[106:107]
	v_fma_f64 v[252:253], v[148:149], v[104:105], -v[106:107]
	v_mul_f64 v[104:105], v[166:167], v[110:111]
	v_fma_f64 v[232:233], v[164:165], v[108:109], -v[104:105]
	scratch_load_dwordx4 v[104:107], off, off offset:912
	v_mul_f64 v[108:109], v[178:179], v[114:115]
	v_fma_f64 v[16:17], v[176:177], v[112:113], -v[108:109]
	scratch_load_dwordx4 v[108:111], off, off offset:928
	scratch_load_dwordx4 v[112:115], off, off offset:944
	s_waitcnt vmcnt(18) lgkmcnt(1)
	v_mul_f64 v[144:145], v[140:141], v[34:35]
	v_fmac_f64_e32 v[144:145], v[142:143], v[32:33]
	v_add_f64 v[0:1], v[0:1], v[144:145]
	s_waitcnt vmcnt(17) lgkmcnt(0)
	v_mul_f64 v[144:145], v[136:137], v[38:39]
	v_fmac_f64_e32 v[144:145], v[138:139], v[36:37]
	v_add_f64 v[0:1], v[0:1], v[144:145]
	ds_read_b128 v[144:147], v2 offset:1648
	ds_read_b128 v[148:151], v2 offset:1664
	v_accvgpr_write_b32 a135, v15
	v_accvgpr_write_b32 a134, v14
	;; [unrolled: 1-line block ×3, first 2 shown]
	s_waitcnt vmcnt(16) lgkmcnt(1)
	v_mul_f64 v[6:7], v[144:145], v[42:43]
	v_fmac_f64_e32 v[6:7], v[146:147], v[40:41]
	v_add_f64 v[0:1], v[0:1], v[6:7]
	v_mul_f64 v[6:7], v[190:191], v[154:155]
	v_accvgpr_write_b32 a132, v12
	v_fma_f64 v[12:13], v[188:189], v[152:153], -v[6:7]
	ds_read_b128 v[152:155], v2 offset:1680
	s_waitcnt vmcnt(15) lgkmcnt(1)
	v_mul_f64 v[6:7], v[148:149], v[46:47]
	v_fmac_f64_e32 v[6:7], v[150:151], v[44:45]
	v_accvgpr_write_b32 a131, v11
	v_add_f64 v[0:1], v[0:1], v[6:7]
	v_mul_f64 v[6:7], v[202:203], v[158:159]
	v_accvgpr_write_b32 a130, v10
	v_accvgpr_write_b32 a129, v9
	;; [unrolled: 1-line block ×3, first 2 shown]
	v_fma_f64 v[10:11], v[200:201], v[156:157], -v[6:7]
	ds_read_b128 v[156:159], v2 offset:1696
	s_waitcnt vmcnt(14) lgkmcnt(1)
	v_mul_f64 v[6:7], v[152:153], v[50:51]
	v_fmac_f64_e32 v[6:7], v[154:155], v[48:49]
	v_add_f64 v[0:1], v[0:1], v[6:7]
	v_mul_f64 v[6:7], v[210:211], v[162:163]
	v_fma_f64 v[8:9], v[208:209], v[160:161], -v[6:7]
	ds_read_b128 v[160:163], v2 offset:1712
	ds_read_b128 v[164:167], v2 offset:1728
	s_waitcnt vmcnt(13) lgkmcnt(2)
	v_mul_f64 v[6:7], v[156:157], v[54:55]
	v_fmac_f64_e32 v[6:7], v[158:159], v[52:53]
	v_add_f64 v[0:1], v[0:1], v[6:7]
	s_waitcnt vmcnt(12) lgkmcnt(1)
	v_mul_f64 v[6:7], v[160:161], v[62:63]
	v_fmac_f64_e32 v[6:7], v[162:163], v[60:61]
	v_add_f64 v[0:1], v[0:1], v[6:7]
	v_mul_f64 v[6:7], v[214:215], v[170:171]
	v_fma_f64 v[14:15], v[212:213], v[168:169], -v[6:7]
	s_waitcnt vmcnt(11) lgkmcnt(0)
	v_mul_f64 v[6:7], v[164:165], v[58:59]
	v_fmac_f64_e32 v[6:7], v[166:167], v[56:57]
	ds_read_b128 v[168:171], v2 offset:1744
	v_add_f64 v[0:1], v[0:1], v[6:7]
	v_mul_f64 v[6:7], v[218:219], v[174:175]
	v_fma_f64 v[4:5], v[216:217], v[172:173], -v[6:7]
	ds_read_b128 v[172:175], v2 offset:1760
	s_waitcnt vmcnt(10) lgkmcnt(1)
	v_mul_f64 v[6:7], v[168:169], v[74:75]
	ds_read_b128 v[176:179], v2 offset:1776
	v_fmac_f64_e32 v[6:7], v[170:171], v[72:73]
	v_add_f64 v[0:1], v[0:1], v[6:7]
	s_waitcnt vmcnt(9) lgkmcnt(1)
	v_mul_f64 v[6:7], v[172:173], v[78:79]
	v_fmac_f64_e32 v[6:7], v[174:175], v[76:77]
	v_add_f64 v[0:1], v[0:1], v[6:7]
	v_mul_f64 v[6:7], v[222:223], v[182:183]
	v_fma_f64 v[18:19], v[220:221], v[180:181], -v[6:7]
	ds_read_b128 v[180:183], v2 offset:1792
	s_waitcnt vmcnt(8) lgkmcnt(1)
	v_mul_f64 v[6:7], v[176:177], v[82:83]
	v_fmac_f64_e32 v[6:7], v[178:179], v[80:81]
	v_add_f64 v[0:1], v[0:1], v[6:7]
	v_mul_f64 v[6:7], v[226:227], v[186:187]
	v_fma_f64 v[6:7], v[224:225], v[184:185], -v[6:7]
	ds_read_b128 v[184:187], v2 offset:1808
	s_waitcnt vmcnt(7) lgkmcnt(1)
	v_mul_f64 v[188:189], v[180:181], v[86:87]
	v_fmac_f64_e32 v[188:189], v[182:183], v[84:85]
	v_add_f64 v[0:1], v[0:1], v[188:189]
	ds_read_b128 v[188:191], v2 offset:1824
	s_waitcnt vmcnt(6) lgkmcnt(1)
	v_mul_f64 v[200:201], v[184:185], v[90:91]
	v_fmac_f64_e32 v[200:201], v[186:187], v[88:89]
	v_add_f64 v[200:201], v[0:1], v[200:201]
	v_mul_f64 v[0:1], v[230:231], v[194:195]
	v_fma_f64 v[0:1], v[228:229], v[192:193], -v[0:1]
	ds_read_b128 v[192:195], v2 offset:1840
	s_waitcnt vmcnt(5) lgkmcnt(1)
	v_mul_f64 v[202:203], v[188:189], v[94:95]
	v_fmac_f64_e32 v[202:203], v[190:191], v[92:93]
	v_mul_f64 v[198:199], v[244:245], v[198:199]
	v_fma_f64 v[238:239], v[242:243], v[196:197], -v[198:199]
	ds_read_b128 v[196:199], v2 offset:1856
	v_add_f64 v[200:201], v[200:201], v[202:203]
	s_waitcnt vmcnt(4) lgkmcnt(1)
	v_mul_f64 v[202:203], v[192:193], v[102:103]
	v_fmac_f64_e32 v[202:203], v[194:195], v[100:101]
	v_add_f64 v[208:209], v[200:201], v[202:203]
	ds_read_b128 v[200:203], v2 offset:1872
	v_mul_f64 v[206:207], v[248:249], v[206:207]
	v_fma_f64 v[242:243], v[246:247], v[204:205], -v[206:207]
	ds_read_b128 v[204:207], v2 offset:1888
	s_waitcnt vmcnt(3) lgkmcnt(2)
	v_mul_f64 v[210:211], v[196:197], v[98:99]
	v_fmac_f64_e32 v[210:211], v[198:199], v[96:97]
	v_add_f64 v[208:209], v[208:209], v[210:211]
	s_waitcnt vmcnt(2) lgkmcnt(1)
	v_mul_f64 v[210:211], v[200:201], v[106:107]
	v_fmac_f64_e32 v[210:211], v[202:203], v[104:105]
	v_add_f64 v[208:209], v[208:209], v[210:211]
	s_waitcnt vmcnt(1) lgkmcnt(0)
	v_mul_f64 v[210:211], v[204:205], v[110:111]
	v_fmac_f64_e32 v[210:211], v[206:207], v[108:109]
	v_add_f64 v[212:213], v[208:209], v[210:211]
	ds_read_b128 v[208:211], v2 offset:1904
	ds_read_b128 v[216:219], v2 offset:1920
	;; [unrolled: 1-line block ×3, first 2 shown]
	s_waitcnt vmcnt(0) lgkmcnt(2)
	v_mul_f64 v[214:215], v[208:209], v[114:115]
	v_fmac_f64_e32 v[214:215], v[210:211], v[112:113]
	v_add_f64 v[220:221], v[212:213], v[214:215]
	scratch_load_dwordx4 v[212:215], off, off offset:960
	s_waitcnt vmcnt(0) lgkmcnt(1)
	v_mul_f64 v[222:223], v[216:217], v[214:215]
	v_fmac_f64_e32 v[222:223], v[218:219], v[212:213]
	v_add_f64 v[228:229], v[220:221], v[222:223]
	scratch_load_dwordx4 v[220:223], off, off offset:976
	s_waitcnt vmcnt(0) lgkmcnt(0)
	v_mul_f64 v[230:231], v[224:225], v[222:223]
	v_fmac_f64_e32 v[230:231], v[226:227], v[220:221]
	v_add_f64 v[246:247], v[228:229], v[230:231]
	v_add_f64 v[228:229], v[240:241], 0
	;; [unrolled: 1-line block ×6, first 2 shown]
	scratch_load_dwordx4 v[228:231], off, off offset:288
	v_add_f64 v[12:13], v[16:17], v[12:13]
	v_add_f64 v[10:11], v[12:13], v[10:11]
	;; [unrolled: 1-line block ×7, first 2 shown]
	v_accvgpr_read_b32 v6, a124
	v_accvgpr_read_b32 v8, a126
	;; [unrolled: 1-line block ×3, first 2 shown]
	v_add_f64 v[0:1], v[4:5], v[0:1]
	v_accvgpr_read_b32 v7, a125
	v_mul_f64 v[4:5], v[70:71], v[8:9]
	v_add_f64 v[0:1], v[0:1], v[238:239]
	v_fma_f64 v[4:5], v[68:69], v[6:7], -v[4:5]
	v_accvgpr_read_b32 v6, a128
	v_add_f64 v[0:1], v[0:1], v[242:243]
	v_accvgpr_read_b32 v8, a130
	v_accvgpr_read_b32 v9, a131
	v_add_f64 v[0:1], v[0:1], v[4:5]
	v_accvgpr_read_b32 v7, a129
	v_mul_f64 v[4:5], v[66:67], v[8:9]
	v_fma_f64 v[4:5], v[64:65], v[6:7], -v[4:5]
	v_accvgpr_read_b32 v6, a132
	v_accvgpr_read_b32 v8, a134
	;; [unrolled: 1-line block ×3, first 2 shown]
	v_add_f64 v[0:1], v[0:1], v[4:5]
	v_accvgpr_read_b32 v7, a133
	v_mul_f64 v[4:5], v[118:119], v[8:9]
	v_fma_f64 v[4:5], v[116:117], v[6:7], -v[4:5]
	v_add_f64 v[0:1], v[0:1], v[4:5]
	v_mul_f64 v[4:5], v[122:123], v[236:237]
	v_fma_f64 v[4:5], v[120:121], v[234:235], -v[4:5]
	v_add_f64 v[0:1], v[0:1], v[4:5]
	;; [unrolled: 3-line block ×26, first 2 shown]
	s_waitcnt vmcnt(0)
	v_add_f64 v[4:5], v[228:229], -v[0:1]
	v_add_f64 v[6:7], v[230:231], -v[246:247]
	scratch_store_dwordx4 off, v[4:7], off offset:288
	s_and_saveexec_b64 s[0:1], vcc
	s_cbranch_execz .LBB124_359
; %bb.358:
	scratch_load_dwordx4 v[6:9], off, s71
	v_mov_b32_e32 v3, v2
	v_mov_b32_e32 v4, v2
	v_mov_b32_e32 v5, v2
	v_accvgpr_read_b32 v0, a1
	scratch_store_dwordx4 off, v[2:5], off offset:272
	s_waitcnt vmcnt(1)
	ds_write_b128 v0, v[6:9]
.LBB124_359:
	s_or_b64 exec, exec, s[0:1]
	s_waitcnt lgkmcnt(0)
	; wave barrier
	scratch_load_dwordx4 v[72:75], off, off offset:288
	scratch_load_dwordx4 v[76:79], off, off offset:304
	;; [unrolled: 1-line block ×17, first 2 shown]
	ds_read_b128 v[176:179], v2 offset:1248
	ds_read_b128 v[192:195], v2 offset:1264
	ds_read_b128 v[188:191], v2 offset:1280
	scratch_load_dwordx4 v[62:65], off, off offset:560
	ds_read_b128 v[236:239], v2 offset:1296
	ds_read_b128 v[232:235], v2 offset:1312
	;; [unrolled: 1-line block ×5, first 2 shown]
	scratch_load_dwordx4 v[58:61], off, off offset:576
	ds_read_b128 v[224:227], v2 offset:1376
	ds_read_b128 v[212:215], v2 offset:1392
	;; [unrolled: 1-line block ×3, first 2 shown]
	scratch_load_dwordx4 v[54:57], off, off offset:592
	ds_read_b128 v[216:219], v2 offset:1424
	ds_read_b128 v[204:207], v2 offset:1440
	;; [unrolled: 1-line block ×5, first 2 shown]
	scratch_load_dwordx4 v[50:53], off, off offset:608
	ds_read_b128 v[20:23], v2 offset:1504
	scratch_load_dwordx4 v[46:49], off, off offset:624
	scratch_load_dwordx4 v[38:41], off, off offset:640
	;; [unrolled: 1-line block ×9, first 2 shown]
	ds_read_b128 v[132:135], v2 offset:1520
	ds_read_b128 v[172:175], v2 offset:1584
	s_waitcnt lgkmcnt(3)
	v_accvgpr_write_b32 a131, v19
	s_waitcnt lgkmcnt(2)
	v_accvgpr_write_b32 a163, v23
	v_accvgpr_write_b32 a162, v22
	;; [unrolled: 1-line block ×7, first 2 shown]
	v_cmp_lt_u32_e32 vcc, 15, v254
	ds_read_b128 v[168:171], v2 offset:1568
	s_waitcnt vmcnt(29)
	v_mul_f64 v[0:1], v[176:177], v[74:75]
	s_waitcnt vmcnt(28)
	v_mul_f64 v[136:137], v[192:193], v[78:79]
	v_fmac_f64_e32 v[0:1], v[178:179], v[72:73]
	s_waitcnt vmcnt(27)
	v_mul_f64 v[138:139], v[188:189], v[82:83]
	v_fmac_f64_e32 v[136:137], v[194:195], v[76:77]
	v_add_f64 v[0:1], v[0:1], 0
	s_waitcnt vmcnt(26)
	v_mul_f64 v[140:141], v[236:237], v[86:87]
	v_fmac_f64_e32 v[138:139], v[190:191], v[80:81]
	v_add_f64 v[0:1], v[0:1], v[136:137]
	;; [unrolled: 4-line block ×11, first 2 shown]
	scratch_load_dwordx4 v[136:139], off, off offset:768
	s_waitcnt vmcnt(17)
	v_mul_f64 v[160:161], v[196:197], v[126:127]
	v_fmac_f64_e32 v[158:159], v[206:207], v[120:121]
	v_add_f64 v[0:1], v[0:1], v[156:157]
	s_waitcnt vmcnt(16)
	v_mul_f64 v[162:163], v[184:185], v[130:131]
	v_fmac_f64_e32 v[160:161], v[198:199], v[124:125]
	v_add_f64 v[0:1], v[0:1], v[158:159]
	;; [unrolled: 4-line block ×3, first 2 shown]
	v_fmac_f64_e32 v[164:165], v[18:19], v[4:5]
	v_add_f64 v[0:1], v[0:1], v[162:163]
	s_waitcnt vmcnt(14)
	v_mul_f64 v[140:141], v[20:21], v[68:69]
	v_add_f64 v[0:1], v[0:1], v[164:165]
	v_fmac_f64_e32 v[140:141], v[22:23], v[66:67]
	ds_read_b128 v[160:163], v2 offset:1536
	s_waitcnt vmcnt(13) lgkmcnt(3)
	v_mul_f64 v[144:145], v[132:133], v[64:65]
	v_add_f64 v[0:1], v[0:1], v[140:141]
	v_fmac_f64_e32 v[144:145], v[134:135], v[62:63]
	scratch_load_dwordx4 v[140:143], off, off offset:784
	ds_read_b128 v[164:167], v2 offset:1552
	v_add_f64 v[0:1], v[0:1], v[144:145]
	scratch_load_dwordx4 v[144:147], off, off offset:800
	s_waitcnt vmcnt(14) lgkmcnt(1)
	v_mul_f64 v[148:149], v[160:161], v[60:61]
	v_fmac_f64_e32 v[148:149], v[162:163], v[58:59]
	s_waitcnt vmcnt(13) lgkmcnt(0)
	v_mul_f64 v[152:153], v[164:165], v[56:57]
	v_add_f64 v[0:1], v[0:1], v[148:149]
	v_fmac_f64_e32 v[152:153], v[166:167], v[54:55]
	scratch_load_dwordx4 v[148:151], off, off offset:816
	v_add_f64 v[0:1], v[0:1], v[152:153]
	s_waitcnt vmcnt(13)
	v_mul_f64 v[152:153], v[168:169], v[52:53]
	v_fmac_f64_e32 v[152:153], v[170:171], v[50:51]
	v_add_f64 v[0:1], v[0:1], v[152:153]
	scratch_load_dwordx4 v[152:155], off, off offset:832
	s_waitcnt vmcnt(13)
	v_mul_f64 v[156:157], v[172:173], v[48:49]
	v_fmac_f64_e32 v[156:157], v[174:175], v[46:47]
	v_mul_f64 v[74:75], v[178:179], v[74:75]
	v_add_f64 v[0:1], v[0:1], v[156:157]
	scratch_load_dwordx4 v[156:159], off, off offset:848
	v_fma_f64 v[240:241], v[176:177], v[72:73], -v[74:75]
	v_mul_f64 v[72:73], v[194:195], v[78:79]
	ds_read_b128 v[180:183], v2 offset:1600
	ds_read_b128 v[176:179], v2 offset:1616
	v_fma_f64 v[246:247], v[192:193], v[76:77], -v[72:73]
	scratch_load_dwordx4 v[76:79], off, off offset:864
	scratch_load_dwordx4 v[72:75], off, off offset:880
	v_mul_f64 v[82:83], v[190:191], v[82:83]
	v_fma_f64 v[248:249], v[188:189], v[80:81], -v[82:83]
	v_mul_f64 v[80:81], v[238:239], v[86:87]
	v_fma_f64 v[236:237], v[236:237], v[84:85], -v[80:81]
	scratch_load_dwordx4 v[80:83], off, off offset:896
	ds_read_b128 v[188:191], v2 offset:1632
	v_mul_f64 v[84:85], v[234:235], v[90:91]
	s_waitcnt vmcnt(16) lgkmcnt(2)
	v_mul_f64 v[192:193], v[180:181], v[40:41]
	v_fma_f64 v[238:239], v[232:233], v[88:89], -v[84:85]
	scratch_load_dwordx4 v[84:87], off, off offset:912
	v_fmac_f64_e32 v[192:193], v[182:183], v[38:39]
	v_add_f64 v[0:1], v[0:1], v[192:193]
	s_waitcnt vmcnt(16) lgkmcnt(1)
	v_mul_f64 v[192:193], v[176:177], v[44:45]
	v_fmac_f64_e32 v[192:193], v[178:179], v[42:43]
	v_add_f64 v[0:1], v[0:1], v[192:193]
	ds_read_b128 v[192:195], v2 offset:1648
	s_waitcnt vmcnt(15) lgkmcnt(1)
	v_mul_f64 v[88:89], v[188:189], v[36:37]
	v_fmac_f64_e32 v[88:89], v[190:191], v[34:35]
	v_add_f64 v[0:1], v[0:1], v[88:89]
	v_mul_f64 v[88:89], v[230:231], v[94:95]
	v_fma_f64 v[250:251], v[228:229], v[92:93], -v[88:89]
	scratch_load_dwordx4 v[88:91], off, off offset:928
	scratch_load_dwordx4 v[232:235], off, off offset:976
	ds_read_b128 v[92:95], v2 offset:1664
	v_mul_f64 v[98:99], v[222:223], v[98:99]
	v_fma_f64 v[252:253], v[220:221], v[96:97], -v[98:99]
	ds_read_b128 v[96:99], v2 offset:1680
	v_mul_f64 v[102:103], v[210:211], v[102:103]
	s_waitcnt vmcnt(16) lgkmcnt(2)
	v_mul_f64 v[228:229], v[192:193], v[32:33]
	v_fma_f64 v[242:243], v[208:209], v[100:101], -v[102:103]
	ds_read_b128 v[100:103], v2 offset:1696
	ds_read_b128 v[208:211], v2 offset:1712
	v_fmac_f64_e32 v[228:229], v[194:195], v[30:31]
	s_waitcnt vmcnt(15) lgkmcnt(3)
	v_mul_f64 v[220:221], v[92:93], v[28:29]
	s_waitcnt vmcnt(14)
	v_accvgpr_read_b32 v22, a148
	v_add_f64 v[0:1], v[0:1], v[228:229]
	v_fmac_f64_e32 v[220:221], v[94:95], v[26:27]
	v_accvgpr_read_b32 v24, a150
	v_accvgpr_read_b32 v25, a151
	v_add_f64 v[0:1], v[0:1], v[220:221]
	v_accvgpr_read_b32 v23, a149
	s_waitcnt lgkmcnt(2)
	v_mul_f64 v[220:221], v[96:97], v[24:25]
	s_waitcnt vmcnt(13)
	v_accvgpr_read_b32 v18, a156
	v_mul_f64 v[106:107], v[226:227], v[106:107]
	v_fmac_f64_e32 v[220:221], v[98:99], v[22:23]
	v_accvgpr_read_b32 v20, a158
	v_accvgpr_read_b32 v21, a159
	v_fma_f64 v[12:13], v[224:225], v[104:105], -v[106:107]
	s_waitcnt vmcnt(12)
	v_accvgpr_read_b32 v14, a152
	ds_read_b128 v[104:107], v2 offset:1728
	v_accvgpr_write_b32 a127, v7
	v_add_f64 v[0:1], v[0:1], v[220:221]
	v_accvgpr_read_b32 v19, a157
	s_waitcnt lgkmcnt(2)
	v_mul_f64 v[220:221], v[100:101], v[20:21]
	v_accvgpr_read_b32 v16, a154
	v_accvgpr_read_b32 v17, a155
	v_accvgpr_write_b32 a126, v6
	v_accvgpr_write_b32 a125, v5
	;; [unrolled: 1-line block ×3, first 2 shown]
	v_fmac_f64_e32 v[220:221], v[102:103], v[18:19]
	v_accvgpr_read_b32 v15, a153
	s_waitcnt lgkmcnt(1)
	v_mul_f64 v[6:7], v[208:209], v[16:17]
	v_add_f64 v[0:1], v[0:1], v[220:221]
	v_fmac_f64_e32 v[6:7], v[210:211], v[14:15]
	v_add_f64 v[0:1], v[0:1], v[6:7]
	v_mul_f64 v[6:7], v[214:215], v[110:111]
	v_fma_f64 v[8:9], v[212:213], v[108:109], -v[6:7]
	ds_read_b128 v[108:111], v2 offset:1744
	s_waitcnt vmcnt(11) lgkmcnt(1)
	v_mul_f64 v[212:213], v[104:105], v[138:139]
	v_fmac_f64_e32 v[212:213], v[106:107], v[136:137]
	v_add_f64 v[0:1], v[0:1], v[212:213]
	ds_read_b128 v[212:215], v2 offset:1760
	s_waitcnt vmcnt(10) lgkmcnt(1)
	v_mul_f64 v[220:221], v[108:109], v[142:143]
	v_mul_f64 v[114:115], v[202:203], v[114:115]
	v_fmac_f64_e32 v[220:221], v[110:111], v[140:141]
	v_fma_f64 v[6:7], v[200:201], v[112:113], -v[114:115]
	ds_read_b128 v[112:115], v2 offset:1776
	s_waitcnt vmcnt(9) lgkmcnt(1)
	v_mul_f64 v[10:11], v[212:213], v[146:147]
	v_add_f64 v[0:1], v[0:1], v[220:221]
	v_fmac_f64_e32 v[10:11], v[214:215], v[144:145]
	v_add_f64 v[0:1], v[0:1], v[10:11]
	v_mul_f64 v[10:11], v[218:219], v[118:119]
	v_fma_f64 v[10:11], v[216:217], v[116:117], -v[10:11]
	ds_read_b128 v[116:119], v2 offset:1792
	s_waitcnt vmcnt(8) lgkmcnt(1)
	v_mul_f64 v[200:201], v[112:113], v[150:151]
	v_fmac_f64_e32 v[200:201], v[114:115], v[148:149]
	v_add_f64 v[0:1], v[0:1], v[200:201]
	ds_read_b128 v[200:203], v2 offset:1808
	s_waitcnt vmcnt(7) lgkmcnt(1)
	v_mul_f64 v[216:217], v[116:117], v[154:155]
	v_fmac_f64_e32 v[216:217], v[118:119], v[152:153]
	v_add_f64 v[216:217], v[0:1], v[216:217]
	v_mul_f64 v[0:1], v[206:207], v[122:123]
	v_fma_f64 v[4:5], v[204:205], v[120:121], -v[0:1]
	ds_read_b128 v[120:123], v2 offset:1824
	s_waitcnt vmcnt(6) lgkmcnt(1)
	v_mul_f64 v[204:205], v[200:201], v[158:159]
	v_mul_f64 v[126:127], v[198:199], v[126:127]
	v_fmac_f64_e32 v[204:205], v[202:203], v[156:157]
	v_fma_f64 v[70:71], v[196:197], v[124:125], -v[126:127]
	ds_read_b128 v[124:127], v2 offset:1840
	s_waitcnt vmcnt(5) lgkmcnt(1)
	v_mul_f64 v[198:199], v[120:121], v[78:79]
	v_add_f64 v[196:197], v[216:217], v[204:205]
	v_fmac_f64_e32 v[198:199], v[122:123], v[76:77]
	v_add_f64 v[204:205], v[196:197], v[198:199]
	ds_read_b128 v[196:199], v2 offset:1856
	v_mul_f64 v[130:131], v[186:187], v[130:131]
	v_fma_f64 v[244:245], v[184:185], v[128:129], -v[130:131]
	ds_read_b128 v[128:131], v2 offset:1872
	s_waitcnt vmcnt(4) lgkmcnt(2)
	v_mul_f64 v[184:185], v[124:125], v[74:75]
	v_fmac_f64_e32 v[184:185], v[126:127], v[72:73]
	s_waitcnt vmcnt(3) lgkmcnt(1)
	v_mul_f64 v[186:187], v[196:197], v[82:83]
	v_add_f64 v[184:185], v[204:205], v[184:185]
	v_fmac_f64_e32 v[186:187], v[198:199], v[80:81]
	v_add_f64 v[184:185], v[184:185], v[186:187]
	s_waitcnt vmcnt(2) lgkmcnt(0)
	v_mul_f64 v[186:187], v[128:129], v[86:87]
	v_fmac_f64_e32 v[186:187], v[130:131], v[84:85]
	v_add_f64 v[204:205], v[184:185], v[186:187]
	ds_read_b128 v[184:187], v2 offset:1888
	ds_read_b128 v[216:219], v2 offset:1904
	;; [unrolled: 1-line block ×3, first 2 shown]
	s_waitcnt vmcnt(1) lgkmcnt(2)
	v_mul_f64 v[206:207], v[184:185], v[90:91]
	v_fmac_f64_e32 v[206:207], v[186:187], v[88:89]
	v_add_f64 v[220:221], v[204:205], v[206:207]
	scratch_load_dwordx4 v[204:207], off, off offset:944
	s_waitcnt vmcnt(0) lgkmcnt(1)
	v_mul_f64 v[222:223], v[216:217], v[206:207]
	v_fmac_f64_e32 v[222:223], v[218:219], v[204:205]
	v_add_f64 v[228:229], v[220:221], v[222:223]
	scratch_load_dwordx4 v[220:223], off, off offset:960
	s_waitcnt vmcnt(0) lgkmcnt(0)
	v_mul_f64 v[230:231], v[224:225], v[222:223]
	v_fmac_f64_e32 v[230:231], v[226:227], v[220:221]
	v_add_f64 v[0:1], v[228:229], v[230:231]
	ds_read_b128 v[228:231], v2 offset:1936
	s_waitcnt lgkmcnt(0)
	v_mul_f64 v[2:3], v[228:229], v[234:235]
	v_fmac_f64_e32 v[2:3], v[230:231], v[232:233]
	v_add_f64 v[2:3], v[0:1], v[2:3]
	v_add_f64 v[0:1], v[240:241], 0
	;; [unrolled: 1-line block ×6, first 2 shown]
	scratch_load_dwordx4 v[236:239], off, off offset:272
	v_add_f64 v[0:1], v[0:1], v[250:251]
	v_add_f64 v[0:1], v[0:1], v[252:253]
	;; [unrolled: 1-line block ×7, first 2 shown]
	v_accvgpr_read_b32 v6, a124
	v_accvgpr_read_b32 v10, a128
	;; [unrolled: 1-line block ×6, first 2 shown]
	v_add_f64 v[246:247], v[0:1], v[4:5]
	v_accvgpr_read_b32 v7, a125
	v_accvgpr_read_b32 v11, a129
	v_mul_f64 v[4:5], v[12:13], v[8:9]
	v_add_f64 v[0:1], v[246:247], v[70:71]
	v_fma_f64 v[4:5], v[10:11], v[6:7], -v[4:5]
	v_accvgpr_read_b32 v6, a160
	v_add_f64 v[0:1], v[0:1], v[244:245]
	v_accvgpr_read_b32 v8, a162
	v_accvgpr_read_b32 v9, a163
	v_add_f64 v[0:1], v[0:1], v[4:5]
	v_accvgpr_read_b32 v7, a161
	v_mul_f64 v[4:5], v[8:9], v[68:69]
	v_fma_f64 v[4:5], v[6:7], v[66:67], -v[4:5]
	v_add_f64 v[0:1], v[0:1], v[4:5]
	v_mul_f64 v[4:5], v[134:135], v[64:65]
	v_fma_f64 v[4:5], v[132:133], v[62:63], -v[4:5]
	v_add_f64 v[0:1], v[0:1], v[4:5]
	;; [unrolled: 3-line block ×28, first 2 shown]
	s_waitcnt vmcnt(0)
	v_add_f64 v[4:5], v[236:237], -v[0:1]
	v_add_f64 v[6:7], v[238:239], -v[2:3]
	scratch_store_dwordx4 off, v[4:7], off offset:272
	s_and_saveexec_b64 s[0:1], vcc
	s_cbranch_execz .LBB124_361
; %bb.360:
	scratch_load_dwordx4 v[2:5], off, s72
	v_mov_b32_e32 v6, 0
	v_mov_b32_e32 v7, v6
	;; [unrolled: 1-line block ×4, first 2 shown]
	v_accvgpr_read_b32 v0, a1
	scratch_store_dwordx4 off, v[6:9], off offset:256
	s_waitcnt vmcnt(1)
	ds_write_b128 v0, v[2:5]
.LBB124_361:
	s_or_b64 exec, exec, s[0:1]
	s_waitcnt lgkmcnt(0)
	; wave barrier
	scratch_load_dwordx4 v[80:83], off, off offset:272
	scratch_load_dwordx4 v[84:87], off, off offset:288
	;; [unrolled: 1-line block ×29, first 2 shown]
	v_mov_b32_e32 v2, 0
	ds_read_b128 v[132:135], v2 offset:1232
	ds_read_b128 v[136:139], v2 offset:1248
	;; [unrolled: 1-line block ×22, first 2 shown]
	v_cmp_lt_u32_e32 vcc, 14, v254
	s_waitcnt vmcnt(28) lgkmcnt(14)
	v_mul_f64 v[0:1], v[132:133], v[82:83]
	s_waitcnt vmcnt(27)
	v_mul_f64 v[56:57], v[136:137], v[86:87]
	v_fmac_f64_e32 v[0:1], v[134:135], v[80:81]
	s_waitcnt vmcnt(26)
	v_mul_f64 v[58:59], v[140:141], v[90:91]
	v_fmac_f64_e32 v[56:57], v[138:139], v[84:85]
	v_add_f64 v[0:1], v[0:1], 0
	s_waitcnt vmcnt(25)
	v_mul_f64 v[60:61], v[148:149], v[94:95]
	v_fmac_f64_e32 v[58:59], v[142:143], v[88:89]
	v_add_f64 v[0:1], v[0:1], v[56:57]
	s_waitcnt vmcnt(24)
	v_mul_f64 v[62:63], v[160:161], v[98:99]
	v_fmac_f64_e32 v[60:61], v[150:151], v[92:93]
	v_add_f64 v[0:1], v[0:1], v[58:59]
	s_waitcnt vmcnt(23)
	v_mul_f64 v[64:65], v[172:173], v[102:103]
	v_fmac_f64_e32 v[62:63], v[162:163], v[96:97]
	v_add_f64 v[0:1], v[0:1], v[60:61]
	s_waitcnt vmcnt(22)
	v_mul_f64 v[66:67], v[184:185], v[106:107]
	v_fmac_f64_e32 v[64:65], v[174:175], v[100:101]
	v_add_f64 v[0:1], v[0:1], v[62:63]
	s_waitcnt vmcnt(21)
	v_mul_f64 v[68:69], v[196:197], v[146:147]
	v_fmac_f64_e32 v[66:67], v[186:187], v[104:105]
	v_add_f64 v[0:1], v[0:1], v[64:65]
	s_waitcnt vmcnt(20) lgkmcnt(13)
	v_mul_f64 v[70:71], v[204:205], v[154:155]
	v_fmac_f64_e32 v[68:69], v[198:199], v[144:145]
	v_add_f64 v[0:1], v[0:1], v[66:67]
	s_waitcnt vmcnt(19) lgkmcnt(12)
	v_mul_f64 v[72:73], v[208:209], v[158:159]
	v_fmac_f64_e32 v[70:71], v[206:207], v[152:153]
	v_add_f64 v[0:1], v[0:1], v[68:69]
	;; [unrolled: 4-line block ×8, first 2 shown]
	v_fmac_f64_e32 v[112:113], v[244:245], v[192:193]
	v_add_f64 v[0:1], v[0:1], v[110:111]
	s_waitcnt vmcnt(12) lgkmcnt(5)
	v_mul_f64 v[60:61], v[246:247], v[202:203]
	scratch_load_dwordx4 v[56:59], off, off offset:736
	ds_read_b128 v[108:111], v2 offset:1520
	v_add_f64 v[0:1], v[0:1], v[112:113]
	v_fmac_f64_e32 v[60:61], v[248:249], v[200:201]
	v_add_f64 v[0:1], v[0:1], v[60:61]
	s_waitcnt vmcnt(12) lgkmcnt(5)
	v_mul_f64 v[64:65], v[52:53], v[6:7]
	scratch_load_dwordx4 v[60:63], off, off offset:752
	v_accvgpr_write_b32 a127, v7
	v_fmac_f64_e32 v[64:65], v[54:55], v[4:5]
	v_accvgpr_write_b32 a126, v6
	v_accvgpr_write_b32 a125, v5
	v_accvgpr_write_b32 a124, v4
	ds_read_b128 v[112:115], v2 offset:1536
	s_waitcnt vmcnt(12)
	v_mov_b64_e32 v[4:5], v[8:9]
	v_mov_b64_e32 v[6:7], v[10:11]
	s_waitcnt lgkmcnt(1)
	v_mul_f64 v[68:69], v[108:109], v[6:7]
	v_fmac_f64_e32 v[68:69], v[110:111], v[4:5]
	s_waitcnt vmcnt(11)
	v_mov_b64_e32 v[4:5], v[12:13]
	v_add_f64 v[0:1], v[0:1], v[64:65]
	v_mov_b64_e32 v[6:7], v[14:15]
	scratch_load_dwordx4 v[64:67], off, off offset:768
	v_add_f64 v[0:1], v[0:1], v[68:69]
	s_waitcnt lgkmcnt(0)
	v_mul_f64 v[68:69], v[112:113], v[6:7]
	v_fmac_f64_e32 v[68:69], v[114:115], v[4:5]
	s_waitcnt vmcnt(11)
	v_mov_b64_e32 v[4:5], v[16:17]
	v_add_f64 v[0:1], v[0:1], v[68:69]
	scratch_load_dwordx4 v[68:71], off, off offset:784
	v_mov_b64_e32 v[6:7], v[18:19]
	v_mul_f64 v[76:77], v[116:117], v[6:7]
	scratch_load_dwordx4 v[72:75], off, off offset:800
	v_fmac_f64_e32 v[76:77], v[118:119], v[4:5]
	v_add_f64 v[0:1], v[0:1], v[76:77]
	s_waitcnt vmcnt(12)
	v_mul_f64 v[76:77], v[120:121], v[236:237]
	v_fmac_f64_e32 v[76:77], v[122:123], v[234:235]
	v_add_f64 v[0:1], v[0:1], v[76:77]
	scratch_load_dwordx4 v[76:79], off, off offset:816
	v_mul_f64 v[82:83], v[134:135], v[82:83]
	v_fma_f64 v[240:241], v[132:133], v[80:81], -v[82:83]
	scratch_load_dwordx4 v[80:83], off, off offset:832
	v_mul_f64 v[86:87], v[138:139], v[86:87]
	v_fma_f64 v[250:251], v[136:137], v[84:85], -v[86:87]
	scratch_load_dwordx4 v[84:87], off, off offset:848
	v_mul_f64 v[90:91], v[142:143], v[90:91]
	s_waitcnt vmcnt(14)
	v_mul_f64 v[132:133], v[124:125], v[26:27]
	v_fma_f64 v[252:253], v[140:141], v[88:89], -v[90:91]
	scratch_load_dwordx4 v[88:91], off, off offset:864
	v_fmac_f64_e32 v[132:133], v[126:127], v[24:25]
	s_waitcnt vmcnt(14)
	v_mul_f64 v[136:137], v[128:129], v[30:31]
	v_mul_f64 v[94:95], v[150:151], v[94:95]
	v_add_f64 v[0:1], v[0:1], v[132:133]
	v_fmac_f64_e32 v[136:137], v[130:131], v[28:29]
	v_fma_f64 v[232:233], v[148:149], v[92:93], -v[94:95]
	v_mul_f64 v[92:93], v[162:163], v[98:99]
	ds_read_b128 v[132:135], v2 offset:1616
	v_add_f64 v[0:1], v[0:1], v[136:137]
	ds_read_b128 v[136:139], v2 offset:1632
	v_fma_f64 v[20:21], v[160:161], v[96:97], -v[92:93]
	scratch_load_dwordx4 v[96:99], off, off offset:880
	scratch_load_dwordx4 v[92:95], off, off offset:896
	v_accvgpr_write_b32 a131, v11
	v_accvgpr_write_b32 a139, v19
	v_mul_f64 v[102:103], v[174:175], v[102:103]
	v_accvgpr_write_b32 a130, v10
	v_accvgpr_write_b32 a129, v9
	;; [unrolled: 1-line block ×7, first 2 shown]
	v_fma_f64 v[16:17], v[172:173], v[100:101], -v[102:103]
	scratch_load_dwordx4 v[100:103], off, off offset:912
	v_mul_f64 v[10:11], v[186:187], v[106:107]
	v_accvgpr_write_b32 a134, v14
	v_accvgpr_write_b32 a133, v13
	;; [unrolled: 1-line block ×3, first 2 shown]
	v_fma_f64 v[12:13], v[184:185], v[104:105], -v[10:11]
	v_mul_f64 v[104:105], v[198:199], v[146:147]
	v_fma_f64 v[10:11], v[196:197], v[144:145], -v[104:105]
	scratch_load_dwordx4 v[104:107], off, off offset:928
	s_waitcnt vmcnt(17) lgkmcnt(1)
	v_mul_f64 v[140:141], v[132:133], v[34:35]
	v_fmac_f64_e32 v[140:141], v[134:135], v[32:33]
	v_add_f64 v[0:1], v[0:1], v[140:141]
	ds_read_b128 v[140:143], v2 offset:1648
	ds_read_b128 v[144:147], v2 offset:1664
	s_waitcnt vmcnt(16) lgkmcnt(2)
	v_mul_f64 v[6:7], v[136:137], v[38:39]
	v_fmac_f64_e32 v[6:7], v[138:139], v[36:37]
	v_add_f64 v[0:1], v[0:1], v[6:7]
	s_waitcnt vmcnt(15) lgkmcnt(1)
	v_mul_f64 v[6:7], v[140:141], v[42:43]
	ds_read_b128 v[148:151], v2 offset:1680
	v_fmac_f64_e32 v[6:7], v[142:143], v[40:41]
	v_add_f64 v[0:1], v[0:1], v[6:7]
	s_waitcnt vmcnt(14) lgkmcnt(1)
	v_mul_f64 v[6:7], v[144:145], v[46:47]
	v_fmac_f64_e32 v[6:7], v[146:147], v[44:45]
	v_add_f64 v[0:1], v[0:1], v[6:7]
	v_mul_f64 v[6:7], v[206:207], v[154:155]
	v_fma_f64 v[14:15], v[204:205], v[152:153], -v[6:7]
	ds_read_b128 v[152:155], v2 offset:1696
	s_waitcnt vmcnt(13) lgkmcnt(1)
	v_mul_f64 v[6:7], v[148:149], v[50:51]
	v_fmac_f64_e32 v[6:7], v[150:151], v[48:49]
	v_add_f64 v[0:1], v[0:1], v[6:7]
	v_mul_f64 v[6:7], v[210:211], v[158:159]
	v_fma_f64 v[8:9], v[208:209], v[156:157], -v[6:7]
	ds_read_b128 v[156:159], v2 offset:1712
	ds_read_b128 v[160:163], v2 offset:1728
	s_waitcnt vmcnt(12) lgkmcnt(2)
	v_mul_f64 v[6:7], v[152:153], v[58:59]
	v_fmac_f64_e32 v[6:7], v[154:155], v[56:57]
	v_add_f64 v[0:1], v[0:1], v[6:7]
	s_waitcnt vmcnt(11) lgkmcnt(1)
	v_mul_f64 v[6:7], v[156:157], v[62:63]
	v_fmac_f64_e32 v[6:7], v[158:159], v[60:61]
	v_add_f64 v[0:1], v[0:1], v[6:7]
	v_mul_f64 v[6:7], v[214:215], v[166:167]
	v_fma_f64 v[18:19], v[212:213], v[164:165], -v[6:7]
	ds_read_b128 v[164:167], v2 offset:1744
	v_mul_f64 v[170:171], v[218:219], v[170:171]
	v_fma_f64 v[4:5], v[216:217], v[168:169], -v[170:171]
	ds_read_b128 v[168:171], v2 offset:1760
	s_waitcnt vmcnt(10) lgkmcnt(2)
	v_mul_f64 v[6:7], v[160:161], v[66:67]
	v_fmac_f64_e32 v[6:7], v[162:163], v[64:65]
	v_add_f64 v[0:1], v[0:1], v[6:7]
	s_waitcnt vmcnt(9) lgkmcnt(1)
	v_mul_f64 v[6:7], v[164:165], v[70:71]
	ds_read_b128 v[172:175], v2 offset:1776
	v_fmac_f64_e32 v[6:7], v[166:167], v[68:69]
	v_add_f64 v[0:1], v[0:1], v[6:7]
	s_waitcnt vmcnt(8) lgkmcnt(1)
	v_mul_f64 v[6:7], v[168:169], v[74:75]
	v_fmac_f64_e32 v[6:7], v[170:171], v[72:73]
	v_add_f64 v[0:1], v[0:1], v[6:7]
	v_mul_f64 v[6:7], v[222:223], v[178:179]
	v_fma_f64 v[22:23], v[220:221], v[176:177], -v[6:7]
	ds_read_b128 v[176:179], v2 offset:1792
	s_waitcnt vmcnt(7) lgkmcnt(1)
	v_mul_f64 v[6:7], v[172:173], v[78:79]
	v_fmac_f64_e32 v[6:7], v[174:175], v[76:77]
	v_add_f64 v[0:1], v[0:1], v[6:7]
	v_mul_f64 v[6:7], v[226:227], v[182:183]
	v_fma_f64 v[6:7], v[224:225], v[180:181], -v[6:7]
	ds_read_b128 v[180:183], v2 offset:1808
	s_waitcnt vmcnt(6) lgkmcnt(1)
	v_mul_f64 v[184:185], v[176:177], v[82:83]
	v_fmac_f64_e32 v[184:185], v[178:179], v[80:81]
	v_add_f64 v[0:1], v[0:1], v[184:185]
	ds_read_b128 v[184:187], v2 offset:1824
	s_waitcnt vmcnt(5) lgkmcnt(1)
	v_mul_f64 v[196:197], v[180:181], v[86:87]
	v_fmac_f64_e32 v[196:197], v[182:183], v[84:85]
	v_add_f64 v[196:197], v[0:1], v[196:197]
	v_mul_f64 v[0:1], v[230:231], v[190:191]
	v_fma_f64 v[0:1], v[228:229], v[188:189], -v[0:1]
	ds_read_b128 v[188:191], v2 offset:1840
	s_waitcnt vmcnt(4) lgkmcnt(1)
	v_mul_f64 v[198:199], v[184:185], v[90:91]
	v_fmac_f64_e32 v[198:199], v[186:187], v[88:89]
	v_mul_f64 v[194:195], v[244:245], v[194:195]
	v_fma_f64 v[238:239], v[242:243], v[192:193], -v[194:195]
	ds_read_b128 v[192:195], v2 offset:1856
	v_add_f64 v[196:197], v[196:197], v[198:199]
	s_waitcnt vmcnt(3) lgkmcnt(1)
	v_mul_f64 v[198:199], v[188:189], v[98:99]
	v_fmac_f64_e32 v[198:199], v[190:191], v[96:97]
	v_add_f64 v[204:205], v[196:197], v[198:199]
	ds_read_b128 v[196:199], v2 offset:1872
	v_mul_f64 v[202:203], v[248:249], v[202:203]
	v_fma_f64 v[242:243], v[246:247], v[200:201], -v[202:203]
	ds_read_b128 v[200:203], v2 offset:1888
	s_waitcnt vmcnt(2) lgkmcnt(2)
	v_mul_f64 v[206:207], v[192:193], v[94:95]
	v_fmac_f64_e32 v[206:207], v[194:195], v[92:93]
	v_add_f64 v[204:205], v[204:205], v[206:207]
	s_waitcnt vmcnt(1) lgkmcnt(1)
	v_mul_f64 v[206:207], v[196:197], v[102:103]
	v_fmac_f64_e32 v[206:207], v[198:199], v[100:101]
	v_add_f64 v[204:205], v[204:205], v[206:207]
	;; [unrolled: 4-line block ×3, first 2 shown]
	scratch_load_dwordx4 v[204:207], off, off offset:944
	ds_read_b128 v[208:211], v2 offset:1904
	ds_read_b128 v[216:219], v2 offset:1920
	;; [unrolled: 1-line block ×3, first 2 shown]
	s_waitcnt vmcnt(0) lgkmcnt(2)
	v_mul_f64 v[214:215], v[208:209], v[206:207]
	v_fmac_f64_e32 v[214:215], v[210:211], v[204:205]
	v_add_f64 v[220:221], v[212:213], v[214:215]
	scratch_load_dwordx4 v[212:215], off, off offset:960
	s_waitcnt vmcnt(0) lgkmcnt(1)
	v_mul_f64 v[222:223], v[216:217], v[214:215]
	v_fmac_f64_e32 v[222:223], v[218:219], v[212:213]
	v_add_f64 v[228:229], v[220:221], v[222:223]
	scratch_load_dwordx4 v[220:223], off, off offset:976
	s_waitcnt vmcnt(0) lgkmcnt(0)
	v_mul_f64 v[230:231], v[224:225], v[222:223]
	v_fmac_f64_e32 v[230:231], v[226:227], v[220:221]
	v_add_f64 v[246:247], v[228:229], v[230:231]
	v_add_f64 v[228:229], v[240:241], 0
	;; [unrolled: 1-line block ×6, first 2 shown]
	scratch_load_dwordx4 v[228:231], off, off offset:256
	v_add_f64 v[16:17], v[20:21], v[16:17]
	v_add_f64 v[12:13], v[16:17], v[12:13]
	;; [unrolled: 1-line block ×9, first 2 shown]
	v_accvgpr_read_b32 v6, a124
	v_accvgpr_read_b32 v8, a126
	;; [unrolled: 1-line block ×3, first 2 shown]
	v_add_f64 v[0:1], v[4:5], v[0:1]
	v_accvgpr_read_b32 v7, a125
	v_mul_f64 v[4:5], v[54:55], v[8:9]
	v_add_f64 v[0:1], v[0:1], v[238:239]
	v_fma_f64 v[4:5], v[52:53], v[6:7], -v[4:5]
	v_accvgpr_read_b32 v6, a128
	v_add_f64 v[0:1], v[0:1], v[242:243]
	v_accvgpr_read_b32 v8, a130
	v_accvgpr_read_b32 v9, a131
	v_add_f64 v[0:1], v[0:1], v[4:5]
	v_accvgpr_read_b32 v7, a129
	v_mul_f64 v[4:5], v[110:111], v[8:9]
	v_fma_f64 v[4:5], v[108:109], v[6:7], -v[4:5]
	v_accvgpr_read_b32 v6, a132
	v_accvgpr_read_b32 v8, a134
	;; [unrolled: 1-line block ×3, first 2 shown]
	v_add_f64 v[0:1], v[0:1], v[4:5]
	v_accvgpr_read_b32 v7, a133
	v_mul_f64 v[4:5], v[114:115], v[8:9]
	v_fma_f64 v[4:5], v[112:113], v[6:7], -v[4:5]
	v_accvgpr_read_b32 v6, a136
	v_accvgpr_read_b32 v8, a138
	v_accvgpr_read_b32 v9, a139
	v_add_f64 v[0:1], v[0:1], v[4:5]
	v_accvgpr_read_b32 v7, a137
	v_mul_f64 v[4:5], v[118:119], v[8:9]
	v_fma_f64 v[4:5], v[116:117], v[6:7], -v[4:5]
	v_add_f64 v[0:1], v[0:1], v[4:5]
	v_mul_f64 v[4:5], v[122:123], v[236:237]
	v_fma_f64 v[4:5], v[120:121], v[234:235], -v[4:5]
	v_add_f64 v[0:1], v[0:1], v[4:5]
	;; [unrolled: 3-line block ×25, first 2 shown]
	s_waitcnt vmcnt(0)
	v_add_f64 v[4:5], v[228:229], -v[0:1]
	v_add_f64 v[6:7], v[230:231], -v[246:247]
	scratch_store_dwordx4 off, v[4:7], off offset:256
	s_and_saveexec_b64 s[0:1], vcc
	s_cbranch_execz .LBB124_363
; %bb.362:
	scratch_load_dwordx4 v[6:9], off, s73
	v_mov_b32_e32 v3, v2
	v_mov_b32_e32 v4, v2
	;; [unrolled: 1-line block ×3, first 2 shown]
	v_accvgpr_read_b32 v0, a1
	scratch_store_dwordx4 off, v[2:5], off offset:240
	s_waitcnt vmcnt(1)
	ds_write_b128 v0, v[6:9]
.LBB124_363:
	s_or_b64 exec, exec, s[0:1]
	s_waitcnt lgkmcnt(0)
	; wave barrier
	scratch_load_dwordx4 v[80:83], off, off offset:256
	scratch_load_dwordx4 v[84:87], off, off offset:272
	;; [unrolled: 1-line block ×17, first 2 shown]
	ds_read_b128 v[136:139], v2 offset:1216
	ds_read_b128 v[132:135], v2 offset:1232
	scratch_load_dwordx4 v[4:7], off, off offset:528
	ds_read_b128 v[236:239], v2 offset:1248
	ds_read_b128 v[228:231], v2 offset:1264
	;; [unrolled: 1-line block ×5, first 2 shown]
	scratch_load_dwordx4 v[8:11], off, off offset:544
	ds_read_b128 v[232:235], v2 offset:1328
	ds_read_b128 v[216:219], v2 offset:1344
	;; [unrolled: 1-line block ×3, first 2 shown]
	scratch_load_dwordx4 v[12:15], off, off offset:560
	ds_read_b128 v[220:223], v2 offset:1376
	ds_read_b128 v[172:175], v2 offset:1392
	;; [unrolled: 1-line block ×5, first 2 shown]
	scratch_load_dwordx4 v[16:19], off, off offset:576
	ds_read_b128 v[208:211], v2 offset:1456
	ds_read_b128 v[204:207], v2 offset:1472
	;; [unrolled: 1-line block ×3, first 2 shown]
	scratch_load_dwordx4 v[24:27], off, off offset:592
	scratch_load_dwordx4 v[28:31], off, off offset:608
	;; [unrolled: 1-line block ×8, first 2 shown]
	ds_read_b128 v[116:119], v2 offset:1536
	ds_read_b128 v[120:123], v2 offset:1552
	ds_read_b128 v[124:127], v2 offset:1568
	ds_read_b128 v[128:131], v2 offset:1584
	v_cmp_lt_u32_e32 vcc, 13, v254
	s_waitcnt vmcnt(28) lgkmcnt(14)
	v_mul_f64 v[0:1], v[136:137], v[82:83]
	s_waitcnt vmcnt(27)
	v_mul_f64 v[56:57], v[132:133], v[86:87]
	v_fmac_f64_e32 v[0:1], v[138:139], v[80:81]
	s_waitcnt vmcnt(26)
	v_mul_f64 v[58:59], v[236:237], v[90:91]
	v_fmac_f64_e32 v[56:57], v[134:135], v[84:85]
	v_add_f64 v[0:1], v[0:1], 0
	s_waitcnt vmcnt(25)
	v_mul_f64 v[60:61], v[228:229], v[94:95]
	v_fmac_f64_e32 v[58:59], v[238:239], v[88:89]
	v_add_f64 v[0:1], v[0:1], v[56:57]
	;; [unrolled: 4-line block ×6, first 2 shown]
	s_waitcnt vmcnt(20) lgkmcnt(13)
	v_mul_f64 v[70:71], v[216:217], v[154:155]
	v_fmac_f64_e32 v[68:69], v[234:235], v[144:145]
	v_add_f64 v[0:1], v[0:1], v[66:67]
	s_waitcnt vmcnt(19) lgkmcnt(12)
	v_mul_f64 v[72:73], v[160:161], v[158:159]
	v_fmac_f64_e32 v[70:71], v[218:219], v[152:153]
	v_add_f64 v[0:1], v[0:1], v[68:69]
	;; [unrolled: 4-line block ×7, first 2 shown]
	v_fmac_f64_e32 v[110:111], v[198:199], v[188:189]
	v_add_f64 v[0:1], v[0:1], v[108:109]
	s_waitcnt vmcnt(13) lgkmcnt(6)
	v_mul_f64 v[112:113], v[208:209], v[194:195]
	v_add_f64 v[0:1], v[0:1], v[110:111]
	ds_read_b128 v[108:111], v2 offset:1504
	s_waitcnt vmcnt(12) lgkmcnt(6)
	v_mul_f64 v[114:115], v[204:205], v[202:203]
	v_fmac_f64_e32 v[112:113], v[210:211], v[192:193]
	scratch_load_dwordx4 v[56:59], off, off offset:720
	scratch_load_dwordx4 v[60:63], off, off offset:736
	v_add_f64 v[0:1], v[0:1], v[112:113]
	v_fmac_f64_e32 v[114:115], v[206:207], v[200:201]
	s_waitcnt vmcnt(13) lgkmcnt(5)
	v_mul_f64 v[64:65], v[20:21], v[6:7]
	v_accvgpr_write_b32 a127, v7
	v_add_f64 v[0:1], v[0:1], v[114:115]
	v_fmac_f64_e32 v[64:65], v[22:23], v[4:5]
	v_accvgpr_write_b32 a126, v6
	v_accvgpr_write_b32 a125, v5
	;; [unrolled: 1-line block ×3, first 2 shown]
	ds_read_b128 v[112:115], v2 offset:1520
	s_waitcnt vmcnt(12)
	v_mov_b64_e32 v[4:5], v[8:9]
	v_mov_b64_e32 v[6:7], v[10:11]
	s_waitcnt lgkmcnt(1)
	v_mul_f64 v[68:69], v[108:109], v[6:7]
	v_fmac_f64_e32 v[68:69], v[110:111], v[4:5]
	s_waitcnt vmcnt(11)
	v_mov_b64_e32 v[4:5], v[12:13]
	v_add_f64 v[0:1], v[0:1], v[64:65]
	v_mov_b64_e32 v[6:7], v[14:15]
	scratch_load_dwordx4 v[64:67], off, off offset:752
	v_add_f64 v[0:1], v[0:1], v[68:69]
	s_waitcnt lgkmcnt(0)
	v_mul_f64 v[68:69], v[112:113], v[6:7]
	v_fmac_f64_e32 v[68:69], v[114:115], v[4:5]
	s_waitcnt vmcnt(11)
	v_mov_b64_e32 v[4:5], v[16:17]
	v_add_f64 v[0:1], v[0:1], v[68:69]
	scratch_load_dwordx4 v[68:71], off, off offset:768
	v_mov_b64_e32 v[6:7], v[18:19]
	v_mul_f64 v[76:77], v[116:117], v[6:7]
	scratch_load_dwordx4 v[72:75], off, off offset:784
	v_fmac_f64_e32 v[76:77], v[118:119], v[4:5]
	v_add_f64 v[0:1], v[0:1], v[76:77]
	s_waitcnt vmcnt(12)
	v_mul_f64 v[76:77], v[120:121], v[26:27]
	v_fmac_f64_e32 v[76:77], v[122:123], v[24:25]
	v_add_f64 v[0:1], v[0:1], v[76:77]
	scratch_load_dwordx4 v[76:79], off, off offset:800
	v_mul_f64 v[82:83], v[138:139], v[82:83]
	v_fma_f64 v[240:241], v[136:137], v[80:81], -v[82:83]
	scratch_load_dwordx4 v[80:83], off, off offset:816
	v_mul_f64 v[86:87], v[134:135], v[86:87]
	v_fma_f64 v[246:247], v[132:133], v[84:85], -v[86:87]
	scratch_load_dwordx4 v[84:87], off, off offset:832
	s_waitcnt vmcnt(14)
	v_mul_f64 v[136:137], v[124:125], v[30:31]
	v_mul_f64 v[90:91], v[238:239], v[90:91]
	v_fmac_f64_e32 v[136:137], v[126:127], v[28:29]
	v_fma_f64 v[236:237], v[236:237], v[88:89], -v[90:91]
	scratch_load_dwordx4 v[88:91], off, off offset:848
	v_add_f64 v[0:1], v[0:1], v[136:137]
	s_waitcnt vmcnt(14)
	v_mul_f64 v[136:137], v[128:129], v[34:35]
	v_mul_f64 v[94:95], v[230:231], v[94:95]
	v_fmac_f64_e32 v[136:137], v[130:131], v[32:33]
	v_fma_f64 v[238:239], v[228:229], v[92:93], -v[94:95]
	v_mul_f64 v[92:93], v[226:227], v[98:99]
	ds_read_b128 v[132:135], v2 offset:1600
	v_add_f64 v[0:1], v[0:1], v[136:137]
	ds_read_b128 v[136:139], v2 offset:1616
	v_fma_f64 v[248:249], v[224:225], v[96:97], -v[92:93]
	scratch_load_dwordx4 v[96:99], off, off offset:864
	scratch_load_dwordx4 v[92:95], off, off offset:880
	v_mul_f64 v[102:103], v[150:151], v[102:103]
	v_fma_f64 v[250:251], v[148:149], v[100:101], -v[102:103]
	scratch_load_dwordx4 v[100:103], off, off offset:896
	v_mul_f64 v[106:107], v[142:143], v[106:107]
	v_fma_f64 v[252:253], v[140:141], v[104:105], -v[106:107]
	v_mul_f64 v[104:105], v[234:235], v[146:147]
	v_fma_f64 v[242:243], v[232:233], v[144:145], -v[104:105]
	scratch_load_dwordx4 v[104:107], off, off offset:912
	ds_read_b128 v[140:143], v2 offset:1632
	ds_read_b128 v[144:147], v2 offset:1648
	s_waitcnt vmcnt(17) lgkmcnt(3)
	v_mul_f64 v[228:229], v[132:133], v[38:39]
	v_fmac_f64_e32 v[228:229], v[134:135], v[36:37]
	s_waitcnt vmcnt(16) lgkmcnt(2)
	v_mul_f64 v[224:225], v[136:137], v[42:43]
	v_add_f64 v[0:1], v[0:1], v[228:229]
	v_fmac_f64_e32 v[224:225], v[138:139], v[40:41]
	s_waitcnt vmcnt(15) lgkmcnt(1)
	v_mul_f64 v[148:149], v[140:141], v[46:47]
	v_add_f64 v[0:1], v[0:1], v[224:225]
	v_fmac_f64_e32 v[148:149], v[142:143], v[44:45]
	v_add_f64 v[0:1], v[0:1], v[148:149]
	ds_read_b128 v[148:151], v2 offset:1664
	v_accvgpr_write_b32 a139, v19
	v_mul_f64 v[154:155], v[218:219], v[154:155]
	v_accvgpr_write_b32 a138, v18
	v_accvgpr_write_b32 a137, v17
	;; [unrolled: 1-line block ×3, first 2 shown]
	v_fma_f64 v[16:17], v[216:217], v[152:153], -v[154:155]
	ds_read_b128 v[152:155], v2 offset:1680
	s_waitcnt vmcnt(14) lgkmcnt(2)
	v_mul_f64 v[224:225], v[144:145], v[50:51]
	v_fmac_f64_e32 v[224:225], v[146:147], v[48:49]
	s_waitcnt vmcnt(13) lgkmcnt(1)
	v_mul_f64 v[6:7], v[148:149], v[54:55]
	v_add_f64 v[0:1], v[0:1], v[224:225]
	v_fmac_f64_e32 v[6:7], v[150:151], v[52:53]
	v_accvgpr_write_b32 a135, v15
	v_add_f64 v[0:1], v[0:1], v[6:7]
	v_mul_f64 v[6:7], v[162:163], v[158:159]
	v_accvgpr_write_b32 a134, v14
	v_accvgpr_write_b32 a133, v13
	;; [unrolled: 1-line block ×3, first 2 shown]
	v_fma_f64 v[12:13], v[160:161], v[156:157], -v[6:7]
	s_waitcnt vmcnt(12) lgkmcnt(0)
	v_mul_f64 v[160:161], v[152:153], v[58:59]
	ds_read_b128 v[156:159], v2 offset:1696
	v_fmac_f64_e32 v[160:161], v[154:155], v[56:57]
	v_add_f64 v[0:1], v[0:1], v[160:161]
	ds_read_b128 v[160:163], v2 offset:1712
	v_accvgpr_write_b32 a131, v11
	v_mul_f64 v[166:167], v[222:223], v[166:167]
	v_accvgpr_write_b32 a130, v10
	v_accvgpr_write_b32 a129, v9
	;; [unrolled: 1-line block ×3, first 2 shown]
	v_fma_f64 v[8:9], v[220:221], v[164:165], -v[166:167]
	ds_read_b128 v[164:167], v2 offset:1728
	v_mul_f64 v[170:171], v[174:175], v[170:171]
	s_waitcnt vmcnt(11) lgkmcnt(2)
	v_mul_f64 v[216:217], v[156:157], v[62:63]
	v_fma_f64 v[244:245], v[172:173], v[168:169], -v[170:171]
	ds_read_b128 v[168:171], v2 offset:1744
	v_fmac_f64_e32 v[216:217], v[158:159], v[60:61]
	s_waitcnt vmcnt(10) lgkmcnt(2)
	v_mul_f64 v[10:11], v[160:161], v[66:67]
	v_add_f64 v[0:1], v[0:1], v[216:217]
	v_fmac_f64_e32 v[10:11], v[162:163], v[64:65]
	v_add_f64 v[0:1], v[0:1], v[10:11]
	s_waitcnt vmcnt(9) lgkmcnt(1)
	v_mul_f64 v[10:11], v[164:165], v[70:71]
	ds_read_b128 v[172:175], v2 offset:1760
	v_fmac_f64_e32 v[10:11], v[166:167], v[68:69]
	v_add_f64 v[0:1], v[0:1], v[10:11]
	s_waitcnt vmcnt(8) lgkmcnt(1)
	v_mul_f64 v[10:11], v[168:169], v[74:75]
	v_fmac_f64_e32 v[10:11], v[170:171], v[72:73]
	v_add_f64 v[0:1], v[0:1], v[10:11]
	v_mul_f64 v[10:11], v[214:215], v[178:179]
	v_fma_f64 v[6:7], v[212:213], v[176:177], -v[10:11]
	ds_read_b128 v[176:179], v2 offset:1776
	s_waitcnt vmcnt(7) lgkmcnt(1)
	v_mul_f64 v[10:11], v[172:173], v[78:79]
	v_fmac_f64_e32 v[10:11], v[174:175], v[76:77]
	v_add_f64 v[0:1], v[0:1], v[10:11]
	v_mul_f64 v[10:11], v[186:187], v[182:183]
	v_fma_f64 v[14:15], v[184:185], v[180:181], -v[10:11]
	ds_read_b128 v[180:183], v2 offset:1792
	ds_read_b128 v[184:187], v2 offset:1808
	s_waitcnt vmcnt(6) lgkmcnt(2)
	v_mul_f64 v[10:11], v[176:177], v[82:83]
	v_fmac_f64_e32 v[10:11], v[178:179], v[80:81]
	v_add_f64 v[0:1], v[0:1], v[10:11]
	s_waitcnt vmcnt(5) lgkmcnt(1)
	v_mul_f64 v[10:11], v[180:181], v[86:87]
	v_fmac_f64_e32 v[10:11], v[182:183], v[84:85]
	v_add_f64 v[10:11], v[0:1], v[10:11]
	v_mul_f64 v[0:1], v[198:199], v[190:191]
	v_fma_f64 v[4:5], v[196:197], v[188:189], -v[0:1]
	ds_read_b128 v[188:191], v2 offset:1824
	s_waitcnt vmcnt(4) lgkmcnt(1)
	v_mul_f64 v[196:197], v[184:185], v[90:91]
	v_fmac_f64_e32 v[196:197], v[186:187], v[88:89]
	v_mul_f64 v[194:195], v[210:211], v[194:195]
	v_fma_f64 v[18:19], v[208:209], v[192:193], -v[194:195]
	ds_read_b128 v[192:195], v2 offset:1840
	v_add_f64 v[10:11], v[10:11], v[196:197]
	s_waitcnt vmcnt(3) lgkmcnt(1)
	v_mul_f64 v[196:197], v[188:189], v[98:99]
	v_fmac_f64_e32 v[196:197], v[190:191], v[96:97]
	v_add_f64 v[208:209], v[10:11], v[196:197]
	ds_read_b128 v[196:199], v2 offset:1856
	v_mul_f64 v[10:11], v[206:207], v[202:203]
	v_fma_f64 v[10:11], v[204:205], v[200:201], -v[10:11]
	ds_read_b128 v[200:203], v2 offset:1872
	s_waitcnt vmcnt(2) lgkmcnt(2)
	v_mul_f64 v[204:205], v[192:193], v[94:95]
	v_fmac_f64_e32 v[204:205], v[194:195], v[92:93]
	s_waitcnt vmcnt(1) lgkmcnt(1)
	v_mul_f64 v[206:207], v[196:197], v[102:103]
	v_add_f64 v[204:205], v[208:209], v[204:205]
	v_fmac_f64_e32 v[206:207], v[198:199], v[100:101]
	v_add_f64 v[204:205], v[204:205], v[206:207]
	s_waitcnt vmcnt(0) lgkmcnt(0)
	v_mul_f64 v[206:207], v[200:201], v[106:107]
	v_fmac_f64_e32 v[206:207], v[202:203], v[104:105]
	v_add_f64 v[212:213], v[204:205], v[206:207]
	scratch_load_dwordx4 v[204:207], off, off offset:928
	scratch_load_dwordx4 v[232:235], off, off offset:976
	ds_read_b128 v[208:211], v2 offset:1888
	ds_read_b128 v[216:219], v2 offset:1904
	ds_read_b128 v[224:227], v2 offset:1920
	s_waitcnt vmcnt(1) lgkmcnt(2)
	v_mul_f64 v[214:215], v[208:209], v[206:207]
	v_fmac_f64_e32 v[214:215], v[210:211], v[204:205]
	v_add_f64 v[220:221], v[212:213], v[214:215]
	scratch_load_dwordx4 v[212:215], off, off offset:944
	s_waitcnt vmcnt(0) lgkmcnt(1)
	v_mul_f64 v[222:223], v[216:217], v[214:215]
	v_fmac_f64_e32 v[222:223], v[218:219], v[212:213]
	v_add_f64 v[228:229], v[220:221], v[222:223]
	scratch_load_dwordx4 v[220:223], off, off offset:960
	s_waitcnt vmcnt(0) lgkmcnt(0)
	v_mul_f64 v[230:231], v[224:225], v[222:223]
	v_fmac_f64_e32 v[230:231], v[226:227], v[220:221]
	v_add_f64 v[0:1], v[228:229], v[230:231]
	ds_read_b128 v[228:231], v2 offset:1936
	s_waitcnt lgkmcnt(0)
	v_mul_f64 v[2:3], v[228:229], v[234:235]
	v_fmac_f64_e32 v[2:3], v[230:231], v[232:233]
	v_add_f64 v[2:3], v[0:1], v[2:3]
	v_add_f64 v[0:1], v[240:241], 0
	;; [unrolled: 1-line block ×5, first 2 shown]
	scratch_load_dwordx4 v[236:239], off, off offset:240
	v_add_f64 v[0:1], v[0:1], v[248:249]
	v_add_f64 v[0:1], v[0:1], v[250:251]
	;; [unrolled: 1-line block ×9, first 2 shown]
	v_accvgpr_read_b32 v6, a124
	v_add_f64 v[0:1], v[0:1], v[14:15]
	v_accvgpr_read_b32 v8, a126
	v_accvgpr_read_b32 v9, a127
	v_add_f64 v[246:247], v[0:1], v[4:5]
	v_accvgpr_read_b32 v7, a125
	v_mul_f64 v[4:5], v[22:23], v[8:9]
	v_add_f64 v[0:1], v[246:247], v[18:19]
	v_fma_f64 v[4:5], v[20:21], v[6:7], -v[4:5]
	v_accvgpr_read_b32 v6, a128
	v_add_f64 v[0:1], v[0:1], v[10:11]
	v_accvgpr_read_b32 v8, a130
	v_accvgpr_read_b32 v9, a131
	v_add_f64 v[0:1], v[0:1], v[4:5]
	v_accvgpr_read_b32 v7, a129
	v_mul_f64 v[4:5], v[110:111], v[8:9]
	v_fma_f64 v[4:5], v[108:109], v[6:7], -v[4:5]
	v_accvgpr_read_b32 v6, a132
	v_accvgpr_read_b32 v8, a134
	;; [unrolled: 1-line block ×3, first 2 shown]
	v_add_f64 v[0:1], v[0:1], v[4:5]
	v_accvgpr_read_b32 v7, a133
	v_mul_f64 v[4:5], v[114:115], v[8:9]
	v_fma_f64 v[4:5], v[112:113], v[6:7], -v[4:5]
	v_accvgpr_read_b32 v6, a136
	v_accvgpr_read_b32 v8, a138
	;; [unrolled: 1-line block ×3, first 2 shown]
	v_add_f64 v[0:1], v[0:1], v[4:5]
	v_accvgpr_read_b32 v7, a137
	v_mul_f64 v[4:5], v[118:119], v[8:9]
	v_fma_f64 v[4:5], v[116:117], v[6:7], -v[4:5]
	v_add_f64 v[0:1], v[0:1], v[4:5]
	v_mul_f64 v[4:5], v[122:123], v[26:27]
	v_fma_f64 v[4:5], v[120:121], v[24:25], -v[4:5]
	v_add_f64 v[0:1], v[0:1], v[4:5]
	;; [unrolled: 3-line block ×26, first 2 shown]
	s_waitcnt vmcnt(0)
	v_add_f64 v[4:5], v[236:237], -v[0:1]
	v_add_f64 v[6:7], v[238:239], -v[2:3]
	scratch_store_dwordx4 off, v[4:7], off offset:240
	s_and_saveexec_b64 s[0:1], vcc
	s_cbranch_execz .LBB124_365
; %bb.364:
	scratch_load_dwordx4 v[2:5], off, s74
	v_mov_b32_e32 v6, 0
	v_mov_b32_e32 v7, v6
	;; [unrolled: 1-line block ×4, first 2 shown]
	v_accvgpr_read_b32 v0, a1
	scratch_store_dwordx4 off, v[6:9], off offset:224
	s_waitcnt vmcnt(1)
	ds_write_b128 v0, v[2:5]
.LBB124_365:
	s_or_b64 exec, exec, s[0:1]
	s_waitcnt lgkmcnt(0)
	; wave barrier
	scratch_load_dwordx4 v[68:71], off, off offset:240
	scratch_load_dwordx4 v[72:75], off, off offset:256
	;; [unrolled: 1-line block ×28, first 2 shown]
	v_mov_b32_e32 v2, 0
	ds_read_b128 v[124:127], v2 offset:1200
	ds_read_b128 v[128:131], v2 offset:1216
	;; [unrolled: 1-line block ×23, first 2 shown]
	v_cmp_lt_u32_e32 vcc, 12, v254
	s_waitcnt vmcnt(27) lgkmcnt(14)
	v_mul_f64 v[0:1], v[124:125], v[70:71]
	s_waitcnt vmcnt(26)
	v_mul_f64 v[40:41], v[128:129], v[74:75]
	v_fmac_f64_e32 v[0:1], v[126:127], v[68:69]
	s_waitcnt vmcnt(25)
	v_mul_f64 v[42:43], v[132:133], v[78:79]
	v_fmac_f64_e32 v[40:41], v[130:131], v[72:73]
	v_add_f64 v[0:1], v[0:1], 0
	s_waitcnt vmcnt(24)
	v_mul_f64 v[44:45], v[136:137], v[82:83]
	v_fmac_f64_e32 v[42:43], v[134:135], v[76:77]
	v_add_f64 v[0:1], v[0:1], v[40:41]
	;; [unrolled: 4-line block ×7, first 2 shown]
	s_waitcnt vmcnt(18) lgkmcnt(13)
	v_mul_f64 v[56:57], v[200:201], v[146:147]
	v_fmac_f64_e32 v[54:55], v[194:195], v[112:113]
	v_add_f64 v[0:1], v[0:1], v[52:53]
	s_waitcnt vmcnt(17) lgkmcnt(12)
	v_mul_f64 v[58:59], v[204:205], v[150:151]
	v_fmac_f64_e32 v[56:57], v[202:203], v[144:145]
	v_add_f64 v[0:1], v[0:1], v[54:55]
	;; [unrolled: 4-line block ×7, first 2 shown]
	scratch_load_dwordx4 v[40:43], off, off offset:688
	scratch_load_dwordx4 v[44:47], off, off offset:704
	s_waitcnt vmcnt(13) lgkmcnt(6)
	v_mul_f64 v[102:103], v[228:229], v[186:187]
	v_fmac_f64_e32 v[100:101], v[226:227], v[176:177]
	v_add_f64 v[0:1], v[0:1], v[66:67]
	v_add_f64 v[0:1], v[0:1], v[100:101]
	v_fmac_f64_e32 v[102:103], v[230:231], v[184:185]
	v_add_f64 v[0:1], v[0:1], v[102:103]
	ds_read_b128 v[100:103], v2 offset:1504
	s_waitcnt vmcnt(12) lgkmcnt(6)
	v_mul_f64 v[48:49], v[242:243], v[190:191]
	v_fmac_f64_e32 v[48:49], v[244:245], v[188:189]
	v_add_f64 v[0:1], v[0:1], v[48:49]
	s_waitcnt vmcnt(11) lgkmcnt(5)
	v_mul_f64 v[48:49], v[246:247], v[198:199]
	v_fmac_f64_e32 v[48:49], v[248:249], v[196:197]
	v_add_f64 v[0:1], v[0:1], v[48:49]
	scratch_load_dwordx4 v[48:51], off, off offset:720
	scratch_load_dwordx4 v[52:55], off, off offset:736
	s_waitcnt vmcnt(12) lgkmcnt(0)
	v_mul_f64 v[56:57], v[100:101], v[6:7]
	v_accvgpr_write_b32 a127, v7
	v_fmac_f64_e32 v[56:57], v[102:103], v[4:5]
	v_accvgpr_write_b32 a126, v6
	v_accvgpr_write_b32 a125, v5
	;; [unrolled: 1-line block ×3, first 2 shown]
	s_waitcnt vmcnt(11)
	v_mov_b64_e32 v[4:5], v[8:9]
	v_mov_b64_e32 v[6:7], v[10:11]
	v_add_f64 v[0:1], v[0:1], v[56:57]
	v_mul_f64 v[56:57], v[104:105], v[6:7]
	v_fmac_f64_e32 v[56:57], v[106:107], v[4:5]
	v_add_f64 v[0:1], v[0:1], v[56:57]
	scratch_load_dwordx4 v[56:59], off, off offset:752
	s_waitcnt vmcnt(11)
	v_mov_b64_e32 v[4:5], v[12:13]
	v_mov_b64_e32 v[6:7], v[14:15]
	v_mul_f64 v[60:61], v[108:109], v[6:7]
	v_fmac_f64_e32 v[60:61], v[110:111], v[4:5]
	s_waitcnt vmcnt(10)
	v_mov_b64_e32 v[4:5], v[16:17]
	v_mov_b64_e32 v[6:7], v[18:19]
	v_add_f64 v[0:1], v[0:1], v[60:61]
	scratch_load_dwordx4 v[60:63], off, off offset:768
	v_mul_f64 v[64:65], v[116:117], v[6:7]
	v_fmac_f64_e32 v[64:65], v[118:119], v[4:5]
	v_add_f64 v[0:1], v[0:1], v[64:65]
	scratch_load_dwordx4 v[64:67], off, off offset:784
	s_waitcnt vmcnt(11)
	v_mov_b64_e32 v[4:5], v[20:21]
	v_mul_f64 v[70:71], v[126:127], v[70:71]
	v_mov_b64_e32 v[6:7], v[22:23]
	v_fma_f64 v[240:241], v[124:125], v[68:69], -v[70:71]
	v_mul_f64 v[124:125], v[120:121], v[6:7]
	scratch_load_dwordx4 v[68:71], off, off offset:800
	v_fmac_f64_e32 v[124:125], v[122:123], v[4:5]
	v_mul_f64 v[74:75], v[130:131], v[74:75]
	v_mul_f64 v[78:79], v[134:135], v[78:79]
	v_add_f64 v[0:1], v[0:1], v[124:125]
	v_fma_f64 v[250:251], v[128:129], v[72:73], -v[74:75]
	ds_read_b128 v[124:127], v2 offset:1584
	ds_read_b128 v[128:131], v2 offset:1600
	scratch_load_dwordx4 v[72:75], off, off offset:816
	v_fma_f64 v[252:253], v[132:133], v[76:77], -v[78:79]
	v_mul_f64 v[76:77], v[138:139], v[82:83]
	v_fma_f64 v[232:233], v[136:137], v[80:81], -v[76:77]
	scratch_load_dwordx4 v[76:79], off, off offset:832
	s_waitcnt vmcnt(13) lgkmcnt(1)
	v_mul_f64 v[132:133], v[124:125], v[236:237]
	v_fmac_f64_e32 v[132:133], v[126:127], v[234:235]
	v_add_f64 v[0:1], v[0:1], v[132:133]
	s_waitcnt vmcnt(12) lgkmcnt(0)
	v_mul_f64 v[132:133], v[128:129], v[30:31]
	scratch_load_dwordx4 v[80:83], off, off offset:848
	v_fmac_f64_e32 v[132:133], v[130:131], v[28:29]
	v_accvgpr_write_b32 a143, v23
	v_add_f64 v[0:1], v[0:1], v[132:133]
	v_mul_f64 v[86:87], v[142:143], v[86:87]
	ds_read_b128 v[132:135], v2 offset:1616
	v_mul_f64 v[6:7], v[158:159], v[90:91]
	v_accvgpr_write_b32 a142, v22
	v_accvgpr_write_b32 a141, v21
	;; [unrolled: 1-line block ×3, first 2 shown]
	v_fma_f64 v[24:25], v[140:141], v[84:85], -v[86:87]
	v_fma_f64 v[20:21], v[156:157], v[88:89], -v[6:7]
	scratch_load_dwordx4 v[88:91], off, off offset:864
	scratch_load_dwordx4 v[84:87], off, off offset:880
	v_accvgpr_write_b32 a139, v19
	v_mul_f64 v[6:7], v[170:171], v[94:95]
	v_accvgpr_write_b32 a138, v18
	v_accvgpr_write_b32 a137, v17
	;; [unrolled: 1-line block ×3, first 2 shown]
	v_fma_f64 v[16:17], v[168:169], v[92:93], -v[6:7]
	s_waitcnt vmcnt(14) lgkmcnt(0)
	v_mul_f64 v[6:7], v[132:133], v[34:35]
	v_fmac_f64_e32 v[6:7], v[134:135], v[32:33]
	v_accvgpr_write_b32 a135, v15
	v_add_f64 v[0:1], v[0:1], v[6:7]
	v_mul_f64 v[6:7], v[182:183], v[98:99]
	v_accvgpr_write_b32 a134, v14
	v_accvgpr_write_b32 a133, v13
	;; [unrolled: 1-line block ×3, first 2 shown]
	ds_read_b128 v[136:139], v2 offset:1632
	v_fma_f64 v[12:13], v[180:181], v[96:97], -v[6:7]
	scratch_load_dwordx4 v[96:99], off, off offset:896
	scratch_load_dwordx4 v[92:95], off, off offset:912
	v_mul_f64 v[6:7], v[194:195], v[114:115]
	v_fma_f64 v[14:15], v[192:193], v[112:113], -v[6:7]
	scratch_load_dwordx4 v[112:115], off, off offset:928
	ds_read_b128 v[140:143], v2 offset:1648
	s_waitcnt vmcnt(16) lgkmcnt(1)
	v_mul_f64 v[6:7], v[136:137], v[38:39]
	v_fmac_f64_e32 v[6:7], v[138:139], v[36:37]
	v_accvgpr_write_b32 a131, v11
	v_add_f64 v[0:1], v[0:1], v[6:7]
	v_mul_f64 v[6:7], v[202:203], v[146:147]
	v_accvgpr_write_b32 a130, v10
	v_accvgpr_write_b32 a129, v9
	;; [unrolled: 1-line block ×3, first 2 shown]
	v_fma_f64 v[10:11], v[200:201], v[144:145], -v[6:7]
	ds_read_b128 v[144:147], v2 offset:1664
	s_waitcnt vmcnt(15) lgkmcnt(1)
	v_mul_f64 v[6:7], v[140:141], v[42:43]
	v_fmac_f64_e32 v[6:7], v[142:143], v[40:41]
	v_add_f64 v[0:1], v[0:1], v[6:7]
	v_mul_f64 v[6:7], v[206:207], v[150:151]
	v_fma_f64 v[18:19], v[204:205], v[148:149], -v[6:7]
	ds_read_b128 v[148:151], v2 offset:1680
	v_mul_f64 v[154:155], v[210:211], v[154:155]
	v_fma_f64 v[8:9], v[208:209], v[152:153], -v[154:155]
	ds_read_b128 v[152:155], v2 offset:1696
	s_waitcnt vmcnt(14) lgkmcnt(2)
	v_mul_f64 v[6:7], v[144:145], v[46:47]
	v_fmac_f64_e32 v[6:7], v[146:147], v[44:45]
	v_add_f64 v[0:1], v[0:1], v[6:7]
	s_waitcnt vmcnt(13) lgkmcnt(1)
	v_mul_f64 v[6:7], v[148:149], v[50:51]
	ds_read_b128 v[156:159], v2 offset:1712
	v_fmac_f64_e32 v[6:7], v[150:151], v[48:49]
	v_add_f64 v[0:1], v[0:1], v[6:7]
	s_waitcnt vmcnt(12) lgkmcnt(1)
	v_mul_f64 v[6:7], v[152:153], v[54:55]
	v_fmac_f64_e32 v[6:7], v[154:155], v[52:53]
	v_add_f64 v[0:1], v[0:1], v[6:7]
	v_mul_f64 v[6:7], v[214:215], v[162:163]
	v_fma_f64 v[22:23], v[212:213], v[160:161], -v[6:7]
	ds_read_b128 v[160:163], v2 offset:1728
	s_waitcnt vmcnt(11) lgkmcnt(1)
	v_mul_f64 v[6:7], v[156:157], v[58:59]
	v_fmac_f64_e32 v[6:7], v[158:159], v[56:57]
	v_add_f64 v[0:1], v[0:1], v[6:7]
	v_mul_f64 v[6:7], v[218:219], v[166:167]
	v_fma_f64 v[4:5], v[216:217], v[164:165], -v[6:7]
	ds_read_b128 v[164:167], v2 offset:1744
	ds_read_b128 v[168:171], v2 offset:1760
	s_waitcnt vmcnt(10) lgkmcnt(2)
	v_mul_f64 v[6:7], v[160:161], v[62:63]
	v_fmac_f64_e32 v[6:7], v[162:163], v[60:61]
	v_add_f64 v[0:1], v[0:1], v[6:7]
	s_waitcnt vmcnt(9) lgkmcnt(1)
	v_mul_f64 v[6:7], v[164:165], v[66:67]
	v_fmac_f64_e32 v[6:7], v[166:167], v[64:65]
	v_add_f64 v[0:1], v[0:1], v[6:7]
	v_mul_f64 v[6:7], v[222:223], v[174:175]
	v_fma_f64 v[26:27], v[220:221], v[172:173], -v[6:7]
	ds_read_b128 v[172:175], v2 offset:1776
	v_mul_f64 v[6:7], v[226:227], v[178:179]
	v_fma_f64 v[6:7], v[224:225], v[176:177], -v[6:7]
	ds_read_b128 v[176:179], v2 offset:1792
	s_waitcnt vmcnt(8) lgkmcnt(2)
	v_mul_f64 v[180:181], v[168:169], v[70:71]
	v_fmac_f64_e32 v[180:181], v[170:171], v[68:69]
	v_add_f64 v[0:1], v[0:1], v[180:181]
	s_waitcnt vmcnt(7) lgkmcnt(1)
	v_mul_f64 v[180:181], v[172:173], v[74:75]
	v_fmac_f64_e32 v[180:181], v[174:175], v[72:73]
	s_waitcnt vmcnt(6) lgkmcnt(0)
	v_mul_f64 v[192:193], v[176:177], v[78:79]
	v_add_f64 v[0:1], v[0:1], v[180:181]
	v_fmac_f64_e32 v[192:193], v[178:179], v[76:77]
	ds_read_b128 v[180:183], v2 offset:1808
	v_add_f64 v[192:193], v[0:1], v[192:193]
	v_mul_f64 v[0:1], v[230:231], v[186:187]
	v_fma_f64 v[0:1], v[228:229], v[184:185], -v[0:1]
	ds_read_b128 v[184:187], v2 offset:1824
	s_waitcnt vmcnt(5) lgkmcnt(1)
	v_mul_f64 v[194:195], v[180:181], v[82:83]
	v_fmac_f64_e32 v[194:195], v[182:183], v[80:81]
	v_mul_f64 v[190:191], v[244:245], v[190:191]
	v_add_f64 v[192:193], v[192:193], v[194:195]
	v_fma_f64 v[238:239], v[242:243], v[188:189], -v[190:191]
	ds_read_b128 v[188:191], v2 offset:1840
	s_waitcnt vmcnt(4) lgkmcnt(1)
	v_mul_f64 v[194:195], v[184:185], v[90:91]
	v_fmac_f64_e32 v[194:195], v[186:187], v[88:89]
	v_add_f64 v[200:201], v[192:193], v[194:195]
	ds_read_b128 v[192:195], v2 offset:1856
	v_mul_f64 v[198:199], v[248:249], v[198:199]
	v_fma_f64 v[242:243], v[246:247], v[196:197], -v[198:199]
	ds_read_b128 v[196:199], v2 offset:1872
	ds_read_b128 v[208:211], v2 offset:1904
	s_waitcnt vmcnt(3) lgkmcnt(3)
	v_mul_f64 v[202:203], v[188:189], v[86:87]
	v_fmac_f64_e32 v[202:203], v[190:191], v[84:85]
	v_add_f64 v[200:201], v[200:201], v[202:203]
	s_waitcnt vmcnt(2) lgkmcnt(2)
	v_mul_f64 v[202:203], v[192:193], v[98:99]
	v_fmac_f64_e32 v[202:203], v[194:195], v[96:97]
	v_add_f64 v[200:201], v[200:201], v[202:203]
	;; [unrolled: 4-line block ×3, first 2 shown]
	ds_read_b128 v[200:203], v2 offset:1888
	ds_read_b128 v[216:219], v2 offset:1920
	;; [unrolled: 1-line block ×3, first 2 shown]
	s_waitcnt vmcnt(0) lgkmcnt(2)
	v_mul_f64 v[206:207], v[200:201], v[114:115]
	v_fmac_f64_e32 v[206:207], v[202:203], v[112:113]
	v_add_f64 v[212:213], v[204:205], v[206:207]
	scratch_load_dwordx4 v[204:207], off, off offset:944
	s_waitcnt vmcnt(0)
	v_mul_f64 v[214:215], v[208:209], v[206:207]
	v_fmac_f64_e32 v[214:215], v[210:211], v[204:205]
	v_add_f64 v[220:221], v[212:213], v[214:215]
	scratch_load_dwordx4 v[212:215], off, off offset:960
	s_waitcnt vmcnt(0) lgkmcnt(1)
	v_mul_f64 v[222:223], v[216:217], v[214:215]
	v_fmac_f64_e32 v[222:223], v[218:219], v[212:213]
	v_add_f64 v[228:229], v[220:221], v[222:223]
	scratch_load_dwordx4 v[220:223], off, off offset:976
	s_waitcnt vmcnt(0) lgkmcnt(0)
	v_mul_f64 v[230:231], v[224:225], v[222:223]
	v_fmac_f64_e32 v[230:231], v[226:227], v[220:221]
	v_add_f64 v[246:247], v[228:229], v[230:231]
	v_add_f64 v[228:229], v[240:241], 0
	;; [unrolled: 1-line block ×6, first 2 shown]
	scratch_load_dwordx4 v[228:231], off, off offset:224
	v_add_f64 v[20:21], v[24:25], v[20:21]
	v_add_f64 v[16:17], v[20:21], v[16:17]
	v_add_f64 v[12:13], v[16:17], v[12:13]
	v_add_f64 v[12:13], v[12:13], v[14:15]
	v_add_f64 v[10:11], v[12:13], v[10:11]
	v_add_f64 v[10:11], v[10:11], v[18:19]
	v_add_f64 v[8:9], v[10:11], v[8:9]
	v_add_f64 v[8:9], v[8:9], v[22:23]
	v_add_f64 v[4:5], v[8:9], v[4:5]
	v_add_f64 v[244:245], v[4:5], v[26:27]
	v_add_f64 v[4:5], v[244:245], v[6:7]
	v_accvgpr_read_b32 v6, a124
	v_accvgpr_read_b32 v8, a126
	;; [unrolled: 1-line block ×3, first 2 shown]
	v_add_f64 v[0:1], v[4:5], v[0:1]
	v_accvgpr_read_b32 v7, a125
	v_mul_f64 v[4:5], v[102:103], v[8:9]
	v_add_f64 v[0:1], v[0:1], v[238:239]
	v_fma_f64 v[4:5], v[100:101], v[6:7], -v[4:5]
	v_accvgpr_read_b32 v6, a128
	v_add_f64 v[0:1], v[0:1], v[242:243]
	v_accvgpr_read_b32 v8, a130
	v_accvgpr_read_b32 v9, a131
	v_add_f64 v[0:1], v[0:1], v[4:5]
	v_accvgpr_read_b32 v7, a129
	v_mul_f64 v[4:5], v[106:107], v[8:9]
	v_fma_f64 v[4:5], v[104:105], v[6:7], -v[4:5]
	v_accvgpr_read_b32 v6, a132
	v_accvgpr_read_b32 v8, a134
	v_accvgpr_read_b32 v9, a135
	v_add_f64 v[0:1], v[0:1], v[4:5]
	v_accvgpr_read_b32 v7, a133
	v_mul_f64 v[4:5], v[110:111], v[8:9]
	v_fma_f64 v[4:5], v[108:109], v[6:7], -v[4:5]
	v_accvgpr_read_b32 v6, a136
	v_accvgpr_read_b32 v8, a138
	v_accvgpr_read_b32 v9, a139
	v_add_f64 v[0:1], v[0:1], v[4:5]
	v_accvgpr_read_b32 v7, a137
	v_mul_f64 v[4:5], v[118:119], v[8:9]
	v_fma_f64 v[4:5], v[116:117], v[6:7], -v[4:5]
	v_accvgpr_read_b32 v6, a140
	v_accvgpr_read_b32 v8, a142
	v_accvgpr_read_b32 v9, a143
	v_add_f64 v[0:1], v[0:1], v[4:5]
	v_accvgpr_read_b32 v7, a141
	v_mul_f64 v[4:5], v[122:123], v[8:9]
	v_fma_f64 v[4:5], v[120:121], v[6:7], -v[4:5]
	v_add_f64 v[0:1], v[0:1], v[4:5]
	v_mul_f64 v[4:5], v[126:127], v[236:237]
	v_fma_f64 v[4:5], v[124:125], v[234:235], -v[4:5]
	v_add_f64 v[0:1], v[0:1], v[4:5]
	;; [unrolled: 3-line block ×24, first 2 shown]
	s_waitcnt vmcnt(0)
	v_add_f64 v[4:5], v[228:229], -v[0:1]
	v_add_f64 v[6:7], v[230:231], -v[246:247]
	scratch_store_dwordx4 off, v[4:7], off offset:224
	s_and_saveexec_b64 s[0:1], vcc
	s_cbranch_execz .LBB124_367
; %bb.366:
	scratch_load_dwordx4 v[6:9], off, s75
	v_mov_b32_e32 v3, v2
	v_mov_b32_e32 v4, v2
	;; [unrolled: 1-line block ×3, first 2 shown]
	v_accvgpr_read_b32 v0, a1
	scratch_store_dwordx4 off, v[2:5], off offset:208
	s_waitcnt vmcnt(1)
	ds_write_b128 v0, v[6:9]
.LBB124_367:
	s_or_b64 exec, exec, s[0:1]
	s_waitcnt lgkmcnt(0)
	; wave barrier
	scratch_load_dwordx4 v[40:43], off, off offset:224
	scratch_load_dwordx4 v[44:47], off, off offset:240
	;; [unrolled: 1-line block ×18, first 2 shown]
	ds_read_b128 v[164:167], v2 offset:1184
	ds_read_b128 v[232:235], v2 offset:1200
	;; [unrolled: 1-line block ×6, first 2 shown]
	scratch_load_dwordx4 v[140:143], off, off offset:512
	ds_read_b128 v[224:227], v2 offset:1280
	ds_read_b128 v[212:215], v2 offset:1296
	;; [unrolled: 1-line block ×3, first 2 shown]
	scratch_load_dwordx4 v[4:7], off, off offset:528
	ds_read_b128 v[228:231], v2 offset:1328
	ds_read_b128 v[216:219], v2 offset:1344
	;; [unrolled: 1-line block ×5, first 2 shown]
	scratch_load_dwordx4 v[8:11], off, off offset:544
	ds_read_b128 v[208:211], v2 offset:1408
	ds_read_b128 v[196:199], v2 offset:1424
	;; [unrolled: 1-line block ×3, first 2 shown]
	scratch_load_dwordx4 v[12:15], off, off offset:560
	ds_read_b128 v[200:203], v2 offset:1456
	scratch_load_dwordx4 v[16:19], off, off offset:576
	scratch_load_dwordx4 v[20:23], off, off offset:592
	;; [unrolled: 1-line block ×7, first 2 shown]
	ds_read_b128 v[236:239], v2 offset:1472
	ds_read_b128 v[156:159], v2 offset:1536
	;; [unrolled: 1-line block ×3, first 2 shown]
	v_cmp_lt_u32_e32 vcc, 11, v254
	ds_read_b128 v[152:155], v2 offset:1520
	s_waitcnt vmcnt(28) lgkmcnt(14)
	v_mul_f64 v[0:1], v[164:165], v[42:43]
	s_waitcnt vmcnt(27)
	v_mul_f64 v[108:109], v[232:233], v[46:47]
	v_fmac_f64_e32 v[0:1], v[166:167], v[40:41]
	s_waitcnt vmcnt(26)
	v_mul_f64 v[110:111], v[168:169], v[50:51]
	v_fmac_f64_e32 v[108:109], v[234:235], v[44:45]
	v_add_f64 v[0:1], v[0:1], 0
	s_waitcnt vmcnt(25)
	v_mul_f64 v[116:117], v[220:221], v[54:55]
	v_fmac_f64_e32 v[110:111], v[170:171], v[48:49]
	v_add_f64 v[0:1], v[0:1], v[108:109]
	;; [unrolled: 4-line block ×6, first 2 shown]
	s_waitcnt vmcnt(20) lgkmcnt(13)
	v_mul_f64 v[126:127], v[180:181], v[78:79]
	v_fmac_f64_e32 v[124:125], v[214:215], v[68:69]
	v_add_f64 v[0:1], v[0:1], v[122:123]
	s_waitcnt vmcnt(19) lgkmcnt(12)
	v_mul_f64 v[128:129], v[228:229], v[82:83]
	v_fmac_f64_e32 v[126:127], v[182:183], v[76:77]
	v_add_f64 v[0:1], v[0:1], v[124:125]
	;; [unrolled: 4-line block ×9, first 2 shown]
	v_add_f64 v[0:1], v[0:1], v[148:149]
	v_fmac_f64_e32 v[150:151], v[186:187], v[112:113]
	s_waitcnt vmcnt(11) lgkmcnt(4)
	v_mul_f64 v[116:117], v[200:201], v[138:139]
	ds_read_b128 v[144:147], v2 offset:1488
	v_add_f64 v[0:1], v[0:1], v[150:151]
	v_fmac_f64_e32 v[116:117], v[202:203], v[136:137]
	scratch_load_dwordx4 v[108:111], off, off offset:688
	v_add_f64 v[0:1], v[0:1], v[116:117]
	s_waitcnt vmcnt(11) lgkmcnt(4)
	v_mul_f64 v[116:117], v[236:237], v[142:143]
	ds_read_b128 v[148:151], v2 offset:1504
	v_fmac_f64_e32 v[116:117], v[238:239], v[140:141]
	v_add_f64 v[0:1], v[0:1], v[116:117]
	scratch_load_dwordx4 v[116:119], off, off offset:704
	s_waitcnt vmcnt(11) lgkmcnt(1)
	v_mul_f64 v[124:125], v[144:145], v[6:7]
	scratch_load_dwordx4 v[120:123], off, off offset:720
	v_fmac_f64_e32 v[124:125], v[146:147], v[4:5]
	v_add_f64 v[0:1], v[0:1], v[124:125]
	s_waitcnt vmcnt(11) lgkmcnt(0)
	v_mul_f64 v[124:125], v[148:149], v[10:11]
	v_fmac_f64_e32 v[124:125], v[150:151], v[8:9]
	v_add_f64 v[0:1], v[0:1], v[124:125]
	scratch_load_dwordx4 v[124:127], off, off offset:736
	s_waitcnt vmcnt(11)
	v_mul_f64 v[128:129], v[152:153], v[14:15]
	v_fmac_f64_e32 v[128:129], v[154:155], v[12:13]
	v_add_f64 v[0:1], v[0:1], v[128:129]
	scratch_load_dwordx4 v[128:131], off, off offset:752
	s_waitcnt vmcnt(11)
	v_mul_f64 v[132:133], v[156:157], v[18:19]
	v_fmac_f64_e32 v[132:133], v[158:159], v[16:17]
	v_add_f64 v[0:1], v[0:1], v[132:133]
	scratch_load_dwordx4 v[132:135], off, off offset:768
	v_mul_f64 v[42:43], v[166:167], v[42:43]
	v_fma_f64 v[240:241], v[164:165], v[40:41], -v[42:43]
	scratch_load_dwordx4 v[40:43], off, off offset:784
	v_mul_f64 v[46:47], v[234:235], v[46:47]
	v_fma_f64 v[246:247], v[232:233], v[44:45], -v[46:47]
	scratch_load_dwordx4 v[44:47], off, off offset:800
	v_mul_f64 v[50:51], v[170:171], v[50:51]
	v_fma_f64 v[248:249], v[168:169], v[48:49], -v[50:51]
	v_mul_f64 v[48:49], v[222:223], v[54:55]
	v_fma_f64 v[250:251], v[220:221], v[52:53], -v[48:49]
	scratch_load_dwordx4 v[48:51], off, off offset:816
	scratch_load_dwordx4 v[52:55], off, off offset:832
	s_waitcnt vmcnt(15)
	v_mul_f64 v[164:165], v[160:161], v[22:23]
	v_fmac_f64_e32 v[164:165], v[162:163], v[20:21]
	v_add_f64 v[0:1], v[0:1], v[164:165]
	ds_read_b128 v[164:167], v2 offset:1568
	ds_read_b128 v[168:171], v2 offset:1584
	v_mul_f64 v[58:59], v[174:175], v[58:59]
	v_fma_f64 v[252:253], v[172:173], v[56:57], -v[58:59]
	ds_read_b128 v[172:175], v2 offset:1600
	v_mul_f64 v[56:57], v[178:179], v[62:63]
	v_fma_f64 v[242:243], v[176:177], v[60:61], -v[56:57]
	scratch_load_dwordx4 v[60:63], off, off offset:848
	scratch_load_dwordx4 v[56:59], off, off offset:864
	s_waitcnt vmcnt(16) lgkmcnt(2)
	v_mul_f64 v[232:233], v[164:165], v[38:39]
	s_waitcnt vmcnt(15) lgkmcnt(1)
	v_mul_f64 v[220:221], v[168:169], v[34:35]
	v_accvgpr_write_b32 a151, v35
	v_accvgpr_write_b32 a131, v7
	v_fmac_f64_e32 v[232:233], v[166:167], v[36:37]
	v_fmac_f64_e32 v[220:221], v[170:171], v[32:33]
	v_accvgpr_write_b32 a150, v34
	v_accvgpr_write_b32 a149, v33
	;; [unrolled: 1-line block ×3, first 2 shown]
	s_waitcnt vmcnt(14)
	v_mov_b64_e32 v[34:35], v[30:31]
	v_accvgpr_write_b32 a130, v6
	v_accvgpr_write_b32 a129, v5
	;; [unrolled: 1-line block ×3, first 2 shown]
	v_add_f64 v[0:1], v[0:1], v[232:233]
	v_mov_b64_e32 v[32:33], v[28:29]
	s_waitcnt lgkmcnt(0)
	v_mul_f64 v[6:7], v[172:173], v[34:35]
	v_add_f64 v[0:1], v[0:1], v[220:221]
	v_fmac_f64_e32 v[6:7], v[174:175], v[32:33]
	v_accvgpr_write_b32 a147, v23
	v_mul_f64 v[66:67], v[226:227], v[66:67]
	v_add_f64 v[0:1], v[0:1], v[6:7]
	v_mul_f64 v[6:7], v[214:215], v[70:71]
	v_accvgpr_write_b32 a146, v22
	v_accvgpr_write_b32 a145, v21
	;; [unrolled: 1-line block ×3, first 2 shown]
	v_fma_f64 v[24:25], v[224:225], v[64:65], -v[66:67]
	ds_read_b128 v[176:179], v2 offset:1616
	v_fma_f64 v[20:21], v[212:213], v[68:69], -v[6:7]
	scratch_load_dwordx4 v[68:71], off, off offset:880
	scratch_load_dwordx4 v[64:67], off, off offset:896
	v_accvgpr_write_b32 a143, v19
	v_mul_f64 v[78:79], v[182:183], v[78:79]
	v_accvgpr_write_b32 a142, v18
	v_accvgpr_write_b32 a141, v17
	;; [unrolled: 1-line block ×3, first 2 shown]
	v_fma_f64 v[16:17], v[180:181], v[76:77], -v[78:79]
	scratch_load_dwordx4 v[76:79], off, off offset:912
	s_waitcnt vmcnt(16)
	v_accvgpr_read_b32 v28, a124
	v_accvgpr_write_b32 a135, v11
	v_accvgpr_read_b32 v30, a126
	v_accvgpr_read_b32 v31, a127
	v_accvgpr_write_b32 a134, v10
	v_accvgpr_write_b32 a133, v9
	;; [unrolled: 1-line block ×3, first 2 shown]
	v_accvgpr_read_b32 v29, a125
	s_waitcnt lgkmcnt(0)
	v_mul_f64 v[10:11], v[176:177], v[30:31]
	v_fmac_f64_e32 v[10:11], v[178:179], v[28:29]
	v_accvgpr_write_b32 a139, v15
	ds_read_b128 v[180:183], v2 offset:1632
	v_add_f64 v[0:1], v[0:1], v[10:11]
	v_mul_f64 v[10:11], v[230:231], v[82:83]
	v_accvgpr_write_b32 a138, v14
	v_accvgpr_write_b32 a137, v13
	;; [unrolled: 1-line block ×3, first 2 shown]
	v_fma_f64 v[12:13], v[228:229], v[80:81], -v[10:11]
	ds_read_b128 v[80:83], v2 offset:1648
	v_mul_f64 v[86:87], v[218:219], v[86:87]
	v_fma_f64 v[10:11], v[216:217], v[84:85], -v[86:87]
	ds_read_b128 v[84:87], v2 offset:1664
	v_mul_f64 v[90:91], v[190:191], v[90:91]
	s_waitcnt vmcnt(15) lgkmcnt(2)
	v_mul_f64 v[212:213], v[180:181], v[74:75]
	v_fma_f64 v[244:245], v[188:189], v[88:89], -v[90:91]
	ds_read_b128 v[88:91], v2 offset:1680
	v_fmac_f64_e32 v[212:213], v[182:183], v[72:73]
	s_waitcnt vmcnt(14) lgkmcnt(2)
	v_mul_f64 v[14:15], v[80:81], v[110:111]
	v_add_f64 v[0:1], v[0:1], v[212:213]
	v_fmac_f64_e32 v[14:15], v[82:83], v[108:109]
	v_add_f64 v[0:1], v[0:1], v[14:15]
	s_waitcnt vmcnt(13) lgkmcnt(1)
	v_mul_f64 v[14:15], v[84:85], v[118:119]
	ds_read_b128 v[188:191], v2 offset:1696
	v_fmac_f64_e32 v[14:15], v[86:87], v[116:117]
	v_add_f64 v[0:1], v[0:1], v[14:15]
	s_waitcnt vmcnt(12) lgkmcnt(1)
	v_mul_f64 v[14:15], v[88:89], v[122:123]
	v_fmac_f64_e32 v[14:15], v[90:91], v[120:121]
	v_add_f64 v[0:1], v[0:1], v[14:15]
	v_mul_f64 v[14:15], v[206:207], v[94:95]
	v_fma_f64 v[8:9], v[204:205], v[92:93], -v[14:15]
	ds_read_b128 v[92:95], v2 offset:1712
	s_waitcnt vmcnt(11) lgkmcnt(1)
	v_mul_f64 v[14:15], v[188:189], v[126:127]
	v_fmac_f64_e32 v[14:15], v[190:191], v[124:125]
	v_add_f64 v[0:1], v[0:1], v[14:15]
	v_mul_f64 v[14:15], v[194:195], v[98:99]
	v_fma_f64 v[18:19], v[192:193], v[96:97], -v[14:15]
	ds_read_b128 v[96:99], v2 offset:1728
	ds_read_b128 v[192:195], v2 offset:1744
	s_waitcnt vmcnt(10) lgkmcnt(2)
	v_mul_f64 v[14:15], v[92:93], v[130:131]
	v_fmac_f64_e32 v[14:15], v[94:95], v[128:129]
	v_add_f64 v[0:1], v[0:1], v[14:15]
	s_waitcnt vmcnt(9) lgkmcnt(1)
	v_mul_f64 v[14:15], v[96:97], v[134:135]
	v_fmac_f64_e32 v[14:15], v[98:99], v[132:133]
	v_add_f64 v[0:1], v[0:1], v[14:15]
	v_mul_f64 v[14:15], v[210:211], v[102:103]
	v_fma_f64 v[6:7], v[208:209], v[100:101], -v[14:15]
	ds_read_b128 v[100:103], v2 offset:1760
	v_mul_f64 v[22:23], v[198:199], v[106:107]
	v_fma_f64 v[22:23], v[196:197], v[104:105], -v[22:23]
	ds_read_b128 v[104:107], v2 offset:1776
	s_waitcnt vmcnt(8) lgkmcnt(2)
	v_mul_f64 v[14:15], v[192:193], v[42:43]
	v_fmac_f64_e32 v[14:15], v[194:195], v[40:41]
	v_add_f64 v[0:1], v[0:1], v[14:15]
	s_waitcnt vmcnt(7) lgkmcnt(1)
	v_mul_f64 v[14:15], v[100:101], v[46:47]
	v_fmac_f64_e32 v[14:15], v[102:103], v[44:45]
	ds_read_b128 v[196:199], v2 offset:1792
	v_add_f64 v[0:1], v[0:1], v[14:15]
	s_waitcnt vmcnt(6) lgkmcnt(1)
	v_mul_f64 v[14:15], v[104:105], v[50:51]
	v_fmac_f64_e32 v[14:15], v[106:107], v[48:49]
	v_add_f64 v[0:1], v[0:1], v[14:15]
	v_mul_f64 v[14:15], v[186:187], v[114:115]
	v_fma_f64 v[4:5], v[184:185], v[112:113], -v[14:15]
	ds_read_b128 v[112:115], v2 offset:1808
	s_waitcnt vmcnt(5) lgkmcnt(1)
	v_mul_f64 v[14:15], v[196:197], v[54:55]
	v_fmac_f64_e32 v[14:15], v[198:199], v[52:53]
	v_add_f64 v[14:15], v[0:1], v[14:15]
	v_mul_f64 v[0:1], v[202:203], v[138:139]
	v_fma_f64 v[0:1], v[200:201], v[136:137], -v[0:1]
	ds_read_b128 v[136:139], v2 offset:1824
	ds_read_b128 v[184:187], v2 offset:1840
	s_waitcnt vmcnt(4) lgkmcnt(2)
	v_mul_f64 v[26:27], v[112:113], v[62:63]
	v_fmac_f64_e32 v[26:27], v[114:115], v[60:61]
	v_add_f64 v[26:27], v[14:15], v[26:27]
	v_mul_f64 v[14:15], v[238:239], v[142:143]
	v_fma_f64 v[14:15], v[236:237], v[140:141], -v[14:15]
	ds_read_b128 v[140:143], v2 offset:1856
	ds_read_b128 v[208:211], v2 offset:1888
	s_waitcnt vmcnt(3) lgkmcnt(3)
	v_mul_f64 v[200:201], v[136:137], v[58:59]
	v_fmac_f64_e32 v[200:201], v[138:139], v[56:57]
	v_add_f64 v[26:27], v[26:27], v[200:201]
	s_waitcnt vmcnt(2) lgkmcnt(2)
	v_mul_f64 v[200:201], v[184:185], v[70:71]
	v_fmac_f64_e32 v[200:201], v[186:187], v[68:69]
	v_add_f64 v[26:27], v[26:27], v[200:201]
	;; [unrolled: 4-line block ×3, first 2 shown]
	ds_read_b128 v[200:203], v2 offset:1872
	ds_read_b128 v[216:219], v2 offset:1904
	scratch_load_dwordx4 v[236:239], off, off offset:208
	scratch_load_dwordx4 v[232:235], off, off offset:976
	ds_read_b128 v[224:227], v2 offset:1920
	s_waitcnt vmcnt(2) lgkmcnt(2)
	v_mul_f64 v[204:205], v[200:201], v[78:79]
	v_fmac_f64_e32 v[204:205], v[202:203], v[76:77]
	v_add_f64 v[26:27], v[26:27], v[204:205]
	scratch_load_dwordx4 v[204:207], off, off offset:928
	s_waitcnt vmcnt(0)
	v_mul_f64 v[212:213], v[208:209], v[206:207]
	v_fmac_f64_e32 v[212:213], v[210:211], v[204:205]
	v_add_f64 v[26:27], v[26:27], v[212:213]
	scratch_load_dwordx4 v[212:215], off, off offset:944
	s_waitcnt vmcnt(0) lgkmcnt(1)
	v_mul_f64 v[220:221], v[216:217], v[214:215]
	v_fmac_f64_e32 v[220:221], v[218:219], v[212:213]
	v_add_f64 v[26:27], v[26:27], v[220:221]
	scratch_load_dwordx4 v[220:223], off, off offset:960
	s_waitcnt vmcnt(0) lgkmcnt(0)
	v_mul_f64 v[228:229], v[224:225], v[222:223]
	v_fmac_f64_e32 v[228:229], v[226:227], v[220:221]
	v_add_f64 v[26:27], v[26:27], v[228:229]
	ds_read_b128 v[228:231], v2 offset:1936
	s_waitcnt lgkmcnt(0)
	v_mul_f64 v[2:3], v[228:229], v[234:235]
	v_fmac_f64_e32 v[2:3], v[230:231], v[232:233]
	v_add_f64 v[2:3], v[26:27], v[2:3]
	v_add_f64 v[26:27], v[240:241], 0
	;; [unrolled: 1-line block ×18, first 2 shown]
	v_accvgpr_read_b32 v6, a128
	v_accvgpr_read_b32 v8, a130
	;; [unrolled: 1-line block ×4, first 2 shown]
	v_mul_f64 v[4:5], v[146:147], v[8:9]
	v_add_f64 v[0:1], v[246:247], v[0:1]
	v_fma_f64 v[4:5], v[144:145], v[6:7], -v[4:5]
	v_accvgpr_read_b32 v6, a132
	v_add_f64 v[0:1], v[0:1], v[14:15]
	v_accvgpr_read_b32 v8, a134
	v_accvgpr_read_b32 v9, a135
	v_add_f64 v[0:1], v[0:1], v[4:5]
	v_accvgpr_read_b32 v7, a133
	v_mul_f64 v[4:5], v[150:151], v[8:9]
	v_fma_f64 v[4:5], v[148:149], v[6:7], -v[4:5]
	v_accvgpr_read_b32 v6, a136
	v_accvgpr_read_b32 v8, a138
	v_accvgpr_read_b32 v9, a139
	v_add_f64 v[0:1], v[0:1], v[4:5]
	v_accvgpr_read_b32 v7, a137
	v_mul_f64 v[4:5], v[154:155], v[8:9]
	v_fma_f64 v[4:5], v[152:153], v[6:7], -v[4:5]
	v_accvgpr_read_b32 v6, a140
	;; [unrolled: 7-line block ×3, first 2 shown]
	v_accvgpr_read_b32 v8, a146
	v_accvgpr_read_b32 v9, a147
	v_add_f64 v[0:1], v[0:1], v[4:5]
	v_accvgpr_read_b32 v7, a145
	v_mul_f64 v[4:5], v[162:163], v[8:9]
	v_fma_f64 v[4:5], v[160:161], v[6:7], -v[4:5]
	v_add_f64 v[0:1], v[0:1], v[4:5]
	v_mul_f64 v[4:5], v[166:167], v[38:39]
	v_accvgpr_read_b32 v6, a148
	v_fma_f64 v[4:5], v[164:165], v[36:37], -v[4:5]
	v_accvgpr_read_b32 v8, a150
	v_accvgpr_read_b32 v9, a151
	v_add_f64 v[0:1], v[0:1], v[4:5]
	v_accvgpr_read_b32 v7, a149
	v_mul_f64 v[4:5], v[170:171], v[8:9]
	v_fma_f64 v[4:5], v[168:169], v[6:7], -v[4:5]
	v_add_f64 v[0:1], v[0:1], v[4:5]
	v_mul_f64 v[4:5], v[174:175], v[34:35]
	v_fma_f64 v[4:5], v[172:173], v[32:33], -v[4:5]
	v_add_f64 v[0:1], v[0:1], v[4:5]
	;; [unrolled: 3-line block ×23, first 2 shown]
	v_add_f64 v[4:5], v[236:237], -v[0:1]
	v_add_f64 v[6:7], v[238:239], -v[2:3]
	scratch_store_dwordx4 off, v[4:7], off offset:208
	s_and_saveexec_b64 s[0:1], vcc
	s_cbranch_execz .LBB124_369
; %bb.368:
	scratch_load_dwordx4 v[2:5], off, s76
	v_mov_b32_e32 v6, 0
	v_mov_b32_e32 v7, v6
	;; [unrolled: 1-line block ×4, first 2 shown]
	v_accvgpr_read_b32 v0, a1
	scratch_store_dwordx4 off, v[6:9], off offset:192
	s_waitcnt vmcnt(1)
	ds_write_b128 v0, v[2:5]
.LBB124_369:
	s_or_b64 exec, exec, s[0:1]
	s_waitcnt lgkmcnt(0)
	; wave barrier
	scratch_load_dwordx4 v[56:59], off, off offset:208
	scratch_load_dwordx4 v[60:63], off, off offset:224
	;; [unrolled: 1-line block ×28, first 2 shown]
	v_mov_b32_e32 v2, 0
	ds_read_b128 v[116:119], v2 offset:1168
	ds_read_b128 v[120:123], v2 offset:1184
	;; [unrolled: 1-line block ×21, first 2 shown]
	v_cmp_lt_u32_e32 vcc, 10, v254
	ds_read_b128 v[108:111], v2 offset:1536
	s_waitcnt vmcnt(27) lgkmcnt(14)
	v_mul_f64 v[0:1], v[116:117], v[58:59]
	s_waitcnt vmcnt(26)
	v_mul_f64 v[32:33], v[120:121], v[62:63]
	v_fmac_f64_e32 v[0:1], v[118:119], v[56:57]
	s_waitcnt vmcnt(25)
	v_mul_f64 v[34:35], v[124:125], v[66:67]
	v_fmac_f64_e32 v[32:33], v[122:123], v[60:61]
	v_add_f64 v[0:1], v[0:1], 0
	v_fmac_f64_e32 v[34:35], v[126:127], v[64:65]
	v_add_f64 v[0:1], v[0:1], v[32:33]
	v_add_f64 v[0:1], v[0:1], v[34:35]
	scratch_load_dwordx4 v[32:35], off, off offset:656
	s_waitcnt vmcnt(25)
	v_mul_f64 v[36:37], v[128:129], v[70:71]
	s_waitcnt vmcnt(24)
	v_mul_f64 v[38:39], v[132:133], v[74:75]
	v_fmac_f64_e32 v[36:37], v[130:131], v[68:69]
	s_waitcnt vmcnt(23)
	v_mul_f64 v[40:41], v[140:141], v[78:79]
	v_fmac_f64_e32 v[38:39], v[134:135], v[72:73]
	v_add_f64 v[0:1], v[0:1], v[36:37]
	s_waitcnt vmcnt(22)
	v_mul_f64 v[42:43], v[152:153], v[82:83]
	v_fmac_f64_e32 v[40:41], v[142:143], v[76:77]
	v_add_f64 v[0:1], v[0:1], v[38:39]
	;; [unrolled: 4-line block ×3, first 2 shown]
	s_waitcnt vmcnt(20) lgkmcnt(13)
	v_mul_f64 v[46:47], v[176:177], v[94:95]
	v_fmac_f64_e32 v[44:45], v[166:167], v[84:85]
	v_add_f64 v[0:1], v[0:1], v[42:43]
	s_waitcnt vmcnt(19) lgkmcnt(12)
	v_mul_f64 v[48:49], v[188:189], v[98:99]
	v_fmac_f64_e32 v[46:47], v[178:179], v[92:93]
	v_add_f64 v[0:1], v[0:1], v[44:45]
	;; [unrolled: 4-line block ×9, first 2 shown]
	v_add_f64 v[0:1], v[0:1], v[104:105]
	v_fmac_f64_e32 v[106:107], v[222:223], v[168:169]
	s_waitcnt vmcnt(11) lgkmcnt(4)
	v_mul_f64 v[40:41], v[224:225], v[174:175]
	v_add_f64 v[0:1], v[0:1], v[106:107]
	v_fmac_f64_e32 v[40:41], v[226:227], v[172:173]
	scratch_load_dwordx4 v[36:39], off, off offset:672
	v_add_f64 v[0:1], v[0:1], v[40:41]
	s_waitcnt vmcnt(11) lgkmcnt(3)
	v_mul_f64 v[40:41], v[228:229], v[182:183]
	v_fmac_f64_e32 v[40:41], v[230:231], v[180:181]
	s_waitcnt vmcnt(10) lgkmcnt(2)
	v_mul_f64 v[44:45], v[242:243], v[186:187]
	v_add_f64 v[0:1], v[0:1], v[40:41]
	v_fmac_f64_e32 v[44:45], v[244:245], v[184:185]
	scratch_load_dwordx4 v[40:43], off, off offset:688
	ds_read_b128 v[88:91], v2 offset:1504
	v_add_f64 v[0:1], v[0:1], v[44:45]
	s_waitcnt vmcnt(10) lgkmcnt(2)
	v_mul_f64 v[44:45], v[246:247], v[194:195]
	v_fmac_f64_e32 v[44:45], v[248:249], v[192:193]
	v_add_f64 v[0:1], v[0:1], v[44:45]
	scratch_load_dwordx4 v[44:47], off, off offset:704
	ds_read_b128 v[104:107], v2 offset:1520
	s_waitcnt vmcnt(10) lgkmcnt(1)
	v_mul_f64 v[48:49], v[88:89], v[6:7]
	v_accvgpr_write_b32 a131, v7
	v_fmac_f64_e32 v[48:49], v[90:91], v[4:5]
	v_accvgpr_write_b32 a130, v6
	v_accvgpr_write_b32 a129, v5
	;; [unrolled: 1-line block ×3, first 2 shown]
	s_waitcnt vmcnt(9)
	v_mov_b64_e32 v[4:5], v[8:9]
	v_add_f64 v[0:1], v[0:1], v[48:49]
	scratch_load_dwordx4 v[48:51], off, off offset:720
	v_mov_b64_e32 v[6:7], v[10:11]
	s_waitcnt lgkmcnt(0)
	v_mul_f64 v[52:53], v[104:105], v[6:7]
	v_fmac_f64_e32 v[52:53], v[106:107], v[4:5]
	v_add_f64 v[0:1], v[0:1], v[52:53]
	scratch_load_dwordx4 v[52:55], off, off offset:736
	v_mul_f64 v[58:59], v[118:119], v[58:59]
	s_waitcnt vmcnt(10)
	v_mov_b64_e32 v[4:5], v[12:13]
	v_fma_f64 v[240:241], v[116:117], v[56:57], -v[58:59]
	scratch_load_dwordx4 v[56:59], off, off offset:752
	v_mov_b64_e32 v[6:7], v[14:15]
	v_mul_f64 v[112:113], v[108:109], v[6:7]
	v_fmac_f64_e32 v[112:113], v[110:111], v[4:5]
	v_add_f64 v[0:1], v[0:1], v[112:113]
	ds_read_b128 v[112:115], v2 offset:1552
	ds_read_b128 v[116:119], v2 offset:1568
	v_mul_f64 v[62:63], v[122:123], v[62:63]
	v_fma_f64 v[250:251], v[120:121], v[60:61], -v[62:63]
	scratch_load_dwordx4 v[60:63], off, off offset:768
	s_waitcnt vmcnt(11)
	v_mov_b64_e32 v[4:5], v[16:17]
	v_mul_f64 v[66:67], v[126:127], v[66:67]
	v_mov_b64_e32 v[6:7], v[18:19]
	v_fma_f64 v[252:253], v[124:125], v[64:65], -v[66:67]
	scratch_load_dwordx4 v[64:67], off, off offset:784
	s_waitcnt lgkmcnt(1)
	v_mul_f64 v[120:121], v[112:113], v[6:7]
	v_fmac_f64_e32 v[120:121], v[114:115], v[4:5]
	s_waitcnt vmcnt(11)
	v_mov_b64_e32 v[4:5], v[20:21]
	v_mov_b64_e32 v[6:7], v[22:23]
	v_add_f64 v[0:1], v[0:1], v[120:121]
	s_waitcnt lgkmcnt(0)
	v_mul_f64 v[120:121], v[116:117], v[6:7]
	v_fmac_f64_e32 v[120:121], v[118:119], v[4:5]
	v_mul_f64 v[70:71], v[130:131], v[70:71]
	v_add_f64 v[0:1], v[0:1], v[120:121]
	v_fma_f64 v[232:233], v[128:129], v[68:69], -v[70:71]
	scratch_load_dwordx4 v[68:71], off, off offset:800
	ds_read_b128 v[120:123], v2 offset:1584
	ds_read_b128 v[124:127], v2 offset:1600
	v_mul_f64 v[74:75], v[134:135], v[74:75]
	v_accvgpr_write_b32 a135, v11
	v_fma_f64 v[28:29], v[132:133], v[72:73], -v[74:75]
	scratch_load_dwordx4 v[72:75], off, off offset:816
	v_accvgpr_write_b32 a134, v10
	v_accvgpr_write_b32 a133, v9
	;; [unrolled: 1-line block ×3, first 2 shown]
	v_mul_f64 v[6:7], v[142:143], v[78:79]
	s_waitcnt vmcnt(12)
	v_accvgpr_read_b32 v8, a124
	v_fma_f64 v[24:25], v[140:141], v[76:77], -v[6:7]
	v_accvgpr_read_b32 v10, a126
	v_accvgpr_read_b32 v11, a127
	scratch_load_dwordx4 v[76:79], off, off offset:832
	v_accvgpr_read_b32 v9, a125
	s_waitcnt lgkmcnt(1)
	v_mul_f64 v[6:7], v[120:121], v[10:11]
	v_fmac_f64_e32 v[6:7], v[122:123], v[8:9]
	v_accvgpr_write_b32 a147, v23
	v_add_f64 v[0:1], v[0:1], v[6:7]
	v_mul_f64 v[6:7], v[154:155], v[82:83]
	v_accvgpr_write_b32 a146, v22
	v_accvgpr_write_b32 a145, v21
	;; [unrolled: 1-line block ×3, first 2 shown]
	v_fma_f64 v[20:21], v[152:153], v[80:81], -v[6:7]
	s_waitcnt vmcnt(12) lgkmcnt(0)
	v_mul_f64 v[6:7], v[124:125], v[236:237]
	v_fmac_f64_e32 v[6:7], v[126:127], v[234:235]
	scratch_load_dwordx4 v[80:83], off, off offset:848
	v_accvgpr_write_b32 a143, v19
	v_add_f64 v[0:1], v[0:1], v[6:7]
	v_mul_f64 v[6:7], v[166:167], v[86:87]
	v_accvgpr_write_b32 a142, v18
	v_accvgpr_write_b32 a141, v17
	;; [unrolled: 1-line block ×3, first 2 shown]
	v_fma_f64 v[16:17], v[164:165], v[84:85], -v[6:7]
	scratch_load_dwordx4 v[84:87], off, off offset:864
	ds_read_b128 v[132:135], v2 offset:1616
	ds_read_b128 v[128:131], v2 offset:1632
	v_accvgpr_write_b32 a139, v15
	v_mul_f64 v[6:7], v[178:179], v[94:95]
	v_accvgpr_write_b32 a138, v14
	v_accvgpr_write_b32 a137, v13
	;; [unrolled: 1-line block ×3, first 2 shown]
	v_fma_f64 v[14:15], v[176:177], v[92:93], -v[6:7]
	v_mul_f64 v[6:7], v[190:191], v[98:99]
	v_fma_f64 v[12:13], v[188:189], v[96:97], -v[6:7]
	scratch_load_dwordx4 v[96:99], off, off offset:880
	scratch_load_dwordx4 v[92:95], off, off offset:896
	s_waitcnt vmcnt(15) lgkmcnt(1)
	v_mul_f64 v[6:7], v[132:133], v[34:35]
	v_fmac_f64_e32 v[6:7], v[134:135], v[32:33]
	v_add_f64 v[0:1], v[0:1], v[6:7]
	v_mul_f64 v[6:7], v[198:199], v[102:103]
	v_fma_f64 v[18:19], v[196:197], v[100:101], -v[6:7]
	scratch_load_dwordx4 v[100:103], off, off offset:912
	v_mul_f64 v[6:7], v[202:203], v[138:139]
	v_fma_f64 v[10:11], v[200:201], v[136:137], -v[6:7]
	ds_read_b128 v[136:139], v2 offset:1648
	ds_read_b128 v[140:143], v2 offset:1664
	s_waitcnt vmcnt(15) lgkmcnt(2)
	v_mul_f64 v[6:7], v[128:129], v[38:39]
	v_fmac_f64_e32 v[6:7], v[130:131], v[36:37]
	v_add_f64 v[0:1], v[0:1], v[6:7]
	s_waitcnt vmcnt(14) lgkmcnt(1)
	v_mul_f64 v[6:7], v[136:137], v[42:43]
	v_fmac_f64_e32 v[6:7], v[138:139], v[40:41]
	v_add_f64 v[0:1], v[0:1], v[6:7]
	v_mul_f64 v[6:7], v[206:207], v[146:147]
	v_fma_f64 v[22:23], v[204:205], v[144:145], -v[6:7]
	ds_read_b128 v[144:147], v2 offset:1680
	s_waitcnt vmcnt(13) lgkmcnt(1)
	v_mul_f64 v[6:7], v[140:141], v[46:47]
	v_fmac_f64_e32 v[6:7], v[142:143], v[44:45]
	v_add_f64 v[0:1], v[0:1], v[6:7]
	v_mul_f64 v[6:7], v[210:211], v[150:151]
	v_fma_f64 v[8:9], v[208:209], v[148:149], -v[6:7]
	ds_read_b128 v[148:151], v2 offset:1696
	s_waitcnt vmcnt(12) lgkmcnt(1)
	v_mul_f64 v[6:7], v[144:145], v[50:51]
	ds_read_b128 v[152:155], v2 offset:1712
	v_fmac_f64_e32 v[6:7], v[146:147], v[48:49]
	v_add_f64 v[0:1], v[0:1], v[6:7]
	v_mul_f64 v[6:7], v[214:215], v[158:159]
	v_fma_f64 v[26:27], v[212:213], v[156:157], -v[6:7]
	s_waitcnt vmcnt(11) lgkmcnt(1)
	v_mul_f64 v[6:7], v[148:149], v[54:55]
	v_fmac_f64_e32 v[6:7], v[150:151], v[52:53]
	ds_read_b128 v[156:159], v2 offset:1728
	v_add_f64 v[0:1], v[0:1], v[6:7]
	s_waitcnt vmcnt(10) lgkmcnt(1)
	v_mul_f64 v[6:7], v[152:153], v[58:59]
	v_fmac_f64_e32 v[6:7], v[154:155], v[56:57]
	v_add_f64 v[0:1], v[0:1], v[6:7]
	v_mul_f64 v[6:7], v[218:219], v[162:163]
	v_fma_f64 v[4:5], v[216:217], v[160:161], -v[6:7]
	ds_read_b128 v[160:163], v2 offset:1744
	ds_read_b128 v[164:167], v2 offset:1760
	s_waitcnt vmcnt(9) lgkmcnt(2)
	v_mul_f64 v[6:7], v[156:157], v[62:63]
	v_fmac_f64_e32 v[6:7], v[158:159], v[60:61]
	v_add_f64 v[0:1], v[0:1], v[6:7]
	s_waitcnt vmcnt(8) lgkmcnt(1)
	v_mul_f64 v[6:7], v[160:161], v[66:67]
	v_fmac_f64_e32 v[6:7], v[162:163], v[64:65]
	v_add_f64 v[0:1], v[0:1], v[6:7]
	v_mul_f64 v[6:7], v[222:223], v[170:171]
	v_fma_f64 v[30:31], v[220:221], v[168:169], -v[6:7]
	ds_read_b128 v[168:171], v2 offset:1776
	v_mul_f64 v[6:7], v[226:227], v[174:175]
	v_fma_f64 v[6:7], v[224:225], v[172:173], -v[6:7]
	ds_read_b128 v[172:175], v2 offset:1792
	s_waitcnt vmcnt(7) lgkmcnt(2)
	v_mul_f64 v[176:177], v[164:165], v[70:71]
	v_fmac_f64_e32 v[176:177], v[166:167], v[68:69]
	v_add_f64 v[0:1], v[0:1], v[176:177]
	s_waitcnt vmcnt(6) lgkmcnt(1)
	v_mul_f64 v[176:177], v[168:169], v[74:75]
	v_fmac_f64_e32 v[176:177], v[170:171], v[72:73]
	v_add_f64 v[0:1], v[0:1], v[176:177]
	s_waitcnt vmcnt(5) lgkmcnt(0)
	v_mul_f64 v[188:189], v[172:173], v[78:79]
	ds_read_b128 v[176:179], v2 offset:1808
	v_fmac_f64_e32 v[188:189], v[174:175], v[76:77]
	v_add_f64 v[188:189], v[0:1], v[188:189]
	v_mul_f64 v[0:1], v[230:231], v[182:183]
	v_fma_f64 v[0:1], v[228:229], v[180:181], -v[0:1]
	ds_read_b128 v[180:183], v2 offset:1824
	v_mul_f64 v[186:187], v[244:245], v[186:187]
	s_waitcnt vmcnt(4) lgkmcnt(1)
	v_mul_f64 v[190:191], v[176:177], v[82:83]
	v_fma_f64 v[238:239], v[242:243], v[184:185], -v[186:187]
	ds_read_b128 v[184:187], v2 offset:1840
	v_fmac_f64_e32 v[190:191], v[178:179], v[80:81]
	v_add_f64 v[196:197], v[188:189], v[190:191]
	ds_read_b128 v[188:191], v2 offset:1856
	s_waitcnt vmcnt(3) lgkmcnt(2)
	v_mul_f64 v[198:199], v[180:181], v[86:87]
	v_mul_f64 v[194:195], v[248:249], v[194:195]
	v_fmac_f64_e32 v[198:199], v[182:183], v[84:85]
	v_fma_f64 v[242:243], v[246:247], v[192:193], -v[194:195]
	ds_read_b128 v[192:195], v2 offset:1872
	ds_read_b128 v[200:203], v2 offset:1888
	v_add_f64 v[196:197], v[196:197], v[198:199]
	s_waitcnt vmcnt(2) lgkmcnt(3)
	v_mul_f64 v[198:199], v[184:185], v[98:99]
	v_fmac_f64_e32 v[198:199], v[186:187], v[96:97]
	v_add_f64 v[196:197], v[196:197], v[198:199]
	s_waitcnt vmcnt(1) lgkmcnt(2)
	v_mul_f64 v[198:199], v[188:189], v[94:95]
	v_fmac_f64_e32 v[198:199], v[190:191], v[92:93]
	v_add_f64 v[196:197], v[196:197], v[198:199]
	s_waitcnt vmcnt(0) lgkmcnt(1)
	v_mul_f64 v[198:199], v[192:193], v[102:103]
	v_fmac_f64_e32 v[198:199], v[194:195], v[100:101]
	v_add_f64 v[204:205], v[196:197], v[198:199]
	scratch_load_dwordx4 v[196:199], off, off offset:928
	ds_read_b128 v[208:211], v2 offset:1904
	ds_read_b128 v[216:219], v2 offset:1920
	;; [unrolled: 1-line block ×3, first 2 shown]
	s_waitcnt vmcnt(0) lgkmcnt(3)
	v_mul_f64 v[206:207], v[200:201], v[198:199]
	v_fmac_f64_e32 v[206:207], v[202:203], v[196:197]
	v_add_f64 v[212:213], v[204:205], v[206:207]
	scratch_load_dwordx4 v[204:207], off, off offset:944
	s_waitcnt vmcnt(0) lgkmcnt(2)
	v_mul_f64 v[214:215], v[208:209], v[206:207]
	v_fmac_f64_e32 v[214:215], v[210:211], v[204:205]
	v_add_f64 v[220:221], v[212:213], v[214:215]
	scratch_load_dwordx4 v[212:215], off, off offset:960
	;; [unrolled: 5-line block ×3, first 2 shown]
	s_waitcnt vmcnt(0) lgkmcnt(0)
	v_mul_f64 v[230:231], v[224:225], v[222:223]
	v_fmac_f64_e32 v[230:231], v[226:227], v[220:221]
	v_add_f64 v[246:247], v[228:229], v[230:231]
	v_add_f64 v[228:229], v[240:241], 0
	;; [unrolled: 1-line block ×6, first 2 shown]
	scratch_load_dwordx4 v[228:231], off, off offset:192
	v_add_f64 v[24:25], v[28:29], v[24:25]
	v_add_f64 v[20:21], v[24:25], v[20:21]
	;; [unrolled: 1-line block ×13, first 2 shown]
	v_accvgpr_read_b32 v6, a128
	v_accvgpr_read_b32 v8, a130
	;; [unrolled: 1-line block ×3, first 2 shown]
	v_add_f64 v[0:1], v[4:5], v[0:1]
	v_accvgpr_read_b32 v7, a129
	v_mul_f64 v[4:5], v[90:91], v[8:9]
	v_add_f64 v[0:1], v[0:1], v[238:239]
	v_fma_f64 v[4:5], v[88:89], v[6:7], -v[4:5]
	v_accvgpr_read_b32 v6, a132
	v_add_f64 v[0:1], v[0:1], v[242:243]
	v_accvgpr_read_b32 v8, a134
	v_accvgpr_read_b32 v9, a135
	v_add_f64 v[0:1], v[0:1], v[4:5]
	v_accvgpr_read_b32 v7, a133
	v_mul_f64 v[4:5], v[106:107], v[8:9]
	v_fma_f64 v[4:5], v[104:105], v[6:7], -v[4:5]
	v_accvgpr_read_b32 v6, a136
	v_accvgpr_read_b32 v8, a138
	v_accvgpr_read_b32 v9, a139
	v_add_f64 v[0:1], v[0:1], v[4:5]
	v_accvgpr_read_b32 v7, a137
	v_mul_f64 v[4:5], v[110:111], v[8:9]
	v_fma_f64 v[4:5], v[108:109], v[6:7], -v[4:5]
	v_accvgpr_read_b32 v6, a140
	;; [unrolled: 7-line block ×4, first 2 shown]
	v_accvgpr_read_b32 v8, a126
	v_accvgpr_read_b32 v9, a127
	v_add_f64 v[0:1], v[0:1], v[4:5]
	v_accvgpr_read_b32 v7, a125
	v_mul_f64 v[4:5], v[122:123], v[8:9]
	v_fma_f64 v[4:5], v[120:121], v[6:7], -v[4:5]
	v_add_f64 v[0:1], v[0:1], v[4:5]
	v_mul_f64 v[4:5], v[126:127], v[236:237]
	v_fma_f64 v[4:5], v[124:125], v[234:235], -v[4:5]
	v_add_f64 v[0:1], v[0:1], v[4:5]
	;; [unrolled: 3-line block ×23, first 2 shown]
	s_waitcnt vmcnt(0)
	v_add_f64 v[4:5], v[228:229], -v[0:1]
	v_add_f64 v[6:7], v[230:231], -v[246:247]
	scratch_store_dwordx4 off, v[4:7], off offset:192
	s_and_saveexec_b64 s[0:1], vcc
	s_cbranch_execz .LBB124_371
; %bb.370:
	scratch_load_dwordx4 v[6:9], off, s77
	v_mov_b32_e32 v3, v2
	v_mov_b32_e32 v4, v2
	;; [unrolled: 1-line block ×3, first 2 shown]
	v_accvgpr_read_b32 v0, a1
	scratch_store_dwordx4 off, v[2:5], off offset:176
	s_waitcnt vmcnt(1)
	ds_write_b128 v0, v[6:9]
.LBB124_371:
	s_or_b64 exec, exec, s[0:1]
	s_waitcnt lgkmcnt(0)
	; wave barrier
	scratch_load_dwordx4 v[56:59], off, off offset:192
	scratch_load_dwordx4 v[60:63], off, off offset:208
	;; [unrolled: 1-line block ×18, first 2 shown]
	ds_read_b128 v[116:119], v2 offset:1152
	ds_read_b128 v[224:227], v2 offset:1168
	;; [unrolled: 1-line block ×6, first 2 shown]
	scratch_load_dwordx4 v[180:183], off, off offset:480
	ds_read_b128 v[204:207], v2 offset:1248
	ds_read_b128 v[132:135], v2 offset:1264
	scratch_load_dwordx4 v[184:187], off, off offset:496
	ds_read_b128 v[220:223], v2 offset:1280
	ds_read_b128 v[216:219], v2 offset:1296
	;; [unrolled: 1-line block ×5, first 2 shown]
	scratch_load_dwordx4 v[192:195], off, off offset:512
	ds_read_b128 v[200:203], v2 offset:1360
	ds_read_b128 v[164:167], v2 offset:1376
	scratch_load_dwordx4 v[4:7], off, off offset:528
	ds_read_b128 v[212:215], v2 offset:1392
	ds_read_b128 v[188:191], v2 offset:1408
	;; [unrolled: 1-line block ×3, first 2 shown]
	scratch_load_dwordx4 v[8:11], off, off offset:544
	scratch_load_dwordx4 v[12:15], off, off offset:560
	;; [unrolled: 1-line block ×6, first 2 shown]
	ds_read_b128 v[228:231], v2 offset:1440
	ds_read_b128 v[232:235], v2 offset:1456
	ds_read_b128 v[236:239], v2 offset:1472
	v_cmp_lt_u32_e32 vcc, 9, v254
	ds_read_b128 v[108:111], v2 offset:1520
	s_waitcnt vmcnt(27) lgkmcnt(14)
	v_mul_f64 v[0:1], v[116:117], v[58:59]
	s_waitcnt vmcnt(26)
	v_mul_f64 v[32:33], v[224:225], v[62:63]
	v_fmac_f64_e32 v[0:1], v[118:119], v[56:57]
	s_waitcnt vmcnt(25)
	v_mul_f64 v[34:35], v[208:209], v[66:67]
	v_fmac_f64_e32 v[32:33], v[226:227], v[60:61]
	v_add_f64 v[0:1], v[0:1], 0
	s_waitcnt vmcnt(24)
	v_mul_f64 v[36:37], v[120:121], v[70:71]
	v_fmac_f64_e32 v[34:35], v[210:211], v[64:65]
	v_add_f64 v[0:1], v[0:1], v[32:33]
	;; [unrolled: 4-line block ×6, first 2 shown]
	s_waitcnt vmcnt(19) lgkmcnt(13)
	v_mul_f64 v[46:47], v[220:221], v[94:95]
	v_fmac_f64_e32 v[44:45], v[134:135], v[84:85]
	v_add_f64 v[0:1], v[0:1], v[42:43]
	s_waitcnt vmcnt(18) lgkmcnt(12)
	v_mul_f64 v[48:49], v[216:217], v[98:99]
	v_fmac_f64_e32 v[46:47], v[222:223], v[92:93]
	v_add_f64 v[0:1], v[0:1], v[44:45]
	;; [unrolled: 4-line block ×9, first 2 shown]
	scratch_load_dwordx4 v[32:35], off, off offset:640
	scratch_load_dwordx4 v[36:39], off, off offset:656
	v_fmac_f64_e32 v[106:107], v[190:191], v[168:169]
	v_add_f64 v[0:1], v[0:1], v[104:105]
	s_waitcnt vmcnt(12) lgkmcnt(4)
	v_mul_f64 v[40:41], v[176:177], v[174:175]
	v_add_f64 v[0:1], v[0:1], v[106:107]
	v_fmac_f64_e32 v[40:41], v[178:179], v[172:173]
	v_add_f64 v[0:1], v[0:1], v[40:41]
	s_waitcnt vmcnt(11) lgkmcnt(3)
	v_mul_f64 v[40:41], v[228:229], v[182:183]
	v_fmac_f64_e32 v[40:41], v[230:231], v[180:181]
	s_waitcnt vmcnt(10) lgkmcnt(2)
	v_mul_f64 v[44:45], v[232:233], v[186:187]
	ds_read_b128 v[88:91], v2 offset:1488
	v_add_f64 v[0:1], v[0:1], v[40:41]
	v_fmac_f64_e32 v[44:45], v[234:235], v[184:185]
	v_add_f64 v[0:1], v[0:1], v[44:45]
	s_waitcnt vmcnt(9) lgkmcnt(2)
	v_mul_f64 v[44:45], v[236:237], v[194:195]
	scratch_load_dwordx4 v[40:43], off, off offset:672
	v_fmac_f64_e32 v[44:45], v[238:239], v[192:193]
	v_add_f64 v[0:1], v[0:1], v[44:45]
	scratch_load_dwordx4 v[44:47], off, off offset:688
	s_waitcnt vmcnt(10) lgkmcnt(0)
	v_mul_f64 v[48:49], v[88:89], v[6:7]
	ds_read_b128 v[104:107], v2 offset:1504
	v_fmac_f64_e32 v[48:49], v[90:91], v[4:5]
	v_accvgpr_write_b32 a131, v7
	v_add_f64 v[0:1], v[0:1], v[48:49]
	scratch_load_dwordx4 v[48:51], off, off offset:704
	v_accvgpr_write_b32 a130, v6
	v_accvgpr_write_b32 a129, v5
	;; [unrolled: 1-line block ×3, first 2 shown]
	s_waitcnt vmcnt(10)
	v_mov_b64_e32 v[4:5], v[8:9]
	v_mov_b64_e32 v[6:7], v[10:11]
	s_waitcnt lgkmcnt(0)
	v_mul_f64 v[52:53], v[104:105], v[6:7]
	v_fmac_f64_e32 v[52:53], v[106:107], v[4:5]
	v_add_f64 v[0:1], v[0:1], v[52:53]
	scratch_load_dwordx4 v[52:55], off, off offset:720
	v_mul_f64 v[58:59], v[118:119], v[58:59]
	v_fma_f64 v[240:241], v[116:117], v[56:57], -v[58:59]
	scratch_load_dwordx4 v[56:59], off, off offset:736
	v_mul_f64 v[62:63], v[226:227], v[62:63]
	s_waitcnt vmcnt(11)
	v_mov_b64_e32 v[4:5], v[12:13]
	v_fma_f64 v[246:247], v[224:225], v[60:61], -v[62:63]
	scratch_load_dwordx4 v[60:63], off, off offset:752
	v_mov_b64_e32 v[6:7], v[14:15]
	v_mul_f64 v[112:113], v[108:109], v[6:7]
	v_fmac_f64_e32 v[112:113], v[110:111], v[4:5]
	v_add_f64 v[0:1], v[0:1], v[112:113]
	ds_read_b128 v[112:115], v2 offset:1536
	ds_read_b128 v[116:119], v2 offset:1552
	v_mul_f64 v[66:67], v[210:211], v[66:67]
	v_fma_f64 v[248:249], v[208:209], v[64:65], -v[66:67]
	scratch_load_dwordx4 v[64:67], off, off offset:768
	v_mul_f64 v[70:71], v[122:123], v[70:71]
	s_waitcnt vmcnt(12)
	v_mov_b64_e32 v[4:5], v[16:17]
	v_fma_f64 v[250:251], v[120:121], v[68:69], -v[70:71]
	scratch_load_dwordx4 v[68:71], off, off offset:784
	v_mov_b64_e32 v[6:7], v[18:19]
	v_mul_f64 v[74:75], v[130:131], v[74:75]
	s_waitcnt lgkmcnt(1)
	v_mul_f64 v[224:225], v[112:113], v[6:7]
	v_fma_f64 v[252:253], v[128:129], v[72:73], -v[74:75]
	scratch_load_dwordx4 v[72:75], off, off offset:800
	v_fmac_f64_e32 v[224:225], v[114:115], v[4:5]
	s_waitcnt vmcnt(13)
	v_mov_b64_e32 v[4:5], v[20:21]
	ds_read_b128 v[120:123], v2 offset:1568
	v_mul_f64 v[78:79], v[126:127], v[78:79]
	v_mov_b64_e32 v[6:7], v[22:23]
	v_fma_f64 v[242:243], v[124:125], v[76:77], -v[78:79]
	ds_read_b128 v[124:127], v2 offset:1584
	scratch_load_dwordx4 v[76:79], off, off offset:816
	s_waitcnt lgkmcnt(2)
	v_mul_f64 v[208:209], v[116:117], v[6:7]
	v_accvgpr_write_b32 a135, v11
	v_fmac_f64_e32 v[208:209], v[118:119], v[4:5]
	s_waitcnt vmcnt(13)
	v_mov_b64_e32 v[4:5], v[24:25]
	v_accvgpr_write_b32 a134, v10
	v_accvgpr_write_b32 a133, v9
	;; [unrolled: 1-line block ×3, first 2 shown]
	v_mov_b64_e32 v[6:7], v[26:27]
	v_mul_f64 v[82:83], v[206:207], v[82:83]
	s_waitcnt vmcnt(12)
	v_accvgpr_read_b32 v8, a124
	v_add_f64 v[0:1], v[0:1], v[224:225]
	s_waitcnt lgkmcnt(1)
	v_mul_f64 v[128:129], v[120:121], v[6:7]
	v_fma_f64 v[28:29], v[204:205], v[80:81], -v[82:83]
	v_accvgpr_read_b32 v10, a126
	v_accvgpr_read_b32 v11, a127
	scratch_load_dwordx4 v[80:83], off, off offset:832
	v_add_f64 v[0:1], v[0:1], v[208:209]
	v_fmac_f64_e32 v[128:129], v[122:123], v[4:5]
	v_accvgpr_read_b32 v9, a125
	s_waitcnt lgkmcnt(0)
	v_mul_f64 v[6:7], v[124:125], v[10:11]
	v_add_f64 v[0:1], v[0:1], v[128:129]
	v_fmac_f64_e32 v[6:7], v[126:127], v[8:9]
	v_accvgpr_write_b32 a151, v27
	v_add_f64 v[0:1], v[0:1], v[6:7]
	v_mul_f64 v[6:7], v[134:135], v[86:87]
	v_accvgpr_write_b32 a150, v26
	v_accvgpr_write_b32 a149, v25
	;; [unrolled: 1-line block ×3, first 2 shown]
	v_fma_f64 v[24:25], v[132:133], v[84:85], -v[6:7]
	scratch_load_dwordx4 v[84:87], off, off offset:848
	v_accvgpr_write_b32 a143, v19
	v_mul_f64 v[10:11], v[218:219], v[98:99]
	v_accvgpr_write_b32 a142, v18
	v_accvgpr_write_b32 a141, v17
	;; [unrolled: 1-line block ×3, first 2 shown]
	ds_read_b128 v[132:135], v2 offset:1600
	ds_read_b128 v[128:131], v2 offset:1616
	v_fma_f64 v[16:17], v[216:217], v[96:97], -v[10:11]
	scratch_load_dwordx4 v[96:99], off, off offset:864
	v_accvgpr_write_b32 a147, v23
	v_mul_f64 v[94:95], v[222:223], v[94:95]
	v_accvgpr_write_b32 a146, v22
	v_accvgpr_write_b32 a145, v21
	;; [unrolled: 1-line block ×3, first 2 shown]
	v_fma_f64 v[20:21], v[220:221], v[92:93], -v[94:95]
	scratch_load_dwordx4 v[92:95], off, off offset:880
	v_accvgpr_write_b32 a139, v15
	v_mul_f64 v[102:103], v[198:199], v[102:103]
	v_accvgpr_write_b32 a138, v14
	v_accvgpr_write_b32 a137, v13
	;; [unrolled: 1-line block ×3, first 2 shown]
	v_fma_f64 v[12:13], v[196:197], v[100:101], -v[102:103]
	scratch_load_dwordx4 v[100:103], off, off offset:896
	s_waitcnt vmcnt(16) lgkmcnt(1)
	v_mul_f64 v[204:205], v[132:133], v[34:35]
	v_mul_f64 v[14:15], v[142:143], v[138:139]
	v_fmac_f64_e32 v[204:205], v[134:135], v[32:33]
	v_fma_f64 v[14:15], v[140:141], v[136:137], -v[14:15]
	s_waitcnt vmcnt(15) lgkmcnt(0)
	v_mul_f64 v[140:141], v[128:129], v[38:39]
	v_add_f64 v[0:1], v[0:1], v[204:205]
	ds_read_b128 v[136:139], v2 offset:1632
	v_fmac_f64_e32 v[140:141], v[130:131], v[36:37]
	v_add_f64 v[0:1], v[0:1], v[140:141]
	ds_read_b128 v[140:143], v2 offset:1648
	v_mul_f64 v[146:147], v[154:155], v[146:147]
	v_fma_f64 v[10:11], v[152:153], v[144:145], -v[146:147]
	ds_read_b128 v[144:147], v2 offset:1664
	s_waitcnt vmcnt(14) lgkmcnt(2)
	v_mul_f64 v[196:197], v[136:137], v[42:43]
	v_fmac_f64_e32 v[196:197], v[138:139], v[40:41]
	s_waitcnt vmcnt(13) lgkmcnt(1)
	v_mul_f64 v[18:19], v[140:141], v[46:47]
	v_add_f64 v[0:1], v[0:1], v[196:197]
	v_fmac_f64_e32 v[18:19], v[142:143], v[44:45]
	v_add_f64 v[0:1], v[0:1], v[18:19]
	v_mul_f64 v[18:19], v[202:203], v[150:151]
	v_fma_f64 v[18:19], v[200:201], v[148:149], -v[18:19]
	ds_read_b128 v[148:151], v2 offset:1680
	s_waitcnt vmcnt(12) lgkmcnt(1)
	v_mul_f64 v[152:153], v[144:145], v[50:51]
	v_fmac_f64_e32 v[152:153], v[146:147], v[48:49]
	v_add_f64 v[0:1], v[0:1], v[152:153]
	ds_read_b128 v[152:155], v2 offset:1696
	v_mul_f64 v[158:159], v[166:167], v[158:159]
	v_fma_f64 v[8:9], v[164:165], v[156:157], -v[158:159]
	ds_read_b128 v[156:159], v2 offset:1712
	s_waitcnt vmcnt(11) lgkmcnt(2)
	v_mul_f64 v[22:23], v[148:149], v[54:55]
	v_fmac_f64_e32 v[22:23], v[150:151], v[52:53]
	v_add_f64 v[0:1], v[0:1], v[22:23]
	s_waitcnt vmcnt(10) lgkmcnt(1)
	v_mul_f64 v[22:23], v[152:153], v[58:59]
	v_fmac_f64_e32 v[22:23], v[154:155], v[56:57]
	v_add_f64 v[0:1], v[0:1], v[22:23]
	v_mul_f64 v[22:23], v[214:215], v[162:163]
	s_waitcnt vmcnt(9) lgkmcnt(0)
	v_mul_f64 v[164:165], v[156:157], v[62:63]
	v_fma_f64 v[22:23], v[212:213], v[160:161], -v[22:23]
	ds_read_b128 v[160:163], v2 offset:1728
	v_fmac_f64_e32 v[164:165], v[158:159], v[60:61]
	v_add_f64 v[0:1], v[0:1], v[164:165]
	ds_read_b128 v[164:167], v2 offset:1744
	v_mul_f64 v[170:171], v[190:191], v[170:171]
	v_fma_f64 v[6:7], v[188:189], v[168:169], -v[170:171]
	ds_read_b128 v[168:171], v2 offset:1760
	v_mul_f64 v[174:175], v[178:179], v[174:175]
	s_waitcnt vmcnt(8) lgkmcnt(2)
	v_mul_f64 v[196:197], v[160:161], v[66:67]
	v_fma_f64 v[244:245], v[176:177], v[172:173], -v[174:175]
	ds_read_b128 v[172:175], v2 offset:1776
	v_fmac_f64_e32 v[196:197], v[162:163], v[64:65]
	s_waitcnt vmcnt(7) lgkmcnt(2)
	v_mul_f64 v[26:27], v[164:165], v[70:71]
	v_add_f64 v[0:1], v[0:1], v[196:197]
	v_fmac_f64_e32 v[26:27], v[166:167], v[68:69]
	v_add_f64 v[0:1], v[0:1], v[26:27]
	s_waitcnt vmcnt(6) lgkmcnt(1)
	v_mul_f64 v[26:27], v[168:169], v[74:75]
	v_fmac_f64_e32 v[26:27], v[170:171], v[72:73]
	ds_read_b128 v[176:179], v2 offset:1792
	v_add_f64 v[0:1], v[0:1], v[26:27]
	s_waitcnt vmcnt(5) lgkmcnt(1)
	v_mul_f64 v[26:27], v[172:173], v[78:79]
	v_fmac_f64_e32 v[26:27], v[174:175], v[76:77]
	v_add_f64 v[0:1], v[0:1], v[26:27]
	v_mul_f64 v[26:27], v[230:231], v[182:183]
	v_fma_f64 v[4:5], v[228:229], v[180:181], -v[26:27]
	ds_read_b128 v[180:183], v2 offset:1808
	s_waitcnt vmcnt(4) lgkmcnt(1)
	v_mul_f64 v[26:27], v[176:177], v[82:83]
	v_fmac_f64_e32 v[26:27], v[178:179], v[80:81]
	v_add_f64 v[26:27], v[0:1], v[26:27]
	v_mul_f64 v[0:1], v[234:235], v[186:187]
	v_fma_f64 v[0:1], v[232:233], v[184:185], -v[0:1]
	ds_read_b128 v[184:187], v2 offset:1824
	ds_read_b128 v[188:191], v2 offset:1840
	s_waitcnt vmcnt(3) lgkmcnt(2)
	v_mul_f64 v[30:31], v[180:181], v[86:87]
	v_fmac_f64_e32 v[30:31], v[182:183], v[84:85]
	v_add_f64 v[30:31], v[26:27], v[30:31]
	v_mul_f64 v[26:27], v[238:239], v[194:195]
	v_fma_f64 v[26:27], v[236:237], v[192:193], -v[26:27]
	ds_read_b128 v[192:195], v2 offset:1856
	ds_read_b128 v[200:203], v2 offset:1872
	scratch_load_dwordx4 v[236:239], off, off offset:176
	s_waitcnt vmcnt(3) lgkmcnt(3)
	v_mul_f64 v[196:197], v[184:185], v[98:99]
	v_fmac_f64_e32 v[196:197], v[186:187], v[96:97]
	v_add_f64 v[30:31], v[30:31], v[196:197]
	s_waitcnt vmcnt(2) lgkmcnt(2)
	v_mul_f64 v[196:197], v[188:189], v[94:95]
	v_fmac_f64_e32 v[196:197], v[190:191], v[92:93]
	v_add_f64 v[30:31], v[30:31], v[196:197]
	s_waitcnt vmcnt(1) lgkmcnt(1)
	v_mul_f64 v[196:197], v[192:193], v[102:103]
	v_fmac_f64_e32 v[196:197], v[194:195], v[100:101]
	v_add_f64 v[30:31], v[30:31], v[196:197]
	scratch_load_dwordx4 v[196:199], off, off offset:912
	scratch_load_dwordx4 v[232:235], off, off offset:976
	ds_read_b128 v[208:211], v2 offset:1888
	ds_read_b128 v[216:219], v2 offset:1904
	;; [unrolled: 1-line block ×3, first 2 shown]
	s_waitcnt vmcnt(1) lgkmcnt(3)
	v_mul_f64 v[204:205], v[200:201], v[198:199]
	v_fmac_f64_e32 v[204:205], v[202:203], v[196:197]
	v_add_f64 v[30:31], v[30:31], v[204:205]
	scratch_load_dwordx4 v[204:207], off, off offset:928
	s_waitcnt vmcnt(0) lgkmcnt(2)
	v_mul_f64 v[212:213], v[208:209], v[206:207]
	v_fmac_f64_e32 v[212:213], v[210:211], v[204:205]
	v_add_f64 v[30:31], v[30:31], v[212:213]
	scratch_load_dwordx4 v[212:215], off, off offset:944
	s_waitcnt vmcnt(0) lgkmcnt(1)
	v_mul_f64 v[220:221], v[216:217], v[214:215]
	v_fmac_f64_e32 v[220:221], v[218:219], v[212:213]
	v_add_f64 v[30:31], v[30:31], v[220:221]
	scratch_load_dwordx4 v[220:223], off, off offset:960
	s_waitcnt vmcnt(0) lgkmcnt(0)
	v_mul_f64 v[228:229], v[224:225], v[222:223]
	v_fmac_f64_e32 v[228:229], v[226:227], v[220:221]
	v_add_f64 v[30:31], v[30:31], v[228:229]
	ds_read_b128 v[228:231], v2 offset:1936
	s_waitcnt lgkmcnt(0)
	v_mul_f64 v[2:3], v[228:229], v[234:235]
	v_fmac_f64_e32 v[2:3], v[230:231], v[232:233]
	v_add_f64 v[2:3], v[30:31], v[2:3]
	v_add_f64 v[30:31], v[240:241], 0
	;; [unrolled: 1-line block ×20, first 2 shown]
	v_accvgpr_read_b32 v6, a128
	v_accvgpr_read_b32 v8, a130
	v_accvgpr_read_b32 v9, a131
	v_accvgpr_read_b32 v7, a129
	v_mul_f64 v[4:5], v[90:91], v[8:9]
	v_add_f64 v[0:1], v[246:247], v[0:1]
	v_fma_f64 v[4:5], v[88:89], v[6:7], -v[4:5]
	v_accvgpr_read_b32 v6, a132
	v_add_f64 v[0:1], v[0:1], v[26:27]
	v_accvgpr_read_b32 v8, a134
	v_accvgpr_read_b32 v9, a135
	v_add_f64 v[0:1], v[0:1], v[4:5]
	v_accvgpr_read_b32 v7, a133
	v_mul_f64 v[4:5], v[106:107], v[8:9]
	v_fma_f64 v[4:5], v[104:105], v[6:7], -v[4:5]
	v_accvgpr_read_b32 v6, a136
	v_accvgpr_read_b32 v8, a138
	v_accvgpr_read_b32 v9, a139
	v_add_f64 v[0:1], v[0:1], v[4:5]
	v_accvgpr_read_b32 v7, a137
	v_mul_f64 v[4:5], v[110:111], v[8:9]
	v_fma_f64 v[4:5], v[108:109], v[6:7], -v[4:5]
	v_accvgpr_read_b32 v6, a140
	;; [unrolled: 7-line block ×5, first 2 shown]
	v_accvgpr_read_b32 v8, a126
	v_accvgpr_read_b32 v9, a127
	v_add_f64 v[0:1], v[0:1], v[4:5]
	v_accvgpr_read_b32 v7, a125
	v_mul_f64 v[4:5], v[126:127], v[8:9]
	v_fma_f64 v[4:5], v[124:125], v[6:7], -v[4:5]
	v_add_f64 v[0:1], v[0:1], v[4:5]
	v_mul_f64 v[4:5], v[134:135], v[34:35]
	v_fma_f64 v[4:5], v[132:133], v[32:33], -v[4:5]
	v_add_f64 v[0:1], v[0:1], v[4:5]
	;; [unrolled: 3-line block ×23, first 2 shown]
	v_add_f64 v[4:5], v[236:237], -v[0:1]
	v_add_f64 v[6:7], v[238:239], -v[2:3]
	scratch_store_dwordx4 off, v[4:7], off offset:176
	s_and_saveexec_b64 s[0:1], vcc
	s_cbranch_execz .LBB124_373
; %bb.372:
	scratch_load_dwordx4 v[2:5], off, s78
	v_mov_b32_e32 v6, 0
	v_mov_b32_e32 v7, v6
	;; [unrolled: 1-line block ×4, first 2 shown]
	v_accvgpr_read_b32 v0, a1
	scratch_store_dwordx4 off, v[6:9], off offset:160
	s_waitcnt vmcnt(1)
	ds_write_b128 v0, v[2:5]
.LBB124_373:
	s_or_b64 exec, exec, s[0:1]
	s_waitcnt lgkmcnt(0)
	; wave barrier
	scratch_load_dwordx4 v[48:51], off, off offset:176
	scratch_load_dwordx4 v[52:55], off, off offset:192
	;; [unrolled: 1-line block ×28, first 2 shown]
	v_mov_b32_e32 v2, 0
	ds_read_b128 v[104:107], v2 offset:1136
	ds_read_b128 v[112:115], v2 offset:1152
	;; [unrolled: 1-line block ×18, first 2 shown]
	scratch_load_dwordx4 a[124:127], off, off offset:624
	scratch_load_dwordx4 a[128:131], off, off offset:640
	ds_read_b128 v[220:223], v2 offset:1424
	ds_read_b128 v[224:227], v2 offset:1440
	;; [unrolled: 1-line block ×4, first 2 shown]
	scratch_load_dwordx4 v[234:237], off, off offset:656
	ds_read_b128 v[246:249], v2 offset:1488
	v_cmp_lt_u32_e32 vcc, 8, v254
	s_waitcnt vmcnt(30) lgkmcnt(14)
	v_mul_f64 v[0:1], v[104:105], v[50:51]
	s_waitcnt vmcnt(29)
	v_mul_f64 v[24:25], v[112:113], v[54:55]
	v_fmac_f64_e32 v[0:1], v[106:107], v[48:49]
	s_waitcnt vmcnt(28)
	v_mul_f64 v[26:27], v[116:117], v[58:59]
	v_fmac_f64_e32 v[24:25], v[114:115], v[52:53]
	v_add_f64 v[0:1], v[0:1], 0
	s_waitcnt vmcnt(27)
	v_mul_f64 v[28:29], v[120:121], v[62:63]
	v_fmac_f64_e32 v[26:27], v[118:119], v[56:57]
	v_add_f64 v[0:1], v[0:1], v[24:25]
	s_waitcnt vmcnt(26)
	v_mul_f64 v[30:31], v[124:125], v[66:67]
	v_fmac_f64_e32 v[28:29], v[122:123], v[60:61]
	v_add_f64 v[0:1], v[0:1], v[26:27]
	s_waitcnt vmcnt(25)
	v_mul_f64 v[32:33], v[128:129], v[70:71]
	v_fmac_f64_e32 v[30:31], v[126:127], v[64:65]
	v_add_f64 v[0:1], v[0:1], v[28:29]
	s_waitcnt vmcnt(24)
	v_mul_f64 v[34:35], v[132:133], v[74:75]
	v_fmac_f64_e32 v[32:33], v[130:131], v[68:69]
	v_add_f64 v[0:1], v[0:1], v[30:31]
	s_waitcnt vmcnt(23)
	v_mul_f64 v[36:37], v[148:149], v[78:79]
	v_fmac_f64_e32 v[34:35], v[134:135], v[72:73]
	v_add_f64 v[0:1], v[0:1], v[32:33]
	s_waitcnt vmcnt(22)
	v_mul_f64 v[38:39], v[160:161], v[82:83]
	v_fmac_f64_e32 v[36:37], v[150:151], v[76:77]
	v_add_f64 v[0:1], v[0:1], v[34:35]
	s_waitcnt vmcnt(21) lgkmcnt(13)
	v_mul_f64 v[40:41], v[172:173], v[86:87]
	v_fmac_f64_e32 v[38:39], v[162:163], v[80:81]
	v_add_f64 v[0:1], v[0:1], v[36:37]
	s_waitcnt vmcnt(20) lgkmcnt(12)
	v_mul_f64 v[42:43], v[184:185], v[94:95]
	v_fmac_f64_e32 v[40:41], v[174:175], v[84:85]
	v_add_f64 v[0:1], v[0:1], v[38:39]
	;; [unrolled: 4-line block ×8, first 2 shown]
	v_add_f64 v[0:1], v[0:1], v[96:97]
	v_fmac_f64_e32 v[98:99], v[214:215], v[152:153]
	s_waitcnt vmcnt(13) lgkmcnt(5)
	v_mul_f64 v[32:33], v[216:217], v[158:159]
	v_add_f64 v[0:1], v[0:1], v[98:99]
	v_fmac_f64_e32 v[32:33], v[218:219], v[156:157]
	v_add_f64 v[0:1], v[0:1], v[32:33]
	s_waitcnt vmcnt(12) lgkmcnt(4)
	v_mul_f64 v[32:33], v[220:221], v[166:167]
	v_fmac_f64_e32 v[32:33], v[222:223], v[164:165]
	s_waitcnt vmcnt(11) lgkmcnt(3)
	v_mul_f64 v[36:37], v[224:225], v[170:171]
	v_add_f64 v[0:1], v[0:1], v[32:33]
	v_fmac_f64_e32 v[36:37], v[226:227], v[168:169]
	v_add_f64 v[0:1], v[0:1], v[36:37]
	s_waitcnt vmcnt(10) lgkmcnt(2)
	v_mul_f64 v[36:37], v[228:229], v[178:179]
	v_fmac_f64_e32 v[36:37], v[230:231], v[176:177]
	v_add_f64 v[0:1], v[0:1], v[36:37]
	scratch_load_dwordx4 v[36:39], off, off offset:672
	s_waitcnt vmcnt(10) lgkmcnt(1)
	v_mul_f64 v[40:41], v[242:243], v[182:183]
	v_fmac_f64_e32 v[40:41], v[244:245], v[180:181]
	v_add_f64 v[0:1], v[0:1], v[40:41]
	scratch_load_dwordx4 v[40:43], off, off offset:688
	ds_read_b128 v[88:91], v2 offset:1504
	s_waitcnt vmcnt(10) lgkmcnt(1)
	v_mul_f64 v[44:45], v[246:247], v[190:191]
	v_fmac_f64_e32 v[44:45], v[248:249], v[188:189]
	v_add_f64 v[0:1], v[0:1], v[44:45]
	scratch_load_dwordx4 v[44:47], off, off offset:704
	v_mul_f64 v[50:51], v[106:107], v[50:51]
	v_fma_f64 v[240:241], v[104:105], v[48:49], -v[50:51]
	scratch_load_dwordx4 v[48:51], off, off offset:720
	s_waitcnt vmcnt(11) lgkmcnt(0)
	v_mul_f64 v[96:97], v[88:89], v[6:7]
	v_mul_f64 v[54:55], v[114:115], v[54:55]
	v_fmac_f64_e32 v[96:97], v[90:91], v[4:5]
	v_fma_f64 v[250:251], v[112:113], v[52:53], -v[54:55]
	scratch_load_dwordx4 v[52:55], off, off offset:736
	v_add_f64 v[0:1], v[0:1], v[96:97]
	ds_read_b128 v[96:99], v2 offset:1520
	ds_read_b128 v[104:107], v2 offset:1536
	v_accvgpr_write_b32 a135, v7
	v_accvgpr_write_b32 a134, v6
	;; [unrolled: 1-line block ×4, first 2 shown]
	s_waitcnt vmcnt(11)
	v_mov_b64_e32 v[4:5], v[8:9]
	v_mov_b64_e32 v[6:7], v[10:11]
	v_mul_f64 v[58:59], v[118:119], v[58:59]
	s_waitcnt lgkmcnt(1)
	v_mul_f64 v[112:113], v[96:97], v[6:7]
	v_fma_f64 v[252:253], v[116:117], v[56:57], -v[58:59]
	scratch_load_dwordx4 v[56:59], off, off offset:752
	v_fmac_f64_e32 v[112:113], v[98:99], v[4:5]
	s_waitcnt vmcnt(11)
	v_mov_b64_e32 v[4:5], v[12:13]
	v_mul_f64 v[62:63], v[122:123], v[62:63]
	v_mov_b64_e32 v[6:7], v[14:15]
	v_fma_f64 v[232:233], v[120:121], v[60:61], -v[62:63]
	scratch_load_dwordx4 v[60:63], off, off offset:768
	v_add_f64 v[0:1], v[0:1], v[112:113]
	s_waitcnt lgkmcnt(0)
	v_mul_f64 v[112:113], v[104:105], v[6:7]
	v_fmac_f64_e32 v[112:113], v[106:107], v[4:5]
	v_mul_f64 v[66:67], v[126:127], v[66:67]
	v_add_f64 v[0:1], v[0:1], v[112:113]
	ds_read_b128 v[112:115], v2 offset:1552
	ds_read_b128 v[116:119], v2 offset:1568
	v_fma_f64 v[32:33], v[124:125], v[64:65], -v[66:67]
	scratch_load_dwordx4 v[64:67], off, off offset:784
	v_accvgpr_write_b32 a139, v11
	v_accvgpr_write_b32 a138, v10
	;; [unrolled: 1-line block ×4, first 2 shown]
	s_waitcnt vmcnt(12)
	v_mov_b64_e32 v[8:9], v[16:17]
	v_mul_f64 v[6:7], v[130:131], v[70:71]
	v_mov_b64_e32 v[10:11], v[18:19]
	v_fma_f64 v[28:29], v[128:129], v[68:69], -v[6:7]
	s_waitcnt lgkmcnt(1)
	v_mul_f64 v[6:7], v[112:113], v[10:11]
	scratch_load_dwordx4 v[68:71], off, off offset:800
	v_fmac_f64_e32 v[6:7], v[114:115], v[8:9]
	v_add_f64 v[0:1], v[0:1], v[6:7]
	v_mul_f64 v[6:7], v[134:135], v[74:75]
	v_fma_f64 v[24:25], v[132:133], v[72:73], -v[6:7]
	s_waitcnt vmcnt(12)
	v_mov_b64_e32 v[8:9], v[20:21]
	scratch_load_dwordx4 v[72:75], off, off offset:816
	v_mov_b64_e32 v[10:11], v[22:23]
	s_waitcnt lgkmcnt(0)
	v_mul_f64 v[6:7], v[116:117], v[10:11]
	v_fmac_f64_e32 v[6:7], v[118:119], v[8:9]
	v_accvgpr_write_b32 a151, v23
	v_add_f64 v[0:1], v[0:1], v[6:7]
	v_mul_f64 v[6:7], v[150:151], v[78:79]
	v_accvgpr_write_b32 a150, v22
	v_accvgpr_write_b32 a149, v21
	;; [unrolled: 1-line block ×3, first 2 shown]
	v_fma_f64 v[20:21], v[148:149], v[76:77], -v[6:7]
	scratch_load_dwordx4 v[76:79], off, off offset:832
	ds_read_b128 v[124:127], v2 offset:1584
	ds_read_b128 v[120:123], v2 offset:1600
	v_accvgpr_write_b32 a147, v19
	v_mul_f64 v[6:7], v[162:163], v[82:83]
	v_accvgpr_write_b32 a143, v15
	v_accvgpr_write_b32 a146, v18
	;; [unrolled: 1-line block ×4, first 2 shown]
	v_fma_f64 v[16:17], v[160:161], v[80:81], -v[6:7]
	v_mul_f64 v[6:7], v[174:175], v[86:87]
	s_waitcnt vmcnt(13)
	v_accvgpr_read_b32 v8, a124
	v_accvgpr_write_b32 a142, v14
	v_accvgpr_write_b32 a141, v13
	;; [unrolled: 1-line block ×3, first 2 shown]
	v_fma_f64 v[14:15], v[172:173], v[84:85], -v[6:7]
	scratch_load_dwordx4 v[84:87], off, off offset:848
	scratch_load_dwordx4 v[80:83], off, off offset:864
	v_accvgpr_read_b32 v10, a126
	v_accvgpr_read_b32 v11, a127
	;; [unrolled: 1-line block ×3, first 2 shown]
	s_waitcnt lgkmcnt(1)
	v_mul_f64 v[6:7], v[124:125], v[10:11]
	v_fmac_f64_e32 v[6:7], v[126:127], v[8:9]
	s_waitcnt vmcnt(14)
	v_accvgpr_read_b32 v8, a128
	v_accvgpr_read_b32 v10, a130
	;; [unrolled: 1-line block ×3, first 2 shown]
	v_add_f64 v[0:1], v[0:1], v[6:7]
	v_accvgpr_read_b32 v9, a129
	s_waitcnt lgkmcnt(0)
	v_mul_f64 v[6:7], v[120:121], v[10:11]
	v_fmac_f64_e32 v[6:7], v[122:123], v[8:9]
	v_add_f64 v[0:1], v[0:1], v[6:7]
	v_mul_f64 v[6:7], v[186:187], v[94:95]
	v_fma_f64 v[18:19], v[184:185], v[92:93], -v[6:7]
	scratch_load_dwordx4 v[92:95], off, off offset:880
	v_mul_f64 v[6:7], v[194:195], v[102:103]
	v_fma_f64 v[12:13], v[192:193], v[100:101], -v[6:7]
	scratch_load_dwordx4 v[100:103], off, off offset:896
	;; [unrolled: 3-line block ×3, first 2 shown]
	ds_read_b128 v[128:131], v2 offset:1616
	ds_read_b128 v[132:135], v2 offset:1632
	;; [unrolled: 1-line block ×4, first 2 shown]
	v_mul_f64 v[182:183], v[244:245], v[182:183]
	s_waitcnt vmcnt(16) lgkmcnt(3)
	v_mul_f64 v[6:7], v[128:129], v[236:237]
	v_fmac_f64_e32 v[6:7], v[130:131], v[234:235]
	v_add_f64 v[0:1], v[0:1], v[6:7]
	v_mul_f64 v[6:7], v[202:203], v[138:139]
	v_fma_f64 v[10:11], v[200:201], v[136:137], -v[6:7]
	ds_read_b128 v[136:139], v2 offset:1648
	s_waitcnt vmcnt(15) lgkmcnt(3)
	v_mul_f64 v[6:7], v[132:133], v[38:39]
	v_fmac_f64_e32 v[6:7], v[134:135], v[36:37]
	v_add_f64 v[0:1], v[0:1], v[6:7]
	v_mul_f64 v[6:7], v[206:207], v[142:143]
	v_fma_f64 v[26:27], v[204:205], v[140:141], -v[6:7]
	ds_read_b128 v[140:143], v2 offset:1664
	;; [unrolled: 7-line block ×3, first 2 shown]
	s_waitcnt vmcnt(13) lgkmcnt(1)
	v_mul_f64 v[6:7], v[140:141], v[46:47]
	v_fmac_f64_e32 v[6:7], v[142:143], v[44:45]
	v_add_f64 v[0:1], v[0:1], v[6:7]
	v_fma_f64 v[238:239], v[242:243], v[180:181], -v[182:183]
	s_waitcnt vmcnt(12) lgkmcnt(0)
	v_mul_f64 v[6:7], v[144:145], v[50:51]
	v_fmac_f64_e32 v[6:7], v[146:147], v[48:49]
	v_add_f64 v[0:1], v[0:1], v[6:7]
	v_mul_f64 v[6:7], v[214:215], v[154:155]
	v_fma_f64 v[30:31], v[212:213], v[152:153], -v[6:7]
	s_waitcnt vmcnt(11)
	v_mul_f64 v[6:7], v[148:149], v[54:55]
	v_fmac_f64_e32 v[6:7], v[150:151], v[52:53]
	ds_read_b128 v[152:155], v2 offset:1712
	v_add_f64 v[0:1], v[0:1], v[6:7]
	v_mul_f64 v[6:7], v[218:219], v[158:159]
	v_fma_f64 v[4:5], v[216:217], v[156:157], -v[6:7]
	ds_read_b128 v[156:159], v2 offset:1728
	s_waitcnt vmcnt(10) lgkmcnt(1)
	v_mul_f64 v[6:7], v[152:153], v[58:59]
	v_fmac_f64_e32 v[6:7], v[154:155], v[56:57]
	v_add_f64 v[0:1], v[0:1], v[6:7]
	ds_read_b128 v[180:183], v2 offset:1824
	s_waitcnt vmcnt(9) lgkmcnt(1)
	v_mul_f64 v[6:7], v[156:157], v[62:63]
	v_fmac_f64_e32 v[6:7], v[158:159], v[60:61]
	v_add_f64 v[0:1], v[0:1], v[6:7]
	v_mul_f64 v[6:7], v[222:223], v[166:167]
	v_fma_f64 v[34:35], v[220:221], v[164:165], -v[6:7]
	ds_read_b128 v[164:167], v2 offset:1760
	s_waitcnt vmcnt(8)
	v_mul_f64 v[6:7], v[160:161], v[66:67]
	v_fmac_f64_e32 v[6:7], v[162:163], v[64:65]
	v_add_f64 v[0:1], v[0:1], v[6:7]
	v_mul_f64 v[6:7], v[226:227], v[170:171]
	v_fma_f64 v[6:7], v[224:225], v[168:169], -v[6:7]
	ds_read_b128 v[168:171], v2 offset:1776
	s_waitcnt vmcnt(7) lgkmcnt(1)
	v_mul_f64 v[172:173], v[164:165], v[70:71]
	v_fmac_f64_e32 v[172:173], v[166:167], v[68:69]
	v_add_f64 v[0:1], v[0:1], v[172:173]
	ds_read_b128 v[172:175], v2 offset:1792
	s_waitcnt vmcnt(6) lgkmcnt(1)
	v_mul_f64 v[184:185], v[168:169], v[74:75]
	v_fmac_f64_e32 v[184:185], v[170:171], v[72:73]
	v_add_f64 v[184:185], v[0:1], v[184:185]
	v_mul_f64 v[0:1], v[230:231], v[178:179]
	v_fma_f64 v[0:1], v[228:229], v[176:177], -v[0:1]
	ds_read_b128 v[176:179], v2 offset:1808
	s_waitcnt vmcnt(5) lgkmcnt(1)
	v_mul_f64 v[186:187], v[172:173], v[78:79]
	v_fmac_f64_e32 v[186:187], v[174:175], v[76:77]
	v_add_f64 v[184:185], v[184:185], v[186:187]
	v_mul_f64 v[190:191], v[248:249], v[190:191]
	s_waitcnt vmcnt(4) lgkmcnt(0)
	v_mul_f64 v[186:187], v[176:177], v[86:87]
	v_fmac_f64_e32 v[186:187], v[178:179], v[84:85]
	v_add_f64 v[192:193], v[184:185], v[186:187]
	ds_read_b128 v[184:187], v2 offset:1840
	v_fma_f64 v[242:243], v[246:247], v[188:189], -v[190:191]
	ds_read_b128 v[188:191], v2 offset:1856
	s_waitcnt vmcnt(3)
	v_mul_f64 v[194:195], v[180:181], v[82:83]
	v_fmac_f64_e32 v[194:195], v[182:183], v[80:81]
	v_add_f64 v[192:193], v[192:193], v[194:195]
	s_waitcnt vmcnt(2) lgkmcnt(1)
	v_mul_f64 v[194:195], v[184:185], v[94:95]
	v_fmac_f64_e32 v[194:195], v[186:187], v[92:93]
	v_add_f64 v[192:193], v[192:193], v[194:195]
	s_waitcnt vmcnt(1) lgkmcnt(0)
	v_mul_f64 v[194:195], v[188:189], v[102:103]
	v_fmac_f64_e32 v[194:195], v[190:191], v[100:101]
	v_add_f64 v[196:197], v[192:193], v[194:195]
	ds_read_b128 v[192:195], v2 offset:1872
	ds_read_b128 v[200:203], v2 offset:1888
	;; [unrolled: 1-line block ×5, first 2 shown]
	s_waitcnt vmcnt(0) lgkmcnt(4)
	v_mul_f64 v[198:199], v[192:193], v[110:111]
	v_fmac_f64_e32 v[198:199], v[194:195], v[108:109]
	v_add_f64 v[204:205], v[196:197], v[198:199]
	scratch_load_dwordx4 v[196:199], off, off offset:928
	s_waitcnt vmcnt(0) lgkmcnt(3)
	v_mul_f64 v[206:207], v[200:201], v[198:199]
	v_fmac_f64_e32 v[206:207], v[202:203], v[196:197]
	v_add_f64 v[212:213], v[204:205], v[206:207]
	scratch_load_dwordx4 v[204:207], off, off offset:944
	;; [unrolled: 5-line block ×4, first 2 shown]
	s_waitcnt vmcnt(0) lgkmcnt(0)
	v_mul_f64 v[230:231], v[224:225], v[222:223]
	v_fmac_f64_e32 v[230:231], v[226:227], v[220:221]
	v_add_f64 v[246:247], v[228:229], v[230:231]
	v_add_f64 v[228:229], v[240:241], 0
	v_add_f64 v[228:229], v[228:229], v[250:251]
	v_add_f64 v[228:229], v[228:229], v[252:253]
	v_add_f64 v[228:229], v[228:229], v[232:233]
	v_add_f64 v[32:33], v[228:229], v[32:33]
	scratch_load_dwordx4 v[228:231], off, off offset:160
	v_add_f64 v[28:29], v[32:33], v[28:29]
	v_add_f64 v[24:25], v[28:29], v[24:25]
	;; [unrolled: 1-line block ×15, first 2 shown]
	v_accvgpr_read_b32 v6, a132
	v_accvgpr_read_b32 v8, a134
	;; [unrolled: 1-line block ×3, first 2 shown]
	v_add_f64 v[0:1], v[4:5], v[0:1]
	v_accvgpr_read_b32 v7, a133
	v_mul_f64 v[4:5], v[90:91], v[8:9]
	v_add_f64 v[0:1], v[0:1], v[238:239]
	v_fma_f64 v[4:5], v[88:89], v[6:7], -v[4:5]
	v_accvgpr_read_b32 v6, a136
	v_add_f64 v[0:1], v[0:1], v[242:243]
	v_accvgpr_read_b32 v8, a138
	v_accvgpr_read_b32 v9, a139
	v_add_f64 v[0:1], v[0:1], v[4:5]
	v_accvgpr_read_b32 v7, a137
	v_mul_f64 v[4:5], v[98:99], v[8:9]
	v_fma_f64 v[4:5], v[96:97], v[6:7], -v[4:5]
	v_accvgpr_read_b32 v6, a140
	v_accvgpr_read_b32 v8, a142
	v_accvgpr_read_b32 v9, a143
	v_add_f64 v[0:1], v[0:1], v[4:5]
	v_accvgpr_read_b32 v7, a141
	v_mul_f64 v[4:5], v[106:107], v[8:9]
	v_fma_f64 v[4:5], v[104:105], v[6:7], -v[4:5]
	v_accvgpr_read_b32 v6, a144
	v_accvgpr_read_b32 v8, a146
	v_accvgpr_read_b32 v9, a147
	v_add_f64 v[0:1], v[0:1], v[4:5]
	v_accvgpr_read_b32 v7, a145
	v_mul_f64 v[4:5], v[114:115], v[8:9]
	v_fma_f64 v[4:5], v[112:113], v[6:7], -v[4:5]
	v_accvgpr_read_b32 v6, a148
	v_accvgpr_read_b32 v8, a150
	v_accvgpr_read_b32 v9, a151
	v_add_f64 v[0:1], v[0:1], v[4:5]
	v_accvgpr_read_b32 v7, a149
	v_mul_f64 v[4:5], v[118:119], v[8:9]
	v_fma_f64 v[4:5], v[116:117], v[6:7], -v[4:5]
	v_accvgpr_read_b32 v6, a124
	v_accvgpr_read_b32 v8, a126
	v_accvgpr_read_b32 v9, a127
	v_add_f64 v[0:1], v[0:1], v[4:5]
	v_accvgpr_read_b32 v7, a125
	v_mul_f64 v[4:5], v[126:127], v[8:9]
	v_fma_f64 v[4:5], v[124:125], v[6:7], -v[4:5]
	v_accvgpr_read_b32 v6, a128
	v_accvgpr_read_b32 v8, a130
	v_accvgpr_read_b32 v9, a131
	v_add_f64 v[0:1], v[0:1], v[4:5]
	v_accvgpr_read_b32 v7, a129
	v_mul_f64 v[4:5], v[122:123], v[8:9]
	v_fma_f64 v[4:5], v[120:121], v[6:7], -v[4:5]
	v_add_f64 v[0:1], v[0:1], v[4:5]
	v_mul_f64 v[4:5], v[130:131], v[236:237]
	v_fma_f64 v[4:5], v[128:129], v[234:235], -v[4:5]
	v_add_f64 v[0:1], v[0:1], v[4:5]
	;; [unrolled: 3-line block ×22, first 2 shown]
	s_waitcnt vmcnt(0)
	v_add_f64 v[4:5], v[228:229], -v[0:1]
	v_add_f64 v[6:7], v[230:231], -v[246:247]
	scratch_store_dwordx4 off, v[4:7], off offset:160
	s_and_saveexec_b64 s[0:1], vcc
	s_cbranch_execz .LBB124_375
; %bb.374:
	scratch_load_dwordx4 v[6:9], off, s79
	v_mov_b32_e32 v3, v2
	v_mov_b32_e32 v4, v2
	;; [unrolled: 1-line block ×3, first 2 shown]
	v_accvgpr_read_b32 v0, a1
	scratch_store_dwordx4 off, v[2:5], off offset:144
	s_waitcnt vmcnt(1)
	ds_write_b128 v0, v[6:9]
.LBB124_375:
	s_or_b64 exec, exec, s[0:1]
	s_waitcnt lgkmcnt(0)
	; wave barrier
	scratch_load_dwordx4 v[48:51], off, off offset:160
	scratch_load_dwordx4 v[52:55], off, off offset:176
	;; [unrolled: 1-line block ×18, first 2 shown]
	ds_read_b128 v[104:107], v2 offset:1120
	ds_read_b128 v[212:215], v2 offset:1136
	ds_read_b128 v[196:199], v2 offset:1152
	ds_read_b128 v[112:115], v2 offset:1168
	ds_read_b128 v[120:123], v2 offset:1184
	ds_read_b128 v[116:119], v2 offset:1200
	scratch_load_dwordx4 v[164:167], off, off offset:448
	ds_read_b128 v[192:195], v2 offset:1216
	ds_read_b128 v[124:127], v2 offset:1232
	scratch_load_dwordx4 v[168:171], off, off offset:464
	ds_read_b128 v[208:211], v2 offset:1248
	ds_read_b128 v[204:207], v2 offset:1264
	ds_read_b128 v[128:131], v2 offset:1280
	ds_read_b128 v[132:135], v2 offset:1296
	ds_read_b128 v[148:151], v2 offset:1312
	scratch_load_dwordx4 v[176:179], off, off offset:480
	ds_read_b128 v[200:203], v2 offset:1328
	ds_read_b128 v[172:175], v2 offset:1344
	scratch_load_dwordx4 v[180:183], off, off offset:496
	ds_read_b128 v[216:219], v2 offset:1360
	ds_read_b128 v[184:187], v2 offset:1376
	;; [unrolled: 1-line block ×3, first 2 shown]
	scratch_load_dwordx4 v[188:191], off, off offset:512
	scratch_load_dwordx4 v[4:7], off, off offset:528
	;; [unrolled: 1-line block ×6, first 2 shown]
	ds_read_b128 v[220:223], v2 offset:1408
	ds_read_b128 v[224:227], v2 offset:1424
	scratch_load_dwordx4 a[124:127], off, off offset:608
	scratch_load_dwordx4 a[128:131], off, off offset:624
	ds_read_b128 v[228:231], v2 offset:1440
	ds_read_b128 v[232:235], v2 offset:1456
	;; [unrolled: 1-line block ×3, first 2 shown]
	v_cmp_lt_u32_e32 vcc, 7, v254
	s_waitcnt vmcnt(29) lgkmcnt(14)
	v_mul_f64 v[0:1], v[104:105], v[50:51]
	s_waitcnt vmcnt(28)
	v_mul_f64 v[24:25], v[212:213], v[54:55]
	v_fmac_f64_e32 v[0:1], v[106:107], v[48:49]
	s_waitcnt vmcnt(27)
	v_mul_f64 v[26:27], v[196:197], v[58:59]
	v_fmac_f64_e32 v[24:25], v[214:215], v[52:53]
	v_add_f64 v[0:1], v[0:1], 0
	s_waitcnt vmcnt(26)
	v_mul_f64 v[28:29], v[112:113], v[62:63]
	v_fmac_f64_e32 v[26:27], v[198:199], v[56:57]
	v_add_f64 v[0:1], v[0:1], v[24:25]
	;; [unrolled: 4-line block ×7, first 2 shown]
	s_waitcnt vmcnt(20) lgkmcnt(13)
	v_mul_f64 v[40:41], v[204:205], v[86:87]
	v_fmac_f64_e32 v[38:39], v[210:211], v[80:81]
	v_add_f64 v[0:1], v[0:1], v[36:37]
	s_waitcnt vmcnt(19) lgkmcnt(12)
	v_mul_f64 v[42:43], v[128:129], v[94:95]
	v_fmac_f64_e32 v[40:41], v[206:207], v[84:85]
	v_add_f64 v[0:1], v[0:1], v[38:39]
	s_waitcnt vmcnt(18) lgkmcnt(11)
	v_mul_f64 v[44:45], v[132:133], v[102:103]
	v_fmac_f64_e32 v[42:43], v[130:131], v[92:93]
	v_add_f64 v[0:1], v[0:1], v[40:41]
	s_waitcnt vmcnt(17) lgkmcnt(10)
	v_mul_f64 v[46:47], v[148:149], v[110:111]
	v_fmac_f64_e32 v[44:45], v[134:135], v[100:101]
	v_add_f64 v[0:1], v[0:1], v[42:43]
	s_waitcnt vmcnt(16) lgkmcnt(9)
	v_mul_f64 v[88:89], v[200:201], v[138:139]
	v_fmac_f64_e32 v[46:47], v[150:151], v[108:109]
	v_add_f64 v[0:1], v[0:1], v[44:45]
	s_waitcnt vmcnt(15) lgkmcnt(8)
	v_mul_f64 v[90:91], v[172:173], v[142:143]
	v_fmac_f64_e32 v[88:89], v[202:203], v[136:137]
	v_add_f64 v[0:1], v[0:1], v[46:47]
	s_waitcnt vmcnt(14) lgkmcnt(7)
	v_mul_f64 v[96:97], v[216:217], v[146:147]
	v_fmac_f64_e32 v[90:91], v[174:175], v[140:141]
	v_add_f64 v[0:1], v[0:1], v[88:89]
	s_waitcnt vmcnt(13) lgkmcnt(6)
	v_mul_f64 v[98:99], v[184:185], v[154:155]
	v_fmac_f64_e32 v[96:97], v[218:219], v[144:145]
	v_add_f64 v[0:1], v[0:1], v[90:91]
	v_fmac_f64_e32 v[98:99], v[186:187], v[152:153]
	v_add_f64 v[0:1], v[0:1], v[96:97]
	s_waitcnt vmcnt(12) lgkmcnt(5)
	v_mul_f64 v[32:33], v[160:161], v[158:159]
	v_add_f64 v[0:1], v[0:1], v[98:99]
	v_fmac_f64_e32 v[32:33], v[162:163], v[156:157]
	v_add_f64 v[0:1], v[0:1], v[32:33]
	s_waitcnt vmcnt(11) lgkmcnt(4)
	v_mul_f64 v[32:33], v[220:221], v[166:167]
	v_fmac_f64_e32 v[32:33], v[222:223], v[164:165]
	v_add_f64 v[0:1], v[0:1], v[32:33]
	scratch_load_dwordx4 v[32:35], off, off offset:640
	s_waitcnt vmcnt(11) lgkmcnt(3)
	v_mul_f64 v[36:37], v[224:225], v[170:171]
	v_fmac_f64_e32 v[36:37], v[226:227], v[168:169]
	v_add_f64 v[0:1], v[0:1], v[36:37]
	s_waitcnt vmcnt(10) lgkmcnt(2)
	v_mul_f64 v[36:37], v[228:229], v[178:179]
	v_fmac_f64_e32 v[36:37], v[230:231], v[176:177]
	s_waitcnt vmcnt(9) lgkmcnt(1)
	v_mul_f64 v[40:41], v[232:233], v[182:183]
	v_add_f64 v[0:1], v[0:1], v[36:37]
	scratch_load_dwordx4 v[36:39], off, off offset:656
	v_fmac_f64_e32 v[40:41], v[234:235], v[180:181]
	v_add_f64 v[0:1], v[0:1], v[40:41]
	scratch_load_dwordx4 v[40:43], off, off offset:672
	ds_read_b128 v[88:91], v2 offset:1488
	s_waitcnt vmcnt(10) lgkmcnt(1)
	v_mul_f64 v[44:45], v[236:237], v[190:191]
	v_fmac_f64_e32 v[44:45], v[238:239], v[188:189]
	v_add_f64 v[0:1], v[0:1], v[44:45]
	scratch_load_dwordx4 v[44:47], off, off offset:688
	v_mul_f64 v[50:51], v[106:107], v[50:51]
	v_fma_f64 v[240:241], v[104:105], v[48:49], -v[50:51]
	scratch_load_dwordx4 v[48:51], off, off offset:704
	v_mul_f64 v[54:55], v[214:215], v[54:55]
	v_fma_f64 v[246:247], v[212:213], v[52:53], -v[54:55]
	;; [unrolled: 3-line block ×3, first 2 shown]
	scratch_load_dwordx4 v[56:59], off, off offset:736
	s_waitcnt vmcnt(13) lgkmcnt(0)
	v_mul_f64 v[96:97], v[88:89], v[6:7]
	v_fmac_f64_e32 v[96:97], v[90:91], v[4:5]
	v_mul_f64 v[62:63], v[114:115], v[62:63]
	v_add_f64 v[0:1], v[0:1], v[96:97]
	ds_read_b128 v[96:99], v2 offset:1504
	ds_read_b128 v[104:107], v2 offset:1520
	v_fma_f64 v[250:251], v[112:113], v[60:61], -v[62:63]
	scratch_load_dwordx4 v[60:63], off, off offset:752
	v_mul_f64 v[66:67], v[122:123], v[66:67]
	v_fma_f64 v[252:253], v[120:121], v[64:65], -v[66:67]
	scratch_load_dwordx4 v[64:67], off, off offset:768
	v_accvgpr_write_b32 a135, v7
	v_accvgpr_write_b32 a134, v6
	;; [unrolled: 1-line block ×4, first 2 shown]
	s_waitcnt vmcnt(14)
	v_mov_b64_e32 v[4:5], v[8:9]
	v_mov_b64_e32 v[6:7], v[10:11]
	s_waitcnt lgkmcnt(1)
	v_mul_f64 v[212:213], v[96:97], v[6:7]
	v_fmac_f64_e32 v[212:213], v[98:99], v[4:5]
	s_waitcnt vmcnt(13)
	v_mov_b64_e32 v[4:5], v[12:13]
	ds_read_b128 v[112:115], v2 offset:1536
	v_mul_f64 v[70:71], v[118:119], v[70:71]
	v_mov_b64_e32 v[6:7], v[14:15]
	v_fma_f64 v[242:243], v[116:117], v[68:69], -v[70:71]
	ds_read_b128 v[116:119], v2 offset:1552
	scratch_load_dwordx4 v[68:71], off, off offset:784
	s_waitcnt lgkmcnt(2)
	v_mul_f64 v[196:197], v[104:105], v[6:7]
	v_mul_f64 v[74:75], v[194:195], v[74:75]
	v_accvgpr_write_b32 a139, v11
	v_fmac_f64_e32 v[196:197], v[106:107], v[4:5]
	s_waitcnt vmcnt(13)
	v_mov_b64_e32 v[4:5], v[16:17]
	v_fma_f64 v[28:29], v[192:193], v[72:73], -v[74:75]
	scratch_load_dwordx4 v[72:75], off, off offset:800
	v_accvgpr_write_b32 a138, v10
	v_accvgpr_write_b32 a137, v9
	;; [unrolled: 1-line block ×3, first 2 shown]
	v_mov_b64_e32 v[6:7], v[18:19]
	s_waitcnt vmcnt(13)
	v_mov_b64_e32 v[8:9], v[20:21]
	v_add_f64 v[0:1], v[0:1], v[212:213]
	s_waitcnt lgkmcnt(1)
	v_mul_f64 v[120:121], v[112:113], v[6:7]
	v_mov_b64_e32 v[10:11], v[22:23]
	v_add_f64 v[0:1], v[0:1], v[196:197]
	v_fmac_f64_e32 v[120:121], v[114:115], v[4:5]
	s_waitcnt lgkmcnt(0)
	v_mul_f64 v[6:7], v[116:117], v[10:11]
	v_add_f64 v[0:1], v[0:1], v[120:121]
	v_fmac_f64_e32 v[6:7], v[118:119], v[8:9]
	v_add_f64 v[0:1], v[0:1], v[6:7]
	v_mul_f64 v[6:7], v[126:127], v[78:79]
	v_fma_f64 v[24:25], v[124:125], v[76:77], -v[6:7]
	scratch_load_dwordx4 v[76:79], off, off offset:816
	v_accvgpr_write_b32 a147, v19
	v_mul_f64 v[10:11], v[206:207], v[86:87]
	v_accvgpr_write_b32 a146, v18
	v_accvgpr_write_b32 a145, v17
	;; [unrolled: 1-line block ×3, first 2 shown]
	ds_read_b128 v[124:127], v2 offset:1568
	ds_read_b128 v[120:123], v2 offset:1584
	v_fma_f64 v[16:17], v[204:205], v[84:85], -v[10:11]
	scratch_load_dwordx4 v[84:87], off, off offset:832
	v_accvgpr_write_b32 a151, v23
	v_mul_f64 v[82:83], v[210:211], v[82:83]
	v_accvgpr_write_b32 a150, v22
	v_accvgpr_write_b32 a149, v21
	;; [unrolled: 1-line block ×3, first 2 shown]
	v_fma_f64 v[20:21], v[208:209], v[80:81], -v[82:83]
	scratch_load_dwordx4 v[80:83], off, off offset:848
	v_accvgpr_write_b32 a143, v15
	v_mul_f64 v[94:95], v[130:131], v[94:95]
	v_accvgpr_write_b32 a142, v14
	v_accvgpr_write_b32 a141, v13
	;; [unrolled: 1-line block ×3, first 2 shown]
	v_fma_f64 v[12:13], v[128:129], v[92:93], -v[94:95]
	v_mul_f64 v[14:15], v[134:135], v[102:103]
	scratch_load_dwordx4 v[92:95], off, off offset:864
	v_fma_f64 v[14:15], v[132:133], v[100:101], -v[14:15]
	v_mul_f64 v[100:101], v[150:151], v[110:111]
	v_fma_f64 v[10:11], v[148:149], v[108:109], -v[100:101]
	scratch_load_dwordx4 v[100:103], off, off offset:880
	scratch_load_dwordx4 v[108:111], off, off offset:896
	s_waitcnt vmcnt(18)
	v_accvgpr_read_b32 v4, a124
	v_accvgpr_read_b32 v6, a126
	;; [unrolled: 1-line block ×3, first 2 shown]
	ds_read_b128 v[128:131], v2 offset:1600
	ds_read_b128 v[132:135], v2 offset:1616
	v_accvgpr_read_b32 v5, a125
	s_waitcnt lgkmcnt(3)
	v_mul_f64 v[192:193], v[124:125], v[6:7]
	v_fmac_f64_e32 v[192:193], v[126:127], v[4:5]
	s_waitcnt vmcnt(17)
	v_accvgpr_read_b32 v4, a128
	v_accvgpr_read_b32 v6, a130
	;; [unrolled: 1-line block ×3, first 2 shown]
	v_add_f64 v[0:1], v[0:1], v[192:193]
	v_accvgpr_read_b32 v5, a129
	s_waitcnt lgkmcnt(2)
	v_mul_f64 v[192:193], v[120:121], v[6:7]
	v_fmac_f64_e32 v[192:193], v[122:123], v[4:5]
	s_waitcnt vmcnt(16) lgkmcnt(1)
	v_mul_f64 v[18:19], v[128:129], v[34:35]
	v_add_f64 v[0:1], v[0:1], v[192:193]
	v_fmac_f64_e32 v[18:19], v[130:131], v[32:33]
	v_add_f64 v[0:1], v[0:1], v[18:19]
	v_mul_f64 v[18:19], v[202:203], v[138:139]
	v_fma_f64 v[18:19], v[200:201], v[136:137], -v[18:19]
	ds_read_b128 v[136:139], v2 offset:1632
	s_waitcnt vmcnt(15) lgkmcnt(1)
	v_mul_f64 v[148:149], v[132:133], v[38:39]
	v_mul_f64 v[142:143], v[174:175], v[142:143]
	v_fmac_f64_e32 v[148:149], v[134:135], v[36:37]
	v_fma_f64 v[8:9], v[172:173], v[140:141], -v[142:143]
	ds_read_b128 v[140:143], v2 offset:1648
	s_waitcnt vmcnt(14) lgkmcnt(1)
	v_mul_f64 v[22:23], v[136:137], v[42:43]
	v_add_f64 v[0:1], v[0:1], v[148:149]
	v_fmac_f64_e32 v[22:23], v[138:139], v[40:41]
	v_add_f64 v[0:1], v[0:1], v[22:23]
	v_mul_f64 v[22:23], v[218:219], v[146:147]
	v_fma_f64 v[22:23], v[216:217], v[144:145], -v[22:23]
	ds_read_b128 v[144:147], v2 offset:1664
	ds_read_b128 v[148:151], v2 offset:1680
	s_waitcnt vmcnt(13) lgkmcnt(2)
	v_mul_f64 v[172:173], v[140:141], v[46:47]
	v_mul_f64 v[154:155], v[186:187], v[154:155]
	v_fmac_f64_e32 v[172:173], v[142:143], v[44:45]
	v_fma_f64 v[6:7], v[184:185], v[152:153], -v[154:155]
	ds_read_b128 v[152:155], v2 offset:1696
	v_add_f64 v[0:1], v[0:1], v[172:173]
	s_waitcnt vmcnt(12) lgkmcnt(2)
	v_mul_f64 v[172:173], v[144:145], v[50:51]
	v_fmac_f64_e32 v[172:173], v[146:147], v[48:49]
	s_waitcnt vmcnt(11) lgkmcnt(1)
	v_mul_f64 v[26:27], v[148:149], v[54:55]
	v_add_f64 v[0:1], v[0:1], v[172:173]
	v_fmac_f64_e32 v[26:27], v[150:151], v[52:53]
	v_add_f64 v[0:1], v[0:1], v[26:27]
	v_mul_f64 v[26:27], v[162:163], v[158:159]
	v_fma_f64 v[26:27], v[160:161], v[156:157], -v[26:27]
	ds_read_b128 v[156:159], v2 offset:1712
	s_waitcnt vmcnt(10) lgkmcnt(1)
	v_mul_f64 v[160:161], v[152:153], v[58:59]
	v_fmac_f64_e32 v[160:161], v[154:155], v[56:57]
	v_add_f64 v[0:1], v[0:1], v[160:161]
	ds_read_b128 v[160:163], v2 offset:1728
	s_waitcnt vmcnt(9) lgkmcnt(1)
	v_mul_f64 v[172:173], v[156:157], v[62:63]
	v_mul_f64 v[166:167], v[222:223], v[166:167]
	v_fmac_f64_e32 v[172:173], v[158:159], v[60:61]
	v_fma_f64 v[4:5], v[220:221], v[164:165], -v[166:167]
	ds_read_b128 v[164:167], v2 offset:1744
	s_waitcnt vmcnt(8) lgkmcnt(1)
	v_mul_f64 v[30:31], v[160:161], v[66:67]
	v_add_f64 v[0:1], v[0:1], v[172:173]
	v_fmac_f64_e32 v[30:31], v[162:163], v[64:65]
	v_add_f64 v[0:1], v[0:1], v[30:31]
	v_mul_f64 v[30:31], v[226:227], v[170:171]
	v_fma_f64 v[30:31], v[224:225], v[168:169], -v[30:31]
	ds_read_b128 v[168:171], v2 offset:1760
	s_waitcnt vmcnt(7) lgkmcnt(1)
	v_mul_f64 v[172:173], v[164:165], v[70:71]
	v_fmac_f64_e32 v[172:173], v[166:167], v[68:69]
	v_add_f64 v[0:1], v[0:1], v[172:173]
	ds_read_b128 v[172:175], v2 offset:1776
	s_waitcnt vmcnt(6) lgkmcnt(1)
	v_mul_f64 v[184:185], v[168:169], v[74:75]
	v_fmac_f64_e32 v[184:185], v[170:171], v[72:73]
	v_add_f64 v[184:185], v[0:1], v[184:185]
	v_mul_f64 v[0:1], v[230:231], v[178:179]
	v_fma_f64 v[0:1], v[228:229], v[176:177], -v[0:1]
	ds_read_b128 v[176:179], v2 offset:1792
	v_mul_f64 v[182:183], v[234:235], v[182:183]
	s_waitcnt vmcnt(5) lgkmcnt(1)
	v_mul_f64 v[186:187], v[172:173], v[78:79]
	v_fma_f64 v[180:181], v[232:233], v[180:181], -v[182:183]
	v_fmac_f64_e32 v[186:187], v[174:175], v[76:77]
	v_accvgpr_write_b32 a152, v180
	v_accvgpr_write_b32 a153, v181
	ds_read_b128 v[180:183], v2 offset:1808
	v_add_f64 v[184:185], v[184:185], v[186:187]
	s_waitcnt vmcnt(4) lgkmcnt(1)
	v_mul_f64 v[186:187], v[176:177], v[86:87]
	v_fmac_f64_e32 v[186:187], v[178:179], v[84:85]
	v_add_f64 v[192:193], v[184:185], v[186:187]
	ds_read_b128 v[184:187], v2 offset:1824
	v_mul_f64 v[190:191], v[238:239], v[190:191]
	v_fma_f64 v[244:245], v[236:237], v[188:189], -v[190:191]
	ds_read_b128 v[188:191], v2 offset:1840
	s_waitcnt vmcnt(3) lgkmcnt(2)
	v_mul_f64 v[194:195], v[180:181], v[82:83]
	v_fmac_f64_e32 v[194:195], v[182:183], v[80:81]
	v_add_f64 v[192:193], v[192:193], v[194:195]
	s_waitcnt vmcnt(2) lgkmcnt(1)
	v_mul_f64 v[194:195], v[184:185], v[94:95]
	v_fmac_f64_e32 v[194:195], v[186:187], v[92:93]
	v_add_f64 v[192:193], v[192:193], v[194:195]
	;; [unrolled: 4-line block ×3, first 2 shown]
	ds_read_b128 v[192:195], v2 offset:1856
	ds_read_b128 v[200:203], v2 offset:1872
	scratch_load_dwordx4 v[232:235], off, off offset:976
	ds_read_b128 v[208:211], v2 offset:1888
	ds_read_b128 v[216:219], v2 offset:1904
	s_waitcnt vmcnt(1) lgkmcnt(3)
	v_mul_f64 v[198:199], v[192:193], v[110:111]
	v_fmac_f64_e32 v[198:199], v[194:195], v[108:109]
	v_add_f64 v[204:205], v[196:197], v[198:199]
	scratch_load_dwordx4 v[196:199], off, off offset:912
	ds_read_b128 v[224:227], v2 offset:1920
	s_waitcnt vmcnt(0) lgkmcnt(3)
	v_mul_f64 v[206:207], v[200:201], v[198:199]
	v_fmac_f64_e32 v[206:207], v[202:203], v[196:197]
	v_add_f64 v[212:213], v[204:205], v[206:207]
	scratch_load_dwordx4 v[204:207], off, off offset:928
	s_waitcnt vmcnt(0) lgkmcnt(2)
	v_mul_f64 v[214:215], v[208:209], v[206:207]
	v_fmac_f64_e32 v[214:215], v[210:211], v[204:205]
	v_add_f64 v[220:221], v[212:213], v[214:215]
	scratch_load_dwordx4 v[212:215], off, off offset:944
	;; [unrolled: 5-line block ×3, first 2 shown]
	s_waitcnt vmcnt(0) lgkmcnt(0)
	v_mul_f64 v[230:231], v[224:225], v[222:223]
	v_fmac_f64_e32 v[230:231], v[226:227], v[220:221]
	v_add_f64 v[236:237], v[228:229], v[230:231]
	ds_read_b128 v[228:231], v2 offset:1936
	s_waitcnt lgkmcnt(0)
	v_mul_f64 v[2:3], v[228:229], v[234:235]
	v_fmac_f64_e32 v[2:3], v[230:231], v[232:233]
	v_add_f64 v[2:3], v[236:237], v[2:3]
	v_add_f64 v[236:237], v[240:241], 0
	;; [unrolled: 1-line block ×8, first 2 shown]
	scratch_load_dwordx4 v[236:239], off, off offset:144
	v_add_f64 v[24:25], v[28:29], v[24:25]
	v_add_f64 v[20:21], v[24:25], v[20:21]
	;; [unrolled: 1-line block ×13, first 2 shown]
	v_accvgpr_read_b32 v6, a132
	v_add_f64 v[246:247], v[4:5], v[0:1]
	v_accvgpr_read_b32 v0, a152
	v_accvgpr_read_b32 v8, a134
	v_accvgpr_read_b32 v9, a135
	v_accvgpr_read_b32 v1, a153
	v_accvgpr_read_b32 v7, a133
	v_mul_f64 v[4:5], v[90:91], v[8:9]
	v_add_f64 v[0:1], v[246:247], v[0:1]
	v_fma_f64 v[4:5], v[88:89], v[6:7], -v[4:5]
	v_accvgpr_read_b32 v6, a136
	v_add_f64 v[0:1], v[0:1], v[244:245]
	v_accvgpr_read_b32 v8, a138
	v_accvgpr_read_b32 v9, a139
	v_add_f64 v[0:1], v[0:1], v[4:5]
	v_accvgpr_read_b32 v7, a137
	v_mul_f64 v[4:5], v[98:99], v[8:9]
	v_fma_f64 v[4:5], v[96:97], v[6:7], -v[4:5]
	v_accvgpr_read_b32 v6, a140
	v_accvgpr_read_b32 v8, a142
	v_accvgpr_read_b32 v9, a143
	v_add_f64 v[0:1], v[0:1], v[4:5]
	v_accvgpr_read_b32 v7, a141
	v_mul_f64 v[4:5], v[106:107], v[8:9]
	v_fma_f64 v[4:5], v[104:105], v[6:7], -v[4:5]
	v_accvgpr_read_b32 v6, a144
	;; [unrolled: 7-line block ×5, first 2 shown]
	v_accvgpr_read_b32 v8, a130
	v_accvgpr_read_b32 v9, a131
	v_add_f64 v[0:1], v[0:1], v[4:5]
	v_accvgpr_read_b32 v7, a129
	v_mul_f64 v[4:5], v[122:123], v[8:9]
	v_fma_f64 v[4:5], v[120:121], v[6:7], -v[4:5]
	v_add_f64 v[0:1], v[0:1], v[4:5]
	v_mul_f64 v[4:5], v[130:131], v[34:35]
	v_fma_f64 v[4:5], v[128:129], v[32:33], -v[4:5]
	v_add_f64 v[0:1], v[0:1], v[4:5]
	v_mul_f64 v[4:5], v[134:135], v[38:39]
	v_fma_f64 v[4:5], v[132:133], v[36:37], -v[4:5]
	v_add_f64 v[0:1], v[0:1], v[4:5]
	v_mul_f64 v[4:5], v[138:139], v[42:43]
	v_fma_f64 v[4:5], v[136:137], v[40:41], -v[4:5]
	v_add_f64 v[0:1], v[0:1], v[4:5]
	v_mul_f64 v[4:5], v[142:143], v[46:47]
	v_fma_f64 v[4:5], v[140:141], v[44:45], -v[4:5]
	v_add_f64 v[0:1], v[0:1], v[4:5]
	v_mul_f64 v[4:5], v[146:147], v[50:51]
	v_fma_f64 v[4:5], v[144:145], v[48:49], -v[4:5]
	v_add_f64 v[0:1], v[0:1], v[4:5]
	v_mul_f64 v[4:5], v[150:151], v[54:55]
	v_fma_f64 v[4:5], v[148:149], v[52:53], -v[4:5]
	v_add_f64 v[0:1], v[0:1], v[4:5]
	v_mul_f64 v[4:5], v[154:155], v[58:59]
	v_fma_f64 v[4:5], v[152:153], v[56:57], -v[4:5]
	v_add_f64 v[0:1], v[0:1], v[4:5]
	v_mul_f64 v[4:5], v[158:159], v[62:63]
	v_fma_f64 v[4:5], v[156:157], v[60:61], -v[4:5]
	v_add_f64 v[0:1], v[0:1], v[4:5]
	v_mul_f64 v[4:5], v[162:163], v[66:67]
	v_fma_f64 v[4:5], v[160:161], v[64:65], -v[4:5]
	v_add_f64 v[0:1], v[0:1], v[4:5]
	v_mul_f64 v[4:5], v[166:167], v[70:71]
	v_fma_f64 v[4:5], v[164:165], v[68:69], -v[4:5]
	v_add_f64 v[0:1], v[0:1], v[4:5]
	v_mul_f64 v[4:5], v[170:171], v[74:75]
	v_fma_f64 v[4:5], v[168:169], v[72:73], -v[4:5]
	v_add_f64 v[0:1], v[0:1], v[4:5]
	v_mul_f64 v[4:5], v[174:175], v[78:79]
	v_fma_f64 v[4:5], v[172:173], v[76:77], -v[4:5]
	v_add_f64 v[0:1], v[0:1], v[4:5]
	v_mul_f64 v[4:5], v[178:179], v[86:87]
	v_fma_f64 v[4:5], v[176:177], v[84:85], -v[4:5]
	v_add_f64 v[0:1], v[0:1], v[4:5]
	v_mul_f64 v[4:5], v[182:183], v[82:83]
	v_fma_f64 v[4:5], v[180:181], v[80:81], -v[4:5]
	v_add_f64 v[0:1], v[0:1], v[4:5]
	v_mul_f64 v[4:5], v[186:187], v[94:95]
	v_fma_f64 v[4:5], v[184:185], v[92:93], -v[4:5]
	v_add_f64 v[0:1], v[0:1], v[4:5]
	v_mul_f64 v[4:5], v[190:191], v[102:103]
	v_fma_f64 v[4:5], v[188:189], v[100:101], -v[4:5]
	v_add_f64 v[0:1], v[0:1], v[4:5]
	v_mul_f64 v[4:5], v[194:195], v[110:111]
	v_fma_f64 v[4:5], v[192:193], v[108:109], -v[4:5]
	v_add_f64 v[0:1], v[0:1], v[4:5]
	v_mul_f64 v[4:5], v[202:203], v[198:199]
	v_fma_f64 v[4:5], v[200:201], v[196:197], -v[4:5]
	v_add_f64 v[0:1], v[0:1], v[4:5]
	v_mul_f64 v[4:5], v[210:211], v[206:207]
	v_fma_f64 v[4:5], v[208:209], v[204:205], -v[4:5]
	v_add_f64 v[0:1], v[0:1], v[4:5]
	v_mul_f64 v[4:5], v[218:219], v[214:215]
	v_fma_f64 v[4:5], v[216:217], v[212:213], -v[4:5]
	v_add_f64 v[0:1], v[0:1], v[4:5]
	v_mul_f64 v[4:5], v[226:227], v[222:223]
	v_fma_f64 v[4:5], v[224:225], v[220:221], -v[4:5]
	v_add_f64 v[0:1], v[0:1], v[4:5]
	v_mul_f64 v[4:5], v[230:231], v[234:235]
	v_fma_f64 v[4:5], v[228:229], v[232:233], -v[4:5]
	v_add_f64 v[0:1], v[0:1], v[4:5]
	s_waitcnt vmcnt(0)
	v_add_f64 v[4:5], v[236:237], -v[0:1]
	v_add_f64 v[6:7], v[238:239], -v[2:3]
	scratch_store_dwordx4 off, v[4:7], off offset:144
	s_and_saveexec_b64 s[0:1], vcc
	s_cbranch_execz .LBB124_377
; %bb.376:
	scratch_load_dwordx4 v[2:5], off, s80
	v_mov_b32_e32 v6, 0
	v_mov_b32_e32 v7, v6
	v_mov_b32_e32 v8, v6
	v_mov_b32_e32 v9, v6
	v_accvgpr_read_b32 v0, a1
	scratch_store_dwordx4 off, v[6:9], off offset:128
	s_waitcnt vmcnt(1)
	ds_write_b128 v0, v[2:5]
.LBB124_377:
	s_or_b64 exec, exec, s[0:1]
	s_waitcnt lgkmcnt(0)
	; wave barrier
	scratch_load_dwordx4 v[40:43], off, off offset:144
	scratch_load_dwordx4 v[44:47], off, off offset:160
	;; [unrolled: 1-line block ×29, first 2 shown]
	v_mov_b32_e32 v2, 0
	ds_read_b128 v[80:83], v2 offset:1104
	ds_read_b128 v[100:103], v2 offset:1120
	;; [unrolled: 1-line block ×18, first 2 shown]
	scratch_load_dwordx4 a[124:127], off, off offset:608
	scratch_load_dwordx4 a[128:131], off, off offset:624
	;; [unrolled: 1-line block ×4, first 2 shown]
	ds_read_b128 v[228:231], v2 offset:1456
	ds_read_b128 v[242:245], v2 offset:1472
	;; [unrolled: 1-line block ×3, first 2 shown]
	scratch_load_dwordx4 a[136:139], off, off offset:672
	v_cmp_lt_u32_e32 vcc, 6, v254
	ds_read_b128 v[224:227], v2 offset:1440
	s_waitcnt vmcnt(33) lgkmcnt(14)
	v_mul_f64 v[0:1], v[80:81], v[42:43]
	s_waitcnt vmcnt(32)
	v_mul_f64 v[20:21], v[100:101], v[46:47]
	v_fmac_f64_e32 v[0:1], v[82:83], v[40:41]
	s_waitcnt vmcnt(31)
	v_mul_f64 v[22:23], v[104:105], v[50:51]
	v_fmac_f64_e32 v[20:21], v[102:103], v[44:45]
	v_add_f64 v[0:1], v[0:1], 0
	s_waitcnt vmcnt(30)
	v_mul_f64 v[24:25], v[108:109], v[54:55]
	v_fmac_f64_e32 v[22:23], v[106:107], v[48:49]
	v_add_f64 v[0:1], v[0:1], v[20:21]
	s_waitcnt vmcnt(29)
	v_mul_f64 v[26:27], v[112:113], v[58:59]
	v_fmac_f64_e32 v[24:25], v[110:111], v[52:53]
	v_add_f64 v[0:1], v[0:1], v[22:23]
	s_waitcnt vmcnt(28)
	v_mul_f64 v[28:29], v[116:117], v[62:63]
	v_fmac_f64_e32 v[26:27], v[114:115], v[56:57]
	v_add_f64 v[0:1], v[0:1], v[24:25]
	s_waitcnt vmcnt(27)
	v_mul_f64 v[30:31], v[120:121], v[66:67]
	v_fmac_f64_e32 v[28:29], v[118:119], v[60:61]
	v_add_f64 v[0:1], v[0:1], v[26:27]
	s_waitcnt vmcnt(26)
	v_mul_f64 v[32:33], v[132:133], v[70:71]
	v_fmac_f64_e32 v[30:31], v[122:123], v[64:65]
	v_add_f64 v[0:1], v[0:1], v[28:29]
	s_waitcnt vmcnt(25) lgkmcnt(13)
	v_mul_f64 v[34:35], v[144:145], v[74:75]
	v_fmac_f64_e32 v[32:33], v[134:135], v[68:69]
	v_add_f64 v[0:1], v[0:1], v[30:31]
	s_waitcnt vmcnt(24) lgkmcnt(12)
	v_mul_f64 v[36:37], v[156:157], v[78:79]
	v_fmac_f64_e32 v[34:35], v[146:147], v[72:73]
	v_add_f64 v[0:1], v[0:1], v[32:33]
	;; [unrolled: 4-line block ×7, first 2 shown]
	v_fmac_f64_e32 v[218:219], v[198:199], v[124:125]
	v_add_f64 v[0:1], v[0:1], v[216:217]
	ds_read_b128 v[212:215], v2 offset:1392
	s_waitcnt vmcnt(18) lgkmcnt(7)
	v_mul_f64 v[220:221], v[200:201], v[130:131]
	v_add_f64 v[0:1], v[0:1], v[218:219]
	ds_read_b128 v[216:219], v2 offset:1408
	v_fmac_f64_e32 v[220:221], v[202:203], v[128:129]
	s_waitcnt vmcnt(17) lgkmcnt(7)
	v_mul_f64 v[20:21], v[204:205], v[138:139]
	v_add_f64 v[0:1], v[0:1], v[220:221]
	v_fmac_f64_e32 v[20:21], v[206:207], v[136:137]
	s_waitcnt vmcnt(16) lgkmcnt(6)
	v_mul_f64 v[24:25], v[208:209], v[142:143]
	ds_read_b128 v[220:223], v2 offset:1424
	v_add_f64 v[0:1], v[0:1], v[20:21]
	v_fmac_f64_e32 v[24:25], v[210:211], v[140:141]
	v_add_f64 v[0:1], v[0:1], v[24:25]
	s_waitcnt vmcnt(15) lgkmcnt(2)
	v_mul_f64 v[24:25], v[212:213], v[150:151]
	v_fmac_f64_e32 v[24:25], v[214:215], v[148:149]
	s_waitcnt vmcnt(14) lgkmcnt(1)
	v_mul_f64 v[28:29], v[216:217], v[154:155]
	v_add_f64 v[0:1], v[0:1], v[24:25]
	v_fmac_f64_e32 v[28:29], v[218:219], v[152:153]
	v_add_f64 v[0:1], v[0:1], v[28:29]
	s_waitcnt vmcnt(13) lgkmcnt(0)
	v_mul_f64 v[28:29], v[220:221], v[162:163]
	v_fmac_f64_e32 v[28:29], v[222:223], v[160:161]
	s_waitcnt vmcnt(12)
	v_mul_f64 v[32:33], v[224:225], v[166:167]
	v_add_f64 v[0:1], v[0:1], v[28:29]
	v_fmac_f64_e32 v[32:33], v[226:227], v[164:165]
	v_add_f64 v[0:1], v[0:1], v[32:33]
	s_waitcnt vmcnt(11)
	v_mul_f64 v[32:33], v[228:229], v[174:175]
	v_fmac_f64_e32 v[32:33], v[230:231], v[172:173]
	s_waitcnt vmcnt(10)
	v_mul_f64 v[36:37], v[242:243], v[178:179]
	v_mul_f64 v[42:43], v[82:83], v[42:43]
	v_add_f64 v[0:1], v[0:1], v[32:33]
	v_fmac_f64_e32 v[36:37], v[244:245], v[176:177]
	v_fma_f64 v[240:241], v[80:81], v[40:41], -v[42:43]
	ds_read_b128 v[80:83], v2 offset:1504
	s_waitcnt vmcnt(9)
	v_mul_f64 v[40:41], v[246:247], v[186:187]
	v_add_f64 v[0:1], v[0:1], v[36:37]
	v_fmac_f64_e32 v[40:41], v[248:249], v[184:185]
	v_add_f64 v[0:1], v[0:1], v[40:41]
	v_mul_f64 v[40:41], v[102:103], v[46:47]
	v_fma_f64 v[250:251], v[100:101], v[44:45], -v[40:41]
	scratch_load_dwordx4 v[40:43], off, off offset:688
	s_waitcnt vmcnt(9) lgkmcnt(0)
	v_mul_f64 v[44:45], v[80:81], v[6:7]
	v_fmac_f64_e32 v[44:45], v[82:83], v[4:5]
	v_add_f64 v[0:1], v[0:1], v[44:45]
	scratch_load_dwordx4 v[44:47], off, off offset:704
	v_mul_f64 v[50:51], v[106:107], v[50:51]
	v_fma_f64 v[252:253], v[104:105], v[48:49], -v[50:51]
	v_mul_f64 v[48:49], v[110:111], v[54:55]
	ds_read_b128 v[100:103], v2 offset:1520
	v_fma_f64 v[232:233], v[108:109], v[52:53], -v[48:49]
	scratch_load_dwordx4 v[52:55], off, off offset:720
	scratch_load_dwordx4 v[48:51], off, off offset:736
	ds_read_b128 v[104:107], v2 offset:1536
	ds_read_b128 v[108:111], v2 offset:1552
	v_accvgpr_write_b32 a143, v7
	v_accvgpr_write_b32 a142, v6
	;; [unrolled: 1-line block ×4, first 2 shown]
	v_mul_f64 v[58:59], v[114:115], v[58:59]
	s_waitcnt vmcnt(11) lgkmcnt(2)
	v_mul_f64 v[6:7], v[100:101], v[10:11]
	v_accvgpr_write_b32 a147, v11
	v_fma_f64 v[36:37], v[112:113], v[56:57], -v[58:59]
	v_fmac_f64_e32 v[6:7], v[102:103], v[8:9]
	v_accvgpr_write_b32 a146, v10
	v_accvgpr_write_b32 a145, v9
	v_accvgpr_write_b32 a144, v8
	scratch_load_dwordx4 v[56:59], off, off offset:752
	s_waitcnt vmcnt(11)
	v_mov_b64_e32 v[8:9], v[12:13]
	v_add_f64 v[0:1], v[0:1], v[6:7]
	v_mul_f64 v[6:7], v[118:119], v[62:63]
	v_mov_b64_e32 v[10:11], v[14:15]
	v_fma_f64 v[32:33], v[116:117], v[60:61], -v[6:7]
	s_waitcnt lgkmcnt(1)
	v_mul_f64 v[6:7], v[104:105], v[10:11]
	scratch_load_dwordx4 v[60:63], off, off offset:768
	v_fmac_f64_e32 v[6:7], v[106:107], v[8:9]
	v_add_f64 v[0:1], v[0:1], v[6:7]
	v_mul_f64 v[6:7], v[122:123], v[66:67]
	v_fma_f64 v[28:29], v[120:121], v[64:65], -v[6:7]
	scratch_load_dwordx4 v[64:67], off, off offset:784
	v_mul_f64 v[6:7], v[134:135], v[70:71]
	v_fma_f64 v[24:25], v[132:133], v[68:69], -v[6:7]
	scratch_load_dwordx4 v[68:71], off, off offset:800
	;; [unrolled: 3-line block ×3, first 2 shown]
	ds_read_b128 v[112:115], v2 offset:1568
	ds_read_b128 v[116:119], v2 offset:1584
	s_waitcnt vmcnt(14)
	v_mov_b64_e32 v[8:9], v[16:17]
	v_mov_b64_e32 v[10:11], v[18:19]
	s_waitcnt lgkmcnt(2)
	v_mul_f64 v[6:7], v[108:109], v[10:11]
	v_fmac_f64_e32 v[6:7], v[110:111], v[8:9]
	s_waitcnt vmcnt(13)
	v_accvgpr_read_b32 v8, a124
	v_accvgpr_write_b32 a155, v19
	v_add_f64 v[0:1], v[0:1], v[6:7]
	v_mul_f64 v[6:7], v[158:159], v[78:79]
	v_accvgpr_read_b32 v10, a126
	v_accvgpr_read_b32 v11, a127
	v_accvgpr_write_b32 a154, v18
	v_accvgpr_write_b32 a153, v17
	;; [unrolled: 1-line block ×3, first 2 shown]
	v_fma_f64 v[16:17], v[156:157], v[76:77], -v[6:7]
	v_accvgpr_read_b32 v9, a125
	s_waitcnt lgkmcnt(1)
	v_mul_f64 v[6:7], v[112:113], v[10:11]
	scratch_load_dwordx4 v[76:79], off, off offset:832
	v_fmac_f64_e32 v[6:7], v[114:115], v[8:9]
	v_accvgpr_write_b32 a151, v15
	v_mul_f64 v[18:19], v[170:171], v[86:87]
	v_add_f64 v[0:1], v[0:1], v[6:7]
	v_mul_f64 v[6:7], v[182:183], v[90:91]
	v_accvgpr_write_b32 a150, v14
	v_accvgpr_write_b32 a149, v13
	;; [unrolled: 1-line block ×3, first 2 shown]
	v_fma_f64 v[18:19], v[168:169], v[84:85], -v[18:19]
	v_fma_f64 v[14:15], v[180:181], v[88:89], -v[6:7]
	ds_read_b128 v[120:123], v2 offset:1600
	scratch_load_dwordx4 v[88:91], off, off offset:848
	scratch_load_dwordx4 v[84:87], off, off offset:864
	s_waitcnt vmcnt(15)
	v_accvgpr_read_b32 v8, a128
	v_accvgpr_read_b32 v10, a130
	;; [unrolled: 1-line block ×3, first 2 shown]
	v_mul_f64 v[22:23], v[190:191], v[94:95]
	v_accvgpr_read_b32 v9, a129
	s_waitcnt lgkmcnt(1)
	v_mul_f64 v[6:7], v[116:117], v[10:11]
	v_fma_f64 v[22:23], v[188:189], v[92:93], -v[22:23]
	v_mul_f64 v[92:93], v[194:195], v[98:99]
	v_fmac_f64_e32 v[6:7], v[118:119], v[8:9]
	s_waitcnt vmcnt(14)
	v_accvgpr_read_b32 v8, a132
	v_fma_f64 v[12:13], v[192:193], v[96:97], -v[92:93]
	scratch_load_dwordx4 v[92:95], off, off offset:880
	v_accvgpr_read_b32 v10, a134
	v_accvgpr_read_b32 v11, a135
	v_mul_f64 v[96:97], v[202:203], v[130:131]
	v_add_f64 v[0:1], v[0:1], v[6:7]
	s_waitcnt lgkmcnt(0)
	v_mul_f64 v[6:7], v[120:121], v[10:11]
	v_fma_f64 v[10:11], v[200:201], v[128:129], -v[96:97]
	scratch_load_dwordx4 v[96:99], off, off offset:896
	v_mul_f64 v[26:27], v[198:199], v[126:127]
	v_fma_f64 v[26:27], v[196:197], v[124:125], -v[26:27]
	ds_read_b128 v[124:127], v2 offset:1616
	ds_read_b128 v[128:131], v2 offset:1632
	v_accvgpr_read_b32 v9, a133
	v_fmac_f64_e32 v[6:7], v[122:123], v[8:9]
	v_add_f64 v[0:1], v[0:1], v[6:7]
	s_waitcnt vmcnt(15) lgkmcnt(1)
	v_mul_f64 v[6:7], v[124:125], v[236:237]
	s_waitcnt vmcnt(14)
	v_accvgpr_read_b32 v132, a136
	v_fmac_f64_e32 v[6:7], v[126:127], v[234:235]
	v_accvgpr_read_b32 v134, a138
	v_accvgpr_read_b32 v135, a139
	v_add_f64 v[0:1], v[0:1], v[6:7]
	v_accvgpr_read_b32 v133, a137
	s_waitcnt lgkmcnt(0)
	v_mul_f64 v[6:7], v[128:129], v[134:135]
	v_fmac_f64_e32 v[6:7], v[130:131], v[132:133]
	ds_read_b128 v[132:135], v2 offset:1648
	v_add_f64 v[0:1], v[0:1], v[6:7]
	v_mul_f64 v[6:7], v[206:207], v[138:139]
	v_fma_f64 v[30:31], v[204:205], v[136:137], -v[6:7]
	ds_read_b128 v[136:139], v2 offset:1664
	s_waitcnt vmcnt(13) lgkmcnt(1)
	v_mul_f64 v[6:7], v[132:133], v[42:43]
	v_fmac_f64_e32 v[6:7], v[134:135], v[40:41]
	v_add_f64 v[0:1], v[0:1], v[6:7]
	v_mul_f64 v[6:7], v[210:211], v[142:143]
	v_fma_f64 v[8:9], v[208:209], v[140:141], -v[6:7]
	ds_read_b128 v[140:143], v2 offset:1680
	ds_read_b128 v[144:147], v2 offset:1696
	s_waitcnt vmcnt(12) lgkmcnt(2)
	v_mul_f64 v[6:7], v[136:137], v[46:47]
	v_fmac_f64_e32 v[6:7], v[138:139], v[44:45]
	v_add_f64 v[0:1], v[0:1], v[6:7]
	s_waitcnt vmcnt(11) lgkmcnt(1)
	v_mul_f64 v[6:7], v[140:141], v[54:55]
	v_fmac_f64_e32 v[6:7], v[142:143], v[52:53]
	v_add_f64 v[0:1], v[0:1], v[6:7]
	v_mul_f64 v[6:7], v[214:215], v[150:151]
	v_fma_f64 v[34:35], v[212:213], v[148:149], -v[6:7]
	ds_read_b128 v[148:151], v2 offset:1712
	v_mul_f64 v[154:155], v[218:219], v[154:155]
	v_fma_f64 v[4:5], v[216:217], v[152:153], -v[154:155]
	ds_read_b128 v[152:155], v2 offset:1728
	s_waitcnt vmcnt(10) lgkmcnt(2)
	v_mul_f64 v[6:7], v[144:145], v[50:51]
	v_fmac_f64_e32 v[6:7], v[146:147], v[48:49]
	v_add_f64 v[0:1], v[0:1], v[6:7]
	s_waitcnt vmcnt(9) lgkmcnt(1)
	v_mul_f64 v[6:7], v[148:149], v[58:59]
	ds_read_b128 v[156:159], v2 offset:1744
	v_fmac_f64_e32 v[6:7], v[150:151], v[56:57]
	v_add_f64 v[0:1], v[0:1], v[6:7]
	s_waitcnt vmcnt(8) lgkmcnt(1)
	v_mul_f64 v[6:7], v[152:153], v[62:63]
	v_fmac_f64_e32 v[6:7], v[154:155], v[60:61]
	v_add_f64 v[0:1], v[0:1], v[6:7]
	v_mul_f64 v[6:7], v[222:223], v[162:163]
	v_fma_f64 v[38:39], v[220:221], v[160:161], -v[6:7]
	ds_read_b128 v[160:163], v2 offset:1760
	s_waitcnt vmcnt(7) lgkmcnt(1)
	v_mul_f64 v[6:7], v[156:157], v[66:67]
	v_fmac_f64_e32 v[6:7], v[158:159], v[64:65]
	v_add_f64 v[0:1], v[0:1], v[6:7]
	v_mul_f64 v[6:7], v[226:227], v[166:167]
	v_fma_f64 v[6:7], v[224:225], v[164:165], -v[6:7]
	ds_read_b128 v[164:167], v2 offset:1776
	s_waitcnt vmcnt(6) lgkmcnt(1)
	v_mul_f64 v[168:169], v[160:161], v[70:71]
	v_fmac_f64_e32 v[168:169], v[162:163], v[68:69]
	v_add_f64 v[0:1], v[0:1], v[168:169]
	ds_read_b128 v[168:171], v2 offset:1792
	s_waitcnt vmcnt(5) lgkmcnt(1)
	v_mul_f64 v[180:181], v[164:165], v[74:75]
	v_fmac_f64_e32 v[180:181], v[166:167], v[72:73]
	v_add_f64 v[180:181], v[0:1], v[180:181]
	v_mul_f64 v[0:1], v[230:231], v[174:175]
	v_fma_f64 v[0:1], v[228:229], v[172:173], -v[0:1]
	ds_read_b128 v[172:175], v2 offset:1808
	s_waitcnt vmcnt(4) lgkmcnt(1)
	v_mul_f64 v[182:183], v[168:169], v[78:79]
	v_fmac_f64_e32 v[182:183], v[170:171], v[76:77]
	v_mul_f64 v[178:179], v[244:245], v[178:179]
	v_fma_f64 v[238:239], v[242:243], v[176:177], -v[178:179]
	ds_read_b128 v[176:179], v2 offset:1824
	v_add_f64 v[180:181], v[180:181], v[182:183]
	s_waitcnt vmcnt(3) lgkmcnt(1)
	v_mul_f64 v[182:183], v[172:173], v[90:91]
	v_fmac_f64_e32 v[182:183], v[174:175], v[88:89]
	v_add_f64 v[188:189], v[180:181], v[182:183]
	ds_read_b128 v[180:183], v2 offset:1840
	v_mul_f64 v[186:187], v[248:249], v[186:187]
	v_fma_f64 v[242:243], v[246:247], v[184:185], -v[186:187]
	ds_read_b128 v[184:187], v2 offset:1856
	s_waitcnt vmcnt(2) lgkmcnt(2)
	v_mul_f64 v[190:191], v[176:177], v[86:87]
	v_fmac_f64_e32 v[190:191], v[178:179], v[84:85]
	v_add_f64 v[188:189], v[188:189], v[190:191]
	s_waitcnt vmcnt(1) lgkmcnt(1)
	v_mul_f64 v[190:191], v[180:181], v[94:95]
	v_fmac_f64_e32 v[190:191], v[182:183], v[92:93]
	v_add_f64 v[188:189], v[188:189], v[190:191]
	;; [unrolled: 4-line block ×3, first 2 shown]
	scratch_load_dwordx4 v[188:191], off, off offset:912
	ds_read_b128 v[192:195], v2 offset:1872
	ds_read_b128 v[200:203], v2 offset:1888
	ds_read_b128 v[208:211], v2 offset:1904
	ds_read_b128 v[216:219], v2 offset:1920
	ds_read_b128 v[224:227], v2 offset:1936
	s_waitcnt vmcnt(0) lgkmcnt(4)
	v_mul_f64 v[198:199], v[192:193], v[190:191]
	v_fmac_f64_e32 v[198:199], v[194:195], v[188:189]
	v_add_f64 v[204:205], v[196:197], v[198:199]
	scratch_load_dwordx4 v[196:199], off, off offset:928
	s_waitcnt vmcnt(0) lgkmcnt(3)
	v_mul_f64 v[206:207], v[200:201], v[198:199]
	v_fmac_f64_e32 v[206:207], v[202:203], v[196:197]
	v_add_f64 v[212:213], v[204:205], v[206:207]
	scratch_load_dwordx4 v[204:207], off, off offset:944
	s_waitcnt vmcnt(0) lgkmcnt(2)
	v_mul_f64 v[214:215], v[208:209], v[206:207]
	v_fmac_f64_e32 v[214:215], v[210:211], v[204:205]
	v_add_f64 v[220:221], v[212:213], v[214:215]
	scratch_load_dwordx4 v[212:215], off, off offset:960
	s_waitcnt vmcnt(0) lgkmcnt(1)
	v_mul_f64 v[222:223], v[216:217], v[214:215]
	v_fmac_f64_e32 v[222:223], v[218:219], v[212:213]
	v_add_f64 v[228:229], v[220:221], v[222:223]
	scratch_load_dwordx4 v[220:223], off, off offset:976
	s_waitcnt vmcnt(0) lgkmcnt(0)
	v_mul_f64 v[230:231], v[224:225], v[222:223]
	v_fmac_f64_e32 v[230:231], v[226:227], v[220:221]
	v_add_f64 v[246:247], v[228:229], v[230:231]
	v_add_f64 v[228:229], v[240:241], 0
	;; [unrolled: 1-line block ×8, first 2 shown]
	scratch_load_dwordx4 v[228:231], off, off offset:128
	v_add_f64 v[24:25], v[28:29], v[24:25]
	v_add_f64 v[20:21], v[24:25], v[20:21]
	;; [unrolled: 1-line block ×15, first 2 shown]
	v_accvgpr_read_b32 v6, a140
	v_accvgpr_read_b32 v8, a142
	;; [unrolled: 1-line block ×3, first 2 shown]
	v_add_f64 v[0:1], v[4:5], v[0:1]
	v_accvgpr_read_b32 v7, a141
	v_mul_f64 v[4:5], v[82:83], v[8:9]
	v_add_f64 v[0:1], v[0:1], v[238:239]
	v_fma_f64 v[4:5], v[80:81], v[6:7], -v[4:5]
	v_accvgpr_read_b32 v6, a144
	v_add_f64 v[0:1], v[0:1], v[242:243]
	v_accvgpr_read_b32 v8, a146
	v_accvgpr_read_b32 v9, a147
	v_add_f64 v[0:1], v[0:1], v[4:5]
	v_accvgpr_read_b32 v7, a145
	v_mul_f64 v[4:5], v[102:103], v[8:9]
	v_fma_f64 v[4:5], v[100:101], v[6:7], -v[4:5]
	v_accvgpr_read_b32 v6, a148
	v_accvgpr_read_b32 v8, a150
	v_accvgpr_read_b32 v9, a151
	v_add_f64 v[0:1], v[0:1], v[4:5]
	v_accvgpr_read_b32 v7, a149
	v_mul_f64 v[4:5], v[106:107], v[8:9]
	v_fma_f64 v[4:5], v[104:105], v[6:7], -v[4:5]
	v_accvgpr_read_b32 v6, a152
	;; [unrolled: 7-line block ×5, first 2 shown]
	v_accvgpr_read_b32 v8, a134
	v_accvgpr_read_b32 v9, a135
	v_add_f64 v[0:1], v[0:1], v[4:5]
	v_accvgpr_read_b32 v7, a133
	v_mul_f64 v[4:5], v[122:123], v[8:9]
	v_fma_f64 v[4:5], v[120:121], v[6:7], -v[4:5]
	v_add_f64 v[0:1], v[0:1], v[4:5]
	v_mul_f64 v[4:5], v[126:127], v[236:237]
	v_accvgpr_read_b32 v6, a136
	v_fma_f64 v[4:5], v[124:125], v[234:235], -v[4:5]
	v_accvgpr_read_b32 v8, a138
	v_accvgpr_read_b32 v9, a139
	v_add_f64 v[0:1], v[0:1], v[4:5]
	v_accvgpr_read_b32 v7, a137
	v_mul_f64 v[4:5], v[130:131], v[8:9]
	v_fma_f64 v[4:5], v[128:129], v[6:7], -v[4:5]
	v_add_f64 v[0:1], v[0:1], v[4:5]
	v_mul_f64 v[4:5], v[134:135], v[42:43]
	v_fma_f64 v[4:5], v[132:133], v[40:41], -v[4:5]
	v_add_f64 v[0:1], v[0:1], v[4:5]
	;; [unrolled: 3-line block ×20, first 2 shown]
	s_waitcnt vmcnt(0)
	v_add_f64 v[4:5], v[228:229], -v[0:1]
	v_add_f64 v[6:7], v[230:231], -v[246:247]
	scratch_store_dwordx4 off, v[4:7], off offset:128
	s_and_saveexec_b64 s[0:1], vcc
	s_cbranch_execz .LBB124_379
; %bb.378:
	scratch_load_dwordx4 v[6:9], off, s81
	v_mov_b32_e32 v3, v2
	v_mov_b32_e32 v4, v2
	;; [unrolled: 1-line block ×3, first 2 shown]
	v_accvgpr_read_b32 v0, a1
	scratch_store_dwordx4 off, v[2:5], off offset:112
	s_waitcnt vmcnt(1)
	ds_write_b128 v0, v[6:9]
.LBB124_379:
	s_or_b64 exec, exec, s[0:1]
	s_waitcnt lgkmcnt(0)
	; wave barrier
	scratch_load_dwordx4 v[40:43], off, off offset:128
	scratch_load_dwordx4 v[44:47], off, off offset:144
	;; [unrolled: 1-line block ×18, first 2 shown]
	ds_read_b128 v[80:83], v2 offset:1088
	ds_read_b128 v[204:207], v2 offset:1104
	;; [unrolled: 1-line block ×6, first 2 shown]
	scratch_load_dwordx4 v[148:151], off, off offset:416
	ds_read_b128 v[180:183], v2 offset:1184
	ds_read_b128 v[112:115], v2 offset:1200
	scratch_load_dwordx4 v[152:155], off, off offset:432
	ds_read_b128 v[208:211], v2 offset:1216
	ds_read_b128 v[200:203], v2 offset:1232
	ds_read_b128 v[188:191], v2 offset:1248
	ds_read_b128 v[120:123], v2 offset:1264
	ds_read_b128 v[132:135], v2 offset:1280
	scratch_load_dwordx4 v[160:163], off, off offset:448
	ds_read_b128 v[196:199], v2 offset:1296
	ds_read_b128 v[192:195], v2 offset:1312
	;; [unrolled: 1-line block ×4, first 2 shown]
	scratch_load_dwordx4 v[164:167], off, off offset:464
	ds_read_b128 v[168:171], v2 offset:1360
	scratch_load_dwordx4 v[172:175], off, off offset:480
	scratch_load_dwordx4 v[176:179], off, off offset:496
	;; [unrolled: 1-line block ×9, first 2 shown]
	ds_read_b128 v[228:231], v2 offset:1440
	ds_read_b128 v[232:235], v2 offset:1456
	scratch_load_dwordx4 a[132:135], off, off offset:624
	scratch_load_dwordx4 a[136:139], off, off offset:640
	ds_read_b128 v[236:239], v2 offset:1472
	v_cmp_lt_u32_e32 vcc, 5, v254
	ds_read_b128 v[224:227], v2 offset:1424
	s_waitcnt vmcnt(32) lgkmcnt(14)
	v_mul_f64 v[0:1], v[80:81], v[42:43]
	s_waitcnt vmcnt(31)
	v_mul_f64 v[20:21], v[204:205], v[46:47]
	v_fmac_f64_e32 v[0:1], v[82:83], v[40:41]
	s_waitcnt vmcnt(30)
	v_mul_f64 v[22:23], v[100:101], v[50:51]
	v_fmac_f64_e32 v[20:21], v[206:207], v[44:45]
	v_add_f64 v[0:1], v[0:1], 0
	s_waitcnt vmcnt(29)
	v_mul_f64 v[24:25], v[116:117], v[54:55]
	v_fmac_f64_e32 v[22:23], v[102:103], v[48:49]
	v_add_f64 v[0:1], v[0:1], v[20:21]
	;; [unrolled: 4-line block ×6, first 2 shown]
	s_waitcnt vmcnt(24) lgkmcnt(13)
	v_mul_f64 v[34:35], v[208:209], v[74:75]
	v_fmac_f64_e32 v[32:33], v[114:115], v[68:69]
	v_add_f64 v[0:1], v[0:1], v[30:31]
	s_waitcnt vmcnt(23) lgkmcnt(12)
	v_mul_f64 v[36:37], v[200:201], v[78:79]
	v_fmac_f64_e32 v[34:35], v[210:211], v[72:73]
	v_add_f64 v[0:1], v[0:1], v[32:33]
	;; [unrolled: 4-line block ×8, first 2 shown]
	ds_read_b128 v[212:215], v2 offset:1376
	s_waitcnt vmcnt(16) lgkmcnt(6)
	v_mul_f64 v[222:223], v[144:145], v[138:139]
	v_fmac_f64_e32 v[220:221], v[158:159], v[128:129]
	v_add_f64 v[0:1], v[0:1], v[218:219]
	ds_read_b128 v[216:219], v2 offset:1392
	v_add_f64 v[0:1], v[0:1], v[220:221]
	v_fmac_f64_e32 v[222:223], v[146:147], v[136:137]
	v_add_f64 v[0:1], v[0:1], v[222:223]
	s_waitcnt vmcnt(15) lgkmcnt(6)
	v_mul_f64 v[24:25], v[168:169], v[142:143]
	ds_read_b128 v[220:223], v2 offset:1408
	v_fmac_f64_e32 v[24:25], v[170:171], v[140:141]
	v_add_f64 v[0:1], v[0:1], v[24:25]
	s_waitcnt vmcnt(14) lgkmcnt(2)
	v_mul_f64 v[24:25], v[212:213], v[150:151]
	v_fmac_f64_e32 v[24:25], v[214:215], v[148:149]
	s_waitcnt vmcnt(13) lgkmcnt(1)
	v_mul_f64 v[28:29], v[216:217], v[154:155]
	v_add_f64 v[0:1], v[0:1], v[24:25]
	v_fmac_f64_e32 v[28:29], v[218:219], v[152:153]
	v_add_f64 v[0:1], v[0:1], v[28:29]
	s_waitcnt vmcnt(12) lgkmcnt(0)
	v_mul_f64 v[28:29], v[220:221], v[162:163]
	v_fmac_f64_e32 v[28:29], v[222:223], v[160:161]
	s_waitcnt vmcnt(11)
	v_mul_f64 v[32:33], v[224:225], v[166:167]
	v_add_f64 v[0:1], v[0:1], v[28:29]
	v_fmac_f64_e32 v[32:33], v[226:227], v[164:165]
	v_add_f64 v[0:1], v[0:1], v[32:33]
	s_waitcnt vmcnt(10)
	v_mul_f64 v[32:33], v[228:229], v[174:175]
	v_fmac_f64_e32 v[32:33], v[230:231], v[172:173]
	s_waitcnt vmcnt(9)
	v_mul_f64 v[36:37], v[232:233], v[178:179]
	v_add_f64 v[0:1], v[0:1], v[32:33]
	v_fmac_f64_e32 v[36:37], v[234:235], v[176:177]
	v_mul_f64 v[42:43], v[82:83], v[42:43]
	v_add_f64 v[0:1], v[0:1], v[36:37]
	scratch_load_dwordx4 v[36:39], off, off offset:656
	v_fma_f64 v[240:241], v[80:81], v[40:41], -v[42:43]
	ds_read_b128 v[80:83], v2 offset:1488
	s_waitcnt vmcnt(9)
	v_mul_f64 v[40:41], v[236:237], v[186:187]
	v_fmac_f64_e32 v[40:41], v[238:239], v[184:185]
	v_add_f64 v[0:1], v[0:1], v[40:41]
	v_mul_f64 v[40:41], v[206:207], v[46:47]
	v_fma_f64 v[246:247], v[204:205], v[44:45], -v[40:41]
	scratch_load_dwordx4 v[40:43], off, off offset:672
	s_waitcnt vmcnt(9) lgkmcnt(0)
	v_mul_f64 v[44:45], v[80:81], v[6:7]
	v_fmac_f64_e32 v[44:45], v[82:83], v[4:5]
	v_add_f64 v[0:1], v[0:1], v[44:45]
	scratch_load_dwordx4 v[44:47], off, off offset:688
	v_mul_f64 v[50:51], v[102:103], v[50:51]
	v_fma_f64 v[248:249], v[100:101], v[48:49], -v[50:51]
	ds_read_b128 v[100:103], v2 offset:1504
	v_mul_f64 v[48:49], v[118:119], v[54:55]
	v_fma_f64 v[250:251], v[116:117], v[52:53], -v[48:49]
	scratch_load_dwordx4 v[52:55], off, off offset:704
	scratch_load_dwordx4 v[48:51], off, off offset:720
	v_accvgpr_write_b32 a143, v7
	v_accvgpr_write_b32 a142, v6
	;; [unrolled: 1-line block ×4, first 2 shown]
	s_waitcnt vmcnt(11)
	v_mov_b64_e32 v[4:5], v[8:9]
	v_mul_f64 v[58:59], v[106:107], v[58:59]
	v_mov_b64_e32 v[6:7], v[10:11]
	v_fma_f64 v[252:253], v[104:105], v[56:57], -v[58:59]
	s_waitcnt lgkmcnt(0)
	v_mul_f64 v[56:57], v[100:101], v[6:7]
	v_fmac_f64_e32 v[56:57], v[102:103], v[4:5]
	v_add_f64 v[0:1], v[0:1], v[56:57]
	v_mul_f64 v[56:57], v[110:111], v[62:63]
	v_fma_f64 v[242:243], v[108:109], v[60:61], -v[56:57]
	scratch_load_dwordx4 v[56:59], off, off offset:736
	scratch_load_dwordx4 v[60:63], off, off offset:752
	ds_read_b128 v[104:107], v2 offset:1520
	ds_read_b128 v[116:119], v2 offset:1568
	v_mul_f64 v[66:67], v[182:183], v[66:67]
	v_fma_f64 v[32:33], v[180:181], v[64:65], -v[66:67]
	scratch_load_dwordx4 v[64:67], off, off offset:768
	s_waitcnt vmcnt(13)
	v_mov_b64_e32 v[4:5], v[12:13]
	v_mov_b64_e32 v[6:7], v[14:15]
	s_waitcnt lgkmcnt(1)
	v_mul_f64 v[108:109], v[104:105], v[6:7]
	v_fmac_f64_e32 v[108:109], v[106:107], v[4:5]
	v_mul_f64 v[6:7], v[114:115], v[70:71]
	v_add_f64 v[0:1], v[0:1], v[108:109]
	ds_read_b128 v[108:111], v2 offset:1536
	v_fma_f64 v[28:29], v[112:113], v[68:69], -v[6:7]
	v_mul_f64 v[68:69], v[210:211], v[74:75]
	v_fma_f64 v[24:25], v[208:209], v[72:73], -v[68:69]
	scratch_load_dwordx4 v[68:71], off, off offset:784
	s_waitcnt vmcnt(13)
	v_mov_b64_e32 v[4:5], v[16:17]
	scratch_load_dwordx4 v[72:75], off, off offset:800
	v_accvgpr_write_b32 a147, v11
	v_mov_b64_e32 v[6:7], v[18:19]
	v_accvgpr_write_b32 a146, v10
	v_accvgpr_write_b32 a145, v9
	;; [unrolled: 1-line block ×3, first 2 shown]
	ds_read_b128 v[112:115], v2 offset:1552
	s_waitcnt lgkmcnt(1)
	v_mul_f64 v[10:11], v[108:109], v[6:7]
	v_fmac_f64_e32 v[10:11], v[110:111], v[4:5]
	v_add_f64 v[0:1], v[0:1], v[10:11]
	v_mul_f64 v[10:11], v[202:203], v[78:79]
	v_accvgpr_write_b32 a155, v19
	v_fma_f64 v[20:21], v[200:201], v[76:77], -v[10:11]
	v_mul_f64 v[76:77], v[190:191], v[86:87]
	v_accvgpr_write_b32 a154, v18
	v_accvgpr_write_b32 a153, v17
	;; [unrolled: 1-line block ×3, first 2 shown]
	v_fma_f64 v[16:17], v[188:189], v[84:85], -v[76:77]
	scratch_load_dwordx4 v[76:79], off, off offset:816
	v_accvgpr_write_b32 a151, v15
	v_accvgpr_write_b32 a150, v14
	;; [unrolled: 1-line block ×4, first 2 shown]
	v_mul_f64 v[14:15], v[122:123], v[90:91]
	v_mul_f64 v[84:85], v[134:135], v[94:95]
	v_fma_f64 v[14:15], v[120:121], v[88:89], -v[14:15]
	ds_read_b128 v[120:123], v2 offset:1584
	v_fma_f64 v[12:13], v[132:133], v[92:93], -v[84:85]
	scratch_load_dwordx4 v[88:91], off, off offset:832
	scratch_load_dwordx4 v[84:87], off, off offset:848
	v_mul_f64 v[92:93], v[198:199], v[98:99]
	v_fma_f64 v[244:245], v[196:197], v[96:97], -v[92:93]
	scratch_load_dwordx4 v[92:95], off, off offset:864
	v_mul_f64 v[96:97], v[194:195], v[126:127]
	v_fma_f64 v[10:11], v[192:193], v[124:125], -v[96:97]
	scratch_load_dwordx4 v[96:99], off, off offset:880
	s_waitcnt vmcnt(18)
	v_accvgpr_read_b32 v4, a124
	v_accvgpr_read_b32 v6, a126
	;; [unrolled: 1-line block ×4, first 2 shown]
	s_waitcnt lgkmcnt(1)
	v_mul_f64 v[180:181], v[112:113], v[6:7]
	v_fmac_f64_e32 v[180:181], v[114:115], v[4:5]
	s_waitcnt vmcnt(17)
	v_accvgpr_read_b32 v4, a128
	v_accvgpr_read_b32 v6, a130
	;; [unrolled: 1-line block ×3, first 2 shown]
	v_add_f64 v[0:1], v[0:1], v[180:181]
	v_accvgpr_read_b32 v5, a129
	v_mul_f64 v[180:181], v[116:117], v[6:7]
	v_fmac_f64_e32 v[180:181], v[118:119], v[4:5]
	s_waitcnt vmcnt(16)
	v_accvgpr_read_b32 v4, a132
	ds_read_b128 v[124:127], v2 offset:1600
	v_accvgpr_read_b32 v6, a134
	v_accvgpr_read_b32 v7, a135
	v_mul_f64 v[22:23], v[158:159], v[130:131]
	v_accvgpr_read_b32 v5, a133
	s_waitcnt lgkmcnt(1)
	v_mul_f64 v[18:19], v[120:121], v[6:7]
	v_fma_f64 v[22:23], v[156:157], v[128:129], -v[22:23]
	ds_read_b128 v[128:131], v2 offset:1616
	v_fmac_f64_e32 v[18:19], v[122:123], v[4:5]
	s_waitcnt vmcnt(15)
	v_accvgpr_read_b32 v4, a136
	v_add_f64 v[0:1], v[0:1], v[180:181]
	v_accvgpr_read_b32 v6, a138
	v_accvgpr_read_b32 v7, a139
	v_add_f64 v[0:1], v[0:1], v[18:19]
	v_accvgpr_read_b32 v5, a137
	s_waitcnt lgkmcnt(1)
	v_mul_f64 v[18:19], v[124:125], v[6:7]
	ds_read_b128 v[132:135], v2 offset:1632
	v_fmac_f64_e32 v[18:19], v[126:127], v[4:5]
	v_add_f64 v[0:1], v[0:1], v[18:19]
	s_waitcnt vmcnt(14) lgkmcnt(1)
	v_mul_f64 v[18:19], v[128:129], v[38:39]
	v_fmac_f64_e32 v[18:19], v[130:131], v[36:37]
	v_add_f64 v[0:1], v[0:1], v[18:19]
	v_mul_f64 v[18:19], v[146:147], v[138:139]
	v_fma_f64 v[8:9], v[144:145], v[136:137], -v[18:19]
	ds_read_b128 v[136:139], v2 offset:1648
	s_waitcnt vmcnt(13) lgkmcnt(1)
	v_mul_f64 v[18:19], v[132:133], v[42:43]
	v_fmac_f64_e32 v[18:19], v[134:135], v[40:41]
	v_add_f64 v[0:1], v[0:1], v[18:19]
	v_mul_f64 v[18:19], v[170:171], v[142:143]
	v_fma_f64 v[26:27], v[168:169], v[140:141], -v[18:19]
	ds_read_b128 v[140:143], v2 offset:1664
	ds_read_b128 v[144:147], v2 offset:1680
	s_waitcnt vmcnt(12) lgkmcnt(2)
	v_mul_f64 v[18:19], v[136:137], v[46:47]
	v_fmac_f64_e32 v[18:19], v[138:139], v[44:45]
	v_add_f64 v[0:1], v[0:1], v[18:19]
	s_waitcnt vmcnt(11) lgkmcnt(1)
	v_mul_f64 v[18:19], v[140:141], v[54:55]
	v_fmac_f64_e32 v[18:19], v[142:143], v[52:53]
	v_add_f64 v[0:1], v[0:1], v[18:19]
	v_mul_f64 v[18:19], v[214:215], v[150:151]
	v_fma_f64 v[6:7], v[212:213], v[148:149], -v[18:19]
	ds_read_b128 v[148:151], v2 offset:1696
	v_mul_f64 v[30:31], v[218:219], v[154:155]
	v_fma_f64 v[30:31], v[216:217], v[152:153], -v[30:31]
	ds_read_b128 v[152:155], v2 offset:1712
	s_waitcnt vmcnt(10) lgkmcnt(2)
	v_mul_f64 v[18:19], v[144:145], v[50:51]
	v_fmac_f64_e32 v[18:19], v[146:147], v[48:49]
	v_add_f64 v[0:1], v[0:1], v[18:19]
	s_waitcnt vmcnt(9) lgkmcnt(1)
	v_mul_f64 v[18:19], v[148:149], v[58:59]
	ds_read_b128 v[156:159], v2 offset:1728
	v_fmac_f64_e32 v[18:19], v[150:151], v[56:57]
	v_add_f64 v[0:1], v[0:1], v[18:19]
	s_waitcnt vmcnt(8) lgkmcnt(1)
	v_mul_f64 v[18:19], v[152:153], v[62:63]
	v_fmac_f64_e32 v[18:19], v[154:155], v[60:61]
	v_add_f64 v[0:1], v[0:1], v[18:19]
	v_mul_f64 v[18:19], v[222:223], v[162:163]
	v_fma_f64 v[4:5], v[220:221], v[160:161], -v[18:19]
	ds_read_b128 v[160:163], v2 offset:1744
	s_waitcnt vmcnt(7) lgkmcnt(1)
	v_mul_f64 v[18:19], v[156:157], v[66:67]
	v_fmac_f64_e32 v[18:19], v[158:159], v[64:65]
	v_add_f64 v[0:1], v[0:1], v[18:19]
	v_mul_f64 v[18:19], v[226:227], v[166:167]
	v_fma_f64 v[34:35], v[224:225], v[164:165], -v[18:19]
	ds_read_b128 v[164:167], v2 offset:1760
	ds_read_b128 v[168:171], v2 offset:1776
	s_waitcnt vmcnt(6) lgkmcnt(2)
	v_mul_f64 v[18:19], v[160:161], v[70:71]
	v_fmac_f64_e32 v[18:19], v[162:163], v[68:69]
	v_add_f64 v[0:1], v[0:1], v[18:19]
	s_waitcnt vmcnt(5) lgkmcnt(1)
	v_mul_f64 v[18:19], v[164:165], v[74:75]
	v_fmac_f64_e32 v[18:19], v[166:167], v[72:73]
	v_add_f64 v[18:19], v[0:1], v[18:19]
	v_mul_f64 v[0:1], v[230:231], v[174:175]
	v_fma_f64 v[0:1], v[228:229], v[172:173], -v[0:1]
	ds_read_b128 v[172:175], v2 offset:1792
	v_mul_f64 v[178:179], v[234:235], v[178:179]
	s_waitcnt vmcnt(4) lgkmcnt(1)
	v_mul_f64 v[180:181], v[168:169], v[78:79]
	v_fma_f64 v[176:177], v[232:233], v[176:177], -v[178:179]
	v_fmac_f64_e32 v[180:181], v[170:171], v[76:77]
	v_accvgpr_write_b32 a156, v176
	v_accvgpr_write_b32 a157, v177
	ds_read_b128 v[176:179], v2 offset:1808
	v_add_f64 v[18:19], v[18:19], v[180:181]
	s_waitcnt vmcnt(3) lgkmcnt(1)
	v_mul_f64 v[180:181], v[172:173], v[90:91]
	v_fmac_f64_e32 v[180:181], v[174:175], v[88:89]
	v_add_f64 v[188:189], v[18:19], v[180:181]
	ds_read_b128 v[180:183], v2 offset:1824
	v_mul_f64 v[18:19], v[238:239], v[186:187]
	v_fma_f64 v[18:19], v[236:237], v[184:185], -v[18:19]
	ds_read_b128 v[184:187], v2 offset:1840
	s_waitcnt vmcnt(2) lgkmcnt(2)
	v_mul_f64 v[190:191], v[176:177], v[86:87]
	v_fmac_f64_e32 v[190:191], v[178:179], v[84:85]
	v_add_f64 v[188:189], v[188:189], v[190:191]
	s_waitcnt vmcnt(1) lgkmcnt(1)
	v_mul_f64 v[190:191], v[180:181], v[94:95]
	v_fmac_f64_e32 v[190:191], v[182:183], v[92:93]
	v_add_f64 v[188:189], v[188:189], v[190:191]
	;; [unrolled: 4-line block ×3, first 2 shown]
	scratch_load_dwordx4 v[188:191], off, off offset:896
	scratch_load_dwordx4 v[232:235], off, off offset:976
	ds_read_b128 v[192:195], v2 offset:1856
	ds_read_b128 v[200:203], v2 offset:1872
	;; [unrolled: 1-line block ×5, first 2 shown]
	s_waitcnt vmcnt(1) lgkmcnt(4)
	v_mul_f64 v[198:199], v[192:193], v[190:191]
	v_fmac_f64_e32 v[198:199], v[194:195], v[188:189]
	v_add_f64 v[204:205], v[196:197], v[198:199]
	scratch_load_dwordx4 v[196:199], off, off offset:912
	s_waitcnt vmcnt(0) lgkmcnt(3)
	v_mul_f64 v[206:207], v[200:201], v[198:199]
	v_fmac_f64_e32 v[206:207], v[202:203], v[196:197]
	v_add_f64 v[212:213], v[204:205], v[206:207]
	scratch_load_dwordx4 v[204:207], off, off offset:928
	;; [unrolled: 5-line block ×4, first 2 shown]
	s_waitcnt vmcnt(0) lgkmcnt(0)
	v_mul_f64 v[230:231], v[224:225], v[222:223]
	v_fmac_f64_e32 v[230:231], v[226:227], v[220:221]
	v_add_f64 v[236:237], v[228:229], v[230:231]
	ds_read_b128 v[228:231], v2 offset:1936
	s_waitcnt lgkmcnt(0)
	v_mul_f64 v[2:3], v[228:229], v[234:235]
	v_fmac_f64_e32 v[2:3], v[230:231], v[232:233]
	v_add_f64 v[2:3], v[236:237], v[2:3]
	v_add_f64 v[236:237], v[240:241], 0
	;; [unrolled: 1-line block ×11, first 2 shown]
	scratch_load_dwordx4 v[236:239], off, off offset:112
	v_add_f64 v[16:17], v[20:21], v[16:17]
	v_add_f64 v[14:15], v[16:17], v[14:15]
	;; [unrolled: 1-line block ×12, first 2 shown]
	v_accvgpr_read_b32 v6, a140
	v_add_f64 v[246:247], v[4:5], v[0:1]
	v_accvgpr_read_b32 v0, a156
	v_accvgpr_read_b32 v8, a142
	;; [unrolled: 1-line block ×5, first 2 shown]
	v_mul_f64 v[4:5], v[82:83], v[8:9]
	v_add_f64 v[0:1], v[246:247], v[0:1]
	v_fma_f64 v[4:5], v[80:81], v[6:7], -v[4:5]
	v_accvgpr_read_b32 v6, a144
	v_add_f64 v[0:1], v[0:1], v[18:19]
	v_accvgpr_read_b32 v8, a146
	v_accvgpr_read_b32 v9, a147
	v_add_f64 v[0:1], v[0:1], v[4:5]
	v_accvgpr_read_b32 v7, a145
	v_mul_f64 v[4:5], v[102:103], v[8:9]
	v_fma_f64 v[4:5], v[100:101], v[6:7], -v[4:5]
	v_accvgpr_read_b32 v6, a148
	v_accvgpr_read_b32 v8, a150
	v_accvgpr_read_b32 v9, a151
	v_add_f64 v[0:1], v[0:1], v[4:5]
	v_accvgpr_read_b32 v7, a149
	v_mul_f64 v[4:5], v[106:107], v[8:9]
	v_fma_f64 v[4:5], v[104:105], v[6:7], -v[4:5]
	v_accvgpr_read_b32 v6, a152
	v_accvgpr_read_b32 v8, a154
	v_accvgpr_read_b32 v9, a155
	v_add_f64 v[0:1], v[0:1], v[4:5]
	v_accvgpr_read_b32 v7, a153
	v_mul_f64 v[4:5], v[110:111], v[8:9]
	v_fma_f64 v[4:5], v[108:109], v[6:7], -v[4:5]
	v_accvgpr_read_b32 v6, a124
	v_accvgpr_read_b32 v8, a126
	v_accvgpr_read_b32 v9, a127
	v_add_f64 v[0:1], v[0:1], v[4:5]
	v_accvgpr_read_b32 v7, a125
	v_mul_f64 v[4:5], v[114:115], v[8:9]
	v_fma_f64 v[4:5], v[112:113], v[6:7], -v[4:5]
	v_accvgpr_read_b32 v6, a128
	v_accvgpr_read_b32 v8, a130
	v_accvgpr_read_b32 v9, a131
	v_add_f64 v[0:1], v[0:1], v[4:5]
	v_accvgpr_read_b32 v7, a129
	v_mul_f64 v[4:5], v[118:119], v[8:9]
	v_fma_f64 v[4:5], v[116:117], v[6:7], -v[4:5]
	v_accvgpr_read_b32 v6, a132
	v_accvgpr_read_b32 v8, a134
	v_accvgpr_read_b32 v9, a135
	v_add_f64 v[0:1], v[0:1], v[4:5]
	v_accvgpr_read_b32 v7, a133
	v_mul_f64 v[4:5], v[122:123], v[8:9]
	v_fma_f64 v[4:5], v[120:121], v[6:7], -v[4:5]
	v_accvgpr_read_b32 v6, a136
	v_accvgpr_read_b32 v8, a138
	v_accvgpr_read_b32 v9, a139
	v_add_f64 v[0:1], v[0:1], v[4:5]
	v_accvgpr_read_b32 v7, a137
	v_mul_f64 v[4:5], v[126:127], v[8:9]
	v_fma_f64 v[4:5], v[124:125], v[6:7], -v[4:5]
	v_add_f64 v[0:1], v[0:1], v[4:5]
	v_mul_f64 v[4:5], v[130:131], v[38:39]
	v_fma_f64 v[4:5], v[128:129], v[36:37], -v[4:5]
	v_add_f64 v[0:1], v[0:1], v[4:5]
	;; [unrolled: 3-line block ×22, first 2 shown]
	s_waitcnt vmcnt(0)
	v_add_f64 v[4:5], v[236:237], -v[0:1]
	v_add_f64 v[6:7], v[238:239], -v[2:3]
	scratch_store_dwordx4 off, v[4:7], off offset:112
	s_and_saveexec_b64 s[0:1], vcc
	s_cbranch_execz .LBB124_381
; %bb.380:
	scratch_load_dwordx4 v[2:5], off, s82
	v_mov_b32_e32 v6, 0
	v_mov_b32_e32 v7, v6
	;; [unrolled: 1-line block ×4, first 2 shown]
	v_accvgpr_read_b32 v0, a1
	scratch_store_dwordx4 off, v[6:9], off offset:96
	s_waitcnt vmcnt(1)
	ds_write_b128 v0, v[2:5]
.LBB124_381:
	s_or_b64 exec, exec, s[0:1]
	s_waitcnt lgkmcnt(0)
	; wave barrier
	scratch_load_dwordx4 v[16:19], off, off offset:112
	scratch_load_dwordx4 v[20:23], off, off offset:128
	;; [unrolled: 1-line block ×30, first 2 shown]
	v_mov_b32_e32 v2, 0
	ds_read_b128 v[84:87], v2 offset:1072
	ds_read_b128 v[96:99], v2 offset:1088
	;; [unrolled: 1-line block ×17, first 2 shown]
	scratch_load_dwordx4 a[132:135], off, off offset:592
	scratch_load_dwordx4 a[136:139], off, off offset:608
	;; [unrolled: 1-line block ×6, first 2 shown]
	ds_read_b128 v[228:231], v2 offset:1440
	ds_read_b128 v[236:239], v2 offset:1456
	;; [unrolled: 1-line block ×4, first 2 shown]
	v_cmp_lt_u32_e32 vcc, 4, v254
	ds_read_b128 v[224:227], v2 offset:1424
	s_waitcnt vmcnt(35) lgkmcnt(14)
	v_mul_f64 v[0:1], v[84:85], v[18:19]
	s_waitcnt vmcnt(34)
	v_mul_f64 v[40:41], v[96:97], v[22:23]
	v_fmac_f64_e32 v[0:1], v[86:87], v[16:17]
	s_waitcnt vmcnt(33)
	v_mul_f64 v[42:43], v[104:105], v[26:27]
	v_fmac_f64_e32 v[40:41], v[98:99], v[20:21]
	v_add_f64 v[0:1], v[0:1], 0
	s_waitcnt vmcnt(32)
	v_mul_f64 v[48:49], v[108:109], v[30:31]
	v_fmac_f64_e32 v[42:43], v[106:107], v[24:25]
	v_add_f64 v[0:1], v[0:1], v[40:41]
	;; [unrolled: 4-line block ×6, first 2 shown]
	s_waitcnt vmcnt(27) lgkmcnt(13)
	v_mul_f64 v[206:207], v[140:141], v[62:63]
	v_fmac_f64_e32 v[204:205], v[126:127], v[52:53]
	v_add_f64 v[0:1], v[0:1], v[58:59]
	s_waitcnt vmcnt(26) lgkmcnt(12)
	v_mul_f64 v[208:209], v[152:153], v[66:67]
	v_fmac_f64_e32 v[206:207], v[142:143], v[60:61]
	v_add_f64 v[0:1], v[0:1], v[204:205]
	;; [unrolled: 4-line block ×6, first 2 shown]
	ds_read_b128 v[204:207], v2 offset:1344
	ds_read_b128 v[208:211], v2 offset:1360
	s_waitcnt vmcnt(21) lgkmcnt(9)
	v_mul_f64 v[218:219], v[192:193], v[90:91]
	v_fmac_f64_e32 v[216:217], v[190:191], v[80:81]
	v_add_f64 v[0:1], v[0:1], v[214:215]
	s_waitcnt vmcnt(20) lgkmcnt(8)
	v_mul_f64 v[220:221], v[196:197], v[94:95]
	v_fmac_f64_e32 v[218:219], v[194:195], v[88:89]
	v_add_f64 v[0:1], v[0:1], v[216:217]
	v_fmac_f64_e32 v[220:221], v[198:199], v[92:93]
	v_add_f64 v[0:1], v[0:1], v[218:219]
	s_waitcnt vmcnt(19) lgkmcnt(7)
	v_mul_f64 v[40:41], v[200:201], v[102:103]
	ds_read_b128 v[212:215], v2 offset:1376
	ds_read_b128 v[216:219], v2 offset:1392
	v_add_f64 v[0:1], v[0:1], v[220:221]
	v_fmac_f64_e32 v[40:41], v[202:203], v[100:101]
	v_add_f64 v[0:1], v[0:1], v[40:41]
	s_waitcnt vmcnt(18) lgkmcnt(3)
	v_mul_f64 v[40:41], v[204:205], v[130:131]
	v_fmac_f64_e32 v[40:41], v[206:207], v[128:129]
	ds_read_b128 v[220:223], v2 offset:1408
	v_add_f64 v[0:1], v[0:1], v[40:41]
	s_waitcnt vmcnt(17) lgkmcnt(3)
	v_mul_f64 v[40:41], v[208:209], v[134:135]
	v_fmac_f64_e32 v[40:41], v[210:211], v[132:133]
	s_waitcnt vmcnt(16) lgkmcnt(2)
	v_mul_f64 v[48:49], v[212:213], v[138:139]
	v_add_f64 v[0:1], v[0:1], v[40:41]
	v_fmac_f64_e32 v[48:49], v[214:215], v[136:137]
	s_waitcnt vmcnt(15) lgkmcnt(1)
	v_mul_f64 v[56:57], v[216:217], v[146:147]
	v_add_f64 v[0:1], v[0:1], v[48:49]
	v_fmac_f64_e32 v[56:57], v[218:219], v[144:145]
	v_add_f64 v[0:1], v[0:1], v[56:57]
	s_waitcnt vmcnt(14) lgkmcnt(0)
	v_mul_f64 v[56:57], v[220:221], v[150:151]
	v_fmac_f64_e32 v[56:57], v[222:223], v[148:149]
	v_add_f64 v[0:1], v[0:1], v[56:57]
	s_waitcnt vmcnt(13)
	v_mul_f64 v[56:57], v[224:225], v[158:159]
	v_fmac_f64_e32 v[56:57], v[226:227], v[156:157]
	v_add_f64 v[0:1], v[0:1], v[56:57]
	scratch_load_dwordx4 v[56:59], off, off offset:688
	scratch_load_dwordx4 v[48:51], off, off offset:704
	;; [unrolled: 1-line block ×3, first 2 shown]
	s_waitcnt vmcnt(15)
	v_mul_f64 v[232:233], v[228:229], v[162:163]
	v_fmac_f64_e32 v[232:233], v[230:231], v[160:161]
	v_add_f64 v[0:1], v[0:1], v[232:233]
	s_waitcnt vmcnt(14)
	v_mul_f64 v[232:233], v[236:237], v[170:171]
	v_mul_f64 v[18:19], v[86:87], v[18:19]
	v_fmac_f64_e32 v[232:233], v[238:239], v[168:169]
	v_fma_f64 v[240:241], v[84:85], v[16:17], -v[18:19]
	s_waitcnt vmcnt(13)
	v_mul_f64 v[84:85], v[242:243], v[174:175]
	v_add_f64 v[0:1], v[0:1], v[232:233]
	v_fmac_f64_e32 v[84:85], v[244:245], v[172:173]
	v_add_f64 v[0:1], v[0:1], v[84:85]
	ds_read_b128 v[84:87], v2 offset:1504
	v_mul_f64 v[30:31], v[110:111], v[30:31]
	v_mul_f64 v[22:23], v[98:99], v[22:23]
	v_fma_f64 v[232:233], v[108:109], v[28:29], -v[30:31]
	s_waitcnt vmcnt(12)
	v_mul_f64 v[28:29], v[246:247], v[182:183]
	v_fma_f64 v[250:251], v[96:97], v[20:21], -v[22:23]
	v_fmac_f64_e32 v[28:29], v[248:249], v[180:181]
	ds_read_b128 v[96:99], v2 offset:1520
	s_waitcnt vmcnt(11) lgkmcnt(1)
	v_mul_f64 v[6:7], v[84:85], v[14:15]
	v_add_f64 v[0:1], v[0:1], v[28:29]
	v_fmac_f64_e32 v[6:7], v[86:87], v[12:13]
	v_mul_f64 v[26:27], v[106:107], v[26:27]
	v_mul_f64 v[34:35], v[114:115], v[34:35]
	v_add_f64 v[0:1], v[0:1], v[6:7]
	v_mul_f64 v[6:7], v[118:119], v[10:11]
	v_mul_f64 v[46:47], v[122:123], v[46:47]
	v_fma_f64 v[252:253], v[104:105], v[24:25], -v[26:27]
	v_fma_f64 v[36:37], v[112:113], v[32:33], -v[34:35]
	;; [unrolled: 1-line block ×4, first 2 shown]
	ds_read_b128 v[104:107], v2 offset:1536
	ds_read_b128 v[108:111], v2 offset:1552
	s_waitcnt vmcnt(10)
	v_accvgpr_read_b32 v4, a124
	v_mul_f64 v[44:45], v[126:127], v[54:55]
	v_accvgpr_read_b32 v6, a126
	v_accvgpr_read_b32 v7, a127
	v_fma_f64 v[234:235], v[124:125], v[52:53], -v[44:45]
	scratch_load_dwordx4 v[52:55], off, off offset:736
	v_accvgpr_read_b32 v5, a125
	s_waitcnt lgkmcnt(2)
	v_mul_f64 v[10:11], v[96:97], v[6:7]
	v_fmac_f64_e32 v[10:11], v[98:99], v[4:5]
	scratch_load_dwordx4 v[44:47], off, off offset:752
	s_waitcnt vmcnt(11)
	v_accvgpr_read_b32 v4, a128
	v_add_f64 v[0:1], v[0:1], v[10:11]
	v_mul_f64 v[10:11], v[142:143], v[62:63]
	v_accvgpr_read_b32 v6, a130
	v_accvgpr_read_b32 v7, a131
	v_fma_f64 v[24:25], v[140:141], v[60:61], -v[10:11]
	v_accvgpr_read_b32 v5, a129
	s_waitcnt lgkmcnt(1)
	v_mul_f64 v[10:11], v[104:105], v[6:7]
	v_fmac_f64_e32 v[10:11], v[106:107], v[4:5]
	v_add_f64 v[0:1], v[0:1], v[10:11]
	v_mul_f64 v[10:11], v[154:155], v[66:67]
	ds_read_b128 v[112:115], v2 offset:1568
	ds_read_b128 v[116:119], v2 offset:1584
	s_waitcnt vmcnt(10)
	v_accvgpr_read_b32 v4, a132
	v_fma_f64 v[20:21], v[152:153], v[64:65], -v[10:11]
	v_mul_f64 v[10:11], v[166:167], v[70:71]
	v_accvgpr_read_b32 v6, a134
	v_accvgpr_read_b32 v7, a135
	scratch_load_dwordx4 v[60:63], off, off offset:768
	v_fma_f64 v[16:17], v[164:165], v[68:69], -v[10:11]
	v_accvgpr_read_b32 v5, a133
	s_waitcnt lgkmcnt(2)
	v_mul_f64 v[10:11], v[108:109], v[6:7]
	v_fmac_f64_e32 v[10:11], v[110:111], v[4:5]
	s_waitcnt vmcnt(10)
	v_accvgpr_read_b32 v4, a136
	scratch_load_dwordx4 v[64:67], off, off offset:784
	scratch_load_dwordx4 v[68:71], off, off offset:800
	v_accvgpr_read_b32 v6, a138
	v_accvgpr_read_b32 v7, a139
	v_add_f64 v[0:1], v[0:1], v[10:11]
	v_accvgpr_read_b32 v5, a137
	s_waitcnt lgkmcnt(1)
	v_mul_f64 v[10:11], v[112:113], v[6:7]
	v_fmac_f64_e32 v[10:11], v[114:115], v[4:5]
	v_add_f64 v[0:1], v[0:1], v[10:11]
	v_mul_f64 v[10:11], v[186:187], v[78:79]
	v_fma_f64 v[184:185], v[184:185], v[76:77], -v[10:11]
	v_mul_f64 v[10:11], v[190:191], v[82:83]
	s_waitcnt vmcnt(11)
	v_accvgpr_read_b32 v4, a140
	v_accvgpr_write_b32 a159, v15
	v_mul_f64 v[18:19], v[178:179], v[74:75]
	v_fma_f64 v[186:187], v[188:189], v[80:81], -v[10:11]
	v_mul_f64 v[10:11], v[194:195], v[90:91]
	v_accvgpr_read_b32 v6, a142
	v_accvgpr_read_b32 v7, a143
	v_accvgpr_write_b32 a158, v14
	v_accvgpr_write_b32 a157, v13
	;; [unrolled: 1-line block ×3, first 2 shown]
	v_fma_f64 v[18:19], v[176:177], v[72:73], -v[18:19]
	scratch_load_dwordx4 v[72:75], off, off offset:816
	scratch_load_dwordx4 v[80:83], off, off offset:832
	;; [unrolled: 1-line block ×3, first 2 shown]
	v_fma_f64 v[14:15], v[192:193], v[88:89], -v[10:11]
	ds_read_b128 v[120:123], v2 offset:1600
	v_accvgpr_read_b32 v5, a141
	s_waitcnt lgkmcnt(1)
	v_mul_f64 v[10:11], v[116:117], v[6:7]
	v_fmac_f64_e32 v[10:11], v[118:119], v[4:5]
	v_add_f64 v[0:1], v[0:1], v[10:11]
	v_mul_f64 v[10:11], v[198:199], v[94:95]
	v_fma_f64 v[22:23], v[196:197], v[92:93], -v[10:11]
	scratch_load_dwordx4 v[92:95], off, off offset:864
	scratch_load_dwordx4 v[88:91], off, off offset:880
	ds_read_b128 v[124:127], v2 offset:1616
	s_waitcnt vmcnt(15)
	v_accvgpr_read_b32 v4, a144
	v_mul_f64 v[10:11], v[202:203], v[102:103]
	v_accvgpr_read_b32 v6, a146
	v_accvgpr_read_b32 v7, a147
	v_fma_f64 v[12:13], v[200:201], v[100:101], -v[10:11]
	v_accvgpr_read_b32 v5, a145
	s_waitcnt lgkmcnt(1)
	v_mul_f64 v[10:11], v[120:121], v[6:7]
	v_fmac_f64_e32 v[10:11], v[122:123], v[4:5]
	s_waitcnt vmcnt(14)
	v_accvgpr_read_b32 v4, a148
	v_add_f64 v[0:1], v[0:1], v[10:11]
	v_mul_f64 v[10:11], v[206:207], v[130:131]
	v_accvgpr_read_b32 v6, a150
	v_accvgpr_read_b32 v7, a151
	v_fma_f64 v[26:27], v[204:205], v[128:129], -v[10:11]
	ds_read_b128 v[128:131], v2 offset:1632
	v_accvgpr_read_b32 v5, a149
	s_waitcnt lgkmcnt(1)
	v_mul_f64 v[10:11], v[124:125], v[6:7]
	v_fmac_f64_e32 v[10:11], v[126:127], v[4:5]
	v_add_f64 v[0:1], v[0:1], v[10:11]
	v_mul_f64 v[10:11], v[210:211], v[134:135]
	v_fma_f64 v[8:9], v[208:209], v[132:133], -v[10:11]
	ds_read_b128 v[132:135], v2 offset:1648
	s_waitcnt vmcnt(13)
	v_accvgpr_read_b32 v4, a152
	v_mul_f64 v[30:31], v[214:215], v[138:139]
	v_accvgpr_read_b32 v6, a154
	v_accvgpr_read_b32 v7, a155
	v_fma_f64 v[30:31], v[212:213], v[136:137], -v[30:31]
	ds_read_b128 v[136:139], v2 offset:1664
	scratch_load_dwordx4 v[100:103], off, off offset:896
	v_accvgpr_read_b32 v5, a153
	s_waitcnt lgkmcnt(2)
	v_mul_f64 v[10:11], v[128:129], v[6:7]
	v_fmac_f64_e32 v[10:11], v[130:131], v[4:5]
	v_add_f64 v[0:1], v[0:1], v[10:11]
	s_waitcnt vmcnt(13) lgkmcnt(1)
	v_mul_f64 v[10:11], v[132:133], v[58:59]
	ds_read_b128 v[140:143], v2 offset:1680
	scratch_load_dwordx4 v[188:191], off, off offset:912
	scratch_load_dwordx4 v[196:199], off, off offset:928
	v_fmac_f64_e32 v[10:11], v[134:135], v[56:57]
	v_add_f64 v[0:1], v[0:1], v[10:11]
	s_waitcnt vmcnt(14) lgkmcnt(1)
	v_mul_f64 v[10:11], v[136:137], v[50:51]
	v_fmac_f64_e32 v[10:11], v[138:139], v[48:49]
	v_add_f64 v[0:1], v[0:1], v[10:11]
	v_mul_f64 v[10:11], v[218:219], v[146:147]
	scratch_load_dwordx4 v[204:207], off, off offset:944
	scratch_load_dwordx4 v[212:215], off, off offset:960
	v_fma_f64 v[6:7], v[216:217], v[144:145], -v[10:11]
	ds_read_b128 v[144:147], v2 offset:1696
	s_waitcnt vmcnt(15) lgkmcnt(1)
	v_mul_f64 v[10:11], v[140:141], v[40:41]
	v_fmac_f64_e32 v[10:11], v[142:143], v[38:39]
	v_add_f64 v[0:1], v[0:1], v[10:11]
	v_mul_f64 v[10:11], v[222:223], v[150:151]
	v_fma_f64 v[34:35], v[220:221], v[148:149], -v[10:11]
	scratch_load_dwordx4 v[220:223], off, off offset:976
	ds_read_b128 v[148:151], v2 offset:1712
	ds_read_b128 v[152:155], v2 offset:1728
	s_waitcnt vmcnt(15) lgkmcnt(2)
	v_mul_f64 v[10:11], v[144:145], v[54:55]
	v_fmac_f64_e32 v[10:11], v[146:147], v[52:53]
	v_add_f64 v[0:1], v[0:1], v[10:11]
	s_waitcnt vmcnt(14) lgkmcnt(1)
	v_mul_f64 v[10:11], v[148:149], v[46:47]
	v_fmac_f64_e32 v[10:11], v[150:151], v[44:45]
	v_add_f64 v[0:1], v[0:1], v[10:11]
	v_mul_f64 v[10:11], v[226:227], v[158:159]
	v_fma_f64 v[4:5], v[224:225], v[156:157], -v[10:11]
	ds_read_b128 v[156:159], v2 offset:1744
	v_mul_f64 v[10:11], v[230:231], v[162:163]
	v_fma_f64 v[10:11], v[228:229], v[160:161], -v[10:11]
	ds_read_b128 v[160:163], v2 offset:1760
	s_waitcnt vmcnt(13) lgkmcnt(2)
	v_mul_f64 v[42:43], v[152:153], v[62:63]
	v_fmac_f64_e32 v[42:43], v[154:155], v[60:61]
	v_add_f64 v[0:1], v[0:1], v[42:43]
	s_waitcnt vmcnt(12) lgkmcnt(1)
	v_mul_f64 v[42:43], v[156:157], v[66:67]
	v_fmac_f64_e32 v[42:43], v[158:159], v[64:65]
	ds_read_b128 v[164:167], v2 offset:1776
	v_add_f64 v[0:1], v[0:1], v[42:43]
	s_waitcnt vmcnt(11) lgkmcnt(1)
	v_mul_f64 v[42:43], v[160:161], v[70:71]
	v_fmac_f64_e32 v[42:43], v[162:163], v[68:69]
	v_add_f64 v[0:1], v[0:1], v[42:43]
	v_mul_f64 v[42:43], v[238:239], v[170:171]
	v_fma_f64 v[236:237], v[236:237], v[168:169], -v[42:43]
	ds_read_b128 v[168:171], v2 offset:1792
	s_waitcnt vmcnt(10) lgkmcnt(1)
	v_mul_f64 v[42:43], v[164:165], v[74:75]
	v_fmac_f64_e32 v[42:43], v[166:167], v[72:73]
	v_add_f64 v[0:1], v[0:1], v[42:43]
	v_mul_f64 v[42:43], v[244:245], v[174:175]
	v_fma_f64 v[238:239], v[242:243], v[172:173], -v[42:43]
	ds_read_b128 v[172:175], v2 offset:1808
	ds_read_b128 v[176:179], v2 offset:1824
	s_waitcnt vmcnt(9) lgkmcnt(2)
	v_mul_f64 v[42:43], v[168:169], v[82:83]
	v_fmac_f64_e32 v[42:43], v[170:171], v[80:81]
	v_add_f64 v[0:1], v[0:1], v[42:43]
	v_mul_f64 v[42:43], v[248:249], v[182:183]
	v_fma_f64 v[242:243], v[246:247], v[180:181], -v[42:43]
	ds_read_b128 v[180:183], v2 offset:1840
	ds_read_b128 v[246:249], v2 offset:1856
	s_waitcnt vmcnt(8) lgkmcnt(3)
	v_mul_f64 v[42:43], v[172:173], v[78:79]
	v_fmac_f64_e32 v[42:43], v[174:175], v[76:77]
	v_add_f64 v[0:1], v[0:1], v[42:43]
	s_waitcnt vmcnt(7) lgkmcnt(2)
	v_mul_f64 v[42:43], v[176:177], v[94:95]
	v_fmac_f64_e32 v[42:43], v[178:179], v[92:93]
	ds_read_b128 v[192:195], v2 offset:1872
	ds_read_b128 v[200:203], v2 offset:1888
	v_add_f64 v[0:1], v[0:1], v[42:43]
	s_waitcnt vmcnt(6) lgkmcnt(3)
	v_mul_f64 v[42:43], v[180:181], v[90:91]
	v_fmac_f64_e32 v[42:43], v[182:183], v[88:89]
	v_add_f64 v[0:1], v[0:1], v[42:43]
	scratch_load_dwordx4 v[228:231], off, off offset:96
	ds_read_b128 v[208:211], v2 offset:1904
	ds_read_b128 v[216:219], v2 offset:1920
	s_waitcnt vmcnt(6) lgkmcnt(4)
	v_mul_f64 v[42:43], v[246:247], v[102:103]
	v_fmac_f64_e32 v[42:43], v[248:249], v[100:101]
	v_add_f64 v[0:1], v[0:1], v[42:43]
	ds_read_b128 v[224:227], v2 offset:1936
	s_waitcnt vmcnt(5) lgkmcnt(4)
	v_mul_f64 v[42:43], v[192:193], v[190:191]
	v_fmac_f64_e32 v[42:43], v[194:195], v[188:189]
	v_add_f64 v[0:1], v[0:1], v[42:43]
	s_waitcnt vmcnt(4) lgkmcnt(3)
	v_mul_f64 v[42:43], v[200:201], v[198:199]
	v_fmac_f64_e32 v[42:43], v[202:203], v[196:197]
	v_add_f64 v[0:1], v[0:1], v[42:43]
	;; [unrolled: 4-line block ×5, first 2 shown]
	v_add_f64 v[42:43], v[240:241], 0
	v_add_f64 v[42:43], v[42:43], v[250:251]
	;; [unrolled: 1-line block ×24, first 2 shown]
	v_accvgpr_read_b32 v8, a156
	v_accvgpr_read_b32 v10, a158
	;; [unrolled: 1-line block ×3, first 2 shown]
	v_add_f64 v[4:5], v[4:5], v[236:237]
	v_accvgpr_read_b32 v9, a157
	v_mul_f64 v[6:7], v[86:87], v[10:11]
	v_add_f64 v[4:5], v[4:5], v[238:239]
	v_fma_f64 v[6:7], v[84:85], v[8:9], -v[6:7]
	v_accvgpr_read_b32 v8, a124
	v_add_f64 v[4:5], v[4:5], v[242:243]
	v_accvgpr_read_b32 v10, a126
	v_accvgpr_read_b32 v11, a127
	v_add_f64 v[4:5], v[4:5], v[6:7]
	v_accvgpr_read_b32 v9, a125
	v_mul_f64 v[6:7], v[98:99], v[10:11]
	v_fma_f64 v[6:7], v[96:97], v[8:9], -v[6:7]
	v_accvgpr_read_b32 v8, a128
	v_accvgpr_read_b32 v10, a130
	v_accvgpr_read_b32 v11, a131
	v_add_f64 v[4:5], v[4:5], v[6:7]
	v_accvgpr_read_b32 v9, a129
	v_mul_f64 v[6:7], v[106:107], v[10:11]
	v_fma_f64 v[6:7], v[104:105], v[8:9], -v[6:7]
	v_accvgpr_read_b32 v8, a132
	;; [unrolled: 7-line block ×7, first 2 shown]
	v_accvgpr_read_b32 v10, a154
	v_accvgpr_read_b32 v11, a155
	v_add_f64 v[4:5], v[4:5], v[6:7]
	v_accvgpr_read_b32 v9, a153
	v_mul_f64 v[6:7], v[130:131], v[10:11]
	v_fma_f64 v[6:7], v[128:129], v[8:9], -v[6:7]
	v_add_f64 v[4:5], v[4:5], v[6:7]
	v_mul_f64 v[6:7], v[134:135], v[58:59]
	v_fma_f64 v[6:7], v[132:133], v[56:57], -v[6:7]
	v_add_f64 v[4:5], v[4:5], v[6:7]
	;; [unrolled: 3-line block ×20, first 2 shown]
	s_waitcnt vmcnt(0)
	v_add_f64 v[4:5], v[228:229], -v[4:5]
	v_add_f64 v[6:7], v[230:231], -v[0:1]
	scratch_store_dwordx4 off, v[4:7], off offset:96
	s_and_saveexec_b64 s[0:1], vcc
	s_cbranch_execz .LBB124_383
; %bb.382:
	scratch_load_dwordx4 v[6:9], off, s83
	v_mov_b32_e32 v3, v2
	v_mov_b32_e32 v4, v2
	;; [unrolled: 1-line block ×3, first 2 shown]
	v_accvgpr_read_b32 v0, a1
	scratch_store_dwordx4 off, v[2:5], off offset:80
	s_waitcnt vmcnt(1)
	ds_write_b128 v0, v[6:9]
.LBB124_383:
	s_or_b64 exec, exec, s[0:1]
	s_waitcnt lgkmcnt(0)
	; wave barrier
	scratch_load_dwordx4 v[16:19], off, off offset:96
	scratch_load_dwordx4 v[20:23], off, off offset:112
	;; [unrolled: 1-line block ×17, first 2 shown]
	ds_read_b128 v[112:115], v2 offset:1056
	ds_read_b128 v[96:99], v2 offset:1072
	ds_read_b128 v[84:87], v2 offset:1088
	scratch_load_dwordx4 v[120:123], off, off offset:368
	ds_read_b128 v[184:187], v2 offset:1104
	ds_read_b128 v[140:143], v2 offset:1120
	ds_read_b128 v[104:107], v2 offset:1136
	scratch_load_dwordx4 v[132:135], off, off offset:384
	;; [unrolled: 4-line block ×3, first 2 shown]
	ds_read_b128 v[200:203], v2 offset:1200
	ds_read_b128 v[192:195], v2 offset:1216
	;; [unrolled: 1-line block ×5, first 2 shown]
	scratch_load_dwordx4 v[144:147], off, off offset:416
	ds_read_b128 v[180:183], v2 offset:1280
	ds_read_b128 v[152:155], v2 offset:1296
	;; [unrolled: 1-line block ×3, first 2 shown]
	scratch_load_dwordx4 v[148:151], off, off offset:432
	scratch_load_dwordx4 v[156:159], off, off offset:448
	;; [unrolled: 1-line block ×13, first 2 shown]
	ds_read_b128 v[204:207], v2 offset:1328
	scratch_load_dwordx4 a[144:147], off, off offset:640
	scratch_load_dwordx4 a[148:151], off, off offset:656
	ds_read_b128 v[228:231], v2 offset:1424
	ds_read_b128 v[232:235], v2 offset:1440
	;; [unrolled: 1-line block ×4, first 2 shown]
	v_cmp_lt_u32_e32 vcc, 3, v254
	s_waitcnt vmcnt(35) lgkmcnt(14)
	v_mul_f64 v[0:1], v[112:113], v[18:19]
	s_waitcnt vmcnt(34)
	v_mul_f64 v[48:49], v[96:97], v[22:23]
	v_fmac_f64_e32 v[0:1], v[114:115], v[16:17]
	s_waitcnt vmcnt(33)
	v_mul_f64 v[50:51], v[84:85], v[26:27]
	v_fmac_f64_e32 v[48:49], v[98:99], v[20:21]
	v_add_f64 v[0:1], v[0:1], 0
	s_waitcnt vmcnt(32)
	v_mul_f64 v[56:57], v[184:185], v[30:31]
	v_fmac_f64_e32 v[50:51], v[86:87], v[24:25]
	v_add_f64 v[0:1], v[0:1], v[48:49]
	;; [unrolled: 4-line block ×6, first 2 shown]
	s_waitcnt vmcnt(27) lgkmcnt(13)
	v_mul_f64 v[210:211], v[108:109], v[54:55]
	v_fmac_f64_e32 v[208:209], v[166:167], v[8:9]
	v_add_f64 v[0:1], v[0:1], v[66:67]
	s_waitcnt vmcnt(26) lgkmcnt(12)
	v_mul_f64 v[212:213], v[200:201], v[62:63]
	v_fmac_f64_e32 v[210:211], v[110:111], v[52:53]
	v_add_f64 v[0:1], v[0:1], v[208:209]
	;; [unrolled: 4-line block ×8, first 2 shown]
	ds_read_b128 v[208:211], v2 offset:1344
	v_fmac_f64_e32 v[224:225], v[154:155], v[92:93]
	v_add_f64 v[0:1], v[0:1], v[222:223]
	s_waitcnt vmcnt(19) lgkmcnt(6)
	v_mul_f64 v[48:49], v[128:129], v[102:103]
	ds_read_b128 v[212:215], v2 offset:1360
	ds_read_b128 v[216:219], v2 offset:1376
	v_add_f64 v[0:1], v[0:1], v[224:225]
	v_fmac_f64_e32 v[48:49], v[130:131], v[100:101]
	v_add_f64 v[0:1], v[0:1], v[48:49]
	s_waitcnt vmcnt(18) lgkmcnt(7)
	v_mul_f64 v[48:49], v[204:205], v[122:123]
	v_fmac_f64_e32 v[48:49], v[206:207], v[120:121]
	ds_read_b128 v[220:223], v2 offset:1392
	ds_read_b128 v[224:227], v2 offset:1408
	v_add_f64 v[0:1], v[0:1], v[48:49]
	s_waitcnt vmcnt(17) lgkmcnt(4)
	v_mul_f64 v[48:49], v[208:209], v[134:135]
	v_fmac_f64_e32 v[48:49], v[210:211], v[132:133]
	s_waitcnt vmcnt(16) lgkmcnt(3)
	v_mul_f64 v[56:57], v[212:213], v[138:139]
	v_add_f64 v[0:1], v[0:1], v[48:49]
	v_fmac_f64_e32 v[56:57], v[214:215], v[136:137]
	s_waitcnt vmcnt(15) lgkmcnt(2)
	v_mul_f64 v[64:65], v[216:217], v[146:147]
	v_add_f64 v[0:1], v[0:1], v[56:57]
	v_fmac_f64_e32 v[64:65], v[218:219], v[144:145]
	v_add_f64 v[0:1], v[0:1], v[64:65]
	s_waitcnt vmcnt(14) lgkmcnt(1)
	v_mul_f64 v[64:65], v[220:221], v[150:151]
	v_fmac_f64_e32 v[64:65], v[222:223], v[148:149]
	v_add_f64 v[0:1], v[0:1], v[64:65]
	s_waitcnt vmcnt(13) lgkmcnt(0)
	v_mul_f64 v[64:65], v[224:225], v[158:159]
	v_fmac_f64_e32 v[64:65], v[226:227], v[156:157]
	s_waitcnt vmcnt(12)
	v_mul_f64 v[240:241], v[228:229], v[162:163]
	v_mul_f64 v[26:27], v[86:87], v[26:27]
	v_add_f64 v[0:1], v[0:1], v[64:65]
	v_fmac_f64_e32 v[240:241], v[230:231], v[160:161]
	v_fma_f64 v[250:251], v[84:85], v[24:25], -v[26:27]
	ds_read_b128 v[84:87], v2 offset:1488
	v_add_f64 v[0:1], v[0:1], v[240:241]
	s_waitcnt vmcnt(11)
	v_mul_f64 v[240:241], v[232:233], v[170:171]
	v_mul_f64 v[30:31], v[186:187], v[30:31]
	v_fmac_f64_e32 v[240:241], v[234:235], v[168:169]
	v_mul_f64 v[18:19], v[114:115], v[18:19]
	v_fma_f64 v[252:253], v[184:185], v[28:29], -v[30:31]
	scratch_load_dwordx4 v[64:67], off, off offset:672
	scratch_load_dwordx4 v[184:187], off, off offset:688
	v_add_f64 v[0:1], v[0:1], v[240:241]
	v_fma_f64 v[240:241], v[112:113], v[16:17], -v[18:19]
	s_waitcnt vmcnt(12)
	v_mul_f64 v[112:113], v[236:237], v[174:175]
	v_fmac_f64_e32 v[112:113], v[238:239], v[172:173]
	v_mul_f64 v[22:23], v[98:99], v[22:23]
	s_waitcnt vmcnt(11)
	v_mul_f64 v[28:29], v[244:245], v[198:199]
	v_mul_f64 v[38:39], v[106:107], v[38:39]
	v_add_f64 v[0:1], v[0:1], v[112:113]
	v_fma_f64 v[248:249], v[96:97], v[20:21], -v[22:23]
	v_fmac_f64_e32 v[28:29], v[246:247], v[196:197]
	v_fma_f64 v[44:45], v[104:105], v[36:37], -v[38:39]
	ds_read_b128 v[104:107], v2 offset:1520
	s_waitcnt vmcnt(10) lgkmcnt(1)
	v_mul_f64 v[96:97], v[84:85], v[6:7]
	v_add_f64 v[0:1], v[0:1], v[28:29]
	v_fmac_f64_e32 v[96:97], v[86:87], v[4:5]
	v_add_f64 v[0:1], v[0:1], v[96:97]
	ds_read_b128 v[96:99], v2 offset:1504
	ds_read_b128 v[112:115], v2 offset:1552
	v_accvgpr_write_b32 a155, v7
	v_accvgpr_write_b32 a154, v6
	;; [unrolled: 1-line block ×4, first 2 shown]
	scratch_load_dwordx4 v[56:59], off, off offset:704
	scratch_load_dwordx4 v[46:49], off, off offset:720
	v_mul_f64 v[6:7], v[190:191], v[42:43]
	v_fma_f64 v[36:37], v[188:189], v[40:41], -v[6:7]
	s_waitcnt vmcnt(11) lgkmcnt(1)
	v_mul_f64 v[40:41], v[96:97], v[14:15]
	v_mul_f64 v[34:35], v[142:143], v[34:35]
	v_fmac_f64_e32 v[40:41], v[98:99], v[12:13]
	v_mul_f64 v[42:43], v[166:167], v[10:11]
	v_fma_f64 v[242:243], v[140:141], v[32:33], -v[34:35]
	v_fma_f64 v[32:33], v[164:165], v[8:9], -v[42:43]
	v_add_f64 v[0:1], v[0:1], v[40:41]
	scratch_load_dwordx4 v[40:43], off, off offset:736
	s_waitcnt vmcnt(11)
	v_accvgpr_read_b32 v4, a124
	v_mul_f64 v[10:11], v[110:111], v[54:55]
	v_accvgpr_read_b32 v6, a126
	v_accvgpr_read_b32 v7, a127
	v_fma_f64 v[28:29], v[108:109], v[52:53], -v[10:11]
	v_accvgpr_read_b32 v5, a125
	v_mul_f64 v[108:109], v[104:105], v[6:7]
	v_fmac_f64_e32 v[108:109], v[106:107], v[4:5]
	v_accvgpr_write_b32 a159, v15
	scratch_load_dwordx4 v[52:55], off, off offset:752
	v_add_f64 v[0:1], v[0:1], v[108:109]
	v_mul_f64 v[62:63], v[202:203], v[62:63]
	ds_read_b128 v[108:111], v2 offset:1536
	v_accvgpr_write_b32 a158, v14
	v_accvgpr_write_b32 a157, v13
	;; [unrolled: 1-line block ×3, first 2 shown]
	v_fma_f64 v[24:25], v[200:201], v[60:61], -v[62:63]
	scratch_load_dwordx4 v[60:63], off, off offset:768
	v_mul_f64 v[14:15], v[194:195], v[70:71]
	v_fma_f64 v[20:21], v[192:193], v[68:69], -v[14:15]
	v_mul_f64 v[68:69], v[178:179], v[74:75]
	s_waitcnt vmcnt(12)
	v_accvgpr_read_b32 v4, a128
	v_fma_f64 v[16:17], v[176:177], v[72:73], -v[68:69]
	scratch_load_dwordx4 v[68:71], off, off offset:784
	v_accvgpr_read_b32 v6, a130
	v_accvgpr_read_b32 v7, a131
	;; [unrolled: 1-line block ×3, first 2 shown]
	s_waitcnt lgkmcnt(0)
	v_mul_f64 v[140:141], v[108:109], v[6:7]
	v_fmac_f64_e32 v[140:141], v[110:111], v[4:5]
	s_waitcnt vmcnt(12)
	v_accvgpr_read_b32 v4, a132
	v_accvgpr_read_b32 v6, a134
	;; [unrolled: 1-line block ×4, first 2 shown]
	v_mul_f64 v[18:19], v[112:113], v[6:7]
	scratch_load_dwordx4 v[72:75], off, off offset:800
	v_add_f64 v[0:1], v[0:1], v[140:141]
	v_fmac_f64_e32 v[18:19], v[114:115], v[4:5]
	v_add_f64 v[0:1], v[0:1], v[18:19]
	v_mul_f64 v[18:19], v[118:119], v[78:79]
	v_fma_f64 v[18:19], v[116:117], v[76:77], -v[18:19]
	ds_read_b128 v[116:119], v2 offset:1568
	v_mul_f64 v[76:77], v[126:127], v[82:83]
	v_fma_f64 v[14:15], v[124:125], v[80:81], -v[76:77]
	scratch_load_dwordx4 v[80:83], off, off offset:816
	scratch_load_dwordx4 v[76:79], off, off offset:832
	s_waitcnt vmcnt(14)
	v_accvgpr_read_b32 v4, a136
	v_mul_f64 v[22:23], v[182:183], v[90:91]
	v_accvgpr_read_b32 v6, a138
	v_accvgpr_read_b32 v7, a139
	v_fma_f64 v[22:23], v[180:181], v[88:89], -v[22:23]
	v_accvgpr_read_b32 v5, a137
	s_waitcnt lgkmcnt(0)
	v_mul_f64 v[88:89], v[116:117], v[6:7]
	v_fmac_f64_e32 v[88:89], v[118:119], v[4:5]
	v_add_f64 v[0:1], v[0:1], v[88:89]
	v_mul_f64 v[88:89], v[154:155], v[94:95]
	ds_read_b128 v[124:127], v2 offset:1584
	v_fma_f64 v[12:13], v[152:153], v[92:93], -v[88:89]
	scratch_load_dwordx4 v[92:95], off, off offset:848
	scratch_load_dwordx4 v[88:91], off, off offset:864
	s_waitcnt vmcnt(15)
	v_accvgpr_read_b32 v4, a140
	v_mul_f64 v[26:27], v[130:131], v[102:103]
	v_accvgpr_read_b32 v6, a142
	v_accvgpr_read_b32 v7, a143
	v_fma_f64 v[26:27], v[128:129], v[100:101], -v[26:27]
	v_accvgpr_read_b32 v5, a141
	s_waitcnt lgkmcnt(0)
	v_mul_f64 v[100:101], v[124:125], v[6:7]
	v_fmac_f64_e32 v[100:101], v[126:127], v[4:5]
	v_add_f64 v[0:1], v[0:1], v[100:101]
	v_mul_f64 v[100:101], v[206:207], v[122:123]
	v_fma_f64 v[10:11], v[204:205], v[120:121], -v[100:101]
	scratch_load_dwordx4 v[100:103], off, off offset:880
	ds_read_b128 v[128:131], v2 offset:1600
	ds_read_b128 v[120:123], v2 offset:1616
	s_waitcnt vmcnt(15)
	v_accvgpr_read_b32 v4, a144
	v_accvgpr_read_b32 v6, a146
	;; [unrolled: 1-line block ×4, first 2 shown]
	s_waitcnt lgkmcnt(1)
	v_mul_f64 v[30:31], v[128:129], v[6:7]
	v_fmac_f64_e32 v[30:31], v[130:131], v[4:5]
	v_add_f64 v[0:1], v[0:1], v[30:31]
	v_mul_f64 v[30:31], v[210:211], v[134:135]
	v_fma_f64 v[30:31], v[208:209], v[132:133], -v[30:31]
	ds_read_b128 v[132:135], v2 offset:1632
	v_mul_f64 v[138:139], v[214:215], v[138:139]
	s_waitcnt vmcnt(14)
	v_accvgpr_read_b32 v4, a148
	v_fma_f64 v[8:9], v[212:213], v[136:137], -v[138:139]
	ds_read_b128 v[136:139], v2 offset:1648
	v_accvgpr_read_b32 v6, a150
	v_accvgpr_read_b32 v7, a151
	;; [unrolled: 1-line block ×3, first 2 shown]
	s_waitcnt lgkmcnt(2)
	v_mul_f64 v[140:141], v[120:121], v[6:7]
	v_fmac_f64_e32 v[140:141], v[122:123], v[4:5]
	s_waitcnt vmcnt(13) lgkmcnt(1)
	v_mul_f64 v[34:35], v[132:133], v[66:67]
	s_waitcnt vmcnt(12)
	v_mov_b64_e32 v[4:5], v[184:185]
	v_add_f64 v[0:1], v[0:1], v[140:141]
	v_fmac_f64_e32 v[34:35], v[134:135], v[64:65]
	v_mov_b64_e32 v[6:7], v[186:187]
	v_add_f64 v[0:1], v[0:1], v[34:35]
	s_waitcnt lgkmcnt(0)
	v_mul_f64 v[34:35], v[136:137], v[6:7]
	v_fmac_f64_e32 v[34:35], v[138:139], v[4:5]
	ds_read_b128 v[140:143], v2 offset:1664
	v_add_f64 v[0:1], v[0:1], v[34:35]
	v_mul_f64 v[34:35], v[218:219], v[146:147]
	v_fma_f64 v[34:35], v[216:217], v[144:145], -v[34:35]
	ds_read_b128 v[144:147], v2 offset:1680
	v_mul_f64 v[150:151], v[222:223], v[150:151]
	v_fma_f64 v[6:7], v[220:221], v[148:149], -v[150:151]
	ds_read_b128 v[148:151], v2 offset:1696
	s_waitcnt vmcnt(11) lgkmcnt(2)
	v_mul_f64 v[152:153], v[140:141], v[58:59]
	v_fmac_f64_e32 v[152:153], v[142:143], v[56:57]
	s_waitcnt vmcnt(10) lgkmcnt(1)
	v_mul_f64 v[38:39], v[144:145], v[48:49]
	v_add_f64 v[0:1], v[0:1], v[152:153]
	v_fmac_f64_e32 v[38:39], v[146:147], v[46:47]
	v_add_f64 v[0:1], v[0:1], v[38:39]
	ds_read_b128 v[152:155], v2 offset:1712
	s_waitcnt vmcnt(9) lgkmcnt(1)
	v_mul_f64 v[38:39], v[148:149], v[42:43]
	v_fmac_f64_e32 v[38:39], v[150:151], v[40:41]
	v_add_f64 v[0:1], v[0:1], v[38:39]
	v_mul_f64 v[38:39], v[226:227], v[158:159]
	v_fma_f64 v[38:39], v[224:225], v[156:157], -v[38:39]
	ds_read_b128 v[156:159], v2 offset:1728
	v_mul_f64 v[162:163], v[230:231], v[162:163]
	v_fma_f64 v[4:5], v[228:229], v[160:161], -v[162:163]
	ds_read_b128 v[160:163], v2 offset:1744
	s_waitcnt vmcnt(8) lgkmcnt(2)
	v_mul_f64 v[164:165], v[152:153], v[54:55]
	v_fmac_f64_e32 v[164:165], v[154:155], v[52:53]
	s_waitcnt vmcnt(7) lgkmcnt(1)
	v_mul_f64 v[50:51], v[156:157], v[62:63]
	v_add_f64 v[0:1], v[0:1], v[164:165]
	v_fmac_f64_e32 v[50:51], v[158:159], v[60:61]
	v_add_f64 v[0:1], v[0:1], v[50:51]
	s_waitcnt vmcnt(6) lgkmcnt(0)
	v_mul_f64 v[50:51], v[160:161], v[70:71]
	ds_read_b128 v[164:167], v2 offset:1760
	v_fmac_f64_e32 v[50:51], v[162:163], v[68:69]
	v_add_f64 v[0:1], v[0:1], v[50:51]
	v_mul_f64 v[50:51], v[234:235], v[170:171]
	v_fma_f64 v[50:51], v[232:233], v[168:169], -v[50:51]
	ds_read_b128 v[168:171], v2 offset:1776
	s_waitcnt vmcnt(5) lgkmcnt(1)
	v_mul_f64 v[176:177], v[164:165], v[74:75]
	v_fmac_f64_e32 v[176:177], v[166:167], v[72:73]
	v_add_f64 v[176:177], v[0:1], v[176:177]
	v_mul_f64 v[0:1], v[238:239], v[174:175]
	v_fma_f64 v[0:1], v[236:237], v[172:173], -v[0:1]
	ds_read_b128 v[172:175], v2 offset:1792
	s_waitcnt vmcnt(4) lgkmcnt(1)
	v_mul_f64 v[178:179], v[168:169], v[82:83]
	v_accvgpr_write_b32 a160, v184
	v_fmac_f64_e32 v[178:179], v[170:171], v[80:81]
	v_accvgpr_write_b32 a161, v185
	v_accvgpr_write_b32 a162, v186
	;; [unrolled: 1-line block ×3, first 2 shown]
	v_add_f64 v[184:185], v[176:177], v[178:179]
	ds_read_b128 v[176:179], v2 offset:1808
	v_mul_f64 v[180:181], v[246:247], v[198:199]
	v_fma_f64 v[244:245], v[244:245], v[196:197], -v[180:181]
	ds_read_b128 v[180:183], v2 offset:1824
	ds_read_b128 v[192:195], v2 offset:1856
	s_waitcnt vmcnt(3) lgkmcnt(3)
	v_mul_f64 v[186:187], v[172:173], v[78:79]
	v_fmac_f64_e32 v[186:187], v[174:175], v[76:77]
	v_add_f64 v[184:185], v[184:185], v[186:187]
	s_waitcnt vmcnt(2) lgkmcnt(2)
	v_mul_f64 v[186:187], v[176:177], v[94:95]
	v_fmac_f64_e32 v[186:187], v[178:179], v[92:93]
	v_add_f64 v[184:185], v[184:185], v[186:187]
	;; [unrolled: 4-line block ×3, first 2 shown]
	ds_read_b128 v[184:187], v2 offset:1840
	ds_read_b128 v[200:203], v2 offset:1872
	scratch_load_dwordx4 v[232:235], off, off offset:976
	ds_read_b128 v[208:211], v2 offset:1888
	ds_read_b128 v[216:219], v2 offset:1904
	s_waitcnt vmcnt(1) lgkmcnt(3)
	v_mul_f64 v[190:191], v[184:185], v[102:103]
	v_fmac_f64_e32 v[190:191], v[186:187], v[100:101]
	v_add_f64 v[196:197], v[188:189], v[190:191]
	scratch_load_dwordx4 v[188:191], off, off offset:896
	ds_read_b128 v[224:227], v2 offset:1920
	s_waitcnt vmcnt(0)
	v_mul_f64 v[198:199], v[192:193], v[190:191]
	v_fmac_f64_e32 v[198:199], v[194:195], v[188:189]
	v_add_f64 v[204:205], v[196:197], v[198:199]
	scratch_load_dwordx4 v[196:199], off, off offset:912
	s_waitcnt vmcnt(0) lgkmcnt(3)
	v_mul_f64 v[206:207], v[200:201], v[198:199]
	v_fmac_f64_e32 v[206:207], v[202:203], v[196:197]
	v_add_f64 v[212:213], v[204:205], v[206:207]
	scratch_load_dwordx4 v[204:207], off, off offset:928
	s_waitcnt vmcnt(0) lgkmcnt(2)
	v_mul_f64 v[214:215], v[208:209], v[206:207]
	v_fmac_f64_e32 v[214:215], v[210:211], v[204:205]
	v_add_f64 v[220:221], v[212:213], v[214:215]
	scratch_load_dwordx4 v[212:215], off, off offset:944
	s_waitcnt vmcnt(0) lgkmcnt(1)
	v_mul_f64 v[222:223], v[216:217], v[214:215]
	v_fmac_f64_e32 v[222:223], v[218:219], v[212:213]
	v_add_f64 v[228:229], v[220:221], v[222:223]
	scratch_load_dwordx4 v[220:223], off, off offset:960
	s_waitcnt vmcnt(0) lgkmcnt(0)
	v_mul_f64 v[230:231], v[224:225], v[222:223]
	v_fmac_f64_e32 v[230:231], v[226:227], v[220:221]
	v_add_f64 v[236:237], v[228:229], v[230:231]
	ds_read_b128 v[228:231], v2 offset:1936
	s_waitcnt lgkmcnt(0)
	v_mul_f64 v[2:3], v[228:229], v[234:235]
	v_fmac_f64_e32 v[2:3], v[230:231], v[232:233]
	v_add_f64 v[2:3], v[236:237], v[2:3]
	v_add_f64 v[236:237], v[240:241], 0
	;; [unrolled: 1-line block ×14, first 2 shown]
	scratch_load_dwordx4 v[236:239], off, off offset:80
	v_add_f64 v[14:15], v[16:17], v[14:15]
	v_add_f64 v[14:15], v[14:15], v[22:23]
	;; [unrolled: 1-line block ×11, first 2 shown]
	v_accvgpr_read_b32 v6, a152
	v_accvgpr_read_b32 v8, a154
	;; [unrolled: 1-line block ×3, first 2 shown]
	v_add_f64 v[246:247], v[4:5], v[50:51]
	v_accvgpr_read_b32 v7, a153
	v_mul_f64 v[4:5], v[86:87], v[8:9]
	v_add_f64 v[0:1], v[246:247], v[0:1]
	v_fma_f64 v[4:5], v[84:85], v[6:7], -v[4:5]
	v_accvgpr_read_b32 v6, a156
	v_add_f64 v[0:1], v[0:1], v[244:245]
	v_accvgpr_read_b32 v8, a158
	v_accvgpr_read_b32 v9, a159
	v_add_f64 v[0:1], v[0:1], v[4:5]
	v_accvgpr_read_b32 v7, a157
	v_mul_f64 v[4:5], v[98:99], v[8:9]
	v_fma_f64 v[4:5], v[96:97], v[6:7], -v[4:5]
	v_accvgpr_read_b32 v6, a124
	v_accvgpr_read_b32 v8, a126
	v_accvgpr_read_b32 v9, a127
	v_add_f64 v[0:1], v[0:1], v[4:5]
	v_accvgpr_read_b32 v7, a125
	v_mul_f64 v[4:5], v[106:107], v[8:9]
	v_fma_f64 v[4:5], v[104:105], v[6:7], -v[4:5]
	v_accvgpr_read_b32 v6, a128
	;; [unrolled: 7-line block ×7, first 2 shown]
	v_accvgpr_read_b32 v8, a150
	v_accvgpr_read_b32 v9, a151
	v_add_f64 v[0:1], v[0:1], v[4:5]
	v_accvgpr_read_b32 v7, a149
	v_mul_f64 v[4:5], v[122:123], v[8:9]
	v_fma_f64 v[4:5], v[120:121], v[6:7], -v[4:5]
	v_add_f64 v[0:1], v[0:1], v[4:5]
	v_mul_f64 v[4:5], v[134:135], v[66:67]
	v_accvgpr_read_b32 v6, a160
	v_fma_f64 v[4:5], v[132:133], v[64:65], -v[4:5]
	v_accvgpr_read_b32 v8, a162
	v_accvgpr_read_b32 v9, a163
	v_add_f64 v[0:1], v[0:1], v[4:5]
	v_accvgpr_read_b32 v7, a161
	v_mul_f64 v[4:5], v[138:139], v[8:9]
	v_fma_f64 v[4:5], v[136:137], v[6:7], -v[4:5]
	v_add_f64 v[0:1], v[0:1], v[4:5]
	v_mul_f64 v[4:5], v[142:143], v[58:59]
	v_fma_f64 v[4:5], v[140:141], v[56:57], -v[4:5]
	v_add_f64 v[0:1], v[0:1], v[4:5]
	v_mul_f64 v[4:5], v[146:147], v[48:49]
	v_fma_f64 v[4:5], v[144:145], v[46:47], -v[4:5]
	v_add_f64 v[0:1], v[0:1], v[4:5]
	v_mul_f64 v[4:5], v[150:151], v[42:43]
	v_fma_f64 v[4:5], v[148:149], v[40:41], -v[4:5]
	v_add_f64 v[0:1], v[0:1], v[4:5]
	v_mul_f64 v[4:5], v[154:155], v[54:55]
	v_fma_f64 v[4:5], v[152:153], v[52:53], -v[4:5]
	v_add_f64 v[0:1], v[0:1], v[4:5]
	v_mul_f64 v[4:5], v[158:159], v[62:63]
	v_fma_f64 v[4:5], v[156:157], v[60:61], -v[4:5]
	v_add_f64 v[0:1], v[0:1], v[4:5]
	v_mul_f64 v[4:5], v[162:163], v[70:71]
	v_fma_f64 v[4:5], v[160:161], v[68:69], -v[4:5]
	v_add_f64 v[0:1], v[0:1], v[4:5]
	v_mul_f64 v[4:5], v[166:167], v[74:75]
	v_fma_f64 v[4:5], v[164:165], v[72:73], -v[4:5]
	v_add_f64 v[0:1], v[0:1], v[4:5]
	v_mul_f64 v[4:5], v[170:171], v[82:83]
	v_fma_f64 v[4:5], v[168:169], v[80:81], -v[4:5]
	v_add_f64 v[0:1], v[0:1], v[4:5]
	v_mul_f64 v[4:5], v[174:175], v[78:79]
	v_fma_f64 v[4:5], v[172:173], v[76:77], -v[4:5]
	v_add_f64 v[0:1], v[0:1], v[4:5]
	v_mul_f64 v[4:5], v[178:179], v[94:95]
	v_fma_f64 v[4:5], v[176:177], v[92:93], -v[4:5]
	v_add_f64 v[0:1], v[0:1], v[4:5]
	v_mul_f64 v[4:5], v[182:183], v[90:91]
	v_fma_f64 v[4:5], v[180:181], v[88:89], -v[4:5]
	v_add_f64 v[0:1], v[0:1], v[4:5]
	v_mul_f64 v[4:5], v[186:187], v[102:103]
	v_fma_f64 v[4:5], v[184:185], v[100:101], -v[4:5]
	v_add_f64 v[0:1], v[0:1], v[4:5]
	v_mul_f64 v[4:5], v[194:195], v[190:191]
	v_fma_f64 v[4:5], v[192:193], v[188:189], -v[4:5]
	v_add_f64 v[0:1], v[0:1], v[4:5]
	v_mul_f64 v[4:5], v[202:203], v[198:199]
	v_fma_f64 v[4:5], v[200:201], v[196:197], -v[4:5]
	v_add_f64 v[0:1], v[0:1], v[4:5]
	v_mul_f64 v[4:5], v[210:211], v[206:207]
	v_fma_f64 v[4:5], v[208:209], v[204:205], -v[4:5]
	v_add_f64 v[0:1], v[0:1], v[4:5]
	v_mul_f64 v[4:5], v[218:219], v[214:215]
	v_fma_f64 v[4:5], v[216:217], v[212:213], -v[4:5]
	v_add_f64 v[0:1], v[0:1], v[4:5]
	v_mul_f64 v[4:5], v[226:227], v[222:223]
	v_fma_f64 v[4:5], v[224:225], v[220:221], -v[4:5]
	v_add_f64 v[0:1], v[0:1], v[4:5]
	v_mul_f64 v[4:5], v[230:231], v[234:235]
	v_fma_f64 v[4:5], v[228:229], v[232:233], -v[4:5]
	v_add_f64 v[0:1], v[0:1], v[4:5]
	s_waitcnt vmcnt(0)
	v_add_f64 v[4:5], v[236:237], -v[0:1]
	v_add_f64 v[6:7], v[238:239], -v[2:3]
	scratch_store_dwordx4 off, v[4:7], off offset:80
	s_and_saveexec_b64 s[0:1], vcc
	s_cbranch_execz .LBB124_385
; %bb.384:
	scratch_load_dwordx4 v[2:5], off, s84
	v_mov_b32_e32 v6, 0
	v_mov_b32_e32 v7, v6
	;; [unrolled: 1-line block ×4, first 2 shown]
	v_accvgpr_read_b32 v0, a1
	scratch_store_dwordx4 off, v[6:9], off offset:64
	s_waitcnt vmcnt(1)
	ds_write_b128 v0, v[2:5]
.LBB124_385:
	s_or_b64 exec, exec, s[0:1]
	s_waitcnt lgkmcnt(0)
	; wave barrier
	scratch_load_dwordx4 v[24:27], off, off offset:80
	scratch_load_dwordx4 v[28:31], off, off offset:96
	;; [unrolled: 1-line block ×30, first 2 shown]
	v_mov_b32_e32 v2, 0
	ds_read_b128 v[80:83], v2 offset:1040
	ds_read_b128 v[96:99], v2 offset:1056
	;; [unrolled: 1-line block ×17, first 2 shown]
	scratch_load_dwordx4 a[132:135], off, off offset:592
	scratch_load_dwordx4 a[136:139], off, off offset:608
	ds_read_b128 v[224:227], v2 offset:1376
	ds_read_b128 v[228:231], v2 offset:1392
	;; [unrolled: 1-line block ×6, first 2 shown]
	scratch_load_dwordx4 a[140:143], off, off offset:624
	scratch_load_dwordx4 a[144:147], off, off offset:640
	ds_read_b128 v[250:253], v2 offset:1472
	scratch_load_dwordx4 a[148:151], off, off offset:656
	scratch_load_dwordx4 a[152:155], off, off offset:672
	v_cmp_lt_u32_e32 vcc, 2, v254
	scratch_load_dwordx4 a[128:131], off, off offset:576
	ds_read_b128 v[220:223], v2 offset:1360
	s_waitcnt vmcnt(36) lgkmcnt(14)
	v_mul_f64 v[0:1], v[80:81], v[26:27]
	s_waitcnt vmcnt(35)
	v_mul_f64 v[4:5], v[96:97], v[30:31]
	v_fmac_f64_e32 v[0:1], v[82:83], v[24:25]
	s_waitcnt vmcnt(34)
	v_mul_f64 v[6:7], v[100:101], v[34:35]
	v_fmac_f64_e32 v[4:5], v[98:99], v[28:29]
	v_add_f64 v[0:1], v[0:1], 0
	s_waitcnt vmcnt(33)
	v_mul_f64 v[8:9], v[104:105], v[38:39]
	v_fmac_f64_e32 v[6:7], v[102:103], v[32:33]
	v_add_f64 v[0:1], v[0:1], v[4:5]
	;; [unrolled: 4-line block ×5, first 2 shown]
	v_fmac_f64_e32 v[14:15], v[118:119], v[48:49]
	v_add_f64 v[0:1], v[0:1], v[12:13]
	v_add_f64 v[0:1], v[0:1], v[14:15]
	scratch_load_dwordx4 v[12:15], off, off offset:560
	s_waitcnt vmcnt(30)
	v_mul_f64 v[16:17], v[148:149], v[54:55]
	s_waitcnt vmcnt(29)
	v_mul_f64 v[18:19], v[160:161], v[58:59]
	v_fmac_f64_e32 v[16:17], v[150:151], v[52:53]
	s_waitcnt vmcnt(28)
	v_mul_f64 v[20:21], v[172:173], v[62:63]
	v_fmac_f64_e32 v[18:19], v[162:163], v[56:57]
	v_add_f64 v[0:1], v[0:1], v[16:17]
	s_waitcnt vmcnt(27)
	v_mul_f64 v[22:23], v[180:181], v[66:67]
	v_fmac_f64_e32 v[20:21], v[174:175], v[60:61]
	v_add_f64 v[0:1], v[0:1], v[18:19]
	s_waitcnt vmcnt(26) lgkmcnt(13)
	v_mul_f64 v[208:209], v[184:185], v[70:71]
	v_fmac_f64_e32 v[22:23], v[182:183], v[64:65]
	v_add_f64 v[0:1], v[0:1], v[20:21]
	s_waitcnt vmcnt(25) lgkmcnt(12)
	v_mul_f64 v[210:211], v[188:189], v[74:75]
	v_fmac_f64_e32 v[208:209], v[186:187], v[68:69]
	v_add_f64 v[0:1], v[0:1], v[22:23]
	s_waitcnt vmcnt(24) lgkmcnt(11)
	v_mul_f64 v[212:213], v[192:193], v[78:79]
	v_fmac_f64_e32 v[210:211], v[190:191], v[72:73]
	v_add_f64 v[0:1], v[0:1], v[208:209]
	s_waitcnt vmcnt(23) lgkmcnt(10)
	v_mul_f64 v[214:215], v[196:197], v[86:87]
	v_fmac_f64_e32 v[212:213], v[194:195], v[76:77]
	v_add_f64 v[0:1], v[0:1], v[210:211]
	ds_read_b128 v[208:211], v2 offset:1312
	v_fmac_f64_e32 v[214:215], v[198:199], v[84:85]
	v_add_f64 v[0:1], v[0:1], v[212:213]
	s_waitcnt vmcnt(22) lgkmcnt(10)
	v_mul_f64 v[216:217], v[200:201], v[90:91]
	v_add_f64 v[0:1], v[0:1], v[214:215]
	ds_read_b128 v[212:215], v2 offset:1328
	v_fmac_f64_e32 v[216:217], v[202:203], v[88:89]
	s_waitcnt vmcnt(21) lgkmcnt(10)
	v_mul_f64 v[4:5], v[204:205], v[94:95]
	v_add_f64 v[0:1], v[0:1], v[216:217]
	v_fmac_f64_e32 v[4:5], v[206:207], v[92:93]
	ds_read_b128 v[216:219], v2 offset:1344
	v_add_f64 v[0:1], v[0:1], v[4:5]
	s_waitcnt vmcnt(20) lgkmcnt(2)
	v_mul_f64 v[4:5], v[208:209], v[122:123]
	v_fmac_f64_e32 v[4:5], v[210:211], v[120:121]
	v_add_f64 v[0:1], v[0:1], v[4:5]
	s_waitcnt vmcnt(19) lgkmcnt(1)
	v_mul_f64 v[4:5], v[212:213], v[126:127]
	v_fmac_f64_e32 v[4:5], v[214:215], v[124:125]
	v_add_f64 v[0:1], v[0:1], v[4:5]
	s_waitcnt vmcnt(18) lgkmcnt(0)
	v_mul_f64 v[4:5], v[216:217], v[130:131]
	v_fmac_f64_e32 v[4:5], v[218:219], v[128:129]
	v_add_f64 v[0:1], v[0:1], v[4:5]
	s_waitcnt vmcnt(17)
	v_mul_f64 v[4:5], v[220:221], v[134:135]
	v_fmac_f64_e32 v[4:5], v[222:223], v[132:133]
	v_add_f64 v[0:1], v[0:1], v[4:5]
	s_waitcnt vmcnt(16)
	v_mul_f64 v[4:5], v[224:225], v[138:139]
	v_fmac_f64_e32 v[4:5], v[226:227], v[136:137]
	;; [unrolled: 4-line block ×3, first 2 shown]
	v_add_f64 v[0:1], v[0:1], v[4:5]
	v_mul_f64 v[4:5], v[82:83], v[26:27]
	v_fma_f64 v[240:241], v[80:81], v[24:25], -v[4:5]
	s_waitcnt vmcnt(14)
	v_mul_f64 v[4:5], v[232:233], v[146:147]
	v_fmac_f64_e32 v[4:5], v[234:235], v[144:145]
	v_add_f64 v[0:1], v[0:1], v[4:5]
	s_waitcnt vmcnt(13)
	v_mul_f64 v[4:5], v[236:237], v[154:155]
	v_fmac_f64_e32 v[4:5], v[238:239], v[152:153]
	v_add_f64 v[0:1], v[0:1], v[4:5]
	;; [unrolled: 4-line block ×3, first 2 shown]
	v_mul_f64 v[4:5], v[98:99], v[30:31]
	v_fma_f64 v[80:81], v[96:97], v[28:29], -v[4:5]
	v_mul_f64 v[4:5], v[102:103], v[34:35]
	v_fma_f64 v[32:33], v[100:101], v[32:33], -v[4:5]
	;; [unrolled: 2-line block ×3, first 2 shown]
	s_waitcnt vmcnt(11)
	v_mul_f64 v[4:5], v[246:247], v[166:167]
	v_fmac_f64_e32 v[4:5], v[248:249], v[164:165]
	v_mul_f64 v[36:37], v[114:115], v[46:47]
	v_add_f64 v[0:1], v[0:1], v[4:5]
	v_fma_f64 v[20:21], v[112:113], v[44:45], -v[36:37]
	ds_read_b128 v[34:37], v2 offset:1504
	s_waitcnt vmcnt(10)
	v_mul_f64 v[4:5], v[250:251], v[170:171]
	v_fmac_f64_e32 v[4:5], v[252:253], v[168:169]
	v_add_f64 v[0:1], v[0:1], v[4:5]
	v_mul_f64 v[4:5], v[110:111], v[42:43]
	v_fma_f64 v[24:25], v[108:109], v[40:41], -v[4:5]
	ds_read_b128 v[4:7], v2 offset:1488
	ds_read_b128 v[96:99], v2 offset:1520
	scratch_load_dwordx4 v[40:43], off, off offset:688
	s_waitcnt vmcnt(9)
	v_accvgpr_read_b32 v8, a124
	v_mul_f64 v[18:19], v[118:119], v[50:51]
	s_waitcnt lgkmcnt(1)
	v_mul_f64 v[44:45], v[4:5], v[178:179]
	v_fmac_f64_e32 v[44:45], v[6:7], v[176:177]
	v_add_f64 v[0:1], v[0:1], v[44:45]
	v_accvgpr_read_b32 v10, a126
	v_accvgpr_read_b32 v11, a127
	v_mul_f64 v[44:45], v[150:151], v[54:55]
	v_fma_f64 v[18:19], v[116:117], v[48:49], -v[18:19]
	v_accvgpr_read_b32 v9, a125
	v_mul_f64 v[48:49], v[34:35], v[10:11]
	v_fma_f64 v[16:17], v[148:149], v[52:53], -v[44:45]
	scratch_load_dwordx4 v[44:47], off, off offset:704
	v_fmac_f64_e32 v[48:49], v[36:37], v[8:9]
	v_add_f64 v[0:1], v[0:1], v[48:49]
	scratch_load_dwordx4 v[48:51], off, off offset:720
	v_mul_f64 v[52:53], v[174:175], v[62:63]
	ds_read_b128 v[100:103], v2 offset:1536
	ds_read_b128 v[104:107], v2 offset:1552
	s_waitcnt vmcnt(3)
	v_mov_b64_e32 v[8:9], v[12:13]
	v_mul_f64 v[22:23], v[162:163], v[58:59]
	v_fma_f64 v[172:173], v[172:173], v[60:61], -v[52:53]
	scratch_load_dwordx4 v[52:55], off, off offset:736
	v_mov_b64_e32 v[10:11], v[14:15]
	v_fma_f64 v[22:23], v[160:161], v[56:57], -v[22:23]
	s_waitcnt lgkmcnt(2)
	v_mul_f64 v[56:57], v[96:97], v[10:11]
	v_fmac_f64_e32 v[56:57], v[98:99], v[8:9]
	v_accvgpr_read_b32 v8, a128
	v_accvgpr_read_b32 v10, a130
	;; [unrolled: 1-line block ×3, first 2 shown]
	v_add_f64 v[0:1], v[0:1], v[56:57]
	v_mul_f64 v[56:57], v[182:183], v[66:67]
	v_accvgpr_read_b32 v9, a129
	s_waitcnt lgkmcnt(1)
	v_mul_f64 v[60:61], v[100:101], v[10:11]
	v_fma_f64 v[174:175], v[180:181], v[64:65], -v[56:57]
	scratch_load_dwordx4 v[56:59], off, off offset:752
	v_fmac_f64_e32 v[60:61], v[102:103], v[8:9]
	v_add_f64 v[0:1], v[0:1], v[60:61]
	v_mul_f64 v[60:61], v[186:187], v[70:71]
	v_fma_f64 v[180:181], v[184:185], v[68:69], -v[60:61]
	scratch_load_dwordx4 v[60:63], off, off offset:768
	v_mul_f64 v[64:65], v[190:191], v[74:75]
	v_fma_f64 v[182:183], v[188:189], v[72:73], -v[64:65]
	scratch_load_dwordx4 v[64:67], off, off offset:784
	ds_read_b128 v[108:111], v2 offset:1568
	v_accvgpr_read_b32 v8, a132
	v_accvgpr_read_b32 v10, a134
	;; [unrolled: 1-line block ×4, first 2 shown]
	s_waitcnt lgkmcnt(1)
	v_mul_f64 v[72:73], v[104:105], v[10:11]
	v_mul_f64 v[68:69], v[194:195], v[78:79]
	v_fmac_f64_e32 v[72:73], v[106:107], v[8:9]
	v_accvgpr_read_b32 v8, a136
	v_fma_f64 v[184:185], v[192:193], v[76:77], -v[68:69]
	scratch_load_dwordx4 v[68:71], off, off offset:800
	v_accvgpr_read_b32 v10, a138
	v_accvgpr_read_b32 v11, a139
	v_add_f64 v[0:1], v[0:1], v[72:73]
	v_mul_f64 v[72:73], v[198:199], v[86:87]
	v_accvgpr_read_b32 v9, a137
	s_waitcnt lgkmcnt(0)
	v_mul_f64 v[76:77], v[108:109], v[10:11]
	v_fma_f64 v[186:187], v[196:197], v[84:85], -v[72:73]
	v_fmac_f64_e32 v[76:77], v[110:111], v[8:9]
	scratch_load_dwordx4 v[72:75], off, off offset:816
	v_accvgpr_write_b32 a159, v15
	v_add_f64 v[0:1], v[0:1], v[76:77]
	v_mul_f64 v[76:77], v[202:203], v[90:91]
	v_accvgpr_write_b32 a158, v14
	v_accvgpr_write_b32 a157, v13
	;; [unrolled: 1-line block ×3, first 2 shown]
	v_fma_f64 v[14:15], v[200:201], v[88:89], -v[76:77]
	scratch_load_dwordx4 v[76:79], off, off offset:832
	ds_read_b128 v[116:119], v2 offset:1584
	ds_read_b128 v[112:115], v2 offset:1600
	scratch_load_dwordx4 v[88:91], off, off offset:848
	v_mul_f64 v[84:85], v[210:211], v[122:123]
	v_fma_f64 v[12:13], v[208:209], v[120:121], -v[84:85]
	scratch_load_dwordx4 v[84:87], off, off offset:864
	v_mul_f64 v[26:27], v[206:207], v[94:95]
	v_fma_f64 v[26:27], v[204:205], v[92:93], -v[26:27]
	scratch_load_dwordx4 v[92:95], off, off offset:880
	v_accvgpr_read_b32 v8, a140
	v_accvgpr_read_b32 v10, a142
	;; [unrolled: 1-line block ×4, first 2 shown]
	s_waitcnt lgkmcnt(1)
	v_mul_f64 v[30:31], v[116:117], v[10:11]
	v_fmac_f64_e32 v[30:31], v[118:119], v[8:9]
	v_add_f64 v[0:1], v[0:1], v[30:31]
	v_mul_f64 v[30:31], v[214:215], v[126:127]
	v_mul_f64 v[120:121], v[218:219], v[130:131]
	v_fma_f64 v[30:31], v[212:213], v[124:125], -v[30:31]
	v_fma_f64 v[10:11], v[216:217], v[128:129], -v[120:121]
	ds_read_b128 v[120:123], v2 offset:1616
	v_accvgpr_read_b32 v124, a144
	v_accvgpr_read_b32 v126, a146
	;; [unrolled: 1-line block ×4, first 2 shown]
	s_waitcnt lgkmcnt(1)
	v_mul_f64 v[82:83], v[112:113], v[126:127]
	v_fmac_f64_e32 v[82:83], v[114:115], v[124:125]
	ds_read_b128 v[124:127], v2 offset:1632
	v_accvgpr_read_b32 v128, a148
	v_accvgpr_read_b32 v130, a150
	;; [unrolled: 1-line block ×3, first 2 shown]
	v_add_f64 v[0:1], v[0:1], v[82:83]
	v_accvgpr_read_b32 v129, a149
	s_waitcnt lgkmcnt(1)
	v_mul_f64 v[82:83], v[120:121], v[130:131]
	v_fmac_f64_e32 v[82:83], v[122:123], v[128:129]
	v_accvgpr_read_b32 v148, a152
	v_add_f64 v[0:1], v[0:1], v[82:83]
	v_mul_f64 v[82:83], v[222:223], v[134:135]
	ds_read_b128 v[128:131], v2 offset:1648
	v_accvgpr_read_b32 v150, a154
	v_accvgpr_read_b32 v151, a155
	v_fma_f64 v[82:83], v[220:221], v[132:133], -v[82:83]
	v_accvgpr_read_b32 v149, a153
	s_waitcnt lgkmcnt(1)
	v_mul_f64 v[132:133], v[124:125], v[150:151]
	v_fmac_f64_e32 v[132:133], v[126:127], v[148:149]
	v_add_f64 v[0:1], v[0:1], v[132:133]
	v_mul_f64 v[132:133], v[226:227], v[138:139]
	v_fma_f64 v[8:9], v[224:225], v[136:137], -v[132:133]
	ds_read_b128 v[132:135], v2 offset:1664
	s_waitcnt vmcnt(12) lgkmcnt(1)
	v_mul_f64 v[38:39], v[128:129], v[42:43]
	v_fmac_f64_e32 v[38:39], v[130:131], v[40:41]
	ds_read_b128 v[136:139], v2 offset:1680
	v_add_f64 v[0:1], v[0:1], v[38:39]
	v_mul_f64 v[38:39], v[230:231], v[142:143]
	v_fma_f64 v[38:39], v[228:229], v[140:141], -v[38:39]
	ds_read_b128 v[140:143], v2 offset:1696
	s_waitcnt vmcnt(11) lgkmcnt(2)
	v_mul_f64 v[148:149], v[132:133], v[46:47]
	v_fmac_f64_e32 v[148:149], v[134:135], v[44:45]
	v_add_f64 v[0:1], v[0:1], v[148:149]
	s_waitcnt vmcnt(10) lgkmcnt(1)
	v_mul_f64 v[148:149], v[136:137], v[50:51]
	v_fmac_f64_e32 v[148:149], v[138:139], v[48:49]
	v_mul_f64 v[146:147], v[234:235], v[146:147]
	v_add_f64 v[0:1], v[0:1], v[148:149]
	v_fma_f64 v[228:229], v[232:233], v[144:145], -v[146:147]
	ds_read_b128 v[144:147], v2 offset:1712
	s_waitcnt vmcnt(9) lgkmcnt(1)
	v_mul_f64 v[148:149], v[140:141], v[54:55]
	v_fmac_f64_e32 v[148:149], v[142:143], v[52:53]
	v_add_f64 v[0:1], v[0:1], v[148:149]
	ds_read_b128 v[148:151], v2 offset:1728
	v_mul_f64 v[154:155], v[238:239], v[154:155]
	v_fma_f64 v[230:231], v[236:237], v[152:153], -v[154:155]
	ds_read_b128 v[152:155], v2 offset:1744
	s_waitcnt vmcnt(8) lgkmcnt(2)
	v_mul_f64 v[160:161], v[144:145], v[58:59]
	v_fmac_f64_e32 v[160:161], v[146:147], v[56:57]
	v_add_f64 v[0:1], v[0:1], v[160:161]
	s_waitcnt vmcnt(7) lgkmcnt(1)
	v_mul_f64 v[160:161], v[148:149], v[62:63]
	v_fmac_f64_e32 v[160:161], v[150:151], v[60:61]
	v_mul_f64 v[158:159], v[244:245], v[158:159]
	v_fma_f64 v[234:235], v[242:243], v[156:157], -v[158:159]
	ds_read_b128 v[156:159], v2 offset:1760
	v_add_f64 v[0:1], v[0:1], v[160:161]
	s_waitcnt vmcnt(6) lgkmcnt(1)
	v_mul_f64 v[160:161], v[152:153], v[66:67]
	v_fmac_f64_e32 v[160:161], v[154:155], v[64:65]
	v_add_f64 v[0:1], v[0:1], v[160:161]
	ds_read_b128 v[160:163], v2 offset:1776
	v_mul_f64 v[166:167], v[248:249], v[166:167]
	v_fma_f64 v[236:237], v[246:247], v[164:165], -v[166:167]
	ds_read_b128 v[164:167], v2 offset:1792
	v_mul_f64 v[170:171], v[252:253], v[170:171]
	s_waitcnt vmcnt(5) lgkmcnt(2)
	v_mul_f64 v[188:189], v[156:157], v[70:71]
	v_fma_f64 v[238:239], v[250:251], v[168:169], -v[170:171]
	ds_read_b128 v[168:171], v2 offset:1808
	ds_read_b128 v[246:249], v2 offset:1824
	v_fmac_f64_e32 v[188:189], v[158:159], v[68:69]
	v_add_f64 v[0:1], v[0:1], v[188:189]
	s_waitcnt vmcnt(4) lgkmcnt(3)
	v_mul_f64 v[188:189], v[160:161], v[74:75]
	v_fmac_f64_e32 v[188:189], v[162:163], v[72:73]
	v_mul_f64 v[6:7], v[6:7], v[178:179]
	v_add_f64 v[0:1], v[0:1], v[188:189]
	s_waitcnt vmcnt(3) lgkmcnt(2)
	v_mul_f64 v[188:189], v[164:165], v[78:79]
	v_fma_f64 v[242:243], v[4:5], v[176:177], -v[6:7]
	ds_read_b128 v[176:179], v2 offset:1840
	ds_read_b128 v[250:253], v2 offset:1856
	v_fmac_f64_e32 v[188:189], v[166:167], v[76:77]
	s_waitcnt vmcnt(2) lgkmcnt(3)
	v_mul_f64 v[4:5], v[168:169], v[90:91]
	v_add_f64 v[0:1], v[0:1], v[188:189]
	v_fmac_f64_e32 v[4:5], v[170:171], v[88:89]
	v_add_f64 v[0:1], v[0:1], v[4:5]
	s_waitcnt vmcnt(1) lgkmcnt(2)
	v_mul_f64 v[4:5], v[246:247], v[86:87]
	v_fmac_f64_e32 v[4:5], v[248:249], v[84:85]
	v_add_f64 v[0:1], v[0:1], v[4:5]
	s_waitcnt vmcnt(0) lgkmcnt(1)
	v_mul_f64 v[4:5], v[176:177], v[94:95]
	v_fmac_f64_e32 v[4:5], v[178:179], v[92:93]
	v_add_f64 v[0:1], v[0:1], v[4:5]
	scratch_load_dwordx4 v[4:7], off, off offset:896
	ds_read_b128 v[192:195], v2 offset:1872
	ds_read_b128 v[200:203], v2 offset:1888
	;; [unrolled: 1-line block ×5, first 2 shown]
	s_waitcnt vmcnt(0) lgkmcnt(5)
	v_mul_f64 v[188:189], v[250:251], v[6:7]
	v_fmac_f64_e32 v[188:189], v[252:253], v[4:5]
	v_add_f64 v[0:1], v[0:1], v[188:189]
	scratch_load_dwordx4 v[188:191], off, off offset:912
	v_mul_f64 v[6:7], v[252:253], v[6:7]
	v_fma_f64 v[4:5], v[250:251], v[4:5], -v[6:7]
	s_waitcnt vmcnt(0) lgkmcnt(4)
	v_mul_f64 v[196:197], v[192:193], v[190:191]
	v_fmac_f64_e32 v[196:197], v[194:195], v[188:189]
	v_add_f64 v[0:1], v[0:1], v[196:197]
	scratch_load_dwordx4 v[196:199], off, off offset:928
	s_waitcnt vmcnt(0) lgkmcnt(3)
	v_mul_f64 v[204:205], v[200:201], v[198:199]
	v_fmac_f64_e32 v[204:205], v[202:203], v[196:197]
	v_add_f64 v[0:1], v[0:1], v[204:205]
	scratch_load_dwordx4 v[204:207], off, off offset:944
	;; [unrolled: 5-line block ×4, first 2 shown]
	s_waitcnt vmcnt(0) lgkmcnt(0)
	v_mul_f64 v[232:233], v[224:225], v[222:223]
	v_fmac_f64_e32 v[232:233], v[226:227], v[220:221]
	v_add_f64 v[232:233], v[0:1], v[232:233]
	v_add_f64 v[0:1], v[240:241], 0
	;; [unrolled: 1-line block ×26, first 2 shown]
	scratch_load_dwordx4 v[228:231], off, off offset:64
	v_accvgpr_read_b32 v10, a124
	v_add_f64 v[0:1], v[244:245], v[234:235]
	v_accvgpr_read_b32 v12, a126
	v_accvgpr_read_b32 v13, a127
	v_add_f64 v[0:1], v[0:1], v[236:237]
	v_accvgpr_read_b32 v11, a125
	v_mul_f64 v[8:9], v[36:37], v[12:13]
	v_add_f64 v[0:1], v[0:1], v[238:239]
	v_fma_f64 v[8:9], v[34:35], v[10:11], -v[8:9]
	v_accvgpr_read_b32 v10, a156
	v_add_f64 v[0:1], v[0:1], v[242:243]
	v_accvgpr_read_b32 v12, a158
	v_accvgpr_read_b32 v13, a159
	v_add_f64 v[0:1], v[0:1], v[8:9]
	v_accvgpr_read_b32 v11, a157
	v_mul_f64 v[8:9], v[98:99], v[12:13]
	v_fma_f64 v[8:9], v[96:97], v[10:11], -v[8:9]
	v_accvgpr_read_b32 v10, a128
	v_accvgpr_read_b32 v12, a130
	v_accvgpr_read_b32 v13, a131
	v_add_f64 v[0:1], v[0:1], v[8:9]
	v_accvgpr_read_b32 v11, a129
	v_mul_f64 v[8:9], v[102:103], v[12:13]
	v_fma_f64 v[8:9], v[100:101], v[10:11], -v[8:9]
	v_accvgpr_read_b32 v10, a132
	;; [unrolled: 7-line block ×7, first 2 shown]
	v_accvgpr_read_b32 v12, a154
	v_accvgpr_read_b32 v13, a155
	v_add_f64 v[0:1], v[0:1], v[8:9]
	v_accvgpr_read_b32 v11, a153
	v_mul_f64 v[8:9], v[126:127], v[12:13]
	v_fma_f64 v[8:9], v[124:125], v[10:11], -v[8:9]
	v_add_f64 v[0:1], v[0:1], v[8:9]
	v_mul_f64 v[8:9], v[130:131], v[42:43]
	v_fma_f64 v[8:9], v[128:129], v[40:41], -v[8:9]
	v_add_f64 v[0:1], v[0:1], v[8:9]
	;; [unrolled: 3-line block ×14, first 2 shown]
	v_add_f64 v[0:1], v[0:1], v[4:5]
	v_mul_f64 v[4:5], v[194:195], v[190:191]
	v_fma_f64 v[4:5], v[192:193], v[188:189], -v[4:5]
	v_add_f64 v[0:1], v[0:1], v[4:5]
	v_mul_f64 v[4:5], v[202:203], v[198:199]
	v_fma_f64 v[4:5], v[200:201], v[196:197], -v[4:5]
	;; [unrolled: 3-line block ×5, first 2 shown]
	v_add_f64 v[0:1], v[0:1], v[4:5]
	s_waitcnt vmcnt(0)
	v_add_f64 v[4:5], v[228:229], -v[0:1]
	v_add_f64 v[6:7], v[230:231], -v[232:233]
	scratch_store_dwordx4 off, v[4:7], off offset:64
	s_and_saveexec_b64 s[0:1], vcc
	s_cbranch_execz .LBB124_387
; %bb.386:
	scratch_load_dwordx4 v[6:9], off, s85
	v_mov_b32_e32 v3, v2
	v_mov_b32_e32 v4, v2
	;; [unrolled: 1-line block ×3, first 2 shown]
	v_accvgpr_read_b32 v0, a1
	scratch_store_dwordx4 off, v[2:5], off offset:48
	s_waitcnt vmcnt(1)
	ds_write_b128 v0, v[6:9]
.LBB124_387:
	s_or_b64 exec, exec, s[0:1]
	s_waitcnt lgkmcnt(0)
	; wave barrier
	scratch_load_dwordx4 v[8:11], off, off offset:64
	scratch_load_dwordx4 v[4:7], off, off offset:80
	;; [unrolled: 1-line block ×17, first 2 shown]
	ds_read_b128 v[180:183], v2 offset:1024
	ds_read_b128 v[108:111], v2 offset:1040
	scratch_load_dwordx4 v[92:95], off, off offset:336
	ds_read_b128 v[184:187], v2 offset:1056
	ds_read_b128 v[172:175], v2 offset:1072
	;; [unrolled: 1-line block ×5, first 2 shown]
	scratch_load_dwordx4 v[100:103], off, off offset:352
	ds_read_b128 v[160:163], v2 offset:1136
	ds_read_b128 v[128:131], v2 offset:1152
	scratch_load_dwordx4 v[116:119], off, off offset:368
	ds_read_b128 v[196:199], v2 offset:1168
	ds_read_b128 v[176:179], v2 offset:1184
	;; [unrolled: 1-line block ×5, first 2 shown]
	scratch_load_dwordx4 v[124:127], off, off offset:384
	ds_read_b128 v[168:171], v2 offset:1248
	ds_read_b128 v[156:159], v2 offset:1264
	;; [unrolled: 1-line block ×3, first 2 shown]
	scratch_load_dwordx4 v[136:139], off, off offset:400
	scratch_load_dwordx4 v[140:143], off, off offset:416
	scratch_load_dwordx4 v[144:147], off, off offset:432
	scratch_load_dwordx4 v[152:155], off, off offset:448
	scratch_load_dwordx4 v[188:191], off, off offset:464
	scratch_load_dwordx4 v[192:195], off, off offset:480
	scratch_load_dwordx4 v[200:203], off, off offset:496
	scratch_load_dwordx4 v[204:207], off, off offset:512
	scratch_load_dwordx4 a[124:127], off, off offset:528
	ds_read_b128 v[208:211], v2 offset:1296
	scratch_load_dwordx4 a[132:135], off, off offset:576
	scratch_load_dwordx4 a[136:139], off, off offset:592
	ds_read_b128 v[232:235], v2 offset:1392
	ds_read_b128 v[236:239], v2 offset:1408
	scratch_load_dwordx4 a[140:143], off, off offset:608
	scratch_load_dwordx4 a[144:147], off, off offset:640
	;; [unrolled: 1-line block ×4, first 2 shown]
	v_cmp_lt_u32_e32 vcc, 1, v254
	ds_read_b128 v[242:245], v2 offset:1440
	ds_read_b128 v[228:231], v2 offset:1376
	scratch_load_dwordx4 a[128:131], off, off offset:560
	s_waitcnt vmcnt(36) lgkmcnt(14)
	v_mul_f64 v[0:1], v[180:181], v[10:11]
	s_waitcnt vmcnt(35)
	v_mul_f64 v[56:57], v[108:109], v[6:7]
	v_fmac_f64_e32 v[0:1], v[182:183], v[8:9]
	s_waitcnt vmcnt(34)
	v_mul_f64 v[58:59], v[184:185], v[40:41]
	v_fmac_f64_e32 v[56:57], v[110:111], v[4:5]
	v_add_f64 v[0:1], v[0:1], 0
	s_waitcnt vmcnt(33)
	v_mul_f64 v[60:61], v[172:173], v[36:37]
	v_fmac_f64_e32 v[58:59], v[186:187], v[38:39]
	v_add_f64 v[0:1], v[0:1], v[56:57]
	;; [unrolled: 4-line block ×6, first 2 shown]
	s_waitcnt vmcnt(28) lgkmcnt(13)
	v_mul_f64 v[74:75], v[128:129], v[18:19]
	v_fmac_f64_e32 v[72:73], v[162:163], v[22:23]
	v_add_f64 v[0:1], v[0:1], v[70:71]
	s_waitcnt vmcnt(27) lgkmcnt(12)
	v_mul_f64 v[212:213], v[196:197], v[44:45]
	v_fmac_f64_e32 v[74:75], v[130:131], v[16:17]
	v_add_f64 v[0:1], v[0:1], v[72:73]
	;; [unrolled: 4-line block ×8, first 2 shown]
	v_fmac_f64_e32 v[224:225], v[158:159], v[84:85]
	v_add_f64 v[0:1], v[0:1], v[222:223]
	s_waitcnt vmcnt(20) lgkmcnt(5)
	v_mul_f64 v[56:57], v[132:133], v[90:91]
	v_add_f64 v[0:1], v[0:1], v[224:225]
	v_fmac_f64_e32 v[56:57], v[134:135], v[88:89]
	v_add_f64 v[0:1], v[0:1], v[56:57]
	ds_read_b128 v[212:215], v2 offset:1312
	s_waitcnt vmcnt(19) lgkmcnt(5)
	v_mul_f64 v[56:57], v[208:209], v[94:95]
	v_fmac_f64_e32 v[56:57], v[210:211], v[92:93]
	v_add_f64 v[0:1], v[0:1], v[56:57]
	scratch_load_dwordx4 v[56:59], off, off offset:544
	ds_read_b128 v[216:219], v2 offset:1328
	ds_read_b128 v[220:223], v2 offset:1344
	s_waitcnt vmcnt(19) lgkmcnt(2)
	v_mul_f64 v[60:61], v[212:213], v[102:103]
	ds_read_b128 v[224:227], v2 offset:1360
	v_fmac_f64_e32 v[60:61], v[214:215], v[100:101]
	s_waitcnt vmcnt(18) lgkmcnt(2)
	v_mul_f64 v[68:69], v[216:217], v[118:119]
	v_add_f64 v[0:1], v[0:1], v[60:61]
	v_fmac_f64_e32 v[68:69], v[218:219], v[116:117]
	v_add_f64 v[0:1], v[0:1], v[68:69]
	s_waitcnt vmcnt(17) lgkmcnt(1)
	v_mul_f64 v[68:69], v[220:221], v[126:127]
	v_fmac_f64_e32 v[68:69], v[222:223], v[124:125]
	v_add_f64 v[0:1], v[0:1], v[68:69]
	s_waitcnt vmcnt(16) lgkmcnt(0)
	v_mul_f64 v[68:69], v[224:225], v[138:139]
	v_mul_f64 v[10:11], v[182:183], v[10:11]
	v_fmac_f64_e32 v[68:69], v[226:227], v[136:137]
	s_waitcnt vmcnt(15)
	v_mul_f64 v[72:73], v[228:229], v[142:143]
	v_fma_f64 v[240:241], v[180:181], v[8:9], -v[10:11]
	ds_read_b128 v[180:183], v2 offset:1424
	v_add_f64 v[0:1], v[0:1], v[68:69]
	v_fmac_f64_e32 v[72:73], v[230:231], v[140:141]
	s_waitcnt vmcnt(14)
	v_mul_f64 v[8:9], v[232:233], v[146:147]
	v_add_f64 v[0:1], v[0:1], v[72:73]
	v_fmac_f64_e32 v[8:9], v[234:235], v[144:145]
	v_mul_f64 v[12:13], v[186:187], v[40:41]
	v_add_f64 v[0:1], v[0:1], v[8:9]
	s_waitcnt vmcnt(13)
	v_mul_f64 v[8:9], v[236:237], v[154:155]
	v_fma_f64 v[252:253], v[184:185], v[38:39], -v[12:13]
	v_mul_f64 v[12:13], v[174:175], v[36:37]
	v_fmac_f64_e32 v[8:9], v[238:239], v[152:153]
	ds_read_b128 v[184:187], v2 offset:1456
	v_fma_f64 v[46:47], v[172:173], v[34:35], -v[12:13]
	scratch_load_dwordx4 v[172:175], off, off offset:624
	v_add_f64 v[0:1], v[0:1], v[8:9]
	s_waitcnt vmcnt(13) lgkmcnt(1)
	v_mul_f64 v[8:9], v[180:181], v[190:191]
	v_fmac_f64_e32 v[8:9], v[182:183], v[188:189]
	v_add_f64 v[0:1], v[0:1], v[8:9]
	v_mul_f64 v[8:9], v[110:111], v[6:7]
	s_waitcnt vmcnt(12)
	v_mul_f64 v[6:7], v[242:243], v[194:195]
	v_fmac_f64_e32 v[6:7], v[244:245], v[192:193]
	v_mul_f64 v[20:21], v[98:99], v[28:29]
	v_add_f64 v[0:1], v[0:1], v[6:7]
	v_fma_f64 v[38:39], v[96:97], v[26:27], -v[20:21]
	ds_read_b128 v[96:99], v2 offset:1488
	s_waitcnt vmcnt(11) lgkmcnt(1)
	v_mul_f64 v[6:7], v[184:185], v[202:203]
	v_fmac_f64_e32 v[6:7], v[186:187], v[200:201]
	v_add_f64 v[0:1], v[0:1], v[6:7]
	v_mul_f64 v[6:7], v[114:115], v[248:249]
	v_fma_f64 v[40:41], v[112:113], v[246:247], -v[6:7]
	ds_read_b128 v[246:249], v2 offset:1472
	v_mul_f64 v[10:11], v[106:107], v[32:33]
	v_fma_f64 v[34:35], v[104:105], v[30:31], -v[10:11]
	ds_read_b128 v[104:107], v2 offset:1504
	scratch_load_dwordx4 v[68:71], off, off offset:704
	scratch_load_dwordx4 v[72:75], off, off offset:720
	s_waitcnt vmcnt(12) lgkmcnt(1)
	v_mul_f64 v[28:29], v[246:247], v[206:207]
	v_fmac_f64_e32 v[28:29], v[248:249], v[204:205]
	v_add_f64 v[0:1], v[0:1], v[28:29]
	v_mul_f64 v[28:29], v[162:163], v[24:25]
	v_fma_f64 v[30:31], v[160:161], v[22:23], -v[28:29]
	scratch_load_dwordx4 v[160:163], off, off offset:688
	v_fma_f64 v[250:251], v[108:109], v[4:5], -v[8:9]
	s_waitcnt vmcnt(12)
	v_accvgpr_read_b32 v4, a124
	v_accvgpr_read_b32 v6, a126
	;; [unrolled: 1-line block ×3, first 2 shown]
	scratch_load_dwordx4 v[60:63], off, off offset:736
	v_accvgpr_read_b32 v5, a125
	v_mul_f64 v[32:33], v[96:97], v[6:7]
	v_fmac_f64_e32 v[32:33], v[98:99], v[4:5]
	ds_read_b128 v[108:111], v2 offset:1520
	ds_read_b128 v[112:115], v2 offset:1536
	v_mul_f64 v[14:15], v[130:131], v[18:19]
	v_add_f64 v[0:1], v[0:1], v[32:33]
	v_mul_f64 v[36:37], v[198:199], v[44:45]
	v_fma_f64 v[24:25], v[128:129], v[16:17], -v[14:15]
	v_mul_f64 v[20:21], v[150:151], v[66:67]
	v_fma_f64 v[20:21], v[148:149], v[64:65], -v[20:21]
	scratch_load_dwordx4 v[64:67], off, off offset:800
	v_mul_f64 v[28:29], v[134:135], v[90:91]
	v_fma_f64 v[28:29], v[132:133], v[88:89], -v[28:29]
	s_waitcnt vmcnt(6)
	v_mov_b64_e32 v[4:5], v[56:57]
	v_mov_b64_e32 v[6:7], v[58:59]
	s_waitcnt lgkmcnt(2)
	v_mul_f64 v[18:19], v[104:105], v[6:7]
	v_fmac_f64_e32 v[18:19], v[106:107], v[4:5]
	v_accvgpr_write_b32 a159, v59
	v_accvgpr_read_b32 v4, a128
	v_accvgpr_write_b32 a158, v58
	v_accvgpr_write_b32 a157, v57
	;; [unrolled: 1-line block ×3, first 2 shown]
	v_accvgpr_read_b32 v6, a130
	v_accvgpr_read_b32 v7, a131
	scratch_load_dwordx4 v[56:59], off, off offset:752
	v_add_f64 v[0:1], v[0:1], v[18:19]
	v_mul_f64 v[18:19], v[178:179], v[50:51]
	v_accvgpr_read_b32 v5, a129
	s_waitcnt lgkmcnt(1)
	v_mul_f64 v[44:45], v[108:109], v[6:7]
	v_fma_f64 v[18:19], v[176:177], v[48:49], -v[18:19]
	v_fmac_f64_e32 v[44:45], v[110:111], v[4:5]
	scratch_load_dwordx4 v[48:51], off, off offset:768
	v_add_f64 v[0:1], v[0:1], v[44:45]
	v_mul_f64 v[44:45], v[166:167], v[54:55]
	v_fma_f64 v[16:17], v[164:165], v[52:53], -v[44:45]
	v_mul_f64 v[52:53], v[122:123], v[78:79]
	v_fma_f64 v[14:15], v[120:121], v[76:77], -v[52:53]
	ds_read_b128 v[120:123], v2 offset:1552
	v_accvgpr_read_b32 v4, a132
	scratch_load_dwordx4 v[52:55], off, off offset:784
	v_accvgpr_read_b32 v6, a134
	v_accvgpr_read_b32 v7, a135
	;; [unrolled: 1-line block ×3, first 2 shown]
	s_waitcnt lgkmcnt(1)
	v_mul_f64 v[26:27], v[112:113], v[6:7]
	v_fmac_f64_e32 v[26:27], v[114:115], v[4:5]
	v_accvgpr_read_b32 v4, a136
	v_accvgpr_read_b32 v6, a138
	;; [unrolled: 1-line block ×4, first 2 shown]
	s_waitcnt lgkmcnt(0)
	v_mul_f64 v[76:77], v[120:121], v[6:7]
	v_add_f64 v[0:1], v[0:1], v[26:27]
	v_fmac_f64_e32 v[76:77], v[122:123], v[4:5]
	v_add_f64 v[0:1], v[0:1], v[76:77]
	v_mul_f64 v[76:77], v[158:159], v[86:87]
	v_fma_f64 v[12:13], v[156:157], v[84:85], -v[76:77]
	scratch_load_dwordx4 v[76:79], off, off offset:816
	v_mul_f64 v[26:27], v[170:171], v[82:83]
	ds_read_b128 v[132:135], v2 offset:1568
	ds_read_b128 v[128:131], v2 offset:1584
	scratch_load_dwordx4 v[84:87], off, off offset:832
	v_fma_f64 v[26:27], v[168:169], v[80:81], -v[26:27]
	v_mul_f64 v[80:81], v[210:211], v[94:95]
	v_fma_f64 v[10:11], v[208:209], v[92:93], -v[80:81]
	scratch_load_dwordx4 v[80:83], off, off offset:848
	scratch_load_dwordx4 v[88:91], off, off offset:864
	v_accvgpr_read_b32 v4, a140
	v_accvgpr_read_b32 v6, a142
	;; [unrolled: 1-line block ×4, first 2 shown]
	s_waitcnt lgkmcnt(1)
	v_mul_f64 v[32:33], v[132:133], v[6:7]
	v_mul_f64 v[92:93], v[218:219], v[118:119]
	v_fmac_f64_e32 v[32:33], v[134:135], v[4:5]
	v_fma_f64 v[8:9], v[216:217], v[116:117], -v[92:93]
	ds_read_b128 v[92:95], v2 offset:1600
	s_waitcnt vmcnt(12)
	v_mov_b64_e32 v[4:5], v[172:173]
	v_mov_b64_e32 v[6:7], v[174:175]
	v_fma_f64 v[22:23], v[196:197], v[42:43], -v[36:37]
	v_add_f64 v[0:1], v[0:1], v[32:33]
	v_mul_f64 v[32:33], v[214:215], v[102:103]
	s_waitcnt lgkmcnt(1)
	v_mul_f64 v[36:37], v[128:129], v[6:7]
	v_fma_f64 v[32:33], v[212:213], v[100:101], -v[32:33]
	v_fmac_f64_e32 v[36:37], v[130:131], v[4:5]
	ds_read_b128 v[100:103], v2 offset:1616
	v_accvgpr_read_b32 v4, a144
	v_accvgpr_read_b32 v6, a146
	;; [unrolled: 1-line block ×3, first 2 shown]
	v_add_f64 v[0:1], v[0:1], v[36:37]
	v_accvgpr_read_b32 v5, a145
	s_waitcnt lgkmcnt(1)
	v_mul_f64 v[36:37], v[92:93], v[6:7]
	v_fmac_f64_e32 v[36:37], v[94:95], v[4:5]
	v_accvgpr_read_b32 v4, a148
	v_add_f64 v[0:1], v[0:1], v[36:37]
	v_mul_f64 v[36:37], v[222:223], v[126:127]
	v_accvgpr_read_b32 v6, a150
	v_accvgpr_read_b32 v7, a151
	v_fma_f64 v[36:37], v[220:221], v[124:125], -v[36:37]
	ds_read_b128 v[116:119], v2 offset:1632
	v_accvgpr_read_b32 v5, a149
	s_waitcnt lgkmcnt(1)
	v_mul_f64 v[124:125], v[100:101], v[6:7]
	v_fmac_f64_e32 v[124:125], v[102:103], v[4:5]
	v_add_f64 v[0:1], v[0:1], v[124:125]
	v_mul_f64 v[124:125], v[226:227], v[138:139]
	v_fma_f64 v[6:7], v[224:225], v[136:137], -v[124:125]
	v_accvgpr_read_b32 v136, a152
	v_accvgpr_read_b32 v138, a154
	;; [unrolled: 1-line block ×3, first 2 shown]
	ds_read_b128 v[124:127], v2 offset:1648
	v_accvgpr_read_b32 v137, a153
	s_waitcnt lgkmcnt(1)
	v_mul_f64 v[42:43], v[116:117], v[138:139]
	v_fmac_f64_e32 v[42:43], v[118:119], v[136:137]
	v_add_f64 v[0:1], v[0:1], v[42:43]
	v_mul_f64 v[42:43], v[230:231], v[142:143]
	v_fma_f64 v[42:43], v[228:229], v[140:141], -v[42:43]
	s_waitcnt vmcnt(9)
	v_mov_b64_e32 v[140:141], v[160:161]
	v_mov_b64_e32 v[142:143], v[162:163]
	ds_read_b128 v[136:139], v2 offset:1664
	s_waitcnt lgkmcnt(1)
	v_mul_f64 v[148:149], v[124:125], v[142:143]
	v_fmac_f64_e32 v[148:149], v[126:127], v[140:141]
	ds_read_b128 v[140:143], v2 offset:1680
	v_mul_f64 v[146:147], v[234:235], v[146:147]
	v_fma_f64 v[4:5], v[232:233], v[144:145], -v[146:147]
	ds_read_b128 v[144:147], v2 offset:1696
	v_add_f64 v[0:1], v[0:1], v[148:149]
	s_waitcnt lgkmcnt(2)
	v_mul_f64 v[148:149], v[136:137], v[70:71]
	v_fmac_f64_e32 v[148:149], v[138:139], v[68:69]
	s_waitcnt lgkmcnt(1)
	v_mul_f64 v[44:45], v[140:141], v[74:75]
	v_add_f64 v[0:1], v[0:1], v[148:149]
	v_fmac_f64_e32 v[44:45], v[142:143], v[72:73]
	v_add_f64 v[0:1], v[0:1], v[44:45]
	ds_read_b128 v[148:151], v2 offset:1712
	s_waitcnt vmcnt(8) lgkmcnt(1)
	v_mul_f64 v[44:45], v[144:145], v[62:63]
	v_fmac_f64_e32 v[44:45], v[146:147], v[60:61]
	v_add_f64 v[0:1], v[0:1], v[44:45]
	v_mul_f64 v[44:45], v[238:239], v[154:155]
	v_fma_f64 v[44:45], v[236:237], v[152:153], -v[44:45]
	ds_read_b128 v[152:155], v2 offset:1728
	v_accvgpr_write_b32 a167, v163
	v_mul_f64 v[156:157], v[182:183], v[190:191]
	v_accvgpr_write_b32 a166, v162
	v_accvgpr_write_b32 a165, v161
	;; [unrolled: 1-line block ×3, first 2 shown]
	s_waitcnt vmcnt(6) lgkmcnt(1)
	v_mul_f64 v[160:161], v[148:149], v[58:59]
	v_fma_f64 v[236:237], v[180:181], v[188:189], -v[156:157]
	ds_read_b128 v[156:159], v2 offset:1744
	v_fmac_f64_e32 v[160:161], v[150:151], v[56:57]
	v_add_f64 v[0:1], v[0:1], v[160:161]
	s_waitcnt vmcnt(5) lgkmcnt(1)
	v_mul_f64 v[160:161], v[152:153], v[50:51]
	v_fmac_f64_e32 v[160:161], v[154:155], v[48:49]
	v_add_f64 v[0:1], v[0:1], v[160:161]
	ds_read_b128 v[160:163], v2 offset:1760
	s_waitcnt vmcnt(4) lgkmcnt(1)
	v_mul_f64 v[164:165], v[156:157], v[54:55]
	v_fmac_f64_e32 v[164:165], v[158:159], v[52:53]
	v_add_f64 v[0:1], v[0:1], v[164:165]
	v_mul_f64 v[164:165], v[244:245], v[194:195]
	v_fma_f64 v[238:239], v[242:243], v[192:193], -v[164:165]
	ds_read_b128 v[164:167], v2 offset:1776
	s_waitcnt lgkmcnt(1)
	v_mul_f64 v[168:169], v[160:161], v[66:67]
	v_fmac_f64_e32 v[168:169], v[162:163], v[64:65]
	v_add_f64 v[0:1], v[0:1], v[168:169]
	v_mul_f64 v[168:169], v[186:187], v[202:203]
	v_fma_f64 v[242:243], v[184:185], v[200:201], -v[168:169]
	ds_read_b128 v[168:171], v2 offset:1792
	v_accvgpr_write_b32 a160, v172
	s_waitcnt vmcnt(3) lgkmcnt(1)
	v_mul_f64 v[176:177], v[164:165], v[78:79]
	v_accvgpr_write_b32 a161, v173
	v_accvgpr_write_b32 a162, v174
	;; [unrolled: 1-line block ×3, first 2 shown]
	v_fmac_f64_e32 v[176:177], v[166:167], v[76:77]
	ds_read_b128 v[172:175], v2 offset:1808
	v_add_f64 v[0:1], v[0:1], v[176:177]
	v_mul_f64 v[176:177], v[248:249], v[206:207]
	v_fma_f64 v[244:245], v[246:247], v[204:205], -v[176:177]
	ds_read_b128 v[176:179], v2 offset:1824
	ds_read_b128 v[184:187], v2 offset:1840
	s_waitcnt vmcnt(2) lgkmcnt(3)
	v_mul_f64 v[180:181], v[168:169], v[86:87]
	v_fmac_f64_e32 v[180:181], v[170:171], v[84:85]
	v_add_f64 v[0:1], v[0:1], v[180:181]
	s_waitcnt vmcnt(1) lgkmcnt(2)
	v_mul_f64 v[180:181], v[172:173], v[82:83]
	v_fmac_f64_e32 v[180:181], v[174:175], v[80:81]
	v_add_f64 v[0:1], v[0:1], v[180:181]
	scratch_load_dwordx4 v[232:235], off, off offset:976
	s_waitcnt vmcnt(1) lgkmcnt(1)
	v_mul_f64 v[180:181], v[176:177], v[90:91]
	v_fmac_f64_e32 v[180:181], v[178:179], v[88:89]
	v_add_f64 v[0:1], v[0:1], v[180:181]
	scratch_load_dwordx4 v[180:183], off, off offset:880
	ds_read_b128 v[192:195], v2 offset:1856
	ds_read_b128 v[200:203], v2 offset:1872
	ds_read_b128 v[208:211], v2 offset:1888
	ds_read_b128 v[216:219], v2 offset:1904
	ds_read_b128 v[224:227], v2 offset:1920
	s_waitcnt vmcnt(0) lgkmcnt(5)
	v_mul_f64 v[188:189], v[184:185], v[182:183]
	v_fmac_f64_e32 v[188:189], v[186:187], v[180:181]
	v_add_f64 v[0:1], v[0:1], v[188:189]
	scratch_load_dwordx4 v[188:191], off, off offset:896
	s_waitcnt vmcnt(0) lgkmcnt(4)
	v_mul_f64 v[196:197], v[192:193], v[190:191]
	v_fmac_f64_e32 v[196:197], v[194:195], v[188:189]
	v_add_f64 v[0:1], v[0:1], v[196:197]
	scratch_load_dwordx4 v[196:199], off, off offset:912
	;; [unrolled: 5-line block ×5, first 2 shown]
	s_waitcnt vmcnt(0) lgkmcnt(0)
	v_mul_f64 v[228:229], v[224:225], v[222:223]
	v_fmac_f64_e32 v[228:229], v[226:227], v[220:221]
	v_add_f64 v[0:1], v[0:1], v[228:229]
	ds_read_b128 v[228:231], v2 offset:1936
	s_waitcnt lgkmcnt(0)
	v_mul_f64 v[2:3], v[228:229], v[234:235]
	v_fmac_f64_e32 v[2:3], v[230:231], v[232:233]
	v_add_f64 v[2:3], v[0:1], v[2:3]
	v_add_f64 v[0:1], v[240:241], 0
	;; [unrolled: 1-line block ×28, first 2 shown]
	scratch_load_dwordx4 v[236:239], off, off offset:48
	v_accvgpr_read_b32 v6, a124
	v_accvgpr_read_b32 v8, a126
	;; [unrolled: 1-line block ×4, first 2 shown]
	v_mul_f64 v[4:5], v[98:99], v[8:9]
	v_add_f64 v[0:1], v[246:247], v[242:243]
	v_fma_f64 v[4:5], v[96:97], v[6:7], -v[4:5]
	v_accvgpr_read_b32 v6, a156
	v_add_f64 v[0:1], v[0:1], v[244:245]
	v_accvgpr_read_b32 v8, a158
	v_accvgpr_read_b32 v9, a159
	v_add_f64 v[0:1], v[0:1], v[4:5]
	v_accvgpr_read_b32 v7, a157
	v_mul_f64 v[4:5], v[106:107], v[8:9]
	v_fma_f64 v[4:5], v[104:105], v[6:7], -v[4:5]
	v_accvgpr_read_b32 v6, a128
	v_accvgpr_read_b32 v8, a130
	v_accvgpr_read_b32 v9, a131
	v_add_f64 v[0:1], v[0:1], v[4:5]
	v_accvgpr_read_b32 v7, a129
	v_mul_f64 v[4:5], v[110:111], v[8:9]
	v_fma_f64 v[4:5], v[108:109], v[6:7], -v[4:5]
	v_accvgpr_read_b32 v6, a132
	;; [unrolled: 7-line block ×9, first 2 shown]
	v_accvgpr_read_b32 v8, a166
	v_accvgpr_read_b32 v9, a167
	v_add_f64 v[0:1], v[0:1], v[4:5]
	v_accvgpr_read_b32 v7, a165
	v_mul_f64 v[4:5], v[126:127], v[8:9]
	v_fma_f64 v[4:5], v[124:125], v[6:7], -v[4:5]
	v_add_f64 v[0:1], v[0:1], v[4:5]
	v_mul_f64 v[4:5], v[138:139], v[70:71]
	v_fma_f64 v[4:5], v[136:137], v[68:69], -v[4:5]
	v_add_f64 v[0:1], v[0:1], v[4:5]
	;; [unrolled: 3-line block ×19, first 2 shown]
	s_waitcnt vmcnt(0)
	v_add_f64 v[4:5], v[236:237], -v[0:1]
	v_add_f64 v[6:7], v[238:239], -v[2:3]
	scratch_store_dwordx4 off, v[4:7], off offset:48
	s_and_saveexec_b64 s[0:1], vcc
	s_cbranch_execz .LBB124_389
; %bb.388:
	scratch_load_dwordx4 v[2:5], off, s86
	v_mov_b32_e32 v6, 0
	v_mov_b32_e32 v7, v6
	;; [unrolled: 1-line block ×4, first 2 shown]
	v_accvgpr_read_b32 v0, a1
	scratch_store_dwordx4 off, v[6:9], off offset:32
	s_waitcnt vmcnt(1)
	ds_write_b128 v0, v[2:5]
.LBB124_389:
	s_or_b64 exec, exec, s[0:1]
	s_waitcnt lgkmcnt(0)
	; wave barrier
	scratch_load_dwordx4 v[16:19], off, off offset:48
	scratch_load_dwordx4 v[20:23], off, off offset:64
	;; [unrolled: 1-line block ×30, first 2 shown]
	v_mov_b32_e32 v2, 0
	ds_read_b128 v[88:91], v2 offset:1008
	ds_read_b128 v[96:99], v2 offset:1024
	;; [unrolled: 1-line block ×17, first 2 shown]
	scratch_load_dwordx4 a[124:127], off, off offset:560
	scratch_load_dwordx4 a[128:131], off, off offset:576
	;; [unrolled: 1-line block ×6, first 2 shown]
	ds_read_b128 v[224:227], v2 offset:1344
	ds_read_b128 v[228:231], v2 offset:1360
	;; [unrolled: 1-line block ×7, first 2 shown]
	v_cmp_ne_u32_e32 vcc, 0, v254
	scratch_load_dwordx4 a[148:151], off, off offset:672
	s_waitcnt vmcnt(36) lgkmcnt(14)
	v_mul_f64 v[0:1], v[88:89], v[18:19]
	s_waitcnt vmcnt(35)
	v_mul_f64 v[4:5], v[96:97], v[22:23]
	v_fmac_f64_e32 v[0:1], v[90:91], v[16:17]
	s_waitcnt vmcnt(34)
	v_mul_f64 v[6:7], v[100:101], v[26:27]
	v_fmac_f64_e32 v[4:5], v[98:99], v[20:21]
	v_add_f64 v[0:1], v[0:1], 0
	s_waitcnt vmcnt(33)
	v_mul_f64 v[8:9], v[104:105], v[30:31]
	v_fmac_f64_e32 v[6:7], v[102:103], v[24:25]
	v_add_f64 v[0:1], v[0:1], v[4:5]
	;; [unrolled: 4-line block ×8, first 2 shown]
	s_waitcnt vmcnt(26) lgkmcnt(13)
	v_mul_f64 v[210:211], v[176:177], v[58:59]
	v_fmac_f64_e32 v[208:209], v[174:175], v[52:53]
	v_add_f64 v[0:1], v[0:1], v[206:207]
	s_waitcnt vmcnt(25) lgkmcnt(12)
	v_mul_f64 v[212:213], v[180:181], v[62:63]
	v_fmac_f64_e32 v[210:211], v[178:179], v[56:57]
	v_add_f64 v[0:1], v[0:1], v[208:209]
	;; [unrolled: 4-line block ×5, first 2 shown]
	v_fmac_f64_e32 v[218:219], v[194:195], v[72:73]
	v_add_f64 v[0:1], v[0:1], v[216:217]
	v_add_f64 v[0:1], v[0:1], v[218:219]
	scratch_load_dwordx4 v[216:219], off, off offset:528
	scratch_load_dwordx4 v[12:15], off, off offset:544
	ds_read_b128 v[204:207], v2 offset:1280
	ds_read_b128 v[208:211], v2 offset:1296
	s_waitcnt vmcnt(23) lgkmcnt(10)
	v_mul_f64 v[220:221], v[196:197], v[78:79]
	v_fmac_f64_e32 v[220:221], v[198:199], v[76:77]
	s_waitcnt vmcnt(22) lgkmcnt(9)
	v_mul_f64 v[4:5], v[200:201], v[82:83]
	v_add_f64 v[0:1], v[0:1], v[220:221]
	v_fmac_f64_e32 v[4:5], v[202:203], v[80:81]
	ds_read_b128 v[212:215], v2 offset:1312
	ds_read_b128 v[220:223], v2 offset:1328
	v_add_f64 v[0:1], v[0:1], v[4:5]
	s_waitcnt vmcnt(21) lgkmcnt(3)
	v_mul_f64 v[4:5], v[204:205], v[86:87]
	v_fmac_f64_e32 v[4:5], v[206:207], v[84:85]
	v_add_f64 v[0:1], v[0:1], v[4:5]
	s_waitcnt vmcnt(20) lgkmcnt(2)
	v_mul_f64 v[4:5], v[208:209], v[94:95]
	v_fmac_f64_e32 v[4:5], v[210:211], v[92:93]
	v_add_f64 v[0:1], v[0:1], v[4:5]
	s_waitcnt vmcnt(19) lgkmcnt(1)
	v_mul_f64 v[4:5], v[212:213], v[118:119]
	v_fmac_f64_e32 v[4:5], v[214:215], v[116:117]
	v_add_f64 v[0:1], v[0:1], v[4:5]
	s_waitcnt vmcnt(18) lgkmcnt(0)
	v_mul_f64 v[4:5], v[220:221], v[122:123]
	v_fmac_f64_e32 v[4:5], v[222:223], v[120:121]
	v_add_f64 v[0:1], v[0:1], v[4:5]
	s_waitcnt vmcnt(17)
	v_mul_f64 v[4:5], v[224:225], v[126:127]
	v_fmac_f64_e32 v[4:5], v[226:227], v[124:125]
	v_add_f64 v[0:1], v[0:1], v[4:5]
	s_waitcnt vmcnt(16)
	v_mul_f64 v[4:5], v[228:229], v[130:131]
	v_fmac_f64_e32 v[4:5], v[230:231], v[128:129]
	v_add_f64 v[0:1], v[0:1], v[4:5]
	v_mul_f64 v[4:5], v[90:91], v[18:19]
	v_fma_f64 v[240:241], v[88:89], v[16:17], -v[4:5]
	s_waitcnt vmcnt(15)
	v_mul_f64 v[4:5], v[232:233], v[134:135]
	v_fmac_f64_e32 v[4:5], v[234:235], v[132:133]
	v_add_f64 v[0:1], v[0:1], v[4:5]
	s_waitcnt vmcnt(14)
	v_mul_f64 v[4:5], v[236:237], v[138:139]
	v_fmac_f64_e32 v[4:5], v[238:239], v[136:137]
	v_add_f64 v[0:1], v[0:1], v[4:5]
	;; [unrolled: 4-line block ×3, first 2 shown]
	s_waitcnt vmcnt(12)
	v_mul_f64 v[4:5], v[246:247], v[150:151]
	v_mul_f64 v[6:7], v[98:99], v[22:23]
	v_fmac_f64_e32 v[4:5], v[248:249], v[148:149]
	v_mul_f64 v[8:9], v[114:115], v[38:39]
	v_fma_f64 v[96:97], v[96:97], v[20:21], -v[6:7]
	v_add_f64 v[0:1], v[0:1], v[4:5]
	v_fma_f64 v[20:21], v[112:113], v[36:37], -v[8:9]
	ds_read_b128 v[8:11], v2 offset:1472
	s_waitcnt vmcnt(11)
	v_mul_f64 v[4:5], v[250:251], v[154:155]
	v_mul_f64 v[6:7], v[102:103], v[26:27]
	v_fmac_f64_e32 v[4:5], v[252:253], v[152:153]
	v_fma_f64 v[88:89], v[100:101], v[24:25], -v[6:7]
	v_mul_f64 v[6:7], v[106:107], v[30:31]
	v_add_f64 v[0:1], v[0:1], v[4:5]
	v_mul_f64 v[4:5], v[110:111], v[34:35]
	v_fma_f64 v[28:29], v[104:105], v[28:29], -v[6:7]
	v_fma_f64 v[26:27], v[108:109], v[32:33], -v[4:5]
	ds_read_b128 v[4:7], v2 offset:1456
	ds_read_b128 v[30:33], v2 offset:1520
	v_mul_f64 v[22:23], v[146:147], v[42:43]
	v_fma_f64 v[22:23], v[144:145], v[40:41], -v[22:23]
	scratch_load_dwordx4 v[144:147], off, off offset:656
	s_waitcnt vmcnt(11) lgkmcnt(1)
	v_mul_f64 v[36:37], v[4:5], v[162:163]
	v_fmac_f64_e32 v[36:37], v[6:7], v[160:161]
	v_add_f64 v[0:1], v[0:1], v[36:37]
	v_mul_f64 v[36:37], v[158:159], v[46:47]
	v_fma_f64 v[18:19], v[156:157], v[44:45], -v[36:37]
	ds_read_b128 v[156:159], v2 offset:1488
	ds_read_b128 v[34:37], v2 offset:1504
	s_waitcnt vmcnt(10)
	v_mul_f64 v[40:41], v[8:9], v[166:167]
	v_fmac_f64_e32 v[40:41], v[10:11], v[164:165]
	v_add_f64 v[0:1], v[0:1], v[40:41]
	v_mul_f64 v[24:25], v[170:171], v[50:51]
	scratch_load_dwordx4 v[40:43], off, off offset:688
	scratch_load_dwordx4 v[44:47], off, off offset:704
	v_fma_f64 v[90:91], v[168:169], v[48:49], -v[24:25]
	v_mul_f64 v[24:25], v[174:175], v[54:55]
	v_fma_f64 v[168:169], v[172:173], v[52:53], -v[24:25]
	ds_read_b128 v[100:103], v2 offset:1536
	s_waitcnt vmcnt(4) lgkmcnt(2)
	v_mul_f64 v[48:49], v[156:157], v[218:219]
	v_fmac_f64_e32 v[48:49], v[158:159], v[216:217]
	v_add_f64 v[0:1], v[0:1], v[48:49]
	v_mul_f64 v[48:49], v[178:179], v[58:59]
	v_fma_f64 v[170:171], v[176:177], v[56:57], -v[48:49]
	scratch_load_dwordx4 v[48:51], off, off offset:720
	s_waitcnt vmcnt(4) lgkmcnt(1)
	v_mul_f64 v[52:53], v[34:35], v[14:15]
	v_fmac_f64_e32 v[52:53], v[36:37], v[12:13]
	v_accvgpr_write_b32 a155, v15
	v_accvgpr_write_b32 a154, v14
	;; [unrolled: 1-line block ×4, first 2 shown]
	v_add_f64 v[0:1], v[0:1], v[52:53]
	v_mul_f64 v[52:53], v[182:183], v[62:63]
	v_accvgpr_read_b32 v12, a124
	v_fma_f64 v[172:173], v[180:181], v[60:61], -v[52:53]
	scratch_load_dwordx4 v[52:55], off, off offset:736
	v_mul_f64 v[56:57], v[186:187], v[66:67]
	v_accvgpr_read_b32 v14, a126
	v_accvgpr_read_b32 v15, a127
	v_fma_f64 v[174:175], v[184:185], v[64:65], -v[56:57]
	v_accvgpr_read_b32 v13, a125
	v_mul_f64 v[64:65], v[30:31], v[14:15]
	scratch_load_dwordx4 v[56:59], off, off offset:752
	v_fmac_f64_e32 v[64:65], v[32:33], v[12:13]
	v_accvgpr_read_b32 v12, a128
	v_mul_f64 v[60:61], v[190:191], v[70:71]
	v_accvgpr_read_b32 v14, a130
	v_accvgpr_read_b32 v15, a131
	v_fma_f64 v[176:177], v[188:189], v[68:69], -v[60:61]
	scratch_load_dwordx4 v[60:63], off, off offset:768
	v_accvgpr_read_b32 v13, a129
	s_waitcnt lgkmcnt(0)
	v_mul_f64 v[68:69], v[100:101], v[14:15]
	v_add_f64 v[0:1], v[0:1], v[64:65]
	v_mul_f64 v[64:65], v[194:195], v[74:75]
	v_fmac_f64_e32 v[68:69], v[102:103], v[12:13]
	v_fma_f64 v[178:179], v[192:193], v[72:73], -v[64:65]
	scratch_load_dwordx4 v[64:67], off, off offset:784
	v_add_f64 v[0:1], v[0:1], v[68:69]
	v_mul_f64 v[68:69], v[198:199], v[78:79]
	v_fma_f64 v[180:181], v[196:197], v[76:77], -v[68:69]
	scratch_load_dwordx4 v[68:71], off, off offset:800
	ds_read_b128 v[108:111], v2 offset:1552
	ds_read_b128 v[104:107], v2 offset:1568
	scratch_load_dwordx4 v[76:79], off, off offset:816
	v_accvgpr_read_b32 v12, a132
	v_mul_f64 v[72:73], v[202:203], v[82:83]
	v_accvgpr_read_b32 v14, a134
	v_accvgpr_read_b32 v15, a135
	v_fma_f64 v[182:183], v[200:201], v[80:81], -v[72:73]
	v_mul_f64 v[72:73], v[206:207], v[86:87]
	v_accvgpr_read_b32 v13, a133
	s_waitcnt lgkmcnt(1)
	v_mul_f64 v[24:25], v[108:109], v[14:15]
	v_fma_f64 v[16:17], v[204:205], v[84:85], -v[72:73]
	scratch_load_dwordx4 v[72:75], off, off offset:832
	v_fmac_f64_e32 v[24:25], v[110:111], v[12:13]
	v_accvgpr_read_b32 v12, a136
	ds_read_b128 v[112:115], v2 offset:1584
	v_accvgpr_read_b32 v14, a138
	v_accvgpr_read_b32 v15, a139
	v_mul_f64 v[80:81], v[214:215], v[118:119]
	v_add_f64 v[0:1], v[0:1], v[24:25]
	v_accvgpr_read_b32 v13, a137
	s_waitcnt lgkmcnt(1)
	v_mul_f64 v[24:25], v[104:105], v[14:15]
	v_fma_f64 v[14:15], v[212:213], v[116:117], -v[80:81]
	scratch_load_dwordx4 v[80:83], off, off offset:848
	v_mul_f64 v[84:85], v[222:223], v[122:123]
	v_fmac_f64_e32 v[24:25], v[106:107], v[12:13]
	v_fma_f64 v[98:99], v[220:221], v[120:121], -v[84:85]
	v_accvgpr_read_b32 v120, a140
	v_add_f64 v[0:1], v[0:1], v[24:25]
	v_mul_f64 v[24:25], v[210:211], v[94:95]
	v_accvgpr_read_b32 v122, a142
	v_accvgpr_read_b32 v123, a143
	scratch_load_dwordx4 v[84:87], off, off offset:864
	v_fma_f64 v[24:25], v[208:209], v[92:93], -v[24:25]
	ds_read_b128 v[116:119], v2 offset:1600
	v_accvgpr_read_b32 v121, a141
	s_waitcnt lgkmcnt(1)
	v_mul_f64 v[92:93], v[112:113], v[122:123]
	v_fmac_f64_e32 v[92:93], v[114:115], v[120:121]
	v_add_f64 v[0:1], v[0:1], v[92:93]
	v_mul_f64 v[92:93], v[226:227], v[126:127]
	v_fma_f64 v[12:13], v[224:225], v[124:125], -v[92:93]
	v_accvgpr_read_b32 v92, a144
	v_accvgpr_read_b32 v94, a146
	;; [unrolled: 1-line block ×4, first 2 shown]
	s_waitcnt lgkmcnt(0)
	v_mul_f64 v[38:39], v[116:117], v[94:95]
	v_fmac_f64_e32 v[38:39], v[118:119], v[92:93]
	scratch_load_dwordx4 v[92:95], off, off offset:880
	v_mul_f64 v[154:155], v[252:253], v[154:155]
	v_fma_f64 v[152:153], v[250:251], v[152:153], -v[154:155]
	scratch_load_dwordx4 v[250:253], off, off offset:896
	ds_read_b128 v[120:123], v2 offset:1616
	ds_read_b128 v[124:127], v2 offset:1632
	v_add_f64 v[0:1], v[0:1], v[38:39]
	v_mul_f64 v[38:39], v[230:231], v[130:131]
	v_fma_f64 v[38:39], v[228:229], v[128:129], -v[38:39]
	s_waitcnt vmcnt(14) lgkmcnt(1)
	v_mul_f64 v[128:129], v[120:121], v[146:147]
	v_fmac_f64_e32 v[128:129], v[122:123], v[144:145]
	v_add_f64 v[0:1], v[0:1], v[128:129]
	v_mul_f64 v[128:129], v[234:235], v[134:135]
	v_fma_f64 v[228:229], v[232:233], v[132:133], -v[128:129]
	v_accvgpr_read_b32 v132, a148
	v_accvgpr_write_b32 a159, v147
	ds_read_b128 v[128:131], v2 offset:1648
	v_accvgpr_read_b32 v134, a150
	v_accvgpr_read_b32 v135, a151
	v_accvgpr_write_b32 a158, v146
	v_accvgpr_write_b32 a157, v145
	;; [unrolled: 1-line block ×3, first 2 shown]
	v_accvgpr_read_b32 v133, a149
	s_waitcnt lgkmcnt(1)
	v_mul_f64 v[144:145], v[124:125], v[134:135]
	v_fmac_f64_e32 v[144:145], v[126:127], v[132:133]
	ds_read_b128 v[132:135], v2 offset:1664
	v_mul_f64 v[138:139], v[238:239], v[138:139]
	v_fma_f64 v[230:231], v[236:237], v[136:137], -v[138:139]
	ds_read_b128 v[136:139], v2 offset:1680
	v_add_f64 v[0:1], v[0:1], v[144:145]
	s_waitcnt vmcnt(13) lgkmcnt(2)
	v_mul_f64 v[144:145], v[128:129], v[42:43]
	v_fmac_f64_e32 v[144:145], v[130:131], v[40:41]
	v_add_f64 v[0:1], v[0:1], v[144:145]
	s_waitcnt vmcnt(12) lgkmcnt(1)
	v_mul_f64 v[144:145], v[132:133], v[46:47]
	v_fmac_f64_e32 v[144:145], v[134:135], v[44:45]
	v_mul_f64 v[142:143], v[244:245], v[142:143]
	v_add_f64 v[0:1], v[0:1], v[144:145]
	v_fma_f64 v[244:245], v[242:243], v[140:141], -v[142:143]
	ds_read_b128 v[140:143], v2 offset:1696
	s_waitcnt vmcnt(11) lgkmcnt(1)
	v_mul_f64 v[144:145], v[136:137], v[50:51]
	v_fmac_f64_e32 v[144:145], v[138:139], v[48:49]
	v_add_f64 v[0:1], v[0:1], v[144:145]
	ds_read_b128 v[144:147], v2 offset:1712
	v_mul_f64 v[150:151], v[248:249], v[150:151]
	v_fma_f64 v[232:233], v[246:247], v[148:149], -v[150:151]
	ds_read_b128 v[148:151], v2 offset:1728
	s_waitcnt vmcnt(10) lgkmcnt(2)
	v_mul_f64 v[184:185], v[140:141], v[54:55]
	v_accvgpr_write_b32 a161, v153
	v_fmac_f64_e32 v[184:185], v[142:143], v[52:53]
	v_accvgpr_write_b32 a160, v152
	ds_read_b128 v[152:155], v2 offset:1744
	ds_read_b128 v[246:249], v2 offset:1760
	v_add_f64 v[0:1], v[0:1], v[184:185]
	s_waitcnt vmcnt(9) lgkmcnt(3)
	v_mul_f64 v[184:185], v[144:145], v[58:59]
	v_fmac_f64_e32 v[184:185], v[146:147], v[56:57]
	v_mul_f64 v[6:7], v[6:7], v[162:163]
	v_add_f64 v[0:1], v[0:1], v[184:185]
	s_waitcnt vmcnt(8) lgkmcnt(2)
	v_mul_f64 v[184:185], v[148:149], v[62:63]
	v_fma_f64 v[236:237], v[4:5], v[160:161], -v[6:7]
	ds_read_b128 v[160:163], v2 offset:1776
	v_fmac_f64_e32 v[184:185], v[150:151], v[60:61]
	v_add_f64 v[0:1], v[0:1], v[184:185]
	s_waitcnt vmcnt(7) lgkmcnt(2)
	v_mul_f64 v[184:185], v[152:153], v[66:67]
	v_fmac_f64_e32 v[184:185], v[154:155], v[64:65]
	s_waitcnt vmcnt(6) lgkmcnt(1)
	v_mul_f64 v[4:5], v[246:247], v[70:71]
	v_add_f64 v[0:1], v[0:1], v[184:185]
	v_fmac_f64_e32 v[4:5], v[248:249], v[68:69]
	v_mul_f64 v[6:7], v[10:11], v[166:167]
	v_fma_f64 v[238:239], v[8:9], v[164:165], -v[6:7]
	ds_read_b128 v[164:167], v2 offset:1792
	v_add_f64 v[0:1], v[0:1], v[4:5]
	s_waitcnt vmcnt(5) lgkmcnt(1)
	v_mul_f64 v[4:5], v[160:161], v[78:79]
	v_fmac_f64_e32 v[4:5], v[162:163], v[76:77]
	v_add_f64 v[0:1], v[0:1], v[4:5]
	ds_read_b128 v[4:7], v2 offset:1808
	v_mul_f64 v[8:9], v[158:159], v[218:219]
	v_fma_f64 v[242:243], v[156:157], v[216:217], -v[8:9]
	ds_read_b128 v[8:11], v2 offset:1824
	s_waitcnt vmcnt(4) lgkmcnt(2)
	v_mul_f64 v[156:157], v[164:165], v[74:75]
	v_fmac_f64_e32 v[156:157], v[166:167], v[72:73]
	v_add_f64 v[0:1], v[0:1], v[156:157]
	s_waitcnt vmcnt(3) lgkmcnt(1)
	v_mul_f64 v[156:157], v[4:5], v[82:83]
	v_fmac_f64_e32 v[156:157], v[6:7], v[80:81]
	v_add_f64 v[0:1], v[0:1], v[156:157]
	;; [unrolled: 4-line block ×3, first 2 shown]
	ds_read_b128 v[156:159], v2 offset:1840
	ds_read_b128 v[192:195], v2 offset:1872
	;; [unrolled: 1-line block ×5, first 2 shown]
	s_waitcnt vmcnt(1) lgkmcnt(4)
	v_mul_f64 v[184:185], v[156:157], v[94:95]
	v_fmac_f64_e32 v[184:185], v[158:159], v[92:93]
	v_add_f64 v[0:1], v[0:1], v[184:185]
	ds_read_b128 v[184:187], v2 offset:1856
	ds_read_b128 v[224:227], v2 offset:1936
	v_mul_f64 v[6:7], v[6:7], v[82:83]
	v_fma_f64 v[4:5], v[4:5], v[80:81], -v[6:7]
	v_mul_f64 v[6:7], v[10:11], v[86:87]
	s_waitcnt vmcnt(0) lgkmcnt(1)
	v_mul_f64 v[188:189], v[184:185], v[252:253]
	v_fmac_f64_e32 v[188:189], v[186:187], v[250:251]
	v_add_f64 v[0:1], v[0:1], v[188:189]
	scratch_load_dwordx4 v[188:191], off, off offset:912
	v_fma_f64 v[6:7], v[8:9], v[84:85], -v[6:7]
	s_waitcnt vmcnt(0)
	v_mul_f64 v[196:197], v[192:193], v[190:191]
	v_fmac_f64_e32 v[196:197], v[194:195], v[188:189]
	v_add_f64 v[0:1], v[0:1], v[196:197]
	scratch_load_dwordx4 v[196:199], off, off offset:928
	s_waitcnt vmcnt(0)
	v_mul_f64 v[204:205], v[200:201], v[198:199]
	v_fmac_f64_e32 v[204:205], v[202:203], v[196:197]
	v_add_f64 v[0:1], v[0:1], v[204:205]
	scratch_load_dwordx4 v[204:207], off, off offset:944
	s_waitcnt vmcnt(0)
	v_mul_f64 v[212:213], v[208:209], v[206:207]
	v_fmac_f64_e32 v[212:213], v[210:211], v[204:205]
	v_add_f64 v[0:1], v[0:1], v[212:213]
	scratch_load_dwordx4 v[212:215], off, off offset:960
	s_waitcnt vmcnt(0)
	v_mul_f64 v[220:221], v[216:217], v[214:215]
	v_fmac_f64_e32 v[220:221], v[218:219], v[212:213]
	v_add_f64 v[0:1], v[0:1], v[220:221]
	scratch_load_dwordx4 v[220:223], off, off offset:976
	s_waitcnt vmcnt(0) lgkmcnt(0)
	v_mul_f64 v[234:235], v[224:225], v[222:223]
	v_fmac_f64_e32 v[234:235], v[226:227], v[220:221]
	v_add_f64 v[0:1], v[0:1], v[234:235]
	v_add_f64 v[234:235], v[240:241], 0
	;; [unrolled: 1-line block ×26, first 2 shown]
	scratch_load_dwordx4 v[228:231], off, off offset:32
	v_add_f64 v[12:13], v[12:13], v[244:245]
	v_add_f64 v[244:245], v[12:13], v[232:233]
	v_accvgpr_read_b32 v12, a160
	v_accvgpr_read_b32 v13, a161
	;; [unrolled: 1-line block ×3, first 2 shown]
	v_add_f64 v[12:13], v[244:245], v[12:13]
	v_accvgpr_read_b32 v18, a154
	v_accvgpr_read_b32 v19, a155
	v_add_f64 v[12:13], v[12:13], v[236:237]
	v_accvgpr_read_b32 v17, a153
	v_mul_f64 v[14:15], v[36:37], v[18:19]
	v_add_f64 v[12:13], v[12:13], v[238:239]
	v_fma_f64 v[14:15], v[34:35], v[16:17], -v[14:15]
	v_accvgpr_read_b32 v16, a124
	v_add_f64 v[12:13], v[12:13], v[242:243]
	v_accvgpr_read_b32 v18, a126
	v_accvgpr_read_b32 v19, a127
	v_add_f64 v[12:13], v[12:13], v[14:15]
	v_accvgpr_read_b32 v17, a125
	v_mul_f64 v[14:15], v[32:33], v[18:19]
	v_fma_f64 v[14:15], v[30:31], v[16:17], -v[14:15]
	v_accvgpr_read_b32 v16, a128
	v_accvgpr_read_b32 v18, a130
	v_accvgpr_read_b32 v19, a131
	v_add_f64 v[12:13], v[12:13], v[14:15]
	v_accvgpr_read_b32 v17, a129
	v_mul_f64 v[14:15], v[102:103], v[18:19]
	v_fma_f64 v[14:15], v[100:101], v[16:17], -v[14:15]
	v_accvgpr_read_b32 v16, a132
	;; [unrolled: 7-line block ×7, first 2 shown]
	v_accvgpr_read_b32 v18, a150
	v_accvgpr_read_b32 v19, a151
	v_add_f64 v[12:13], v[12:13], v[14:15]
	v_accvgpr_read_b32 v17, a149
	v_mul_f64 v[14:15], v[126:127], v[18:19]
	v_fma_f64 v[14:15], v[124:125], v[16:17], -v[14:15]
	v_add_f64 v[12:13], v[12:13], v[14:15]
	v_mul_f64 v[14:15], v[130:131], v[42:43]
	v_fma_f64 v[14:15], v[128:129], v[40:41], -v[14:15]
	v_add_f64 v[12:13], v[12:13], v[14:15]
	;; [unrolled: 3-line block ×11, first 2 shown]
	v_add_f64 v[4:5], v[12:13], v[4:5]
	v_add_f64 v[4:5], v[4:5], v[6:7]
	v_mul_f64 v[6:7], v[158:159], v[94:95]
	v_fma_f64 v[6:7], v[156:157], v[92:93], -v[6:7]
	v_add_f64 v[4:5], v[4:5], v[6:7]
	v_mul_f64 v[6:7], v[186:187], v[252:253]
	v_fma_f64 v[6:7], v[184:185], v[250:251], -v[6:7]
	;; [unrolled: 3-line block ×7, first 2 shown]
	v_add_f64 v[4:5], v[4:5], v[6:7]
	s_waitcnt vmcnt(0)
	v_add_f64 v[4:5], v[228:229], -v[4:5]
	v_add_f64 v[6:7], v[230:231], -v[0:1]
	scratch_store_dwordx4 off, v[4:7], off offset:32
	s_and_saveexec_b64 s[0:1], vcc
	s_cbranch_execz .LBB124_391
; %bb.390:
	scratch_load_dwordx4 v[6:9], off, off offset:16
	v_mov_b32_e32 v3, v2
	v_mov_b32_e32 v4, v2
	;; [unrolled: 1-line block ×3, first 2 shown]
	v_accvgpr_read_b32 v0, a1
	scratch_store_dwordx4 off, v[2:5], off offset:16
	s_waitcnt vmcnt(1)
	ds_write_b128 v0, v[6:9]
.LBB124_391:
	s_or_b64 exec, exec, s[0:1]
	s_waitcnt lgkmcnt(0)
	; wave barrier
	scratch_load_dwordx4 v[4:7], off, off offset:32
	scratch_load_dwordx4 v[8:11], off, off offset:48
	;; [unrolled: 1-line block ×17, first 2 shown]
	ds_read_b128 v[176:179], v2 offset:992
	ds_read_b128 v[148:151], v2 offset:1008
	;; [unrolled: 1-line block ×4, first 2 shown]
	scratch_load_dwordx4 v[88:91], off, off offset:304
	ds_read_b128 v[152:155], v2 offset:1056
	ds_read_b128 v[112:115], v2 offset:1072
	;; [unrolled: 1-line block ×3, first 2 shown]
	scratch_load_dwordx4 v[92:95], off, off offset:320
	ds_read_b128 v[160:163], v2 offset:1104
	ds_read_b128 v[140:143], v2 offset:1120
	;; [unrolled: 1-line block ×4, first 2 shown]
	scratch_load_dwordx4 v[116:119], off, off offset:336
	ds_read_b128 v[168:171], v2 offset:1168
	ds_read_b128 v[144:147], v2 offset:1184
	;; [unrolled: 1-line block ×3, first 2 shown]
	scratch_load_dwordx4 v[120:123], off, off offset:352
	ds_read_b128 v[172:175], v2 offset:1216
	ds_read_b128 v[156:159], v2 offset:1232
	;; [unrolled: 1-line block ×3, first 2 shown]
	scratch_load_dwordx4 v[124:127], off, off offset:368
	scratch_load_dwordx4 v[128:131], off, off offset:384
	;; [unrolled: 1-line block ×11, first 2 shown]
	ds_read_b128 v[204:207], v2 offset:1264
	ds_read_b128 v[232:235], v2 offset:1360
	;; [unrolled: 1-line block ×3, first 2 shown]
	scratch_load_dwordx4 a[132:135], off, off offset:576
	scratch_load_dwordx4 a[140:143], off, off offset:640
	;; [unrolled: 1-line block ×3, first 2 shown]
	v_readlane_b32 s0, v255, 0
	v_readlane_b32 s1, v255, 1
	s_and_b64 vcc, exec, s[0:1]
	scratch_load_dwordx4 a[136:139], off, off offset:624
	ds_read_b128 v[228:231], v2 offset:1344
	scratch_load_dwordx4 a[148:151], off, off offset:688
	s_waitcnt vmcnt(36) lgkmcnt(14)
	v_mul_f64 v[0:1], v[176:177], v[6:7]
	s_waitcnt vmcnt(35)
	v_mul_f64 v[24:25], v[148:149], v[10:11]
	v_fmac_f64_e32 v[0:1], v[178:179], v[4:5]
	s_waitcnt vmcnt(34)
	v_mul_f64 v[26:27], v[132:133], v[244:245]
	v_fmac_f64_e32 v[24:25], v[150:151], v[8:9]
	v_add_f64 v[0:1], v[0:1], 0
	s_waitcnt vmcnt(33)
	v_mul_f64 v[36:37], v[100:101], v[248:249]
	v_fmac_f64_e32 v[26:27], v[134:135], v[242:243]
	v_add_f64 v[0:1], v[0:1], v[24:25]
	;; [unrolled: 4-line block ×5, first 2 shown]
	s_waitcnt vmcnt(29) lgkmcnt(13)
	v_mul_f64 v[208:209], v[160:161], v[18:19]
	v_fmac_f64_e32 v[42:43], v[86:87], v[30:31]
	v_add_f64 v[0:1], v[0:1], v[40:41]
	s_waitcnt vmcnt(28) lgkmcnt(12)
	v_mul_f64 v[210:211], v[140:141], v[50:51]
	v_fmac_f64_e32 v[208:209], v[162:163], v[16:17]
	v_add_f64 v[0:1], v[0:1], v[42:43]
	v_fmac_f64_e32 v[210:211], v[142:143], v[48:49]
	v_add_f64 v[0:1], v[0:1], v[208:209]
	v_add_f64 v[0:1], v[0:1], v[210:211]
	scratch_load_dwordx4 v[208:211], off, off offset:512
	scratch_load_dwordx4 v[40:43], off, off offset:528
	s_waitcnt vmcnt(29) lgkmcnt(11)
	v_mul_f64 v[212:213], v[108:109], v[54:55]
	s_waitcnt vmcnt(28) lgkmcnt(10)
	v_mul_f64 v[214:215], v[96:97], v[58:59]
	v_fmac_f64_e32 v[212:213], v[110:111], v[52:53]
	s_waitcnt vmcnt(27) lgkmcnt(9)
	v_mul_f64 v[216:217], v[168:169], v[62:63]
	v_fmac_f64_e32 v[214:215], v[98:99], v[56:57]
	v_add_f64 v[0:1], v[0:1], v[212:213]
	s_waitcnt vmcnt(26) lgkmcnt(8)
	v_mul_f64 v[218:219], v[144:145], v[66:67]
	v_fmac_f64_e32 v[216:217], v[170:171], v[60:61]
	v_add_f64 v[0:1], v[0:1], v[214:215]
	;; [unrolled: 4-line block ×5, first 2 shown]
	ds_read_b128 v[212:215], v2 offset:1280
	v_fmac_f64_e32 v[224:225], v[158:159], v[76:77]
	v_add_f64 v[0:1], v[0:1], v[222:223]
	s_waitcnt vmcnt(22) lgkmcnt(5)
	v_mul_f64 v[24:25], v[136:137], v[82:83]
	v_add_f64 v[0:1], v[0:1], v[224:225]
	v_fmac_f64_e32 v[24:25], v[138:139], v[80:81]
	ds_read_b128 v[216:219], v2 offset:1296
	ds_read_b128 v[220:223], v2 offset:1312
	v_add_f64 v[0:1], v[0:1], v[24:25]
	s_waitcnt vmcnt(21) lgkmcnt(6)
	v_mul_f64 v[24:25], v[204:205], v[90:91]
	v_fmac_f64_e32 v[24:25], v[206:207], v[88:89]
	v_add_f64 v[0:1], v[0:1], v[24:25]
	s_waitcnt vmcnt(20) lgkmcnt(2)
	v_mul_f64 v[24:25], v[212:213], v[94:95]
	v_fmac_f64_e32 v[24:25], v[214:215], v[92:93]
	ds_read_b128 v[224:227], v2 offset:1328
	v_add_f64 v[0:1], v[0:1], v[24:25]
	s_waitcnt vmcnt(19) lgkmcnt(2)
	v_mul_f64 v[24:25], v[216:217], v[118:119]
	v_fmac_f64_e32 v[24:25], v[218:219], v[116:117]
	v_add_f64 v[0:1], v[0:1], v[24:25]
	s_waitcnt vmcnt(18) lgkmcnt(1)
	v_mul_f64 v[24:25], v[220:221], v[122:123]
	v_fmac_f64_e32 v[24:25], v[222:223], v[120:121]
	;; [unrolled: 4-line block ×3, first 2 shown]
	v_add_f64 v[0:1], v[0:1], v[24:25]
	s_waitcnt vmcnt(16)
	v_mul_f64 v[24:25], v[228:229], v[130:131]
	v_fmac_f64_e32 v[24:25], v[230:231], v[128:129]
	v_add_f64 v[0:1], v[0:1], v[24:25]
	s_waitcnt vmcnt(15)
	v_mul_f64 v[24:25], v[232:233], v[166:167]
	v_mul_f64 v[6:7], v[178:179], v[6:7]
	v_fmac_f64_e32 v[24:25], v[234:235], v[164:165]
	v_fma_f64 v[240:241], v[176:177], v[4:5], -v[6:7]
	s_waitcnt vmcnt(14)
	v_mul_f64 v[4:5], v[236:237], v[182:183]
	v_add_f64 v[0:1], v[0:1], v[24:25]
	v_fmac_f64_e32 v[4:5], v[238:239], v[180:181]
	ds_read_b128 v[176:179], v2 offset:1392
	v_add_f64 v[0:1], v[0:1], v[4:5]
	v_mul_f64 v[4:5], v[150:151], v[10:11]
	v_fma_f64 v[46:47], v[148:149], v[8:9], -v[4:5]
	v_mul_f64 v[4:5], v[134:135], v[244:245]
	ds_read_b128 v[148:151], v2 offset:1408
	v_fma_f64 v[38:39], v[132:133], v[242:243], -v[4:5]
	scratch_load_dwordx4 v[132:135], off, off offset:592
	v_mul_f64 v[6:7], v[102:103], v[248:249]
	v_fma_f64 v[36:37], v[100:101], v[246:247], -v[6:7]
	ds_read_b128 v[242:245], v2 offset:1424
	ds_read_b128 v[246:249], v2 offset:1440
	v_mul_f64 v[6:7], v[154:155], v[252:253]
	s_waitcnt vmcnt(14) lgkmcnt(3)
	v_mul_f64 v[4:5], v[176:177], v[186:187]
	v_fma_f64 v[34:35], v[152:153], v[250:251], -v[6:7]
	scratch_load_dwordx4 v[152:155], off, off offset:608
	v_fmac_f64_e32 v[4:5], v[178:179], v[184:185]
	v_add_f64 v[0:1], v[0:1], v[4:5]
	s_waitcnt vmcnt(14) lgkmcnt(2)
	v_mul_f64 v[4:5], v[148:149], v[190:191]
	v_fmac_f64_e32 v[4:5], v[150:151], v[188:189]
	ds_read_b128 v[250:253], v2 offset:1456
	ds_read_b128 v[100:103], v2 offset:1520
	v_add_f64 v[0:1], v[0:1], v[4:5]
	s_waitcnt vmcnt(13) lgkmcnt(3)
	v_mul_f64 v[4:5], v[242:243], v[194:195]
	v_fmac_f64_e32 v[4:5], v[244:245], v[192:193]
	v_add_f64 v[0:1], v[0:1], v[4:5]
	s_waitcnt vmcnt(12) lgkmcnt(2)
	v_mul_f64 v[4:5], v[246:247], v[198:199]
	v_fmac_f64_e32 v[4:5], v[248:249], v[196:197]
	;; [unrolled: 4-line block ×3, first 2 shown]
	v_add_f64 v[0:1], v[0:1], v[4:5]
	v_mul_f64 v[4:5], v[86:87], v[32:33]
	v_mul_f64 v[6:7], v[114:115], v[14:15]
	v_fma_f64 v[22:23], v[84:85], v[30:31], -v[4:5]
	v_mul_f64 v[4:5], v[162:163], v[18:19]
	v_fma_f64 v[28:29], v[112:113], v[12:13], -v[6:7]
	v_fma_f64 v[160:161], v[160:161], v[16:17], -v[4:5]
	ds_read_b128 v[4:7], v2 offset:1472
	ds_read_b128 v[84:87], v2 offset:1488
	v_mul_f64 v[32:33], v[142:143], v[50:51]
	v_fma_f64 v[162:163], v[140:141], v[48:49], -v[32:33]
	scratch_load_dwordx4 v[140:143], off, off offset:672
	s_waitcnt vmcnt(3)
	v_mov_b64_e32 v[8:9], v[40:41]
	s_waitcnt lgkmcnt(1)
	v_mul_f64 v[44:45], v[4:5], v[210:211]
	v_mov_b64_e32 v[10:11], v[42:43]
	v_fmac_f64_e32 v[44:45], v[6:7], v[208:209]
	s_waitcnt lgkmcnt(0)
	v_mul_f64 v[26:27], v[84:85], v[10:11]
	v_add_f64 v[0:1], v[0:1], v[44:45]
	v_fmac_f64_e32 v[26:27], v[86:87], v[8:9]
	v_add_f64 v[0:1], v[0:1], v[26:27]
	v_mul_f64 v[26:27], v[98:99], v[58:59]
	v_fma_f64 v[26:27], v[96:97], v[56:57], -v[26:27]
	ds_read_b128 v[96:99], v2 offset:1504
	v_mul_f64 v[48:49], v[170:171], v[62:63]
	v_accvgpr_read_b32 v8, a124
	v_mul_f64 v[32:33], v[110:111], v[54:55]
	v_fma_f64 v[168:169], v[168:169], v[60:61], -v[48:49]
	scratch_load_dwordx4 v[48:51], off, off offset:704
	v_accvgpr_read_b32 v10, a126
	v_accvgpr_read_b32 v11, a127
	v_fma_f64 v[20:21], v[108:109], v[52:53], -v[32:33]
	v_mul_f64 v[52:53], v[146:147], v[66:67]
	v_accvgpr_read_b32 v9, a125
	ds_read_b128 v[108:111], v2 offset:1552
	s_waitcnt lgkmcnt(1)
	v_mul_f64 v[56:57], v[96:97], v[10:11]
	v_fma_f64 v[170:171], v[144:145], v[64:65], -v[52:53]
	scratch_load_dwordx4 v[52:55], off, off offset:720
	v_fmac_f64_e32 v[56:57], v[98:99], v[8:9]
	v_add_f64 v[0:1], v[0:1], v[56:57]
	v_mul_f64 v[56:57], v[106:107], v[70:71]
	v_fma_f64 v[18:19], v[104:105], v[68:69], -v[56:57]
	scratch_load_dwordx4 v[56:59], off, off offset:736
	scratch_load_dwordx4 v[60:63], off, off offset:752
	v_accvgpr_read_b32 v8, a128
	v_accvgpr_read_b32 v10, a130
	;; [unrolled: 1-line block ×4, first 2 shown]
	v_mul_f64 v[24:25], v[100:101], v[10:11]
	v_fmac_f64_e32 v[24:25], v[102:103], v[8:9]
	v_add_f64 v[0:1], v[0:1], v[24:25]
	v_mul_f64 v[24:25], v[174:175], v[74:75]
	v_mul_f64 v[64:65], v[158:159], v[78:79]
	v_fma_f64 v[24:25], v[172:173], v[72:73], -v[24:25]
	v_fma_f64 v[172:173], v[156:157], v[76:77], -v[64:65]
	scratch_load_dwordx4 v[64:67], off, off offset:768
	ds_read_b128 v[104:107], v2 offset:1536
	ds_read_b128 v[112:115], v2 offset:1568
	v_accvgpr_read_b32 v8, a132
	v_accvgpr_read_b32 v10, a134
	;; [unrolled: 1-line block ×4, first 2 shown]
	s_waitcnt lgkmcnt(1)
	v_mul_f64 v[72:73], v[104:105], v[10:11]
	v_fmac_f64_e32 v[72:73], v[106:107], v[8:9]
	s_waitcnt vmcnt(7)
	v_mov_b64_e32 v[8:9], v[132:133]
	v_mul_f64 v[68:69], v[138:139], v[82:83]
	v_mov_b64_e32 v[10:11], v[134:135]
	v_fma_f64 v[174:175], v[136:137], v[80:81], -v[68:69]
	v_mul_f64 v[76:77], v[108:109], v[10:11]
	v_mul_f64 v[80:81], v[218:219], v[118:119]
	v_fmac_f64_e32 v[76:77], v[110:111], v[8:9]
	v_fma_f64 v[14:15], v[216:217], v[116:117], -v[80:81]
	ds_read_b128 v[116:119], v2 offset:1584
	s_waitcnt vmcnt(6)
	v_mov_b64_e32 v[8:9], v[152:153]
	v_mul_f64 v[30:31], v[214:215], v[94:95]
	v_mov_b64_e32 v[10:11], v[154:155]
	v_fma_f64 v[30:31], v[212:213], v[92:93], -v[30:31]
	v_mul_f64 v[32:33], v[222:223], v[122:123]
	s_waitcnt lgkmcnt(1)
	v_mul_f64 v[92:93], v[112:113], v[10:11]
	v_fma_f64 v[32:33], v[220:221], v[120:121], -v[32:33]
	v_fmac_f64_e32 v[92:93], v[114:115], v[8:9]
	ds_read_b128 v[120:123], v2 offset:1600
	v_accvgpr_read_b32 v8, a136
	v_accvgpr_write_b32 a155, v43
	v_add_f64 v[0:1], v[0:1], v[72:73]
	v_accvgpr_read_b32 v10, a138
	v_accvgpr_read_b32 v11, a139
	v_accvgpr_write_b32 a154, v42
	v_accvgpr_write_b32 a153, v41
	v_accvgpr_write_b32 a152, v40
	v_add_f64 v[0:1], v[0:1], v[76:77]
	v_accvgpr_read_b32 v9, a137
	s_waitcnt lgkmcnt(1)
	v_mul_f64 v[42:43], v[116:117], v[10:11]
	v_add_f64 v[0:1], v[0:1], v[92:93]
	v_fmac_f64_e32 v[42:43], v[118:119], v[8:9]
	v_accvgpr_read_b32 v8, a140
	v_mul_f64 v[92:93], v[226:227], v[126:127]
	v_add_f64 v[0:1], v[0:1], v[42:43]
	v_mul_f64 v[42:43], v[230:231], v[130:131]
	v_accvgpr_read_b32 v10, a142
	v_accvgpr_read_b32 v11, a143
	v_fma_f64 v[12:13], v[224:225], v[124:125], -v[92:93]
	v_fma_f64 v[42:43], v[228:229], v[128:129], -v[42:43]
	ds_read_b128 v[124:127], v2 offset:1616
	v_accvgpr_read_b32 v9, a141
	s_waitcnt lgkmcnt(1)
	v_mul_f64 v[128:129], v[120:121], v[10:11]
	v_fmac_f64_e32 v[128:129], v[122:123], v[8:9]
	v_add_f64 v[0:1], v[0:1], v[128:129]
	v_mul_f64 v[128:129], v[234:235], v[166:167]
	v_fma_f64 v[232:233], v[232:233], v[164:165], -v[128:129]
	ds_read_b128 v[128:131], v2 offset:1632
	v_accvgpr_read_b32 v8, a144
	v_accvgpr_read_b32 v10, a146
	;; [unrolled: 1-line block ×3, first 2 shown]
	v_accvgpr_write_b32 a159, v135
	v_accvgpr_read_b32 v9, a145
	s_waitcnt lgkmcnt(1)
	v_mul_f64 v[136:137], v[124:125], v[10:11]
	v_accvgpr_write_b32 a158, v134
	v_accvgpr_write_b32 a157, v133
	;; [unrolled: 1-line block ×3, first 2 shown]
	v_fmac_f64_e32 v[136:137], v[126:127], v[8:9]
	ds_read_b128 v[132:135], v2 offset:1648
	s_waitcnt vmcnt(5)
	v_mov_b64_e32 v[8:9], v[140:141]
	v_mov_b64_e32 v[10:11], v[142:143]
	v_add_f64 v[0:1], v[0:1], v[136:137]
	s_waitcnt lgkmcnt(1)
	v_mul_f64 v[136:137], v[128:129], v[10:11]
	v_fmac_f64_e32 v[136:137], v[130:131], v[8:9]
	v_accvgpr_read_b32 v8, a148
	v_accvgpr_write_b32 a167, v143
	v_add_f64 v[0:1], v[0:1], v[136:137]
	v_mul_f64 v[136:137], v[238:239], v[182:183]
	v_accvgpr_read_b32 v10, a150
	v_accvgpr_read_b32 v11, a151
	v_accvgpr_write_b32 a166, v142
	v_accvgpr_write_b32 a165, v141
	;; [unrolled: 1-line block ×3, first 2 shown]
	v_fma_f64 v[234:235], v[236:237], v[180:181], -v[136:137]
	v_accvgpr_read_b32 v9, a149
	ds_read_b128 v[136:139], v2 offset:1664
	s_waitcnt lgkmcnt(1)
	v_mul_f64 v[140:141], v[132:133], v[10:11]
	v_fmac_f64_e32 v[140:141], v[134:135], v[8:9]
	v_add_f64 v[0:1], v[0:1], v[140:141]
	v_mul_f64 v[140:141], v[178:179], v[186:187]
	scratch_load_dwordx4 v[68:71], off, off offset:784
	v_fma_f64 v[10:11], v[176:177], v[184:185], -v[140:141]
	ds_read_b128 v[140:143], v2 offset:1680
	ds_read_b128 v[144:147], v2 offset:1696
	v_mul_f64 v[72:73], v[206:207], v[90:91]
	s_waitcnt vmcnt(5) lgkmcnt(2)
	v_mul_f64 v[40:41], v[136:137], v[50:51]
	v_fma_f64 v[16:17], v[204:205], v[88:89], -v[72:73]
	scratch_load_dwordx4 v[72:75], off, off offset:800
	scratch_load_dwordx4 v[76:79], off, off offset:816
	v_fmac_f64_e32 v[40:41], v[138:139], v[48:49]
	v_add_f64 v[0:1], v[0:1], v[40:41]
	s_waitcnt vmcnt(6) lgkmcnt(1)
	v_mul_f64 v[40:41], v[140:141], v[54:55]
	v_accvgpr_write_b32 a163, v155
	v_fmac_f64_e32 v[40:41], v[142:143], v[52:53]
	v_accvgpr_write_b32 a162, v154
	v_accvgpr_write_b32 a161, v153
	;; [unrolled: 1-line block ×3, first 2 shown]
	v_add_f64 v[0:1], v[0:1], v[40:41]
	v_mul_f64 v[40:41], v[150:151], v[190:191]
	s_waitcnt vmcnt(5) lgkmcnt(0)
	v_mul_f64 v[152:153], v[144:145], v[58:59]
	scratch_load_dwordx4 v[80:83], off, off offset:832
	scratch_load_dwordx4 v[88:91], off, off offset:848
	v_fma_f64 v[40:41], v[148:149], v[188:189], -v[40:41]
	ds_read_b128 v[148:151], v2 offset:1712
	v_fmac_f64_e32 v[152:153], v[146:147], v[56:57]
	v_add_f64 v[0:1], v[0:1], v[152:153]
	v_mul_f64 v[152:153], v[244:245], v[194:195]
	v_fma_f64 v[244:245], v[242:243], v[192:193], -v[152:153]
	ds_read_b128 v[152:155], v2 offset:1728
	scratch_load_dwordx4 v[92:95], off, off offset:864
	scratch_load_dwordx4 v[180:183], off, off offset:880
	s_waitcnt vmcnt(8) lgkmcnt(1)
	v_mul_f64 v[164:165], v[148:149], v[62:63]
	v_fmac_f64_e32 v[164:165], v[150:151], v[60:61]
	v_add_f64 v[0:1], v[0:1], v[164:165]
	s_waitcnt vmcnt(7) lgkmcnt(0)
	v_mul_f64 v[164:165], v[152:153], v[66:67]
	v_fmac_f64_e32 v[164:165], v[154:155], v[64:65]
	scratch_load_dwordx4 v[188:191], off, off offset:896
	v_add_f64 v[0:1], v[0:1], v[164:165]
	v_mul_f64 v[164:165], v[248:249], v[198:199]
	v_fma_f64 v[8:9], v[246:247], v[196:197], -v[164:165]
	scratch_load_dwordx4 v[196:199], off, off offset:912
	scratch_load_dwordx4 v[204:207], off, off offset:928
	;; [unrolled: 1-line block ×5, first 2 shown]
	ds_read_b128 v[156:159], v2 offset:1744
	ds_read_b128 v[246:249], v2 offset:1760
	;; [unrolled: 1-line block ×3, first 2 shown]
	v_mul_f64 v[6:7], v[6:7], v[210:211]
	v_fma_f64 v[242:243], v[4:5], v[208:209], -v[6:7]
	ds_read_b128 v[4:7], v2 offset:1808
	ds_read_b128 v[176:179], v2 offset:1824
	;; [unrolled: 1-line block ×7, first 2 shown]
	s_waitcnt vmcnt(12) lgkmcnt(9)
	v_mul_f64 v[44:45], v[156:157], v[70:71]
	v_fmac_f64_e32 v[44:45], v[158:159], v[68:69]
	v_add_f64 v[0:1], v[0:1], v[44:45]
	v_mul_f64 v[44:45], v[252:253], v[202:203]
	v_fma_f64 v[238:239], v[250:251], v[200:201], -v[44:45]
	ds_read_b128 v[250:253], v2 offset:1792
	ds_read_b128 v[200:203], v2 offset:1872
	s_waitcnt vmcnt(11) lgkmcnt(10)
	v_mul_f64 v[44:45], v[246:247], v[74:75]
	v_fmac_f64_e32 v[44:45], v[248:249], v[72:73]
	v_add_f64 v[0:1], v[0:1], v[44:45]
	s_waitcnt vmcnt(10) lgkmcnt(9)
	v_mul_f64 v[44:45], v[164:165], v[78:79]
	v_fmac_f64_e32 v[44:45], v[166:167], v[76:77]
	v_add_f64 v[0:1], v[0:1], v[44:45]
	;; [unrolled: 4-line block ×3, first 2 shown]
	s_waitcnt vmcnt(8)
	v_mul_f64 v[44:45], v[4:5], v[90:91]
	v_fmac_f64_e32 v[44:45], v[6:7], v[88:89]
	v_add_f64 v[0:1], v[0:1], v[44:45]
	v_mul_f64 v[6:7], v[6:7], v[90:91]
	v_fma_f64 v[4:5], v[4:5], v[88:89], -v[6:7]
	s_waitcnt vmcnt(7)
	v_mul_f64 v[44:45], v[176:177], v[94:95]
	v_fmac_f64_e32 v[44:45], v[178:179], v[92:93]
	v_add_f64 v[0:1], v[0:1], v[44:45]
	s_waitcnt vmcnt(6)
	v_mul_f64 v[44:45], v[184:185], v[182:183]
	v_fmac_f64_e32 v[44:45], v[186:187], v[180:181]
	v_add_f64 v[0:1], v[0:1], v[44:45]
	v_mul_f64 v[6:7], v[178:179], v[94:95]
	s_waitcnt vmcnt(5)
	v_mul_f64 v[44:45], v[192:193], v[190:191]
	v_fmac_f64_e32 v[44:45], v[194:195], v[188:189]
	v_add_f64 v[0:1], v[0:1], v[44:45]
	v_fma_f64 v[6:7], v[176:177], v[92:93], -v[6:7]
	s_waitcnt vmcnt(4) lgkmcnt(0)
	v_mul_f64 v[44:45], v[200:201], v[198:199]
	v_fmac_f64_e32 v[44:45], v[202:203], v[196:197]
	v_add_f64 v[0:1], v[0:1], v[44:45]
	s_waitcnt vmcnt(3)
	v_mul_f64 v[44:45], v[208:209], v[206:207]
	v_fmac_f64_e32 v[44:45], v[210:211], v[204:205]
	v_add_f64 v[0:1], v[0:1], v[44:45]
	s_waitcnt vmcnt(2)
	;; [unrolled: 4-line block ×3, first 2 shown]
	v_mul_f64 v[44:45], v[224:225], v[222:223]
	v_fmac_f64_e32 v[44:45], v[226:227], v[220:221]
	v_add_f64 v[44:45], v[0:1], v[44:45]
	ds_read_b128 v[0:3], v2 offset:1936
	s_waitcnt vmcnt(0) lgkmcnt(0)
	v_mul_f64 v[236:237], v[0:1], v[230:231]
	v_fmac_f64_e32 v[236:237], v[2:3], v[228:229]
	v_add_f64 v[236:237], v[44:45], v[236:237]
	v_add_f64 v[44:45], v[240:241], 0
	;; [unrolled: 1-line block ×26, first 2 shown]
	scratch_load_dwordx4 v[232:235], off, off offset:16
	v_add_f64 v[10:11], v[12:13], v[10:11]
	v_add_f64 v[10:11], v[10:11], v[40:41]
	v_accvgpr_read_b32 v12, a152
	v_add_f64 v[10:11], v[10:11], v[244:245]
	v_accvgpr_read_b32 v14, a154
	v_accvgpr_read_b32 v15, a155
	v_add_f64 v[244:245], v[10:11], v[8:9]
	v_accvgpr_read_b32 v13, a153
	v_mul_f64 v[10:11], v[86:87], v[14:15]
	v_add_f64 v[8:9], v[244:245], v[238:239]
	v_fma_f64 v[10:11], v[84:85], v[12:13], -v[10:11]
	v_accvgpr_read_b32 v12, a124
	v_add_f64 v[8:9], v[8:9], v[242:243]
	v_accvgpr_read_b32 v14, a126
	v_accvgpr_read_b32 v15, a127
	v_add_f64 v[8:9], v[8:9], v[10:11]
	v_accvgpr_read_b32 v13, a125
	v_mul_f64 v[10:11], v[98:99], v[14:15]
	v_fma_f64 v[10:11], v[96:97], v[12:13], -v[10:11]
	v_accvgpr_read_b32 v12, a128
	v_accvgpr_read_b32 v14, a130
	v_accvgpr_read_b32 v15, a131
	v_add_f64 v[8:9], v[8:9], v[10:11]
	v_accvgpr_read_b32 v13, a129
	v_mul_f64 v[10:11], v[102:103], v[14:15]
	v_fma_f64 v[10:11], v[100:101], v[12:13], -v[10:11]
	v_accvgpr_read_b32 v12, a132
	;; [unrolled: 7-line block ×9, first 2 shown]
	v_accvgpr_read_b32 v14, a150
	v_accvgpr_read_b32 v15, a151
	v_add_f64 v[8:9], v[8:9], v[10:11]
	v_accvgpr_read_b32 v13, a149
	v_mul_f64 v[10:11], v[134:135], v[14:15]
	v_fma_f64 v[10:11], v[132:133], v[12:13], -v[10:11]
	v_add_f64 v[8:9], v[8:9], v[10:11]
	v_mul_f64 v[10:11], v[138:139], v[50:51]
	v_fma_f64 v[10:11], v[136:137], v[48:49], -v[10:11]
	v_add_f64 v[8:9], v[8:9], v[10:11]
	;; [unrolled: 3-line block ×10, first 2 shown]
	v_add_f64 v[4:5], v[8:9], v[4:5]
	v_add_f64 v[4:5], v[4:5], v[6:7]
	v_mul_f64 v[6:7], v[186:187], v[182:183]
	v_fma_f64 v[6:7], v[184:185], v[180:181], -v[6:7]
	v_add_f64 v[4:5], v[4:5], v[6:7]
	v_mul_f64 v[6:7], v[194:195], v[190:191]
	v_fma_f64 v[6:7], v[192:193], v[188:189], -v[6:7]
	;; [unrolled: 3-line block ×6, first 2 shown]
	v_mul_f64 v[2:3], v[2:3], v[230:231]
	v_add_f64 v[4:5], v[4:5], v[6:7]
	v_fma_f64 v[0:1], v[0:1], v[228:229], -v[2:3]
	v_add_f64 v[0:1], v[4:5], v[0:1]
	s_waitcnt vmcnt(0)
	v_add_f64 v[0:1], v[232:233], -v[0:1]
	v_add_f64 v[2:3], v[234:235], -v[236:237]
	scratch_store_dwordx4 off, v[0:3], off offset:16
	s_cbranch_vccz .LBB124_512
; %bb.392:
	s_nop 0
	v_mov_b32_e32 v0, 0
	global_load_dword v1, v0, s[12:13] offset:236
	s_waitcnt vmcnt(0)
	v_readfirstlane_b32 s0, v1
	s_add_i32 s0, s0, -1
	s_cmp_lg_u32 s0, 59
	s_cbranch_scc0 .LBB124_394
; %bb.393:
	s_lshl_b32 s0, s0, 4
	s_add_i32 s0, s0, 16
	scratch_load_dwordx4 v[2:5], off, s0
	scratch_load_dwordx4 v[6:9], off, s15
	s_waitcnt vmcnt(1)
	scratch_store_dwordx4 off, v[2:5], s15
	s_waitcnt vmcnt(1)
	scratch_store_dwordx4 off, v[6:9], s0
.LBB124_394:
	global_load_dword v0, v0, s[12:13] offset:232
	s_waitcnt vmcnt(0)
	v_readfirstlane_b32 s0, v0
	s_add_i32 s0, s0, -1
	s_cmp_eq_u32 s0, 58
	s_cbranch_scc1 .LBB124_396
; %bb.395:
	s_lshl_b32 s0, s0, 4
	s_add_i32 s0, s0, 16
	scratch_load_dwordx4 v[0:3], off, s0
	scratch_load_dwordx4 v[4:7], off, s48
	s_waitcnt vmcnt(1)
	scratch_store_dwordx4 off, v[0:3], s48
	s_waitcnt vmcnt(1)
	scratch_store_dwordx4 off, v[4:7], s0
.LBB124_396:
	v_mov_b32_e32 v0, 0
	global_load_dword v1, v0, s[12:13] offset:228
	s_waitcnt vmcnt(0)
	v_readfirstlane_b32 s0, v1
	s_add_i32 s0, s0, -1
	s_cmp_eq_u32 s0, 57
	s_cbranch_scc1 .LBB124_398
; %bb.397:
	s_lshl_b32 s0, s0, 4
	s_add_i32 s0, s0, 16
	scratch_load_dwordx4 v[2:5], off, s0
	scratch_load_dwordx4 v[6:9], off, s29
	s_waitcnt vmcnt(1)
	scratch_store_dwordx4 off, v[2:5], s29
	s_waitcnt vmcnt(1)
	scratch_store_dwordx4 off, v[6:9], s0
.LBB124_398:
	global_load_dword v0, v0, s[12:13] offset:224
	s_waitcnt vmcnt(0)
	v_readfirstlane_b32 s0, v0
	s_add_i32 s0, s0, -1
	s_cmp_eq_u32 s0, 56
	s_cbranch_scc1 .LBB124_400
; %bb.399:
	s_lshl_b32 s0, s0, 4
	s_add_i32 s0, s0, 16
	scratch_load_dwordx4 v[0:3], off, s0
	scratch_load_dwordx4 v[4:7], off, s30
	s_waitcnt vmcnt(1)
	scratch_store_dwordx4 off, v[0:3], s30
	s_waitcnt vmcnt(1)
	scratch_store_dwordx4 off, v[4:7], s0
.LBB124_400:
	v_mov_b32_e32 v0, 0
	global_load_dword v1, v0, s[12:13] offset:220
	s_waitcnt vmcnt(0)
	v_readfirstlane_b32 s0, v1
	s_add_i32 s0, s0, -1
	s_cmp_eq_u32 s0, 55
	s_cbranch_scc1 .LBB124_402
; %bb.401:
	s_lshl_b32 s0, s0, 4
	s_add_i32 s0, s0, 16
	scratch_load_dwordx4 v[2:5], off, s0
	scratch_load_dwordx4 v[6:9], off, s31
	s_waitcnt vmcnt(1)
	scratch_store_dwordx4 off, v[2:5], s31
	s_waitcnt vmcnt(1)
	scratch_store_dwordx4 off, v[6:9], s0
.LBB124_402:
	;; [unrolled: 33-line block ×29, first 2 shown]
	global_load_dword v0, v0, s[12:13]
	s_waitcnt vmcnt(0)
	v_readfirstlane_b32 s0, v0
	s_add_i32 s0, s0, -1
	s_cmp_eq_u32 s0, 0
	s_cbranch_scc1 .LBB124_512
; %bb.511:
	s_lshl_b32 s0, s0, 4
	s_add_i32 s0, s0, 16
	scratch_load_dwordx4 v[0:3], off, s0
	scratch_load_dwordx4 v[4:7], off, off offset:16
	s_waitcnt vmcnt(1)
	scratch_store_dwordx4 off, v[0:3], off offset:16
	s_waitcnt vmcnt(1)
	scratch_store_dwordx4 off, v[4:7], s0
.LBB124_512:
	scratch_load_dwordx4 v[0:3], off, off offset:16
	s_nop 0
	v_accvgpr_read_b32 v5, a3
	v_accvgpr_read_b32 v4, a2
	s_waitcnt vmcnt(0)
	flat_store_dwordx4 v[4:5], v[0:3]
	scratch_load_dwordx4 v[0:3], off, s86
	v_accvgpr_read_b32 v4, a4
	v_accvgpr_read_b32 v5, a5
	s_waitcnt vmcnt(0)
	flat_store_dwordx4 v[4:5], v[0:3]
	scratch_load_dwordx4 v[0:3], off, s85
	;; [unrolled: 5-line block ×60, first 2 shown]
	v_accvgpr_read_b32 v4, a122
	v_accvgpr_read_b32 v5, a123
	s_waitcnt vmcnt(0)
	flat_store_dwordx4 v[4:5], v[0:3]
	s_endpgm
	.section	.rodata,"a",@progbits
	.p2align	6, 0x0
	.amdhsa_kernel _ZN9rocsolver6v33100L18getri_kernel_smallILi61E19rocblas_complex_numIdEPKPS3_EEvT1_iilPiilS8_bb
		.amdhsa_group_segment_fixed_size 1960
		.amdhsa_private_segment_fixed_size 1008
		.amdhsa_kernarg_size 60
		.amdhsa_user_sgpr_count 2
		.amdhsa_user_sgpr_dispatch_ptr 0
		.amdhsa_user_sgpr_queue_ptr 0
		.amdhsa_user_sgpr_kernarg_segment_ptr 1
		.amdhsa_user_sgpr_dispatch_id 0
		.amdhsa_user_sgpr_kernarg_preload_length 0
		.amdhsa_user_sgpr_kernarg_preload_offset 0
		.amdhsa_user_sgpr_private_segment_size 0
		.amdhsa_uses_dynamic_stack 0
		.amdhsa_enable_private_segment 1
		.amdhsa_system_sgpr_workgroup_id_x 1
		.amdhsa_system_sgpr_workgroup_id_y 0
		.amdhsa_system_sgpr_workgroup_id_z 0
		.amdhsa_system_sgpr_workgroup_info 0
		.amdhsa_system_vgpr_workitem_id 0
		.amdhsa_next_free_vgpr 424
		.amdhsa_next_free_sgpr 98
		.amdhsa_accum_offset 256
		.amdhsa_reserve_vcc 1
		.amdhsa_float_round_mode_32 0
		.amdhsa_float_round_mode_16_64 0
		.amdhsa_float_denorm_mode_32 3
		.amdhsa_float_denorm_mode_16_64 3
		.amdhsa_dx10_clamp 1
		.amdhsa_ieee_mode 1
		.amdhsa_fp16_overflow 0
		.amdhsa_tg_split 0
		.amdhsa_exception_fp_ieee_invalid_op 0
		.amdhsa_exception_fp_denorm_src 0
		.amdhsa_exception_fp_ieee_div_zero 0
		.amdhsa_exception_fp_ieee_overflow 0
		.amdhsa_exception_fp_ieee_underflow 0
		.amdhsa_exception_fp_ieee_inexact 0
		.amdhsa_exception_int_div_zero 0
	.end_amdhsa_kernel
	.section	.text._ZN9rocsolver6v33100L18getri_kernel_smallILi61E19rocblas_complex_numIdEPKPS3_EEvT1_iilPiilS8_bb,"axG",@progbits,_ZN9rocsolver6v33100L18getri_kernel_smallILi61E19rocblas_complex_numIdEPKPS3_EEvT1_iilPiilS8_bb,comdat
.Lfunc_end124:
	.size	_ZN9rocsolver6v33100L18getri_kernel_smallILi61E19rocblas_complex_numIdEPKPS3_EEvT1_iilPiilS8_bb, .Lfunc_end124-_ZN9rocsolver6v33100L18getri_kernel_smallILi61E19rocblas_complex_numIdEPKPS3_EEvT1_iilPiilS8_bb
                                        ; -- End function
	.set _ZN9rocsolver6v33100L18getri_kernel_smallILi61E19rocblas_complex_numIdEPKPS3_EEvT1_iilPiilS8_bb.num_vgpr, 256
	.set _ZN9rocsolver6v33100L18getri_kernel_smallILi61E19rocblas_complex_numIdEPKPS3_EEvT1_iilPiilS8_bb.num_agpr, 168
	.set _ZN9rocsolver6v33100L18getri_kernel_smallILi61E19rocblas_complex_numIdEPKPS3_EEvT1_iilPiilS8_bb.numbered_sgpr, 98
	.set _ZN9rocsolver6v33100L18getri_kernel_smallILi61E19rocblas_complex_numIdEPKPS3_EEvT1_iilPiilS8_bb.num_named_barrier, 0
	.set _ZN9rocsolver6v33100L18getri_kernel_smallILi61E19rocblas_complex_numIdEPKPS3_EEvT1_iilPiilS8_bb.private_seg_size, 1008
	.set _ZN9rocsolver6v33100L18getri_kernel_smallILi61E19rocblas_complex_numIdEPKPS3_EEvT1_iilPiilS8_bb.uses_vcc, 1
	.set _ZN9rocsolver6v33100L18getri_kernel_smallILi61E19rocblas_complex_numIdEPKPS3_EEvT1_iilPiilS8_bb.uses_flat_scratch, 0
	.set _ZN9rocsolver6v33100L18getri_kernel_smallILi61E19rocblas_complex_numIdEPKPS3_EEvT1_iilPiilS8_bb.has_dyn_sized_stack, 0
	.set _ZN9rocsolver6v33100L18getri_kernel_smallILi61E19rocblas_complex_numIdEPKPS3_EEvT1_iilPiilS8_bb.has_recursion, 0
	.set _ZN9rocsolver6v33100L18getri_kernel_smallILi61E19rocblas_complex_numIdEPKPS3_EEvT1_iilPiilS8_bb.has_indirect_call, 0
	.section	.AMDGPU.csdata,"",@progbits
; Kernel info:
; codeLenInByte = 157936
; TotalNumSgprs: 104
; NumVgprs: 256
; NumAgprs: 168
; TotalNumVgprs: 424
; ScratchSize: 1008
; MemoryBound: 0
; FloatMode: 240
; IeeeMode: 1
; LDSByteSize: 1960 bytes/workgroup (compile time only)
; SGPRBlocks: 12
; VGPRBlocks: 52
; NumSGPRsForWavesPerEU: 104
; NumVGPRsForWavesPerEU: 424
; AccumOffset: 256
; Occupancy: 1
; WaveLimiterHint : 1
; COMPUTE_PGM_RSRC2:SCRATCH_EN: 1
; COMPUTE_PGM_RSRC2:USER_SGPR: 2
; COMPUTE_PGM_RSRC2:TRAP_HANDLER: 0
; COMPUTE_PGM_RSRC2:TGID_X_EN: 1
; COMPUTE_PGM_RSRC2:TGID_Y_EN: 0
; COMPUTE_PGM_RSRC2:TGID_Z_EN: 0
; COMPUTE_PGM_RSRC2:TIDIG_COMP_CNT: 0
; COMPUTE_PGM_RSRC3_GFX90A:ACCUM_OFFSET: 63
; COMPUTE_PGM_RSRC3_GFX90A:TG_SPLIT: 0
	.section	.text._ZN9rocsolver6v33100L18getri_kernel_smallILi62E19rocblas_complex_numIdEPKPS3_EEvT1_iilPiilS8_bb,"axG",@progbits,_ZN9rocsolver6v33100L18getri_kernel_smallILi62E19rocblas_complex_numIdEPKPS3_EEvT1_iilPiilS8_bb,comdat
	.globl	_ZN9rocsolver6v33100L18getri_kernel_smallILi62E19rocblas_complex_numIdEPKPS3_EEvT1_iilPiilS8_bb ; -- Begin function _ZN9rocsolver6v33100L18getri_kernel_smallILi62E19rocblas_complex_numIdEPKPS3_EEvT1_iilPiilS8_bb
	.p2align	8
	.type	_ZN9rocsolver6v33100L18getri_kernel_smallILi62E19rocblas_complex_numIdEPKPS3_EEvT1_iilPiilS8_bb,@function
_ZN9rocsolver6v33100L18getri_kernel_smallILi62E19rocblas_complex_numIdEPKPS3_EEvT1_iilPiilS8_bb: ; @_ZN9rocsolver6v33100L18getri_kernel_smallILi62E19rocblas_complex_numIdEPKPS3_EEvT1_iilPiilS8_bb
; %bb.0:
	v_cmp_gt_u32_e32 vcc, 62, v0
	s_and_saveexec_b64 s[4:5], vcc
	s_cbranch_execz .LBB125_274
; %bb.1:
	s_load_dword s12, s[0:1], 0x38
	s_load_dwordx2 s[4:5], s[0:1], 0x0
	s_load_dwordx4 s[8:11], s[0:1], 0x28
                                        ; implicit-def: $vgpr255 : SGPR spill to VGPR lane
	s_waitcnt lgkmcnt(0)
	s_bitcmp1_b32 s12, 8
	s_cselect_b64 s[6:7], -1, 0
	v_writelane_b32 v255, s6, 0
	s_ashr_i32 s3, s2, 31
	s_nop 0
	v_writelane_b32 v255, s7, 1
	s_lshl_b64 s[6:7], s[2:3], 3
	s_add_u32 s4, s4, s6
	s_addc_u32 s5, s5, s7
	s_load_dwordx2 s[6:7], s[4:5], 0x0
	s_bfe_u32 s4, s12, 0x10008
	s_cmp_eq_u32 s4, 0
                                        ; implicit-def: $sgpr12_sgpr13
	s_cbranch_scc1 .LBB125_3
; %bb.2:
	s_load_dword s4, s[0:1], 0x20
	s_load_dwordx2 s[12:13], s[0:1], 0x18
	s_mul_i32 s5, s8, s3
	s_mul_hi_u32 s16, s8, s2
	s_add_i32 s16, s16, s5
	s_mul_i32 s9, s9, s2
	s_add_i32 s9, s16, s9
	s_mul_i32 s8, s8, s2
	s_waitcnt lgkmcnt(0)
	s_ashr_i32 s5, s4, 31
	s_lshl_b64 s[8:9], s[8:9], 2
	s_add_u32 s8, s12, s8
	s_addc_u32 s9, s13, s9
	s_lshl_b64 s[4:5], s[4:5], 2
	s_add_u32 s12, s8, s4
	s_addc_u32 s13, s9, s5
.LBB125_3:
	s_load_dwordx2 s[4:5], s[0:1], 0x8
	s_load_dword s8, s[0:1], 0x38
	v_lshlrev_b32_e32 v14, 4, v0
	v_mov_b32_e32 v15, 0
	s_movk_i32 s9, 0x80
	s_waitcnt lgkmcnt(0)
	s_ashr_i32 s1, s4, 31
	s_mov_b32 s0, s4
	s_lshl_b64 s[0:1], s[0:1], 4
	s_add_u32 s0, s6, s0
	s_addc_u32 s1, s7, s1
	v_lshl_add_u64 v[6:7], s[0:1], 0, v[14:15]
	flat_load_dwordx4 v[2:5], v[6:7]
	s_mov_b32 s6, s5
	s_ashr_i32 s7, s5, 31
	v_accvgpr_write_b32 a2, v6
	v_accvgpr_write_b32 a3, v7
	v_lshl_add_u64 v[6:7], s[6:7], 4, v[6:7]
	v_accvgpr_write_b32 a4, v6
	s_add_i32 s4, s5, s5
	v_accvgpr_write_b32 a5, v7
	s_movk_i32 s6, 0x60
	s_movk_i32 s7, 0x70
	;; [unrolled: 1-line block ×44, first 2 shown]
	s_movk_i32 vcc_lo, 0x360
	s_movk_i32 vcc_hi, 0x370
	s_movk_i32 s14, 0x380
	s_movk_i32 s15, 0x390
	s_movk_i32 s49, 0x3a0
	s_movk_i32 s50, 0x3b0
	s_movk_i32 s51, 0x3c0
	s_movk_i32 s52, 0x3d0
	s_add_i32 s82, s6, 16
	s_add_i32 s81, s7, 16
	;; [unrolled: 1-line block ×19, first 2 shown]
	s_waitcnt vmcnt(0) lgkmcnt(0)
	scratch_store_dwordx4 off, v[2:5], off offset:16
	flat_load_dwordx4 v[2:5], v[6:7]
	v_add_u32_e32 v6, s4, v0
	v_ashrrev_i32_e32 v7, 31, v6
	v_lshl_add_u64 v[8:9], v[6:7], 4, s[0:1]
	v_add_u32_e32 v6, s5, v6
	v_accvgpr_write_b32 a6, v8
	v_ashrrev_i32_e32 v7, 31, v6
	v_accvgpr_write_b32 a7, v9
	s_movk_i32 s4, 0x50
	s_add_i32 s83, s4, 16
	s_add_i32 s63, s33, 16
	;; [unrolled: 1-line block ×27, first 2 shown]
	s_add_i32 s34, vcc_lo, 16
	s_add_i32 s33, vcc_hi, 16
	s_add_i32 s31, s14, 16
	s_add_i32 s30, s15, 16
	;; [unrolled: 1-line block ×6, first 2 shown]
	s_mov_b32 s87, 32
	s_mov_b32 s86, 48
	;; [unrolled: 1-line block ×3, first 2 shown]
	s_movk_i32 s84, 0x50
	s_waitcnt vmcnt(0) lgkmcnt(0)
	scratch_store_dwordx4 off, v[2:5], off offset:32
	flat_load_dwordx4 v[2:5], v[8:9]
	v_lshl_add_u64 v[8:9], v[6:7], 4, s[0:1]
	v_add_u32_e32 v6, s5, v6
	v_accvgpr_write_b32 a8, v8
	v_ashrrev_i32_e32 v7, 31, v6
	v_accvgpr_write_b32 a9, v9
	s_waitcnt vmcnt(0) lgkmcnt(0)
	scratch_store_dwordx4 off, v[2:5], off offset:48
	flat_load_dwordx4 v[2:5], v[8:9]
	v_lshl_add_u64 v[8:9], v[6:7], 4, s[0:1]
	v_add_u32_e32 v6, s5, v6
	v_accvgpr_write_b32 a11, v9
	v_ashrrev_i32_e32 v7, 31, v6
	v_accvgpr_write_b32 a10, v8
	;; [unrolled: 8-line block ×57, first 2 shown]
	s_waitcnt vmcnt(0) lgkmcnt(0)
	scratch_store_dwordx4 off, v[2:5], off offset:944
	flat_load_dwordx4 v[2:5], v[8:9]
	v_lshl_add_u64 v[8:9], v[6:7], 4, s[0:1]
	v_add_u32_e32 v6, s5, v6
	v_ashrrev_i32_e32 v7, 31, v6
	v_lshl_add_u64 v[6:7], v[6:7], 4, s[0:1]
	s_movk_i32 s0, 0x2d0
	s_movk_i32 s1, 0x2e0
	;; [unrolled: 1-line block ×3, first 2 shown]
	v_accvgpr_write_b32 a123, v9
	v_accvgpr_write_b32 a125, v7
	s_add_i32 s43, s0, 16
	s_add_i32 s42, s1, 16
	;; [unrolled: 1-line block ×3, first 2 shown]
	v_accvgpr_write_b32 a122, v8
	v_accvgpr_write_b32 a124, v6
	s_bitcmp0_b32 s8, 0
	s_mov_b64 s[4:5], -1
	s_waitcnt vmcnt(0) lgkmcnt(0)
	scratch_store_dwordx4 off, v[2:5], off offset:960
	flat_load_dwordx4 v[2:5], v[8:9]
	s_waitcnt vmcnt(0) lgkmcnt(0)
	scratch_store_dwordx4 off, v[2:5], off offset:976
	flat_load_dwordx4 v[2:5], v[6:7]
	s_waitcnt vmcnt(0) lgkmcnt(0)
	scratch_store_dwordx4 off, v[2:5], off offset:992
	s_cbranch_scc1 .LBB125_272
; %bb.4:
	v_cmp_eq_u32_e64 s[0:1], 0, v0
	s_and_saveexec_b64 s[4:5], s[0:1]
; %bb.5:
	v_mov_b32_e32 v1, 0
	ds_write_b32 v1, v1 offset:1984
; %bb.6:
	s_or_b64 exec, exec, s[4:5]
	s_waitcnt lgkmcnt(0)
	; wave barrier
	scratch_load_dwordx4 v[2:5], v14, off offset:16
	s_waitcnt vmcnt(0)
	v_cmp_eq_f64_e32 vcc, 0, v[2:3]
	v_cmp_eq_f64_e64 s[4:5], 0, v[4:5]
	s_and_b64 s[4:5], vcc, s[4:5]
	s_and_saveexec_b64 s[6:7], s[4:5]
	s_cbranch_execz .LBB125_10
; %bb.7:
	v_mov_b32_e32 v1, 0
	ds_read_b32 v3, v1 offset:1984
	v_add_u32_e32 v2, 1, v0
	s_waitcnt lgkmcnt(0)
	v_readfirstlane_b32 s4, v3
	s_cmp_eq_u32 s4, 0
	s_cselect_b64 s[8:9], -1, 0
	v_cmp_gt_i32_e32 vcc, s4, v2
	s_or_b64 s[8:9], s[8:9], vcc
	s_and_b64 exec, exec, s[8:9]
	s_cbranch_execz .LBB125_10
; %bb.8:
	s_mov_b64 s[8:9], 0
	v_mov_b32_e32 v3, s4
.LBB125_9:                              ; =>This Inner Loop Header: Depth=1
	ds_cmpst_rtn_b32 v3, v1, v3, v2 offset:1984
	s_waitcnt lgkmcnt(0)
	v_cmp_ne_u32_e32 vcc, 0, v3
	v_cmp_le_i32_e64 s[4:5], v3, v2
	s_and_b64 s[4:5], vcc, s[4:5]
	s_and_b64 s[4:5], exec, s[4:5]
	s_or_b64 s[8:9], s[4:5], s[8:9]
	s_andn2_b64 exec, exec, s[8:9]
	s_cbranch_execnz .LBB125_9
.LBB125_10:
	s_or_b64 exec, exec, s[6:7]
	v_mov_b32_e32 v2, 0
	; wave barrier
	ds_read_b32 v1, v2 offset:1984
	s_and_saveexec_b64 s[4:5], s[0:1]
	s_cbranch_execz .LBB125_12
; %bb.11:
	s_lshl_b64 s[6:7], s[2:3], 2
	s_add_u32 s6, s10, s6
	s_addc_u32 s7, s11, s7
	s_waitcnt lgkmcnt(0)
	global_store_dword v2, v1, s[6:7]
.LBB125_12:
	s_or_b64 exec, exec, s[4:5]
	s_waitcnt lgkmcnt(0)
	v_cmp_ne_u32_e32 vcc, 0, v1
	s_mov_b64 s[4:5], 0
	s_cbranch_vccnz .LBB125_272
; %bb.13:
	v_add_u32_e32 v15, 16, v14
	scratch_load_dwordx4 v[2:5], v15, off
                                        ; implicit-def: $vgpr6_vgpr7
                                        ; implicit-def: $vgpr10_vgpr11
	s_waitcnt vmcnt(0)
	v_cmp_ngt_f64_e64 s[4:5], |v[2:3]|, |v[4:5]|
	s_and_saveexec_b64 s[6:7], s[4:5]
	s_xor_b64 s[4:5], exec, s[6:7]
	s_cbranch_execz .LBB125_15
; %bb.14:
	v_div_scale_f64 v[6:7], s[6:7], v[4:5], v[4:5], v[2:3]
	v_rcp_f64_e32 v[8:9], v[6:7]
	v_div_scale_f64 v[10:11], vcc, v[2:3], v[4:5], v[2:3]
	v_fma_f64 v[12:13], -v[6:7], v[8:9], 1.0
	v_fmac_f64_e32 v[8:9], v[8:9], v[12:13]
	v_fma_f64 v[12:13], -v[6:7], v[8:9], 1.0
	v_fmac_f64_e32 v[8:9], v[8:9], v[12:13]
	v_mul_f64 v[12:13], v[10:11], v[8:9]
	v_fma_f64 v[6:7], -v[6:7], v[12:13], v[10:11]
	v_div_fmas_f64 v[6:7], v[6:7], v[8:9], v[12:13]
	v_div_fixup_f64 v[6:7], v[6:7], v[4:5], v[2:3]
	v_fmac_f64_e32 v[4:5], v[2:3], v[6:7]
	v_div_scale_f64 v[2:3], s[6:7], v[4:5], v[4:5], 1.0
	v_rcp_f64_e32 v[8:9], v[2:3]
	s_nop 0
	v_fma_f64 v[10:11], -v[2:3], v[8:9], 1.0
	v_fmac_f64_e32 v[8:9], v[8:9], v[10:11]
	v_fma_f64 v[10:11], -v[2:3], v[8:9], 1.0
	v_fmac_f64_e32 v[8:9], v[8:9], v[10:11]
	v_div_scale_f64 v[10:11], vcc, 1.0, v[4:5], 1.0
	v_mul_f64 v[12:13], v[10:11], v[8:9]
	v_fma_f64 v[2:3], -v[2:3], v[12:13], v[10:11]
	s_nop 1
	v_div_fmas_f64 v[2:3], v[2:3], v[8:9], v[12:13]
	v_div_fixup_f64 v[8:9], v[2:3], v[4:5], 1.0
	v_mul_f64 v[6:7], v[6:7], v[8:9]
	v_xor_b32_e32 v9, 0x80000000, v9
	v_xor_b32_e32 v11, 0x80000000, v7
	v_mov_b32_e32 v10, v6
                                        ; implicit-def: $vgpr2_vgpr3
.LBB125_15:
	s_andn2_saveexec_b64 s[4:5], s[4:5]
	s_cbranch_execz .LBB125_17
; %bb.16:
	v_div_scale_f64 v[6:7], s[6:7], v[2:3], v[2:3], v[4:5]
	v_rcp_f64_e32 v[8:9], v[6:7]
	v_div_scale_f64 v[10:11], vcc, v[4:5], v[2:3], v[4:5]
	v_fma_f64 v[12:13], -v[6:7], v[8:9], 1.0
	v_fmac_f64_e32 v[8:9], v[8:9], v[12:13]
	v_fma_f64 v[12:13], -v[6:7], v[8:9], 1.0
	v_fmac_f64_e32 v[8:9], v[8:9], v[12:13]
	v_mul_f64 v[12:13], v[10:11], v[8:9]
	v_fma_f64 v[6:7], -v[6:7], v[12:13], v[10:11]
	v_div_fmas_f64 v[6:7], v[6:7], v[8:9], v[12:13]
	v_div_fixup_f64 v[8:9], v[6:7], v[2:3], v[4:5]
	v_fmac_f64_e32 v[2:3], v[4:5], v[8:9]
	v_div_scale_f64 v[4:5], s[6:7], v[2:3], v[2:3], 1.0
	v_rcp_f64_e32 v[6:7], v[4:5]
	s_nop 0
	v_fma_f64 v[10:11], -v[4:5], v[6:7], 1.0
	v_fmac_f64_e32 v[6:7], v[6:7], v[10:11]
	v_fma_f64 v[10:11], -v[4:5], v[6:7], 1.0
	v_fmac_f64_e32 v[6:7], v[6:7], v[10:11]
	v_div_scale_f64 v[10:11], vcc, 1.0, v[2:3], 1.0
	v_mul_f64 v[12:13], v[10:11], v[6:7]
	v_fma_f64 v[4:5], -v[4:5], v[12:13], v[10:11]
	s_nop 1
	v_div_fmas_f64 v[4:5], v[4:5], v[6:7], v[12:13]
	v_div_fixup_f64 v[6:7], v[4:5], v[2:3], 1.0
	v_xor_b32_e32 v11, 0x80000000, v7
	v_mov_b32_e32 v10, v6
	v_mul_f64 v[8:9], v[8:9], -v[6:7]
.LBB125_17:
	s_or_b64 exec, exec, s[4:5]
	scratch_store_dwordx4 v15, v[6:9], off
	scratch_load_dwordx4 v[2:5], off, s87
	v_xor_b32_e32 v13, 0x80000000, v9
	v_mov_b32_e32 v12, v8
	v_add_u32_e32 v1, 0x3e0, v14
	ds_write_b128 v14, v[10:13]
	s_waitcnt vmcnt(0)
	ds_write_b128 v14, v[2:5] offset:992
	s_waitcnt lgkmcnt(0)
	; wave barrier
	s_and_saveexec_b64 s[4:5], s[0:1]
	s_cbranch_execz .LBB125_19
; %bb.18:
	scratch_load_dwordx4 v[2:5], v15, off
	ds_read_b128 v[6:9], v1
	v_mov_b32_e32 v10, 0
	ds_read_b128 v[10:13], v10 offset:16
	s_waitcnt vmcnt(0) lgkmcnt(1)
	v_mul_f64 v[16:17], v[8:9], v[4:5]
	v_mul_f64 v[4:5], v[6:7], v[4:5]
	v_fma_f64 v[6:7], v[6:7], v[2:3], -v[16:17]
	v_fmac_f64_e32 v[4:5], v[8:9], v[2:3]
	v_add_f64 v[2:3], v[6:7], 0
	v_add_f64 v[6:7], v[4:5], 0
	s_waitcnt lgkmcnt(0)
	v_mul_f64 v[8:9], v[6:7], v[12:13]
	v_mul_f64 v[4:5], v[2:3], v[12:13]
	v_fma_f64 v[2:3], v[2:3], v[10:11], -v[8:9]
	v_fmac_f64_e32 v[4:5], v[6:7], v[10:11]
	scratch_store_dwordx4 off, v[2:5], off offset:32
.LBB125_19:
	s_or_b64 exec, exec, s[4:5]
	; wave barrier
	scratch_load_dwordx4 v[2:5], off, s86
	v_cmp_gt_u32_e32 vcc, 2, v0
	s_waitcnt vmcnt(0)
	ds_write_b128 v1, v[2:5]
	s_waitcnt lgkmcnt(0)
	; wave barrier
	s_and_saveexec_b64 s[4:5], vcc
	s_cbranch_execz .LBB125_23
; %bb.20:
	scratch_load_dwordx4 v[2:5], v15, off
	ds_read_b128 v[6:9], v1
	s_waitcnt vmcnt(0) lgkmcnt(0)
	v_mul_f64 v[10:11], v[8:9], v[4:5]
	v_mul_f64 v[12:13], v[6:7], v[4:5]
	v_fma_f64 v[4:5], v[6:7], v[2:3], -v[10:11]
	v_fmac_f64_e32 v[12:13], v[8:9], v[2:3]
	v_add_f64 v[4:5], v[4:5], 0
	v_add_f64 v[2:3], v[12:13], 0
	s_and_saveexec_b64 s[6:7], s[0:1]
	s_cbranch_execz .LBB125_22
; %bb.21:
	scratch_load_dwordx4 v[6:9], off, off offset:32
	v_mov_b32_e32 v10, 0
	ds_read_b128 v[10:13], v10 offset:1008
	s_waitcnt vmcnt(0) lgkmcnt(0)
	v_mul_f64 v[16:17], v[10:11], v[8:9]
	v_mul_f64 v[8:9], v[12:13], v[8:9]
	v_fmac_f64_e32 v[16:17], v[12:13], v[6:7]
	v_fma_f64 v[6:7], v[10:11], v[6:7], -v[8:9]
	v_add_f64 v[2:3], v[2:3], v[16:17]
	v_add_f64 v[4:5], v[4:5], v[6:7]
.LBB125_22:
	s_or_b64 exec, exec, s[6:7]
	v_mov_b32_e32 v6, 0
	ds_read_b128 v[6:9], v6 offset:32
	s_waitcnt lgkmcnt(0)
	v_mul_f64 v[12:13], v[2:3], v[8:9]
	v_mul_f64 v[10:11], v[4:5], v[8:9]
	v_fma_f64 v[8:9], v[4:5], v[6:7], -v[12:13]
	v_fmac_f64_e32 v[10:11], v[2:3], v[6:7]
	scratch_store_dwordx4 off, v[8:11], off offset:48
.LBB125_23:
	s_or_b64 exec, exec, s[4:5]
	; wave barrier
	scratch_load_dwordx4 v[2:5], off, s85
	v_cmp_gt_u32_e64 s[4:5], 3, v0
	v_add_u32_e32 v6, -1, v0
	s_waitcnt vmcnt(0)
	ds_write_b128 v1, v[2:5]
	s_waitcnt lgkmcnt(0)
	; wave barrier
	s_and_saveexec_b64 s[6:7], s[4:5]
	s_cbranch_execz .LBB125_27
; %bb.24:
	v_add_u32_e32 v7, -1, v0
	v_add_u32_e32 v8, 0x3e0, v14
	v_add_u32_e32 v9, 16, v14
	v_mov_b64_e32 v[2:3], 0
	s_mov_b64 s[8:9], 0
	v_mov_b64_e32 v[4:5], 0
.LBB125_25:                             ; =>This Inner Loop Header: Depth=1
	scratch_load_dwordx4 v[10:13], v9, off
	ds_read_b128 v[16:19], v8
	v_add_u32_e32 v7, 1, v7
	v_cmp_lt_u32_e64 s[4:5], 1, v7
	v_add_u32_e32 v8, 16, v8
	v_add_u32_e32 v9, 16, v9
	s_or_b64 s[8:9], s[4:5], s[8:9]
	s_waitcnt vmcnt(0) lgkmcnt(0)
	v_mul_f64 v[20:21], v[18:19], v[12:13]
	v_mul_f64 v[12:13], v[16:17], v[12:13]
	v_fma_f64 v[16:17], v[16:17], v[10:11], -v[20:21]
	v_fmac_f64_e32 v[12:13], v[18:19], v[10:11]
	v_add_f64 v[4:5], v[4:5], v[16:17]
	v_add_f64 v[2:3], v[2:3], v[12:13]
	s_andn2_b64 exec, exec, s[8:9]
	s_cbranch_execnz .LBB125_25
; %bb.26:
	s_or_b64 exec, exec, s[8:9]
	v_mov_b32_e32 v7, 0
	ds_read_b128 v[8:11], v7 offset:48
	s_waitcnt lgkmcnt(0)
	v_mul_f64 v[16:17], v[2:3], v[10:11]
	v_mul_f64 v[12:13], v[4:5], v[10:11]
	v_fma_f64 v[10:11], v[4:5], v[8:9], -v[16:17]
	v_fmac_f64_e32 v[12:13], v[2:3], v[8:9]
	scratch_store_dwordx4 off, v[10:13], off offset:64
.LBB125_27:
	s_or_b64 exec, exec, s[6:7]
	; wave barrier
	scratch_load_dwordx4 v[2:5], off, s84
	v_cmp_gt_u32_e64 s[4:5], 4, v0
	s_waitcnt vmcnt(0)
	ds_write_b128 v1, v[2:5]
	s_waitcnt lgkmcnt(0)
	; wave barrier
	s_and_saveexec_b64 s[8:9], s[4:5]
	s_cbranch_execz .LBB125_31
; %bb.28:
	v_add_u32_e32 v7, -1, v0
	v_add_u32_e32 v8, 0x3e0, v14
	v_add_u32_e32 v9, 16, v14
	v_mov_b64_e32 v[2:3], 0
	s_mov_b64 s[16:17], 0
	v_mov_b64_e32 v[4:5], 0
.LBB125_29:                             ; =>This Inner Loop Header: Depth=1
	scratch_load_dwordx4 v[10:13], v9, off
	ds_read_b128 v[16:19], v8
	v_add_u32_e32 v7, 1, v7
	v_cmp_lt_u32_e64 s[6:7], 2, v7
	v_add_u32_e32 v8, 16, v8
	v_add_u32_e32 v9, 16, v9
	s_or_b64 s[16:17], s[6:7], s[16:17]
	s_waitcnt vmcnt(0) lgkmcnt(0)
	v_mul_f64 v[20:21], v[18:19], v[12:13]
	v_mul_f64 v[12:13], v[16:17], v[12:13]
	v_fma_f64 v[16:17], v[16:17], v[10:11], -v[20:21]
	v_fmac_f64_e32 v[12:13], v[18:19], v[10:11]
	v_add_f64 v[4:5], v[4:5], v[16:17]
	v_add_f64 v[2:3], v[2:3], v[12:13]
	s_andn2_b64 exec, exec, s[16:17]
	s_cbranch_execnz .LBB125_29
; %bb.30:
	s_or_b64 exec, exec, s[16:17]
	v_mov_b32_e32 v7, 0
	ds_read_b128 v[8:11], v7 offset:64
	s_waitcnt lgkmcnt(0)
	v_mul_f64 v[16:17], v[2:3], v[10:11]
	v_mul_f64 v[12:13], v[4:5], v[10:11]
	v_fma_f64 v[10:11], v[4:5], v[8:9], -v[16:17]
	v_fmac_f64_e32 v[12:13], v[2:3], v[8:9]
	scratch_store_dwordx4 off, v[10:13], off offset:80
.LBB125_31:
	s_or_b64 exec, exec, s[8:9]
	; wave barrier
	scratch_load_dwordx4 v[2:5], off, s83
	v_cmp_gt_u32_e64 s[6:7], 5, v0
	;; [unrolled: 45-line block ×5, first 2 shown]
	s_waitcnt vmcnt(0)
	ds_write_b128 v1, v[2:5]
	s_waitcnt lgkmcnt(0)
	; wave barrier
	s_and_saveexec_b64 s[16:17], s[8:9]
	s_cbranch_execz .LBB125_59
; %bb.44:
	scratch_load_dwordx4 v[2:5], v15, off
	ds_read_b128 v[8:11], v1
	v_cmp_ne_u32_e64 s[8:9], 7, v0
	s_waitcnt vmcnt(0) lgkmcnt(0)
	v_mul_f64 v[12:13], v[10:11], v[4:5]
	v_mul_f64 v[16:17], v[8:9], v[4:5]
	v_fma_f64 v[4:5], v[8:9], v[2:3], -v[12:13]
	v_fmac_f64_e32 v[16:17], v[10:11], v[2:3]
	v_add_f64 v[4:5], v[4:5], 0
	v_add_f64 v[2:3], v[16:17], 0
	s_and_saveexec_b64 s[18:19], s[8:9]
	s_cbranch_execz .LBB125_58
; %bb.45:
	scratch_load_dwordx4 v[8:11], v15, off offset:16
	ds_read_b128 v[16:19], v1 offset:16
	s_waitcnt vmcnt(0) lgkmcnt(0)
	v_mul_f64 v[12:13], v[18:19], v[10:11]
	v_mul_f64 v[10:11], v[16:17], v[10:11]
	v_fma_f64 v[12:13], v[16:17], v[8:9], -v[12:13]
	v_fmac_f64_e32 v[10:11], v[18:19], v[8:9]
	v_add_f64 v[4:5], v[4:5], v[12:13]
	v_add_f64 v[2:3], v[2:3], v[10:11]
	s_and_saveexec_b64 s[8:9], s[6:7]
	s_cbranch_execz .LBB125_57
; %bb.46:
	scratch_load_dwordx4 v[8:11], v15, off offset:32
	ds_read_b128 v[16:19], v1 offset:32
	v_cmp_ne_u32_e64 s[6:7], 5, v0
	s_waitcnt vmcnt(0) lgkmcnt(0)
	v_mul_f64 v[12:13], v[18:19], v[10:11]
	v_mul_f64 v[10:11], v[16:17], v[10:11]
	v_fma_f64 v[12:13], v[16:17], v[8:9], -v[12:13]
	v_fmac_f64_e32 v[10:11], v[18:19], v[8:9]
	v_add_f64 v[4:5], v[4:5], v[12:13]
	v_add_f64 v[2:3], v[2:3], v[10:11]
	s_and_saveexec_b64 s[20:21], s[6:7]
	s_cbranch_execz .LBB125_56
; %bb.47:
	scratch_load_dwordx4 v[8:11], v15, off offset:48
	ds_read_b128 v[16:19], v1 offset:48
	s_waitcnt vmcnt(0) lgkmcnt(0)
	v_mul_f64 v[12:13], v[18:19], v[10:11]
	v_mul_f64 v[10:11], v[16:17], v[10:11]
	v_fma_f64 v[12:13], v[16:17], v[8:9], -v[12:13]
	v_fmac_f64_e32 v[10:11], v[18:19], v[8:9]
	v_add_f64 v[4:5], v[4:5], v[12:13]
	v_add_f64 v[2:3], v[2:3], v[10:11]
	s_and_saveexec_b64 s[6:7], s[4:5]
	s_cbranch_execz .LBB125_55
; %bb.48:
	scratch_load_dwordx4 v[8:11], v15, off offset:64
	ds_read_b128 v[16:19], v1 offset:64
	v_cmp_ne_u32_e64 s[4:5], 3, v0
	s_waitcnt vmcnt(0) lgkmcnt(0)
	v_mul_f64 v[12:13], v[18:19], v[10:11]
	v_mul_f64 v[10:11], v[16:17], v[10:11]
	v_fma_f64 v[12:13], v[16:17], v[8:9], -v[12:13]
	v_fmac_f64_e32 v[10:11], v[18:19], v[8:9]
	v_add_f64 v[4:5], v[4:5], v[12:13]
	v_add_f64 v[2:3], v[2:3], v[10:11]
	s_and_saveexec_b64 s[22:23], s[4:5]
	s_cbranch_execz .LBB125_54
; %bb.49:
	scratch_load_dwordx4 v[8:11], v15, off offset:80
	ds_read_b128 v[16:19], v1 offset:80
	s_waitcnt vmcnt(0) lgkmcnt(0)
	v_mul_f64 v[12:13], v[18:19], v[10:11]
	v_mul_f64 v[10:11], v[16:17], v[10:11]
	v_fma_f64 v[12:13], v[16:17], v[8:9], -v[12:13]
	v_fmac_f64_e32 v[10:11], v[18:19], v[8:9]
	v_add_f64 v[4:5], v[4:5], v[12:13]
	v_add_f64 v[2:3], v[2:3], v[10:11]
	s_and_saveexec_b64 s[4:5], vcc
	s_cbranch_execz .LBB125_53
; %bb.50:
	scratch_load_dwordx4 v[8:11], v15, off offset:96
	ds_read_b128 v[16:19], v1 offset:96
	s_waitcnt vmcnt(0) lgkmcnt(0)
	v_mul_f64 v[12:13], v[18:19], v[10:11]
	v_mul_f64 v[10:11], v[16:17], v[10:11]
	v_fma_f64 v[12:13], v[16:17], v[8:9], -v[12:13]
	v_fmac_f64_e32 v[10:11], v[18:19], v[8:9]
	v_add_f64 v[4:5], v[4:5], v[12:13]
	v_add_f64 v[2:3], v[2:3], v[10:11]
	s_and_saveexec_b64 s[24:25], s[0:1]
	s_cbranch_execz .LBB125_52
; %bb.51:
	scratch_load_dwordx4 v[8:11], v15, off offset:112
	ds_read_b128 v[16:19], v1 offset:112
	s_waitcnt vmcnt(0) lgkmcnt(0)
	v_mul_f64 v[12:13], v[18:19], v[10:11]
	v_mul_f64 v[10:11], v[16:17], v[10:11]
	v_fma_f64 v[12:13], v[16:17], v[8:9], -v[12:13]
	v_fmac_f64_e32 v[10:11], v[18:19], v[8:9]
	v_add_f64 v[4:5], v[4:5], v[12:13]
	v_add_f64 v[2:3], v[2:3], v[10:11]
.LBB125_52:
	s_or_b64 exec, exec, s[24:25]
.LBB125_53:
	s_or_b64 exec, exec, s[4:5]
.LBB125_54:
	s_or_b64 exec, exec, s[22:23]
.LBB125_55:
	s_or_b64 exec, exec, s[6:7]
.LBB125_56:
	s_or_b64 exec, exec, s[20:21]
.LBB125_57:
	s_or_b64 exec, exec, s[8:9]
.LBB125_58:
	s_or_b64 exec, exec, s[18:19]
	v_mov_b32_e32 v7, 0
	ds_read_b128 v[8:11], v7 offset:128
	s_waitcnt lgkmcnt(0)
	v_mul_f64 v[16:17], v[2:3], v[10:11]
	v_mul_f64 v[12:13], v[4:5], v[10:11]
	v_fma_f64 v[10:11], v[4:5], v[8:9], -v[16:17]
	v_fmac_f64_e32 v[12:13], v[2:3], v[8:9]
	scratch_store_dwordx4 off, v[10:13], off offset:144
.LBB125_59:
	s_or_b64 exec, exec, s[16:17]
	; wave barrier
	scratch_load_dwordx4 v[2:5], off, s79
	v_cmp_gt_u32_e32 vcc, 9, v0
	s_waitcnt vmcnt(0)
	ds_write_b128 v1, v[2:5]
	s_waitcnt lgkmcnt(0)
	; wave barrier
	s_and_saveexec_b64 s[0:1], vcc
	s_cbranch_execz .LBB125_63
; %bb.60:
	v_add_u32_e32 v7, -1, v0
	v_add_u32_e32 v8, 0x3e0, v14
	v_add_u32_e32 v9, 16, v14
	v_mov_b64_e32 v[2:3], 0
	s_mov_b64 s[4:5], 0
	v_mov_b64_e32 v[4:5], 0
.LBB125_61:                             ; =>This Inner Loop Header: Depth=1
	scratch_load_dwordx4 v[10:13], v9, off
	ds_read_b128 v[16:19], v8
	v_add_u32_e32 v7, 1, v7
	v_cmp_lt_u32_e32 vcc, 7, v7
	v_add_u32_e32 v8, 16, v8
	v_add_u32_e32 v9, 16, v9
	s_or_b64 s[4:5], vcc, s[4:5]
	s_waitcnt vmcnt(0) lgkmcnt(0)
	v_mul_f64 v[20:21], v[18:19], v[12:13]
	v_mul_f64 v[12:13], v[16:17], v[12:13]
	v_fma_f64 v[16:17], v[16:17], v[10:11], -v[20:21]
	v_fmac_f64_e32 v[12:13], v[18:19], v[10:11]
	v_add_f64 v[4:5], v[4:5], v[16:17]
	v_add_f64 v[2:3], v[2:3], v[12:13]
	s_andn2_b64 exec, exec, s[4:5]
	s_cbranch_execnz .LBB125_61
; %bb.62:
	s_or_b64 exec, exec, s[4:5]
	v_mov_b32_e32 v7, 0
	ds_read_b128 v[8:11], v7 offset:144
	s_waitcnt lgkmcnt(0)
	v_mul_f64 v[16:17], v[2:3], v[10:11]
	v_mul_f64 v[12:13], v[4:5], v[10:11]
	v_fma_f64 v[10:11], v[4:5], v[8:9], -v[16:17]
	v_fmac_f64_e32 v[12:13], v[2:3], v[8:9]
	scratch_store_dwordx4 off, v[10:13], off offset:160
.LBB125_63:
	s_or_b64 exec, exec, s[0:1]
	; wave barrier
	scratch_load_dwordx4 v[2:5], off, s78
	v_cmp_gt_u32_e32 vcc, 10, v0
	s_waitcnt vmcnt(0)
	ds_write_b128 v1, v[2:5]
	s_waitcnt lgkmcnt(0)
	; wave barrier
	s_and_saveexec_b64 s[0:1], vcc
	s_cbranch_execz .LBB125_67
; %bb.64:
	v_add_u32_e32 v7, -1, v0
	v_add_u32_e32 v8, 0x3e0, v14
	v_add_u32_e32 v9, 16, v14
	v_mov_b64_e32 v[2:3], 0
	s_mov_b64 s[4:5], 0
	v_mov_b64_e32 v[4:5], 0
.LBB125_65:                             ; =>This Inner Loop Header: Depth=1
	scratch_load_dwordx4 v[10:13], v9, off
	ds_read_b128 v[16:19], v8
	v_add_u32_e32 v7, 1, v7
	v_cmp_lt_u32_e32 vcc, 8, v7
	v_add_u32_e32 v8, 16, v8
	v_add_u32_e32 v9, 16, v9
	s_or_b64 s[4:5], vcc, s[4:5]
	s_waitcnt vmcnt(0) lgkmcnt(0)
	v_mul_f64 v[20:21], v[18:19], v[12:13]
	v_mul_f64 v[12:13], v[16:17], v[12:13]
	v_fma_f64 v[16:17], v[16:17], v[10:11], -v[20:21]
	v_fmac_f64_e32 v[12:13], v[18:19], v[10:11]
	v_add_f64 v[4:5], v[4:5], v[16:17]
	v_add_f64 v[2:3], v[2:3], v[12:13]
	s_andn2_b64 exec, exec, s[4:5]
	s_cbranch_execnz .LBB125_65
; %bb.66:
	s_or_b64 exec, exec, s[4:5]
	v_mov_b32_e32 v7, 0
	ds_read_b128 v[8:11], v7 offset:160
	s_waitcnt lgkmcnt(0)
	v_mul_f64 v[16:17], v[2:3], v[10:11]
	v_mul_f64 v[12:13], v[4:5], v[10:11]
	v_fma_f64 v[10:11], v[4:5], v[8:9], -v[16:17]
	v_fmac_f64_e32 v[12:13], v[2:3], v[8:9]
	scratch_store_dwordx4 off, v[10:13], off offset:176
.LBB125_67:
	;; [unrolled: 45-line block ×10, first 2 shown]
	s_or_b64 exec, exec, s[0:1]
	; wave barrier
	scratch_load_dwordx4 v[2:5], off, s69
	v_cmp_gt_u32_e32 vcc, 19, v0
	s_waitcnt vmcnt(0)
	ds_write_b128 v1, v[2:5]
	s_waitcnt lgkmcnt(0)
	; wave barrier
	s_and_saveexec_b64 s[0:1], vcc
	s_cbranch_execz .LBB125_103
; %bb.100:
	v_add_u32_e32 v7, -1, v0
	v_add_u32_e32 v8, 0x3e0, v14
	v_add_u32_e32 v9, 16, v14
	v_mov_b64_e32 v[2:3], 0
	s_mov_b64 s[4:5], 0
	v_mov_b64_e32 v[4:5], 0
.LBB125_101:                            ; =>This Inner Loop Header: Depth=1
	scratch_load_dwordx4 v[10:13], v9, off
	ds_read_b128 v[16:19], v8
	v_add_u32_e32 v7, 1, v7
	v_cmp_lt_u32_e32 vcc, 17, v7
	v_add_u32_e32 v8, 16, v8
	v_add_u32_e32 v9, 16, v9
	s_or_b64 s[4:5], vcc, s[4:5]
	s_waitcnt vmcnt(0) lgkmcnt(0)
	v_mul_f64 v[20:21], v[18:19], v[12:13]
	v_mul_f64 v[12:13], v[16:17], v[12:13]
	v_fma_f64 v[16:17], v[16:17], v[10:11], -v[20:21]
	v_fmac_f64_e32 v[12:13], v[18:19], v[10:11]
	v_add_f64 v[4:5], v[4:5], v[16:17]
	v_add_f64 v[2:3], v[2:3], v[12:13]
	s_andn2_b64 exec, exec, s[4:5]
	s_cbranch_execnz .LBB125_101
; %bb.102:
	s_or_b64 exec, exec, s[4:5]
	v_mov_b32_e32 v7, 0
	ds_read_b128 v[8:11], v7 offset:304
	s_waitcnt lgkmcnt(0)
	v_mul_f64 v[16:17], v[2:3], v[10:11]
	v_mul_f64 v[12:13], v[4:5], v[10:11]
	v_fma_f64 v[10:11], v[4:5], v[8:9], -v[16:17]
	v_fmac_f64_e32 v[12:13], v[2:3], v[8:9]
	scratch_store_dwordx4 off, v[10:13], off offset:320
.LBB125_103:
	s_or_b64 exec, exec, s[0:1]
	; wave barrier
	scratch_load_dwordx4 v[2:5], off, s68
	v_cmp_gt_u32_e32 vcc, 20, v0
	s_waitcnt vmcnt(0)
	ds_write_b128 v1, v[2:5]
	s_waitcnt lgkmcnt(0)
	; wave barrier
	s_and_saveexec_b64 s[0:1], vcc
	s_cbranch_execz .LBB125_107
; %bb.104:
	v_add_u32_e32 v7, -1, v0
	v_add_u32_e32 v8, 0x3e0, v14
	v_add_u32_e32 v9, 16, v14
	v_mov_b64_e32 v[2:3], 0
	s_mov_b64 s[4:5], 0
	v_mov_b64_e32 v[4:5], 0
.LBB125_105:                            ; =>This Inner Loop Header: Depth=1
	scratch_load_dwordx4 v[10:13], v9, off
	ds_read_b128 v[16:19], v8
	v_add_u32_e32 v7, 1, v7
	v_cmp_lt_u32_e32 vcc, 18, v7
	v_add_u32_e32 v8, 16, v8
	v_add_u32_e32 v9, 16, v9
	s_or_b64 s[4:5], vcc, s[4:5]
	s_waitcnt vmcnt(0) lgkmcnt(0)
	v_mul_f64 v[20:21], v[18:19], v[12:13]
	v_mul_f64 v[12:13], v[16:17], v[12:13]
	v_fma_f64 v[16:17], v[16:17], v[10:11], -v[20:21]
	v_fmac_f64_e32 v[12:13], v[18:19], v[10:11]
	v_add_f64 v[4:5], v[4:5], v[16:17]
	v_add_f64 v[2:3], v[2:3], v[12:13]
	s_andn2_b64 exec, exec, s[4:5]
	s_cbranch_execnz .LBB125_105
; %bb.106:
	s_or_b64 exec, exec, s[4:5]
	v_mov_b32_e32 v7, 0
	ds_read_b128 v[8:11], v7 offset:320
	s_waitcnt lgkmcnt(0)
	v_mul_f64 v[16:17], v[2:3], v[10:11]
	v_mul_f64 v[12:13], v[4:5], v[10:11]
	v_fma_f64 v[10:11], v[4:5], v[8:9], -v[16:17]
	v_fmac_f64_e32 v[12:13], v[2:3], v[8:9]
	scratch_store_dwordx4 off, v[10:13], off offset:336
.LBB125_107:
	;; [unrolled: 45-line block ×42, first 2 shown]
	s_or_b64 exec, exec, s[0:1]
	; wave barrier
	scratch_load_dwordx4 v[2:5], off, s14
	v_cmp_ne_u32_e32 vcc, 61, v0
	s_waitcnt vmcnt(0)
	ds_write_b128 v1, v[2:5]
	s_waitcnt lgkmcnt(0)
	; wave barrier
	s_and_saveexec_b64 s[0:1], vcc
	s_cbranch_execz .LBB125_271
; %bb.268:
	v_add_u32_e32 v1, 0x3e0, v14
	v_add_u32_e32 v7, 16, v14
	v_mov_b64_e32 v[2:3], 0
	s_mov_b64 s[4:5], 0
	v_mov_b64_e32 v[4:5], 0
.LBB125_269:                            ; =>This Inner Loop Header: Depth=1
	scratch_load_dwordx4 v[8:11], v7, off
	ds_read_b128 v[12:15], v1
	v_add_u32_e32 v6, 1, v6
	v_cmp_lt_u32_e32 vcc, 59, v6
	v_add_u32_e32 v1, 16, v1
	v_add_u32_e32 v7, 16, v7
	s_or_b64 s[4:5], vcc, s[4:5]
	s_waitcnt vmcnt(0) lgkmcnt(0)
	v_mul_f64 v[16:17], v[14:15], v[10:11]
	v_mul_f64 v[10:11], v[12:13], v[10:11]
	v_fma_f64 v[12:13], v[12:13], v[8:9], -v[16:17]
	v_fmac_f64_e32 v[10:11], v[14:15], v[8:9]
	v_add_f64 v[4:5], v[4:5], v[12:13]
	v_add_f64 v[2:3], v[2:3], v[10:11]
	s_andn2_b64 exec, exec, s[4:5]
	s_cbranch_execnz .LBB125_269
; %bb.270:
	s_or_b64 exec, exec, s[4:5]
	v_mov_b32_e32 v1, 0
	ds_read_b128 v[6:9], v1 offset:976
	s_waitcnt lgkmcnt(0)
	v_mul_f64 v[12:13], v[2:3], v[8:9]
	v_mul_f64 v[10:11], v[4:5], v[8:9]
	v_fma_f64 v[8:9], v[4:5], v[6:7], -v[12:13]
	v_fmac_f64_e32 v[10:11], v[2:3], v[6:7]
	scratch_store_dwordx4 off, v[8:11], off offset:992
.LBB125_271:
	s_or_b64 exec, exec, s[0:1]
	s_mov_b64 s[4:5], -1
	; wave barrier
.LBB125_272:
	s_and_b64 vcc, exec, s[4:5]
	s_cbranch_vccz .LBB125_274
; %bb.273:
	s_lshl_b64 s[0:1], s[2:3], 2
	s_add_u32 s0, s10, s0
	s_addc_u32 s1, s11, s1
	v_mov_b32_e32 v1, 0
	global_load_dword v1, v1, s[0:1]
	s_waitcnt vmcnt(0)
	v_cmp_ne_u32_e32 vcc, 0, v1
	s_cbranch_vccz .LBB125_275
.LBB125_274:
	s_endpgm
.LBB125_275:
	v_mov_b32_e32 v1, 0x3e0
	v_lshl_add_u32 v1, v0, 4, v1
	v_accvgpr_write_b32 a1, v1
	v_cmp_eq_u32_e32 vcc, 61, v0
	s_and_saveexec_b64 s[0:1], vcc
	s_cbranch_execz .LBB125_277
; %bb.276:
	scratch_load_dwordx4 v[2:5], off, s15
	v_mov_b32_e32 v6, 0
	v_mov_b32_e32 v7, v6
	;; [unrolled: 1-line block ×4, first 2 shown]
	v_accvgpr_read_b32 v1, a1
	scratch_store_dwordx4 off, v[6:9], off offset:976
	s_waitcnt vmcnt(1)
	ds_write_b128 v1, v[2:5]
.LBB125_277:
	s_or_b64 exec, exec, s[0:1]
	s_waitcnt lgkmcnt(0)
	; wave barrier
	scratch_load_dwordx4 v[4:7], off, off offset:992
	scratch_load_dwordx4 v[8:11], off, off offset:976
	v_mov_b32_e32 v2, 0
	ds_read_b128 v[12:15], v2 offset:1968
	v_cmp_lt_u32_e32 vcc, 59, v0
	s_waitcnt vmcnt(1) lgkmcnt(0)
	v_mul_f64 v[16:17], v[12:13], v[6:7]
	v_mul_f64 v[6:7], v[14:15], v[6:7]
	v_fmac_f64_e32 v[16:17], v[14:15], v[4:5]
	v_fma_f64 v[4:5], v[12:13], v[4:5], -v[6:7]
	v_add_f64 v[6:7], v[16:17], 0
	v_add_f64 v[4:5], v[4:5], 0
	s_waitcnt vmcnt(0)
	v_add_f64 v[4:5], v[8:9], -v[4:5]
	v_add_f64 v[6:7], v[10:11], -v[6:7]
	scratch_store_dwordx4 off, v[4:7], off offset:976
	s_and_saveexec_b64 s[0:1], vcc
	s_cbranch_execz .LBB125_279
; %bb.278:
	scratch_load_dwordx4 v[6:9], off, s49
	v_mov_b32_e32 v3, v2
	v_mov_b32_e32 v4, v2
	v_mov_b32_e32 v5, v2
	v_accvgpr_read_b32 v1, a1
	scratch_store_dwordx4 off, v[2:5], off offset:960
	s_waitcnt vmcnt(1)
	ds_write_b128 v1, v[6:9]
.LBB125_279:
	s_or_b64 exec, exec, s[0:1]
	s_waitcnt lgkmcnt(0)
	; wave barrier
	scratch_load_dwordx4 v[4:7], off, off offset:976
	scratch_load_dwordx4 v[8:11], off, off offset:992
	;; [unrolled: 1-line block ×3, first 2 shown]
	ds_read_b128 v[16:19], v2 offset:1952
	ds_read_b128 v[20:23], v2 offset:1968
	v_cmp_lt_u32_e32 vcc, 58, v0
	s_waitcnt vmcnt(2) lgkmcnt(1)
	v_mul_f64 v[2:3], v[16:17], v[6:7]
	v_mul_f64 v[6:7], v[18:19], v[6:7]
	s_waitcnt vmcnt(1) lgkmcnt(0)
	v_mul_f64 v[24:25], v[20:21], v[10:11]
	v_mul_f64 v[10:11], v[22:23], v[10:11]
	v_fmac_f64_e32 v[2:3], v[18:19], v[4:5]
	v_fma_f64 v[4:5], v[16:17], v[4:5], -v[6:7]
	v_fmac_f64_e32 v[24:25], v[22:23], v[8:9]
	v_fma_f64 v[6:7], v[20:21], v[8:9], -v[10:11]
	v_add_f64 v[2:3], v[2:3], 0
	v_add_f64 v[4:5], v[4:5], 0
	;; [unrolled: 1-line block ×4, first 2 shown]
	s_waitcnt vmcnt(0)
	v_add_f64 v[2:3], v[12:13], -v[2:3]
	v_add_f64 v[4:5], v[14:15], -v[8:9]
	scratch_store_dwordx4 off, v[2:5], off offset:960
	s_and_saveexec_b64 s[0:1], vcc
	s_cbranch_execz .LBB125_281
; %bb.280:
	scratch_load_dwordx4 v[2:5], off, s88
	v_mov_b32_e32 v6, 0
	v_mov_b32_e32 v7, v6
	;; [unrolled: 1-line block ×4, first 2 shown]
	v_accvgpr_read_b32 v1, a1
	scratch_store_dwordx4 off, v[6:9], off offset:944
	s_waitcnt vmcnt(1)
	ds_write_b128 v1, v[2:5]
.LBB125_281:
	s_or_b64 exec, exec, s[0:1]
	s_waitcnt lgkmcnt(0)
	; wave barrier
	scratch_load_dwordx4 v[4:7], off, off offset:960
	scratch_load_dwordx4 v[8:11], off, off offset:976
	;; [unrolled: 1-line block ×4, first 2 shown]
	v_mov_b32_e32 v2, 0
	ds_read_b128 v[20:23], v2 offset:1936
	ds_read_b128 v[24:27], v2 offset:1952
	;; [unrolled: 1-line block ×3, first 2 shown]
	v_cmp_lt_u32_e32 vcc, 57, v0
	s_waitcnt vmcnt(3) lgkmcnt(2)
	v_mul_f64 v[32:33], v[20:21], v[6:7]
	v_mul_f64 v[6:7], v[22:23], v[6:7]
	s_waitcnt vmcnt(2) lgkmcnt(1)
	v_mul_f64 v[34:35], v[24:25], v[10:11]
	v_mul_f64 v[10:11], v[26:27], v[10:11]
	v_fmac_f64_e32 v[32:33], v[22:23], v[4:5]
	v_fma_f64 v[4:5], v[20:21], v[4:5], -v[6:7]
	s_waitcnt vmcnt(1) lgkmcnt(0)
	v_mul_f64 v[36:37], v[28:29], v[14:15]
	v_mul_f64 v[14:15], v[30:31], v[14:15]
	v_fmac_f64_e32 v[34:35], v[26:27], v[8:9]
	v_fma_f64 v[6:7], v[24:25], v[8:9], -v[10:11]
	v_add_f64 v[10:11], v[32:33], 0
	v_add_f64 v[4:5], v[4:5], 0
	v_fmac_f64_e32 v[36:37], v[30:31], v[12:13]
	v_fma_f64 v[8:9], v[28:29], v[12:13], -v[14:15]
	v_add_f64 v[10:11], v[10:11], v[34:35]
	v_add_f64 v[4:5], v[4:5], v[6:7]
	;; [unrolled: 1-line block ×4, first 2 shown]
	s_waitcnt vmcnt(0)
	v_add_f64 v[4:5], v[16:17], -v[4:5]
	v_add_f64 v[6:7], v[18:19], -v[6:7]
	scratch_store_dwordx4 off, v[4:7], off offset:944
	s_and_saveexec_b64 s[0:1], vcc
	s_cbranch_execz .LBB125_283
; %bb.282:
	scratch_load_dwordx4 v[6:9], off, s30
	v_mov_b32_e32 v3, v2
	v_mov_b32_e32 v4, v2
	;; [unrolled: 1-line block ×3, first 2 shown]
	v_accvgpr_read_b32 v1, a1
	scratch_store_dwordx4 off, v[2:5], off offset:928
	s_waitcnt vmcnt(1)
	ds_write_b128 v1, v[6:9]
.LBB125_283:
	s_or_b64 exec, exec, s[0:1]
	s_waitcnt lgkmcnt(0)
	; wave barrier
	ds_read_b128 v[4:7], v2 offset:1920
	ds_read_b128 v[8:11], v2 offset:1936
	;; [unrolled: 1-line block ×4, first 2 shown]
	scratch_load_dwordx4 v[20:23], off, off offset:944
	scratch_load_dwordx4 v[24:27], off, off offset:960
	v_cmp_lt_u32_e32 vcc, 56, v0
	s_waitcnt vmcnt(1) lgkmcnt(3)
	v_mul_f64 v[2:3], v[4:5], v[22:23]
	v_fmac_f64_e32 v[2:3], v[6:7], v[20:21]
	s_waitcnt vmcnt(0) lgkmcnt(2)
	v_mul_f64 v[28:29], v[8:9], v[26:27]
	v_add_f64 v[2:3], v[2:3], 0
	v_fmac_f64_e32 v[28:29], v[10:11], v[24:25]
	v_add_f64 v[2:3], v[2:3], v[28:29]
	scratch_load_dwordx4 v[28:31], off, off offset:976
	s_waitcnt vmcnt(0) lgkmcnt(1)
	v_mul_f64 v[32:33], v[12:13], v[30:31]
	v_fmac_f64_e32 v[32:33], v[14:15], v[28:29]
	v_add_f64 v[2:3], v[2:3], v[32:33]
	scratch_load_dwordx4 v[32:35], off, off offset:992
	s_waitcnt vmcnt(0) lgkmcnt(0)
	v_mul_f64 v[36:37], v[16:17], v[34:35]
	v_fmac_f64_e32 v[36:37], v[18:19], v[32:33]
	v_add_f64 v[36:37], v[2:3], v[36:37]
	v_mul_f64 v[2:3], v[6:7], v[22:23]
	v_fma_f64 v[2:3], v[4:5], v[20:21], -v[2:3]
	v_mul_f64 v[4:5], v[10:11], v[26:27]
	v_add_f64 v[2:3], v[2:3], 0
	v_fma_f64 v[4:5], v[8:9], v[24:25], -v[4:5]
	v_add_f64 v[2:3], v[2:3], v[4:5]
	v_mul_f64 v[4:5], v[14:15], v[30:31]
	v_fma_f64 v[4:5], v[12:13], v[28:29], -v[4:5]
	v_add_f64 v[2:3], v[2:3], v[4:5]
	v_mul_f64 v[4:5], v[18:19], v[34:35]
	v_fma_f64 v[4:5], v[16:17], v[32:33], -v[4:5]
	v_add_f64 v[6:7], v[2:3], v[4:5]
	scratch_load_dwordx4 v[2:5], off, off offset:928
	s_waitcnt vmcnt(0)
	v_add_f64 v[2:3], v[2:3], -v[6:7]
	v_add_f64 v[4:5], v[4:5], -v[36:37]
	scratch_store_dwordx4 off, v[2:5], off offset:928
	s_and_saveexec_b64 s[0:1], vcc
	s_cbranch_execz .LBB125_285
; %bb.284:
	scratch_load_dwordx4 v[2:5], off, s31
	v_mov_b32_e32 v6, 0
	v_mov_b32_e32 v7, v6
	;; [unrolled: 1-line block ×4, first 2 shown]
	v_accvgpr_read_b32 v1, a1
	scratch_store_dwordx4 off, v[6:9], off offset:912
	s_waitcnt vmcnt(1)
	ds_write_b128 v1, v[2:5]
.LBB125_285:
	s_or_b64 exec, exec, s[0:1]
	s_waitcnt lgkmcnt(0)
	; wave barrier
	scratch_load_dwordx4 v[4:7], off, off offset:928
	scratch_load_dwordx4 v[8:11], off, off offset:944
	;; [unrolled: 1-line block ×6, first 2 shown]
	v_mov_b32_e32 v2, 0
	ds_read_b128 v[28:31], v2 offset:1904
	ds_read_b128 v[32:35], v2 offset:1920
	;; [unrolled: 1-line block ×5, first 2 shown]
	v_cmp_lt_u32_e32 vcc, 55, v0
	s_waitcnt vmcnt(5) lgkmcnt(4)
	v_mul_f64 v[48:49], v[28:29], v[6:7]
	v_mul_f64 v[6:7], v[30:31], v[6:7]
	s_waitcnt vmcnt(4) lgkmcnt(3)
	v_mul_f64 v[50:51], v[32:33], v[10:11]
	s_waitcnt vmcnt(3) lgkmcnt(2)
	v_mul_f64 v[52:53], v[36:37], v[14:15]
	v_mul_f64 v[10:11], v[34:35], v[10:11]
	;; [unrolled: 1-line block ×3, first 2 shown]
	v_fmac_f64_e32 v[48:49], v[30:31], v[4:5]
	v_fma_f64 v[4:5], v[28:29], v[4:5], -v[6:7]
	v_fmac_f64_e32 v[50:51], v[34:35], v[8:9]
	v_fma_f64 v[6:7], v[32:33], v[8:9], -v[10:11]
	v_fma_f64 v[8:9], v[36:37], v[12:13], -v[14:15]
	v_add_f64 v[14:15], v[48:49], 0
	v_add_f64 v[4:5], v[4:5], 0
	s_waitcnt vmcnt(2) lgkmcnt(1)
	v_mul_f64 v[54:55], v[40:41], v[18:19]
	v_mul_f64 v[18:19], v[42:43], v[18:19]
	v_fmac_f64_e32 v[52:53], v[38:39], v[12:13]
	v_add_f64 v[14:15], v[14:15], v[50:51]
	v_add_f64 v[4:5], v[4:5], v[6:7]
	s_waitcnt vmcnt(1) lgkmcnt(0)
	v_mul_f64 v[56:57], v[44:45], v[22:23]
	v_mul_f64 v[22:23], v[46:47], v[22:23]
	v_fmac_f64_e32 v[54:55], v[42:43], v[16:17]
	v_fma_f64 v[10:11], v[40:41], v[16:17], -v[18:19]
	v_add_f64 v[6:7], v[14:15], v[52:53]
	v_add_f64 v[4:5], v[4:5], v[8:9]
	v_fmac_f64_e32 v[56:57], v[46:47], v[20:21]
	v_fma_f64 v[12:13], v[44:45], v[20:21], -v[22:23]
	v_add_f64 v[6:7], v[6:7], v[54:55]
	v_add_f64 v[4:5], v[4:5], v[10:11]
	;; [unrolled: 1-line block ×4, first 2 shown]
	s_waitcnt vmcnt(0)
	v_add_f64 v[4:5], v[24:25], -v[4:5]
	v_add_f64 v[6:7], v[26:27], -v[6:7]
	scratch_store_dwordx4 off, v[4:7], off offset:912
	s_and_saveexec_b64 s[0:1], vcc
	s_cbranch_execz .LBB125_287
; %bb.286:
	scratch_load_dwordx4 v[6:9], off, s33
	v_mov_b32_e32 v3, v2
	v_mov_b32_e32 v4, v2
	;; [unrolled: 1-line block ×3, first 2 shown]
	v_accvgpr_read_b32 v1, a1
	scratch_store_dwordx4 off, v[2:5], off offset:896
	s_waitcnt vmcnt(1)
	ds_write_b128 v1, v[6:9]
.LBB125_287:
	s_or_b64 exec, exec, s[0:1]
	s_waitcnt lgkmcnt(0)
	; wave barrier
	scratch_load_dwordx4 v[4:7], off, off offset:912
	scratch_load_dwordx4 v[8:11], off, off offset:928
	;; [unrolled: 1-line block ×7, first 2 shown]
	ds_read_b128 v[32:35], v2 offset:1888
	ds_read_b128 v[36:39], v2 offset:1904
	;; [unrolled: 1-line block ×6, first 2 shown]
	v_cmp_lt_u32_e32 vcc, 54, v0
	s_waitcnt vmcnt(6) lgkmcnt(5)
	v_mul_f64 v[2:3], v[32:33], v[6:7]
	v_mul_f64 v[6:7], v[34:35], v[6:7]
	s_waitcnt vmcnt(5) lgkmcnt(4)
	v_mul_f64 v[56:57], v[36:37], v[10:11]
	v_mul_f64 v[10:11], v[38:39], v[10:11]
	v_fmac_f64_e32 v[2:3], v[34:35], v[4:5]
	v_fma_f64 v[4:5], v[32:33], v[4:5], -v[6:7]
	s_waitcnt vmcnt(4) lgkmcnt(3)
	v_mul_f64 v[58:59], v[40:41], v[14:15]
	v_mul_f64 v[14:15], v[42:43], v[14:15]
	v_fmac_f64_e32 v[56:57], v[38:39], v[8:9]
	v_fma_f64 v[6:7], v[36:37], v[8:9], -v[10:11]
	v_add_f64 v[2:3], v[2:3], 0
	v_add_f64 v[4:5], v[4:5], 0
	s_waitcnt vmcnt(3) lgkmcnt(2)
	v_mul_f64 v[60:61], v[44:45], v[18:19]
	v_mul_f64 v[18:19], v[46:47], v[18:19]
	v_fmac_f64_e32 v[58:59], v[42:43], v[12:13]
	v_fma_f64 v[8:9], v[40:41], v[12:13], -v[14:15]
	v_add_f64 v[2:3], v[2:3], v[56:57]
	v_add_f64 v[4:5], v[4:5], v[6:7]
	;; [unrolled: 7-line block ×4, first 2 shown]
	v_fmac_f64_e32 v[64:65], v[54:55], v[24:25]
	v_fma_f64 v[14:15], v[52:53], v[24:25], -v[26:27]
	v_add_f64 v[2:3], v[2:3], v[62:63]
	v_add_f64 v[4:5], v[4:5], v[12:13]
	;; [unrolled: 1-line block ×4, first 2 shown]
	s_waitcnt vmcnt(0)
	v_add_f64 v[2:3], v[28:29], -v[2:3]
	v_add_f64 v[4:5], v[30:31], -v[6:7]
	scratch_store_dwordx4 off, v[2:5], off offset:896
	s_and_saveexec_b64 s[0:1], vcc
	s_cbranch_execz .LBB125_289
; %bb.288:
	scratch_load_dwordx4 v[2:5], off, s34
	v_mov_b32_e32 v6, 0
	v_mov_b32_e32 v7, v6
	;; [unrolled: 1-line block ×4, first 2 shown]
	v_accvgpr_read_b32 v1, a1
	scratch_store_dwordx4 off, v[6:9], off offset:880
	s_waitcnt vmcnt(1)
	ds_write_b128 v1, v[2:5]
.LBB125_289:
	s_or_b64 exec, exec, s[0:1]
	s_waitcnt lgkmcnt(0)
	; wave barrier
	scratch_load_dwordx4 v[4:7], off, off offset:896
	scratch_load_dwordx4 v[8:11], off, off offset:912
	;; [unrolled: 1-line block ×8, first 2 shown]
	v_mov_b32_e32 v2, 0
	ds_read_b128 v[36:39], v2 offset:1872
	ds_read_b128 v[40:43], v2 offset:1888
	;; [unrolled: 1-line block ×7, first 2 shown]
	v_cmp_lt_u32_e32 vcc, 53, v0
	s_waitcnt vmcnt(7) lgkmcnt(6)
	v_mul_f64 v[64:65], v[36:37], v[6:7]
	v_mul_f64 v[6:7], v[38:39], v[6:7]
	s_waitcnt vmcnt(6) lgkmcnt(5)
	v_mul_f64 v[66:67], v[40:41], v[10:11]
	s_waitcnt vmcnt(4) lgkmcnt(3)
	v_mul_f64 v[70:71], v[48:49], v[18:19]
	v_mul_f64 v[10:11], v[42:43], v[10:11]
	;; [unrolled: 1-line block ×3, first 2 shown]
	v_fmac_f64_e32 v[64:65], v[38:39], v[4:5]
	v_fma_f64 v[4:5], v[36:37], v[4:5], -v[6:7]
	v_mul_f64 v[68:69], v[44:45], v[14:15]
	v_mul_f64 v[14:15], v[46:47], v[14:15]
	v_fmac_f64_e32 v[66:67], v[42:43], v[8:9]
	v_fma_f64 v[6:7], v[40:41], v[8:9], -v[10:11]
	v_fma_f64 v[10:11], v[48:49], v[16:17], -v[18:19]
	v_add_f64 v[18:19], v[64:65], 0
	v_add_f64 v[4:5], v[4:5], 0
	v_fmac_f64_e32 v[68:69], v[46:47], v[12:13]
	v_fma_f64 v[8:9], v[44:45], v[12:13], -v[14:15]
	v_add_f64 v[18:19], v[18:19], v[66:67]
	v_add_f64 v[4:5], v[4:5], v[6:7]
	s_waitcnt vmcnt(3) lgkmcnt(2)
	v_mul_f64 v[72:73], v[52:53], v[22:23]
	v_mul_f64 v[22:23], v[54:55], v[22:23]
	v_fmac_f64_e32 v[70:71], v[50:51], v[16:17]
	v_add_f64 v[6:7], v[18:19], v[68:69]
	v_add_f64 v[4:5], v[4:5], v[8:9]
	s_waitcnt vmcnt(2) lgkmcnt(1)
	v_mul_f64 v[74:75], v[56:57], v[26:27]
	v_mul_f64 v[26:27], v[58:59], v[26:27]
	v_fmac_f64_e32 v[72:73], v[54:55], v[20:21]
	v_fma_f64 v[12:13], v[52:53], v[20:21], -v[22:23]
	v_add_f64 v[6:7], v[6:7], v[70:71]
	v_add_f64 v[4:5], v[4:5], v[10:11]
	s_waitcnt vmcnt(1) lgkmcnt(0)
	v_mul_f64 v[76:77], v[60:61], v[30:31]
	v_mul_f64 v[30:31], v[62:63], v[30:31]
	v_fmac_f64_e32 v[74:75], v[58:59], v[24:25]
	v_fma_f64 v[14:15], v[56:57], v[24:25], -v[26:27]
	v_add_f64 v[6:7], v[6:7], v[72:73]
	v_add_f64 v[4:5], v[4:5], v[12:13]
	v_fmac_f64_e32 v[76:77], v[62:63], v[28:29]
	v_fma_f64 v[16:17], v[60:61], v[28:29], -v[30:31]
	v_add_f64 v[6:7], v[6:7], v[74:75]
	v_add_f64 v[4:5], v[4:5], v[14:15]
	;; [unrolled: 1-line block ×4, first 2 shown]
	s_waitcnt vmcnt(0)
	v_add_f64 v[4:5], v[32:33], -v[4:5]
	v_add_f64 v[6:7], v[34:35], -v[6:7]
	scratch_store_dwordx4 off, v[4:7], off offset:880
	s_and_saveexec_b64 s[0:1], vcc
	s_cbranch_execz .LBB125_291
; %bb.290:
	scratch_load_dwordx4 v[6:9], off, s35
	v_mov_b32_e32 v3, v2
	v_mov_b32_e32 v4, v2
	;; [unrolled: 1-line block ×3, first 2 shown]
	v_accvgpr_read_b32 v1, a1
	scratch_store_dwordx4 off, v[2:5], off offset:864
	s_waitcnt vmcnt(1)
	ds_write_b128 v1, v[6:9]
.LBB125_291:
	s_or_b64 exec, exec, s[0:1]
	s_waitcnt lgkmcnt(0)
	; wave barrier
	scratch_load_dwordx4 v[4:7], off, off offset:880
	scratch_load_dwordx4 v[8:11], off, off offset:896
	;; [unrolled: 1-line block ×9, first 2 shown]
	ds_read_b128 v[40:43], v2 offset:1856
	ds_read_b128 v[44:47], v2 offset:1872
	;; [unrolled: 1-line block ×8, first 2 shown]
	v_cmp_lt_u32_e32 vcc, 52, v0
	s_waitcnt vmcnt(8) lgkmcnt(7)
	v_mul_f64 v[2:3], v[40:41], v[6:7]
	v_mul_f64 v[6:7], v[42:43], v[6:7]
	s_waitcnt vmcnt(7) lgkmcnt(6)
	v_mul_f64 v[72:73], v[44:45], v[10:11]
	v_mul_f64 v[10:11], v[46:47], v[10:11]
	v_fmac_f64_e32 v[2:3], v[42:43], v[4:5]
	v_fma_f64 v[4:5], v[40:41], v[4:5], -v[6:7]
	s_waitcnt vmcnt(6) lgkmcnt(5)
	v_mul_f64 v[74:75], v[48:49], v[14:15]
	v_mul_f64 v[14:15], v[50:51], v[14:15]
	v_fmac_f64_e32 v[72:73], v[46:47], v[8:9]
	v_fma_f64 v[6:7], v[44:45], v[8:9], -v[10:11]
	v_add_f64 v[2:3], v[2:3], 0
	v_add_f64 v[4:5], v[4:5], 0
	s_waitcnt vmcnt(5) lgkmcnt(4)
	v_mul_f64 v[76:77], v[52:53], v[18:19]
	v_mul_f64 v[18:19], v[54:55], v[18:19]
	v_fmac_f64_e32 v[74:75], v[50:51], v[12:13]
	v_fma_f64 v[8:9], v[48:49], v[12:13], -v[14:15]
	v_add_f64 v[2:3], v[2:3], v[72:73]
	v_add_f64 v[4:5], v[4:5], v[6:7]
	;; [unrolled: 7-line block ×6, first 2 shown]
	v_fmac_f64_e32 v[84:85], v[70:71], v[32:33]
	v_fma_f64 v[18:19], v[68:69], v[32:33], -v[34:35]
	v_add_f64 v[2:3], v[2:3], v[82:83]
	v_add_f64 v[4:5], v[4:5], v[16:17]
	;; [unrolled: 1-line block ×4, first 2 shown]
	s_waitcnt vmcnt(0)
	v_add_f64 v[2:3], v[36:37], -v[2:3]
	v_add_f64 v[4:5], v[38:39], -v[6:7]
	scratch_store_dwordx4 off, v[2:5], off offset:864
	s_and_saveexec_b64 s[0:1], vcc
	s_cbranch_execz .LBB125_293
; %bb.292:
	scratch_load_dwordx4 v[2:5], off, s36
	v_mov_b32_e32 v6, 0
	v_mov_b32_e32 v7, v6
	;; [unrolled: 1-line block ×4, first 2 shown]
	v_accvgpr_read_b32 v1, a1
	scratch_store_dwordx4 off, v[6:9], off offset:848
	s_waitcnt vmcnt(1)
	ds_write_b128 v1, v[2:5]
.LBB125_293:
	s_or_b64 exec, exec, s[0:1]
	s_waitcnt lgkmcnt(0)
	; wave barrier
	scratch_load_dwordx4 v[4:7], off, off offset:864
	scratch_load_dwordx4 v[8:11], off, off offset:880
	;; [unrolled: 1-line block ×10, first 2 shown]
	v_mov_b32_e32 v2, 0
	ds_read_b128 v[44:47], v2 offset:1840
	ds_read_b128 v[48:51], v2 offset:1856
	;; [unrolled: 1-line block ×9, first 2 shown]
	v_cmp_lt_u32_e32 vcc, 51, v0
	s_waitcnt vmcnt(9) lgkmcnt(8)
	v_mul_f64 v[80:81], v[44:45], v[6:7]
	v_mul_f64 v[6:7], v[46:47], v[6:7]
	s_waitcnt vmcnt(8) lgkmcnt(7)
	v_mul_f64 v[82:83], v[48:49], v[10:11]
	s_waitcnt vmcnt(7) lgkmcnt(6)
	;; [unrolled: 2-line block ×3, first 2 shown]
	v_mul_f64 v[88:89], v[60:61], v[22:23]
	v_mul_f64 v[10:11], v[50:51], v[10:11]
	;; [unrolled: 1-line block ×4, first 2 shown]
	v_fmac_f64_e32 v[80:81], v[46:47], v[4:5]
	v_fma_f64 v[4:5], v[44:45], v[4:5], -v[6:7]
	v_fmac_f64_e32 v[82:83], v[50:51], v[8:9]
	v_fmac_f64_e32 v[84:85], v[54:55], v[12:13]
	v_fma_f64 v[6:7], v[48:49], v[8:9], -v[10:11]
	v_fma_f64 v[8:9], v[52:53], v[12:13], -v[14:15]
	;; [unrolled: 1-line block ×3, first 2 shown]
	v_add_f64 v[22:23], v[80:81], 0
	v_add_f64 v[4:5], v[4:5], 0
	v_mul_f64 v[86:87], v[56:57], v[18:19]
	v_mul_f64 v[18:19], v[58:59], v[18:19]
	v_add_f64 v[22:23], v[22:23], v[82:83]
	v_add_f64 v[4:5], v[4:5], v[6:7]
	v_fmac_f64_e32 v[86:87], v[58:59], v[16:17]
	v_fma_f64 v[10:11], v[56:57], v[16:17], -v[18:19]
	v_add_f64 v[6:7], v[22:23], v[84:85]
	v_add_f64 v[4:5], v[4:5], v[8:9]
	s_waitcnt vmcnt(4) lgkmcnt(3)
	v_mul_f64 v[90:91], v[64:65], v[26:27]
	v_mul_f64 v[26:27], v[66:67], v[26:27]
	v_fmac_f64_e32 v[88:89], v[62:63], v[20:21]
	v_add_f64 v[6:7], v[6:7], v[86:87]
	v_add_f64 v[4:5], v[4:5], v[10:11]
	s_waitcnt vmcnt(3) lgkmcnt(2)
	v_mul_f64 v[92:93], v[68:69], v[30:31]
	v_mul_f64 v[30:31], v[70:71], v[30:31]
	v_fmac_f64_e32 v[90:91], v[66:67], v[24:25]
	v_fma_f64 v[14:15], v[64:65], v[24:25], -v[26:27]
	v_add_f64 v[6:7], v[6:7], v[88:89]
	v_add_f64 v[4:5], v[4:5], v[12:13]
	s_waitcnt vmcnt(2) lgkmcnt(1)
	v_mul_f64 v[94:95], v[72:73], v[34:35]
	v_mul_f64 v[34:35], v[74:75], v[34:35]
	v_fmac_f64_e32 v[92:93], v[70:71], v[28:29]
	v_fma_f64 v[16:17], v[68:69], v[28:29], -v[30:31]
	;; [unrolled: 7-line block ×3, first 2 shown]
	v_add_f64 v[6:7], v[6:7], v[92:93]
	v_add_f64 v[4:5], v[4:5], v[16:17]
	v_fmac_f64_e32 v[96:97], v[78:79], v[36:37]
	v_fma_f64 v[20:21], v[76:77], v[36:37], -v[38:39]
	v_add_f64 v[6:7], v[6:7], v[94:95]
	v_add_f64 v[4:5], v[4:5], v[18:19]
	;; [unrolled: 1-line block ×4, first 2 shown]
	s_waitcnt vmcnt(0)
	v_add_f64 v[4:5], v[40:41], -v[4:5]
	v_add_f64 v[6:7], v[42:43], -v[6:7]
	scratch_store_dwordx4 off, v[4:7], off offset:848
	s_and_saveexec_b64 s[0:1], vcc
	s_cbranch_execz .LBB125_295
; %bb.294:
	scratch_load_dwordx4 v[6:9], off, s37
	v_mov_b32_e32 v3, v2
	v_mov_b32_e32 v4, v2
	;; [unrolled: 1-line block ×3, first 2 shown]
	v_accvgpr_read_b32 v1, a1
	scratch_store_dwordx4 off, v[2:5], off offset:832
	s_waitcnt vmcnt(1)
	ds_write_b128 v1, v[6:9]
.LBB125_295:
	s_or_b64 exec, exec, s[0:1]
	s_waitcnt lgkmcnt(0)
	; wave barrier
	scratch_load_dwordx4 v[4:7], off, off offset:848
	scratch_load_dwordx4 v[8:11], off, off offset:864
	;; [unrolled: 1-line block ×11, first 2 shown]
	ds_read_b128 v[48:51], v2 offset:1824
	ds_read_b128 v[52:55], v2 offset:1840
	;; [unrolled: 1-line block ×10, first 2 shown]
	v_cmp_lt_u32_e32 vcc, 50, v0
	s_waitcnt vmcnt(10) lgkmcnt(9)
	v_mul_f64 v[2:3], v[48:49], v[6:7]
	v_mul_f64 v[6:7], v[50:51], v[6:7]
	s_waitcnt vmcnt(9) lgkmcnt(8)
	v_mul_f64 v[88:89], v[52:53], v[10:11]
	v_mul_f64 v[10:11], v[54:55], v[10:11]
	v_fmac_f64_e32 v[2:3], v[50:51], v[4:5]
	v_fma_f64 v[4:5], v[48:49], v[4:5], -v[6:7]
	s_waitcnt vmcnt(8) lgkmcnt(7)
	v_mul_f64 v[90:91], v[56:57], v[14:15]
	v_mul_f64 v[14:15], v[58:59], v[14:15]
	v_fmac_f64_e32 v[88:89], v[54:55], v[8:9]
	v_fma_f64 v[6:7], v[52:53], v[8:9], -v[10:11]
	v_add_f64 v[2:3], v[2:3], 0
	v_add_f64 v[4:5], v[4:5], 0
	s_waitcnt vmcnt(7) lgkmcnt(6)
	v_mul_f64 v[92:93], v[60:61], v[18:19]
	v_mul_f64 v[18:19], v[62:63], v[18:19]
	v_fmac_f64_e32 v[90:91], v[58:59], v[12:13]
	v_fma_f64 v[8:9], v[56:57], v[12:13], -v[14:15]
	v_add_f64 v[2:3], v[2:3], v[88:89]
	v_add_f64 v[4:5], v[4:5], v[6:7]
	;; [unrolled: 7-line block ×8, first 2 shown]
	v_fmac_f64_e32 v[104:105], v[86:87], v[40:41]
	v_fma_f64 v[22:23], v[84:85], v[40:41], -v[42:43]
	v_add_f64 v[2:3], v[2:3], v[102:103]
	v_add_f64 v[4:5], v[4:5], v[20:21]
	;; [unrolled: 1-line block ×4, first 2 shown]
	s_waitcnt vmcnt(0)
	v_add_f64 v[2:3], v[44:45], -v[2:3]
	v_add_f64 v[4:5], v[46:47], -v[6:7]
	scratch_store_dwordx4 off, v[2:5], off offset:832
	s_and_saveexec_b64 s[0:1], vcc
	s_cbranch_execz .LBB125_297
; %bb.296:
	scratch_load_dwordx4 v[2:5], off, s38
	v_mov_b32_e32 v6, 0
	v_mov_b32_e32 v7, v6
	;; [unrolled: 1-line block ×4, first 2 shown]
	v_accvgpr_read_b32 v1, a1
	scratch_store_dwordx4 off, v[6:9], off offset:816
	s_waitcnt vmcnt(1)
	ds_write_b128 v1, v[2:5]
.LBB125_297:
	s_or_b64 exec, exec, s[0:1]
	s_waitcnt lgkmcnt(0)
	; wave barrier
	scratch_load_dwordx4 v[4:7], off, off offset:832
	scratch_load_dwordx4 v[8:11], off, off offset:848
	;; [unrolled: 1-line block ×12, first 2 shown]
	v_mov_b32_e32 v2, 0
	ds_read_b128 v[52:55], v2 offset:1808
	ds_read_b128 v[56:59], v2 offset:1824
	;; [unrolled: 1-line block ×11, first 2 shown]
	v_cmp_lt_u32_e32 vcc, 49, v0
	s_waitcnt vmcnt(11) lgkmcnt(10)
	v_mul_f64 v[96:97], v[52:53], v[6:7]
	v_mul_f64 v[6:7], v[54:55], v[6:7]
	s_waitcnt vmcnt(10) lgkmcnt(9)
	v_mul_f64 v[98:99], v[56:57], v[10:11]
	s_waitcnt vmcnt(9) lgkmcnt(8)
	v_mul_f64 v[100:101], v[60:61], v[14:15]
	v_mul_f64 v[10:11], v[58:59], v[10:11]
	s_waitcnt vmcnt(6) lgkmcnt(5)
	v_mul_f64 v[106:107], v[72:73], v[26:27]
	v_mul_f64 v[14:15], v[62:63], v[14:15]
	;; [unrolled: 1-line block ×3, first 2 shown]
	v_fmac_f64_e32 v[96:97], v[54:55], v[4:5]
	v_fma_f64 v[4:5], v[52:53], v[4:5], -v[6:7]
	v_fmac_f64_e32 v[98:99], v[58:59], v[8:9]
	v_fma_f64 v[6:7], v[56:57], v[8:9], -v[10:11]
	v_fma_f64 v[8:9], v[60:61], v[12:13], -v[14:15]
	;; [unrolled: 1-line block ×3, first 2 shown]
	v_add_f64 v[26:27], v[96:97], 0
	v_add_f64 v[4:5], v[4:5], 0
	v_mul_f64 v[102:103], v[64:65], v[18:19]
	v_mul_f64 v[18:19], v[66:67], v[18:19]
	v_fmac_f64_e32 v[100:101], v[62:63], v[12:13]
	v_add_f64 v[26:27], v[26:27], v[98:99]
	v_add_f64 v[4:5], v[4:5], v[6:7]
	v_mul_f64 v[104:105], v[68:69], v[22:23]
	v_mul_f64 v[22:23], v[70:71], v[22:23]
	v_fmac_f64_e32 v[102:103], v[66:67], v[16:17]
	v_fma_f64 v[10:11], v[64:65], v[16:17], -v[18:19]
	v_add_f64 v[6:7], v[26:27], v[100:101]
	v_add_f64 v[4:5], v[4:5], v[8:9]
	v_fmac_f64_e32 v[104:105], v[70:71], v[20:21]
	v_fma_f64 v[12:13], v[68:69], v[20:21], -v[22:23]
	v_add_f64 v[6:7], v[6:7], v[102:103]
	v_add_f64 v[4:5], v[4:5], v[10:11]
	s_waitcnt vmcnt(5) lgkmcnt(4)
	v_mul_f64 v[108:109], v[76:77], v[30:31]
	v_mul_f64 v[30:31], v[78:79], v[30:31]
	v_fmac_f64_e32 v[106:107], v[74:75], v[24:25]
	v_add_f64 v[6:7], v[6:7], v[104:105]
	v_add_f64 v[4:5], v[4:5], v[12:13]
	s_waitcnt vmcnt(4) lgkmcnt(3)
	v_mul_f64 v[110:111], v[80:81], v[34:35]
	v_mul_f64 v[34:35], v[82:83], v[34:35]
	v_fmac_f64_e32 v[108:109], v[78:79], v[28:29]
	v_fma_f64 v[16:17], v[76:77], v[28:29], -v[30:31]
	v_add_f64 v[6:7], v[6:7], v[106:107]
	v_add_f64 v[4:5], v[4:5], v[14:15]
	s_waitcnt vmcnt(3) lgkmcnt(2)
	v_mul_f64 v[112:113], v[84:85], v[38:39]
	v_mul_f64 v[38:39], v[86:87], v[38:39]
	v_fmac_f64_e32 v[110:111], v[82:83], v[32:33]
	v_fma_f64 v[18:19], v[80:81], v[32:33], -v[34:35]
	;; [unrolled: 7-line block ×4, first 2 shown]
	v_add_f64 v[6:7], v[6:7], v[112:113]
	v_add_f64 v[4:5], v[4:5], v[20:21]
	v_fmac_f64_e32 v[116:117], v[94:95], v[44:45]
	v_fma_f64 v[24:25], v[92:93], v[44:45], -v[46:47]
	v_add_f64 v[6:7], v[6:7], v[114:115]
	v_add_f64 v[4:5], v[4:5], v[22:23]
	;; [unrolled: 1-line block ×4, first 2 shown]
	s_waitcnt vmcnt(0)
	v_add_f64 v[4:5], v[48:49], -v[4:5]
	v_add_f64 v[6:7], v[50:51], -v[6:7]
	scratch_store_dwordx4 off, v[4:7], off offset:816
	s_and_saveexec_b64 s[0:1], vcc
	s_cbranch_execz .LBB125_299
; %bb.298:
	scratch_load_dwordx4 v[6:9], off, s39
	v_mov_b32_e32 v3, v2
	v_mov_b32_e32 v4, v2
	;; [unrolled: 1-line block ×3, first 2 shown]
	v_accvgpr_read_b32 v1, a1
	scratch_store_dwordx4 off, v[2:5], off offset:800
	s_waitcnt vmcnt(1)
	ds_write_b128 v1, v[6:9]
.LBB125_299:
	s_or_b64 exec, exec, s[0:1]
	s_waitcnt lgkmcnt(0)
	; wave barrier
	scratch_load_dwordx4 v[4:7], off, off offset:816
	scratch_load_dwordx4 v[8:11], off, off offset:832
	;; [unrolled: 1-line block ×12, first 2 shown]
	ds_read_b128 v[52:55], v2 offset:1792
	ds_read_b128 v[56:59], v2 offset:1808
	;; [unrolled: 1-line block ×4, first 2 shown]
	scratch_load_dwordx4 v[68:71], off, off offset:800
	ds_read_b128 v[72:75], v2 offset:1856
	ds_read_b128 v[76:79], v2 offset:1872
	;; [unrolled: 1-line block ×8, first 2 shown]
	v_cmp_lt_u32_e32 vcc, 48, v0
	s_waitcnt vmcnt(12) lgkmcnt(11)
	v_mul_f64 v[2:3], v[52:53], v[6:7]
	s_waitcnt vmcnt(11) lgkmcnt(10)
	v_mul_f64 v[104:105], v[56:57], v[10:11]
	v_fmac_f64_e32 v[2:3], v[54:55], v[4:5]
	s_waitcnt vmcnt(10) lgkmcnt(9)
	v_mul_f64 v[106:107], v[60:61], v[14:15]
	v_mul_f64 v[6:7], v[54:55], v[6:7]
	v_fmac_f64_e32 v[104:105], v[58:59], v[8:9]
	v_add_f64 v[2:3], v[2:3], 0
	s_waitcnt vmcnt(9) lgkmcnt(8)
	v_mul_f64 v[108:109], v[64:65], v[18:19]
	v_mul_f64 v[10:11], v[58:59], v[10:11]
	v_fmac_f64_e32 v[106:107], v[62:63], v[12:13]
	v_fma_f64 v[4:5], v[52:53], v[4:5], -v[6:7]
	v_add_f64 v[2:3], v[2:3], v[104:105]
	s_waitcnt vmcnt(8) lgkmcnt(7)
	v_mul_f64 v[110:111], v[72:73], v[22:23]
	v_mul_f64 v[14:15], v[62:63], v[14:15]
	v_fmac_f64_e32 v[108:109], v[66:67], v[16:17]
	v_fma_f64 v[6:7], v[56:57], v[8:9], -v[10:11]
	v_add_f64 v[4:5], v[4:5], 0
	v_add_f64 v[2:3], v[2:3], v[106:107]
	s_waitcnt vmcnt(7) lgkmcnt(6)
	v_mul_f64 v[112:113], v[76:77], v[26:27]
	v_mul_f64 v[18:19], v[66:67], v[18:19]
	v_fmac_f64_e32 v[110:111], v[74:75], v[20:21]
	v_fma_f64 v[8:9], v[60:61], v[12:13], -v[14:15]
	v_add_f64 v[4:5], v[4:5], v[6:7]
	;; [unrolled: 7-line block ×8, first 2 shown]
	v_add_f64 v[2:3], v[2:3], v[120:121]
	v_mul_f64 v[46:47], v[98:99], v[46:47]
	v_fmac_f64_e32 v[124:125], v[102:103], v[48:49]
	v_fma_f64 v[22:23], v[92:93], v[40:41], -v[42:43]
	v_add_f64 v[4:5], v[4:5], v[20:21]
	v_add_f64 v[2:3], v[2:3], v[122:123]
	;; [unrolled: 1-line block ×4, first 2 shown]
	v_fma_f64 v[2:3], v[96:97], v[44:45], -v[46:47]
	v_add_f64 v[2:3], v[4:5], v[2:3]
	v_mul_f64 v[4:5], v[102:103], v[50:51]
	v_fma_f64 v[4:5], v[100:101], v[48:49], -v[4:5]
	v_add_f64 v[2:3], v[2:3], v[4:5]
	s_waitcnt vmcnt(0)
	v_add_f64 v[2:3], v[68:69], -v[2:3]
	v_add_f64 v[4:5], v[70:71], -v[6:7]
	scratch_store_dwordx4 off, v[2:5], off offset:800
	s_and_saveexec_b64 s[0:1], vcc
	s_cbranch_execz .LBB125_301
; %bb.300:
	scratch_load_dwordx4 v[2:5], off, s40
	v_mov_b32_e32 v6, 0
	v_mov_b32_e32 v7, v6
	;; [unrolled: 1-line block ×4, first 2 shown]
	v_accvgpr_read_b32 v1, a1
	scratch_store_dwordx4 off, v[6:9], off offset:784
	s_waitcnt vmcnt(1)
	ds_write_b128 v1, v[2:5]
.LBB125_301:
	s_or_b64 exec, exec, s[0:1]
	v_mov_b32_e32 v2, 0
	s_waitcnt lgkmcnt(0)
	; wave barrier
	ds_read_b128 v[16:19], v2 offset:1776
	ds_read_b128 v[12:15], v2 offset:1792
	;; [unrolled: 1-line block ×4, first 2 shown]
	scratch_load_dwordx4 v[20:23], off, off offset:800
	scratch_load_dwordx4 v[42:45], off, off offset:864
	;; [unrolled: 1-line block ×7, first 2 shown]
	v_cmp_lt_u32_e32 vcc, 47, v0
	scratch_load_dwordx4 v[50:53], off, off offset:880
	scratch_load_dwordx4 v[58:61], off, off offset:896
	;; [unrolled: 1-line block ×3, first 2 shown]
	s_waitcnt vmcnt(9) lgkmcnt(3)
	v_mul_f64 v[24:25], v[16:17], v[22:23]
	v_fmac_f64_e32 v[24:25], v[18:19], v[20:21]
	v_add_f64 v[28:29], v[24:25], 0
	scratch_load_dwordx4 v[24:27], off, off offset:816
	v_mul_f64 v[18:19], v[18:19], v[22:23]
	v_fma_f64 v[16:17], v[16:17], v[20:21], -v[18:19]
	v_add_f64 v[16:17], v[16:17], 0
	s_waitcnt vmcnt(0) lgkmcnt(2)
	v_mul_f64 v[30:31], v[12:13], v[26:27]
	v_fmac_f64_e32 v[30:31], v[14:15], v[24:25]
	v_add_f64 v[32:33], v[28:29], v[30:31]
	scratch_load_dwordx4 v[28:31], off, off offset:832
	v_mul_f64 v[14:15], v[14:15], v[26:27]
	v_fma_f64 v[12:13], v[12:13], v[24:25], -v[14:15]
	v_add_f64 v[12:13], v[16:17], v[12:13]
	;; [unrolled: 8-line block ×3, first 2 shown]
	s_waitcnt vmcnt(0) lgkmcnt(0)
	v_mul_f64 v[38:39], v[4:5], v[36:37]
	v_fmac_f64_e32 v[38:39], v[6:7], v[34:35]
	v_add_f64 v[32:33], v[32:33], v[38:39]
	ds_read_b128 v[38:41], v2 offset:1840
	v_mul_f64 v[6:7], v[6:7], v[36:37]
	v_fma_f64 v[4:5], v[4:5], v[34:35], -v[6:7]
	v_add_f64 v[4:5], v[8:9], v[4:5]
	s_waitcnt lgkmcnt(0)
	v_mul_f64 v[46:47], v[38:39], v[44:45]
	v_fmac_f64_e32 v[46:47], v[40:41], v[42:43]
	v_add_f64 v[32:33], v[32:33], v[46:47]
	ds_read_b128 v[46:49], v2 offset:1856
	v_mul_f64 v[6:7], v[40:41], v[44:45]
	v_fma_f64 v[6:7], v[38:39], v[42:43], -v[6:7]
	v_add_f64 v[4:5], v[4:5], v[6:7]
	s_waitcnt lgkmcnt(0)
	;; [unrolled: 8-line block ×9, first 2 shown]
	v_mul_f64 v[6:7], v[104:105], v[108:109]
	v_fma_f64 v[6:7], v[102:103], v[106:107], -v[6:7]
	v_add_f64 v[8:9], v[4:5], v[6:7]
	scratch_load_dwordx4 v[4:7], off, off offset:784
	v_mul_f64 v[110:111], v[102:103], v[108:109]
	v_fmac_f64_e32 v[110:111], v[104:105], v[106:107]
	v_add_f64 v[32:33], v[32:33], v[110:111]
	s_waitcnt vmcnt(0)
	v_add_f64 v[4:5], v[4:5], -v[8:9]
	v_add_f64 v[6:7], v[6:7], -v[32:33]
	scratch_store_dwordx4 off, v[4:7], off offset:784
	s_and_saveexec_b64 s[0:1], vcc
	s_cbranch_execz .LBB125_303
; %bb.302:
	scratch_load_dwordx4 v[6:9], off, s41
	v_mov_b32_e32 v3, v2
	v_mov_b32_e32 v4, v2
	;; [unrolled: 1-line block ×3, first 2 shown]
	v_accvgpr_read_b32 v1, a1
	scratch_store_dwordx4 off, v[2:5], off offset:768
	s_waitcnt vmcnt(1)
	ds_write_b128 v1, v[6:9]
.LBB125_303:
	s_or_b64 exec, exec, s[0:1]
	s_waitcnt lgkmcnt(0)
	; wave barrier
	ds_read_b128 v[16:19], v2 offset:1760
	ds_read_b128 v[12:15], v2 offset:1776
	;; [unrolled: 1-line block ×4, first 2 shown]
	scratch_load_dwordx4 v[20:23], off, off offset:784
	scratch_load_dwordx4 v[42:45], off, off offset:848
	;; [unrolled: 1-line block ×8, first 2 shown]
	v_cmp_lt_u32_e32 vcc, 46, v0
	scratch_load_dwordx4 v[50:53], off, off offset:864
	scratch_load_dwordx4 v[58:61], off, off offset:880
	;; [unrolled: 1-line block ×3, first 2 shown]
	s_waitcnt vmcnt(10) lgkmcnt(3)
	v_mul_f64 v[24:25], v[16:17], v[22:23]
	v_fmac_f64_e32 v[24:25], v[18:19], v[20:21]
	v_add_f64 v[28:29], v[24:25], 0
	scratch_load_dwordx4 v[24:27], off, off offset:800
	s_waitcnt vmcnt(0) lgkmcnt(2)
	v_mul_f64 v[30:31], v[12:13], v[26:27]
	v_fmac_f64_e32 v[30:31], v[14:15], v[24:25]
	v_add_f64 v[32:33], v[28:29], v[30:31]
	scratch_load_dwordx4 v[28:31], off, off offset:816
	v_mul_f64 v[14:15], v[14:15], v[26:27]
	v_fma_f64 v[12:13], v[12:13], v[24:25], -v[14:15]
	s_waitcnt vmcnt(0) lgkmcnt(1)
	v_mul_f64 v[34:35], v[8:9], v[30:31]
	v_fmac_f64_e32 v[34:35], v[10:11], v[28:29]
	v_add_f64 v[36:37], v[32:33], v[34:35]
	scratch_load_dwordx4 v[32:35], off, off offset:832
	v_mul_f64 v[10:11], v[10:11], v[30:31]
	v_fma_f64 v[8:9], v[8:9], v[28:29], -v[10:11]
	s_waitcnt vmcnt(0) lgkmcnt(0)
	v_mul_f64 v[38:39], v[4:5], v[34:35]
	v_fmac_f64_e32 v[38:39], v[6:7], v[32:33]
	v_add_f64 v[40:41], v[36:37], v[38:39]
	ds_read_b128 v[36:39], v2 offset:1824
	v_mul_f64 v[6:7], v[6:7], v[34:35]
	v_fma_f64 v[4:5], v[4:5], v[32:33], -v[6:7]
	s_waitcnt lgkmcnt(0)
	v_mul_f64 v[46:47], v[36:37], v[44:45]
	v_fmac_f64_e32 v[46:47], v[38:39], v[42:43]
	v_add_f64 v[40:41], v[40:41], v[46:47]
	ds_read_b128 v[46:49], v2 offset:1840
	s_waitcnt lgkmcnt(0)
	v_mul_f64 v[54:55], v[46:47], v[52:53]
	v_fmac_f64_e32 v[54:55], v[48:49], v[50:51]
	v_add_f64 v[40:41], v[40:41], v[54:55]
	ds_read_b128 v[54:57], v2 offset:1856
	;; [unrolled: 5-line block ×9, first 2 shown]
	s_waitcnt lgkmcnt(0)
	v_mul_f64 v[2:3], v[110:111], v[116:117]
	v_fmac_f64_e32 v[2:3], v[112:113], v[114:115]
	v_add_f64 v[40:41], v[40:41], v[2:3]
	v_mul_f64 v[2:3], v[18:19], v[22:23]
	v_fma_f64 v[2:3], v[16:17], v[20:21], -v[2:3]
	v_add_f64 v[2:3], v[2:3], 0
	v_add_f64 v[2:3], v[2:3], v[12:13]
	;; [unrolled: 1-line block ×4, first 2 shown]
	v_mul_f64 v[4:5], v[38:39], v[44:45]
	v_fma_f64 v[4:5], v[36:37], v[42:43], -v[4:5]
	v_add_f64 v[2:3], v[2:3], v[4:5]
	v_mul_f64 v[4:5], v[48:49], v[52:53]
	v_fma_f64 v[4:5], v[46:47], v[50:51], -v[4:5]
	v_add_f64 v[2:3], v[2:3], v[4:5]
	;; [unrolled: 3-line block ×10, first 2 shown]
	scratch_load_dwordx4 v[2:5], off, off offset:768
	s_waitcnt vmcnt(0)
	v_add_f64 v[2:3], v[2:3], -v[6:7]
	v_add_f64 v[4:5], v[4:5], -v[40:41]
	scratch_store_dwordx4 off, v[2:5], off offset:768
	s_and_saveexec_b64 s[0:1], vcc
	s_cbranch_execz .LBB125_305
; %bb.304:
	scratch_load_dwordx4 v[2:5], off, s42
	v_mov_b32_e32 v6, 0
	v_mov_b32_e32 v7, v6
	v_mov_b32_e32 v8, v6
	v_mov_b32_e32 v9, v6
	v_accvgpr_read_b32 v1, a1
	scratch_store_dwordx4 off, v[6:9], off offset:752
	s_waitcnt vmcnt(1)
	ds_write_b128 v1, v[2:5]
.LBB125_305:
	s_or_b64 exec, exec, s[0:1]
	v_mov_b32_e32 v2, 0
	s_waitcnt lgkmcnt(0)
	; wave barrier
	ds_read_b128 v[16:19], v2 offset:1744
	ds_read_b128 v[12:15], v2 offset:1760
	;; [unrolled: 1-line block ×4, first 2 shown]
	scratch_load_dwordx4 v[20:23], off, off offset:768
	scratch_load_dwordx4 v[40:43], off, off offset:832
	;; [unrolled: 1-line block ×9, first 2 shown]
	v_cmp_lt_u32_e32 vcc, 45, v0
	scratch_load_dwordx4 v[48:51], off, off offset:848
	scratch_load_dwordx4 v[58:61], off, off offset:864
	;; [unrolled: 1-line block ×3, first 2 shown]
	s_waitcnt vmcnt(11) lgkmcnt(3)
	v_mul_f64 v[24:25], v[16:17], v[22:23]
	v_fmac_f64_e32 v[24:25], v[18:19], v[20:21]
	v_add_f64 v[28:29], v[24:25], 0
	scratch_load_dwordx4 v[24:27], off, off offset:784
	v_mul_f64 v[18:19], v[18:19], v[22:23]
	v_fma_f64 v[16:17], v[16:17], v[20:21], -v[18:19]
	v_add_f64 v[16:17], v[16:17], 0
	s_waitcnt vmcnt(0) lgkmcnt(2)
	v_mul_f64 v[30:31], v[12:13], v[26:27]
	v_fmac_f64_e32 v[30:31], v[14:15], v[24:25]
	v_add_f64 v[32:33], v[28:29], v[30:31]
	scratch_load_dwordx4 v[28:31], off, off offset:800
	v_mul_f64 v[14:15], v[14:15], v[26:27]
	v_fma_f64 v[12:13], v[12:13], v[24:25], -v[14:15]
	v_add_f64 v[12:13], v[16:17], v[12:13]
	s_waitcnt vmcnt(0) lgkmcnt(1)
	v_mul_f64 v[34:35], v[8:9], v[30:31]
	v_fmac_f64_e32 v[34:35], v[10:11], v[28:29]
	v_add_f64 v[36:37], v[32:33], v[34:35]
	scratch_load_dwordx4 v[32:35], off, off offset:816
	v_mul_f64 v[10:11], v[10:11], v[30:31]
	v_fma_f64 v[8:9], v[8:9], v[28:29], -v[10:11]
	v_add_f64 v[8:9], v[12:13], v[8:9]
	s_waitcnt vmcnt(0) lgkmcnt(0)
	v_mul_f64 v[38:39], v[4:5], v[34:35]
	v_fmac_f64_e32 v[38:39], v[6:7], v[32:33]
	v_add_f64 v[44:45], v[36:37], v[38:39]
	ds_read_b128 v[36:39], v2 offset:1808
	v_mul_f64 v[6:7], v[6:7], v[34:35]
	v_fma_f64 v[4:5], v[4:5], v[32:33], -v[6:7]
	v_add_f64 v[4:5], v[8:9], v[4:5]
	s_waitcnt lgkmcnt(0)
	v_mul_f64 v[46:47], v[36:37], v[42:43]
	v_fmac_f64_e32 v[46:47], v[38:39], v[40:41]
	v_add_f64 v[52:53], v[44:45], v[46:47]
	ds_read_b128 v[44:47], v2 offset:1824
	v_mul_f64 v[6:7], v[38:39], v[42:43]
	v_fma_f64 v[6:7], v[36:37], v[40:41], -v[6:7]
	v_add_f64 v[4:5], v[4:5], v[6:7]
	s_waitcnt lgkmcnt(0)
	;; [unrolled: 8-line block ×11, first 2 shown]
	v_mul_f64 v[6:7], v[120:121], v[124:125]
	v_fma_f64 v[6:7], v[118:119], v[122:123], -v[6:7]
	v_add_f64 v[8:9], v[4:5], v[6:7]
	scratch_load_dwordx4 v[4:7], off, off offset:752
	v_mul_f64 v[126:127], v[118:119], v[124:125]
	v_fmac_f64_e32 v[126:127], v[120:121], v[122:123]
	v_add_f64 v[56:57], v[56:57], v[126:127]
	s_waitcnt vmcnt(0)
	v_add_f64 v[4:5], v[4:5], -v[8:9]
	v_add_f64 v[6:7], v[6:7], -v[56:57]
	scratch_store_dwordx4 off, v[4:7], off offset:752
	s_and_saveexec_b64 s[0:1], vcc
	s_cbranch_execz .LBB125_307
; %bb.306:
	scratch_load_dwordx4 v[6:9], off, s43
	v_mov_b32_e32 v3, v2
	v_mov_b32_e32 v4, v2
	;; [unrolled: 1-line block ×3, first 2 shown]
	v_accvgpr_read_b32 v1, a1
	scratch_store_dwordx4 off, v[2:5], off offset:736
	s_waitcnt vmcnt(1)
	ds_write_b128 v1, v[6:9]
.LBB125_307:
	s_or_b64 exec, exec, s[0:1]
	s_waitcnt lgkmcnt(0)
	; wave barrier
	ds_read_b128 v[16:19], v2 offset:1728
	ds_read_b128 v[12:15], v2 offset:1744
	;; [unrolled: 1-line block ×4, first 2 shown]
	scratch_load_dwordx4 v[20:23], off, off offset:752
	scratch_load_dwordx4 v[40:43], off, off offset:816
	;; [unrolled: 1-line block ×10, first 2 shown]
	v_cmp_lt_u32_e32 vcc, 44, v0
	scratch_load_dwordx4 v[48:51], off, off offset:832
	scratch_load_dwordx4 v[56:59], off, off offset:848
	;; [unrolled: 1-line block ×3, first 2 shown]
	s_waitcnt vmcnt(12) lgkmcnt(3)
	v_mul_f64 v[24:25], v[16:17], v[22:23]
	v_fmac_f64_e32 v[24:25], v[18:19], v[20:21]
	v_add_f64 v[28:29], v[24:25], 0
	scratch_load_dwordx4 v[24:27], off, off offset:768
	s_waitcnt vmcnt(0) lgkmcnt(2)
	v_mul_f64 v[30:31], v[12:13], v[26:27]
	v_fmac_f64_e32 v[30:31], v[14:15], v[24:25]
	v_add_f64 v[32:33], v[28:29], v[30:31]
	scratch_load_dwordx4 v[28:31], off, off offset:784
	v_mul_f64 v[14:15], v[14:15], v[26:27]
	v_fma_f64 v[12:13], v[12:13], v[24:25], -v[14:15]
	s_waitcnt vmcnt(0) lgkmcnt(1)
	v_mul_f64 v[34:35], v[8:9], v[30:31]
	v_fmac_f64_e32 v[34:35], v[10:11], v[28:29]
	v_add_f64 v[36:37], v[32:33], v[34:35]
	scratch_load_dwordx4 v[32:35], off, off offset:800
	v_mul_f64 v[10:11], v[10:11], v[30:31]
	v_fma_f64 v[8:9], v[8:9], v[28:29], -v[10:11]
	s_waitcnt vmcnt(0) lgkmcnt(0)
	v_mul_f64 v[38:39], v[4:5], v[34:35]
	v_fmac_f64_e32 v[38:39], v[6:7], v[32:33]
	v_add_f64 v[44:45], v[36:37], v[38:39]
	ds_read_b128 v[36:39], v2 offset:1792
	v_mul_f64 v[6:7], v[6:7], v[34:35]
	v_fma_f64 v[4:5], v[4:5], v[32:33], -v[6:7]
	s_waitcnt lgkmcnt(0)
	v_mul_f64 v[46:47], v[36:37], v[42:43]
	v_fmac_f64_e32 v[46:47], v[38:39], v[40:41]
	v_add_f64 v[52:53], v[44:45], v[46:47]
	ds_read_b128 v[44:47], v2 offset:1808
	s_waitcnt lgkmcnt(0)
	v_mul_f64 v[54:55], v[44:45], v[50:51]
	v_fmac_f64_e32 v[54:55], v[46:47], v[48:49]
	v_add_f64 v[60:61], v[52:53], v[54:55]
	ds_read_b128 v[52:55], v2 offset:1824
	;; [unrolled: 5-line block ×11, first 2 shown]
	s_waitcnt lgkmcnt(0)
	v_mul_f64 v[2:3], v[126:127], v[132:133]
	v_fmac_f64_e32 v[2:3], v[128:129], v[130:131]
	v_add_f64 v[64:65], v[64:65], v[2:3]
	v_mul_f64 v[2:3], v[18:19], v[22:23]
	v_fma_f64 v[2:3], v[16:17], v[20:21], -v[2:3]
	v_add_f64 v[2:3], v[2:3], 0
	v_add_f64 v[2:3], v[2:3], v[12:13]
	;; [unrolled: 1-line block ×4, first 2 shown]
	v_mul_f64 v[4:5], v[38:39], v[42:43]
	v_fma_f64 v[4:5], v[36:37], v[40:41], -v[4:5]
	v_add_f64 v[2:3], v[2:3], v[4:5]
	v_mul_f64 v[4:5], v[46:47], v[50:51]
	v_fma_f64 v[4:5], v[44:45], v[48:49], -v[4:5]
	v_add_f64 v[2:3], v[2:3], v[4:5]
	;; [unrolled: 3-line block ×12, first 2 shown]
	scratch_load_dwordx4 v[2:5], off, off offset:736
	s_waitcnt vmcnt(0)
	v_add_f64 v[2:3], v[2:3], -v[6:7]
	v_add_f64 v[4:5], v[4:5], -v[64:65]
	scratch_store_dwordx4 off, v[2:5], off offset:736
	s_and_saveexec_b64 s[0:1], vcc
	s_cbranch_execz .LBB125_309
; %bb.308:
	scratch_load_dwordx4 v[2:5], off, s44
	v_mov_b32_e32 v6, 0
	v_mov_b32_e32 v7, v6
	;; [unrolled: 1-line block ×4, first 2 shown]
	v_accvgpr_read_b32 v1, a1
	scratch_store_dwordx4 off, v[6:9], off offset:720
	s_waitcnt vmcnt(1)
	ds_write_b128 v1, v[2:5]
.LBB125_309:
	s_or_b64 exec, exec, s[0:1]
	v_mov_b32_e32 v2, 0
	s_waitcnt lgkmcnt(0)
	; wave barrier
	ds_read_b128 v[16:19], v2 offset:1712
	ds_read_b128 v[12:15], v2 offset:1728
	;; [unrolled: 1-line block ×4, first 2 shown]
	scratch_load_dwordx4 v[20:23], off, off offset:736
	scratch_load_dwordx4 v[40:43], off, off offset:800
	scratch_load_dwordx4 v[74:77], off, off offset:864
	scratch_load_dwordx4 v[82:85], off, off offset:880
	scratch_load_dwordx4 v[90:93], off, off offset:896
	scratch_load_dwordx4 v[98:101], off, off offset:912
	scratch_load_dwordx4 v[106:109], off, off offset:928
	scratch_load_dwordx4 v[114:117], off, off offset:944
	scratch_load_dwordx4 v[122:125], off, off offset:960
	scratch_load_dwordx4 v[130:133], off, off offset:976
	scratch_load_dwordx4 v[138:141], off, off offset:992
	v_cmp_lt_u32_e32 vcc, 43, v0
	scratch_load_dwordx4 v[48:51], off, off offset:816
	scratch_load_dwordx4 v[56:59], off, off offset:832
	;; [unrolled: 1-line block ×3, first 2 shown]
	s_waitcnt vmcnt(13) lgkmcnt(3)
	v_mul_f64 v[24:25], v[16:17], v[22:23]
	v_fmac_f64_e32 v[24:25], v[18:19], v[20:21]
	v_add_f64 v[28:29], v[24:25], 0
	scratch_load_dwordx4 v[24:27], off, off offset:752
	v_mul_f64 v[18:19], v[18:19], v[22:23]
	v_fma_f64 v[16:17], v[16:17], v[20:21], -v[18:19]
	v_add_f64 v[16:17], v[16:17], 0
	s_waitcnt vmcnt(0) lgkmcnt(2)
	v_mul_f64 v[30:31], v[12:13], v[26:27]
	v_fmac_f64_e32 v[30:31], v[14:15], v[24:25]
	v_add_f64 v[32:33], v[28:29], v[30:31]
	scratch_load_dwordx4 v[28:31], off, off offset:768
	v_mul_f64 v[14:15], v[14:15], v[26:27]
	v_fma_f64 v[12:13], v[12:13], v[24:25], -v[14:15]
	v_add_f64 v[12:13], v[16:17], v[12:13]
	;; [unrolled: 8-line block ×3, first 2 shown]
	s_waitcnt vmcnt(0) lgkmcnt(0)
	v_mul_f64 v[38:39], v[4:5], v[34:35]
	v_fmac_f64_e32 v[38:39], v[6:7], v[32:33]
	v_add_f64 v[44:45], v[36:37], v[38:39]
	ds_read_b128 v[36:39], v2 offset:1776
	v_mul_f64 v[6:7], v[6:7], v[34:35]
	v_fma_f64 v[4:5], v[4:5], v[32:33], -v[6:7]
	v_add_f64 v[4:5], v[8:9], v[4:5]
	s_waitcnt lgkmcnt(0)
	v_mul_f64 v[46:47], v[36:37], v[42:43]
	v_fmac_f64_e32 v[46:47], v[38:39], v[40:41]
	v_add_f64 v[52:53], v[44:45], v[46:47]
	ds_read_b128 v[44:47], v2 offset:1792
	v_mul_f64 v[6:7], v[38:39], v[42:43]
	v_fma_f64 v[6:7], v[36:37], v[40:41], -v[6:7]
	v_add_f64 v[4:5], v[4:5], v[6:7]
	s_waitcnt lgkmcnt(0)
	;; [unrolled: 8-line block ×13, first 2 shown]
	v_mul_f64 v[6:7], v[136:137], v[140:141]
	v_fma_f64 v[6:7], v[134:135], v[138:139], -v[6:7]
	v_add_f64 v[8:9], v[4:5], v[6:7]
	scratch_load_dwordx4 v[4:7], off, off offset:720
	v_mul_f64 v[142:143], v[134:135], v[140:141]
	v_fmac_f64_e32 v[142:143], v[136:137], v[138:139]
	v_add_f64 v[72:73], v[72:73], v[142:143]
	s_waitcnt vmcnt(0)
	v_add_f64 v[4:5], v[4:5], -v[8:9]
	v_add_f64 v[6:7], v[6:7], -v[72:73]
	scratch_store_dwordx4 off, v[4:7], off offset:720
	s_and_saveexec_b64 s[0:1], vcc
	s_cbranch_execz .LBB125_311
; %bb.310:
	scratch_load_dwordx4 v[6:9], off, s45
	v_mov_b32_e32 v3, v2
	v_mov_b32_e32 v4, v2
	;; [unrolled: 1-line block ×3, first 2 shown]
	v_accvgpr_read_b32 v1, a1
	scratch_store_dwordx4 off, v[2:5], off offset:704
	s_waitcnt vmcnt(1)
	ds_write_b128 v1, v[6:9]
.LBB125_311:
	s_or_b64 exec, exec, s[0:1]
	s_waitcnt lgkmcnt(0)
	; wave barrier
	ds_read_b128 v[16:19], v2 offset:1696
	ds_read_b128 v[12:15], v2 offset:1712
	;; [unrolled: 1-line block ×4, first 2 shown]
	scratch_load_dwordx4 v[20:23], off, off offset:720
	scratch_load_dwordx4 v[40:43], off, off offset:784
	;; [unrolled: 1-line block ×12, first 2 shown]
	v_cmp_lt_u32_e32 vcc, 42, v0
	scratch_load_dwordx4 v[48:51], off, off offset:800
	scratch_load_dwordx4 v[56:59], off, off offset:816
	;; [unrolled: 1-line block ×3, first 2 shown]
	s_waitcnt vmcnt(14) lgkmcnt(3)
	v_mul_f64 v[24:25], v[16:17], v[22:23]
	v_fmac_f64_e32 v[24:25], v[18:19], v[20:21]
	v_add_f64 v[28:29], v[24:25], 0
	scratch_load_dwordx4 v[24:27], off, off offset:736
	s_waitcnt vmcnt(0) lgkmcnt(2)
	v_mul_f64 v[30:31], v[12:13], v[26:27]
	v_fmac_f64_e32 v[30:31], v[14:15], v[24:25]
	v_add_f64 v[32:33], v[28:29], v[30:31]
	scratch_load_dwordx4 v[28:31], off, off offset:752
	v_mul_f64 v[14:15], v[14:15], v[26:27]
	v_fma_f64 v[12:13], v[12:13], v[24:25], -v[14:15]
	s_waitcnt vmcnt(0) lgkmcnt(1)
	v_mul_f64 v[34:35], v[8:9], v[30:31]
	v_fmac_f64_e32 v[34:35], v[10:11], v[28:29]
	v_add_f64 v[36:37], v[32:33], v[34:35]
	scratch_load_dwordx4 v[32:35], off, off offset:768
	v_mul_f64 v[10:11], v[10:11], v[30:31]
	v_fma_f64 v[8:9], v[8:9], v[28:29], -v[10:11]
	s_waitcnt vmcnt(0) lgkmcnt(0)
	v_mul_f64 v[38:39], v[4:5], v[34:35]
	v_fmac_f64_e32 v[38:39], v[6:7], v[32:33]
	v_add_f64 v[44:45], v[36:37], v[38:39]
	ds_read_b128 v[36:39], v2 offset:1760
	v_mul_f64 v[6:7], v[6:7], v[34:35]
	v_fma_f64 v[4:5], v[4:5], v[32:33], -v[6:7]
	s_waitcnt lgkmcnt(0)
	v_mul_f64 v[46:47], v[36:37], v[42:43]
	v_fmac_f64_e32 v[46:47], v[38:39], v[40:41]
	v_add_f64 v[52:53], v[44:45], v[46:47]
	ds_read_b128 v[44:47], v2 offset:1776
	s_waitcnt lgkmcnt(0)
	v_mul_f64 v[54:55], v[44:45], v[50:51]
	v_fmac_f64_e32 v[54:55], v[46:47], v[48:49]
	v_add_f64 v[60:61], v[52:53], v[54:55]
	ds_read_b128 v[52:55], v2 offset:1792
	;; [unrolled: 5-line block ×13, first 2 shown]
	s_waitcnt lgkmcnt(0)
	v_mul_f64 v[2:3], v[142:143], v[148:149]
	v_fmac_f64_e32 v[2:3], v[144:145], v[146:147]
	v_add_f64 v[80:81], v[80:81], v[2:3]
	v_mul_f64 v[2:3], v[18:19], v[22:23]
	v_fma_f64 v[2:3], v[16:17], v[20:21], -v[2:3]
	v_add_f64 v[2:3], v[2:3], 0
	v_add_f64 v[2:3], v[2:3], v[12:13]
	;; [unrolled: 1-line block ×4, first 2 shown]
	v_mul_f64 v[4:5], v[38:39], v[42:43]
	v_fma_f64 v[4:5], v[36:37], v[40:41], -v[4:5]
	v_add_f64 v[2:3], v[2:3], v[4:5]
	v_mul_f64 v[4:5], v[46:47], v[50:51]
	v_fma_f64 v[4:5], v[44:45], v[48:49], -v[4:5]
	v_add_f64 v[2:3], v[2:3], v[4:5]
	;; [unrolled: 3-line block ×14, first 2 shown]
	scratch_load_dwordx4 v[2:5], off, off offset:704
	s_waitcnt vmcnt(0)
	v_add_f64 v[2:3], v[2:3], -v[6:7]
	v_add_f64 v[4:5], v[4:5], -v[80:81]
	scratch_store_dwordx4 off, v[2:5], off offset:704
	s_and_saveexec_b64 s[0:1], vcc
	s_cbranch_execz .LBB125_313
; %bb.312:
	scratch_load_dwordx4 v[2:5], off, s46
	v_mov_b32_e32 v6, 0
	v_mov_b32_e32 v7, v6
	;; [unrolled: 1-line block ×4, first 2 shown]
	v_accvgpr_read_b32 v1, a1
	scratch_store_dwordx4 off, v[6:9], off offset:688
	s_waitcnt vmcnt(1)
	ds_write_b128 v1, v[2:5]
.LBB125_313:
	s_or_b64 exec, exec, s[0:1]
	v_mov_b32_e32 v2, 0
	s_waitcnt lgkmcnt(0)
	; wave barrier
	ds_read_b128 v[16:19], v2 offset:1680
	ds_read_b128 v[12:15], v2 offset:1696
	;; [unrolled: 1-line block ×4, first 2 shown]
	scratch_load_dwordx4 v[20:23], off, off offset:704
	scratch_load_dwordx4 v[40:43], off, off offset:768
	;; [unrolled: 1-line block ×13, first 2 shown]
	v_cmp_lt_u32_e32 vcc, 41, v0
	scratch_load_dwordx4 v[48:51], off, off offset:784
	scratch_load_dwordx4 v[56:59], off, off offset:800
	;; [unrolled: 1-line block ×3, first 2 shown]
	s_waitcnt vmcnt(15) lgkmcnt(3)
	v_mul_f64 v[24:25], v[16:17], v[22:23]
	v_fmac_f64_e32 v[24:25], v[18:19], v[20:21]
	v_add_f64 v[28:29], v[24:25], 0
	scratch_load_dwordx4 v[24:27], off, off offset:720
	v_mul_f64 v[18:19], v[18:19], v[22:23]
	v_fma_f64 v[16:17], v[16:17], v[20:21], -v[18:19]
	v_add_f64 v[16:17], v[16:17], 0
	s_waitcnt vmcnt(0) lgkmcnt(2)
	v_mul_f64 v[30:31], v[12:13], v[26:27]
	v_fmac_f64_e32 v[30:31], v[14:15], v[24:25]
	v_add_f64 v[32:33], v[28:29], v[30:31]
	scratch_load_dwordx4 v[28:31], off, off offset:736
	v_mul_f64 v[14:15], v[14:15], v[26:27]
	v_fma_f64 v[12:13], v[12:13], v[24:25], -v[14:15]
	v_add_f64 v[12:13], v[16:17], v[12:13]
	;; [unrolled: 8-line block ×3, first 2 shown]
	s_waitcnt vmcnt(0) lgkmcnt(0)
	v_mul_f64 v[38:39], v[4:5], v[34:35]
	v_fmac_f64_e32 v[38:39], v[6:7], v[32:33]
	v_add_f64 v[44:45], v[36:37], v[38:39]
	ds_read_b128 v[36:39], v2 offset:1744
	v_mul_f64 v[6:7], v[6:7], v[34:35]
	v_fma_f64 v[4:5], v[4:5], v[32:33], -v[6:7]
	v_add_f64 v[4:5], v[8:9], v[4:5]
	s_waitcnt lgkmcnt(0)
	v_mul_f64 v[46:47], v[36:37], v[42:43]
	v_fmac_f64_e32 v[46:47], v[38:39], v[40:41]
	v_add_f64 v[52:53], v[44:45], v[46:47]
	ds_read_b128 v[44:47], v2 offset:1760
	v_mul_f64 v[6:7], v[38:39], v[42:43]
	v_fma_f64 v[6:7], v[36:37], v[40:41], -v[6:7]
	v_add_f64 v[4:5], v[4:5], v[6:7]
	s_waitcnt lgkmcnt(0)
	;; [unrolled: 8-line block ×15, first 2 shown]
	v_mul_f64 v[6:7], v[152:153], v[156:157]
	v_fma_f64 v[6:7], v[150:151], v[154:155], -v[6:7]
	v_add_f64 v[8:9], v[4:5], v[6:7]
	scratch_load_dwordx4 v[4:7], off, off offset:688
	v_mul_f64 v[158:159], v[150:151], v[156:157]
	v_fmac_f64_e32 v[158:159], v[152:153], v[154:155]
	v_add_f64 v[88:89], v[88:89], v[158:159]
	s_waitcnt vmcnt(0)
	v_add_f64 v[4:5], v[4:5], -v[8:9]
	v_add_f64 v[6:7], v[6:7], -v[88:89]
	scratch_store_dwordx4 off, v[4:7], off offset:688
	s_and_saveexec_b64 s[0:1], vcc
	s_cbranch_execz .LBB125_315
; %bb.314:
	scratch_load_dwordx4 v[6:9], off, s47
	v_mov_b32_e32 v3, v2
	v_mov_b32_e32 v4, v2
	;; [unrolled: 1-line block ×3, first 2 shown]
	v_accvgpr_read_b32 v1, a1
	scratch_store_dwordx4 off, v[2:5], off offset:672
	s_waitcnt vmcnt(1)
	ds_write_b128 v1, v[6:9]
.LBB125_315:
	s_or_b64 exec, exec, s[0:1]
	s_waitcnt lgkmcnt(0)
	; wave barrier
	ds_read_b128 v[16:19], v2 offset:1664
	ds_read_b128 v[12:15], v2 offset:1680
	ds_read_b128 v[8:11], v2 offset:1696
	ds_read_b128 v[4:7], v2 offset:1712
	scratch_load_dwordx4 v[20:23], off, off offset:688
	scratch_load_dwordx4 v[40:43], off, off offset:752
	;; [unrolled: 1-line block ×14, first 2 shown]
	v_cmp_lt_u32_e32 vcc, 40, v0
	scratch_load_dwordx4 v[48:51], off, off offset:768
	scratch_load_dwordx4 v[56:59], off, off offset:784
	;; [unrolled: 1-line block ×3, first 2 shown]
	s_waitcnt vmcnt(16) lgkmcnt(3)
	v_mul_f64 v[24:25], v[16:17], v[22:23]
	v_fmac_f64_e32 v[24:25], v[18:19], v[20:21]
	v_add_f64 v[28:29], v[24:25], 0
	scratch_load_dwordx4 v[24:27], off, off offset:704
	s_waitcnt vmcnt(0) lgkmcnt(2)
	v_mul_f64 v[30:31], v[12:13], v[26:27]
	v_fmac_f64_e32 v[30:31], v[14:15], v[24:25]
	v_add_f64 v[32:33], v[28:29], v[30:31]
	scratch_load_dwordx4 v[28:31], off, off offset:720
	v_mul_f64 v[14:15], v[14:15], v[26:27]
	v_fma_f64 v[12:13], v[12:13], v[24:25], -v[14:15]
	s_waitcnt vmcnt(0) lgkmcnt(1)
	v_mul_f64 v[34:35], v[8:9], v[30:31]
	v_fmac_f64_e32 v[34:35], v[10:11], v[28:29]
	v_add_f64 v[36:37], v[32:33], v[34:35]
	scratch_load_dwordx4 v[32:35], off, off offset:736
	v_mul_f64 v[10:11], v[10:11], v[30:31]
	v_fma_f64 v[8:9], v[8:9], v[28:29], -v[10:11]
	s_waitcnt vmcnt(0) lgkmcnt(0)
	v_mul_f64 v[38:39], v[4:5], v[34:35]
	v_fmac_f64_e32 v[38:39], v[6:7], v[32:33]
	v_add_f64 v[44:45], v[36:37], v[38:39]
	ds_read_b128 v[36:39], v2 offset:1728
	v_mul_f64 v[6:7], v[6:7], v[34:35]
	v_fma_f64 v[4:5], v[4:5], v[32:33], -v[6:7]
	s_waitcnt lgkmcnt(0)
	v_mul_f64 v[46:47], v[36:37], v[42:43]
	v_fmac_f64_e32 v[46:47], v[38:39], v[40:41]
	v_add_f64 v[52:53], v[44:45], v[46:47]
	ds_read_b128 v[44:47], v2 offset:1744
	s_waitcnt lgkmcnt(0)
	v_mul_f64 v[54:55], v[44:45], v[50:51]
	v_fmac_f64_e32 v[54:55], v[46:47], v[48:49]
	v_add_f64 v[60:61], v[52:53], v[54:55]
	ds_read_b128 v[52:55], v2 offset:1760
	;; [unrolled: 5-line block ×15, first 2 shown]
	s_waitcnt lgkmcnt(0)
	v_mul_f64 v[2:3], v[158:159], v[164:165]
	v_fmac_f64_e32 v[2:3], v[160:161], v[162:163]
	v_add_f64 v[96:97], v[96:97], v[2:3]
	v_mul_f64 v[2:3], v[18:19], v[22:23]
	v_fma_f64 v[2:3], v[16:17], v[20:21], -v[2:3]
	v_add_f64 v[2:3], v[2:3], 0
	v_add_f64 v[2:3], v[2:3], v[12:13]
	;; [unrolled: 1-line block ×4, first 2 shown]
	v_mul_f64 v[4:5], v[38:39], v[42:43]
	v_fma_f64 v[4:5], v[36:37], v[40:41], -v[4:5]
	v_add_f64 v[2:3], v[2:3], v[4:5]
	v_mul_f64 v[4:5], v[46:47], v[50:51]
	v_fma_f64 v[4:5], v[44:45], v[48:49], -v[4:5]
	v_add_f64 v[2:3], v[2:3], v[4:5]
	;; [unrolled: 3-line block ×16, first 2 shown]
	scratch_load_dwordx4 v[2:5], off, off offset:672
	s_waitcnt vmcnt(0)
	v_add_f64 v[2:3], v[2:3], -v[6:7]
	v_add_f64 v[4:5], v[4:5], -v[96:97]
	scratch_store_dwordx4 off, v[2:5], off offset:672
	s_and_saveexec_b64 s[0:1], vcc
	s_cbranch_execz .LBB125_317
; %bb.316:
	scratch_load_dwordx4 v[2:5], off, s48
	v_mov_b32_e32 v6, 0
	v_mov_b32_e32 v7, v6
	;; [unrolled: 1-line block ×4, first 2 shown]
	v_accvgpr_read_b32 v1, a1
	scratch_store_dwordx4 off, v[6:9], off offset:656
	s_waitcnt vmcnt(1)
	ds_write_b128 v1, v[2:5]
.LBB125_317:
	s_or_b64 exec, exec, s[0:1]
	v_mov_b32_e32 v2, 0
	s_waitcnt lgkmcnt(0)
	; wave barrier
	ds_read_b128 v[16:19], v2 offset:1648
	ds_read_b128 v[12:15], v2 offset:1664
	;; [unrolled: 1-line block ×4, first 2 shown]
	scratch_load_dwordx4 v[20:23], off, off offset:672
	scratch_load_dwordx4 v[40:43], off, off offset:736
	scratch_load_dwordx4 v[72:75], off, off offset:800
	scratch_load_dwordx4 v[80:83], off, off offset:816
	scratch_load_dwordx4 v[88:91], off, off offset:832
	scratch_load_dwordx4 v[96:99], off, off offset:848
	scratch_load_dwordx4 v[106:109], off, off offset:864
	scratch_load_dwordx4 v[114:117], off, off offset:880
	scratch_load_dwordx4 v[122:125], off, off offset:896
	scratch_load_dwordx4 v[130:133], off, off offset:912
	scratch_load_dwordx4 v[138:141], off, off offset:928
	scratch_load_dwordx4 v[146:149], off, off offset:944
	scratch_load_dwordx4 v[154:157], off, off offset:960
	scratch_load_dwordx4 v[162:165], off, off offset:976
	scratch_load_dwordx4 v[170:173], off, off offset:992
	v_cmp_lt_u32_e32 vcc, 39, v0
	scratch_load_dwordx4 v[48:51], off, off offset:752
	scratch_load_dwordx4 v[56:59], off, off offset:768
	;; [unrolled: 1-line block ×3, first 2 shown]
	s_waitcnt vmcnt(17) lgkmcnt(3)
	v_mul_f64 v[24:25], v[16:17], v[22:23]
	v_fmac_f64_e32 v[24:25], v[18:19], v[20:21]
	v_add_f64 v[28:29], v[24:25], 0
	scratch_load_dwordx4 v[24:27], off, off offset:688
	v_mul_f64 v[18:19], v[18:19], v[22:23]
	v_fma_f64 v[16:17], v[16:17], v[20:21], -v[18:19]
	v_add_f64 v[16:17], v[16:17], 0
	s_waitcnt vmcnt(0) lgkmcnt(2)
	v_mul_f64 v[30:31], v[12:13], v[26:27]
	v_fmac_f64_e32 v[30:31], v[14:15], v[24:25]
	v_add_f64 v[32:33], v[28:29], v[30:31]
	scratch_load_dwordx4 v[28:31], off, off offset:704
	v_mul_f64 v[14:15], v[14:15], v[26:27]
	v_fma_f64 v[12:13], v[12:13], v[24:25], -v[14:15]
	v_add_f64 v[12:13], v[16:17], v[12:13]
	;; [unrolled: 8-line block ×3, first 2 shown]
	s_waitcnt vmcnt(0) lgkmcnt(0)
	v_mul_f64 v[38:39], v[4:5], v[34:35]
	v_fmac_f64_e32 v[38:39], v[6:7], v[32:33]
	v_add_f64 v[44:45], v[36:37], v[38:39]
	ds_read_b128 v[36:39], v2 offset:1712
	v_mul_f64 v[6:7], v[6:7], v[34:35]
	v_fma_f64 v[4:5], v[4:5], v[32:33], -v[6:7]
	v_add_f64 v[4:5], v[8:9], v[4:5]
	s_waitcnt lgkmcnt(0)
	v_mul_f64 v[46:47], v[36:37], v[42:43]
	v_fmac_f64_e32 v[46:47], v[38:39], v[40:41]
	v_add_f64 v[52:53], v[44:45], v[46:47]
	ds_read_b128 v[44:47], v2 offset:1728
	v_mul_f64 v[6:7], v[38:39], v[42:43]
	v_fma_f64 v[6:7], v[36:37], v[40:41], -v[6:7]
	v_add_f64 v[4:5], v[4:5], v[6:7]
	s_waitcnt lgkmcnt(0)
	v_mul_f64 v[54:55], v[44:45], v[50:51]
	v_fmac_f64_e32 v[54:55], v[46:47], v[48:49]
	v_add_f64 v[60:61], v[52:53], v[54:55]
	ds_read_b128 v[52:55], v2 offset:1744
	v_mul_f64 v[6:7], v[46:47], v[50:51]
	v_fma_f64 v[6:7], v[44:45], v[48:49], -v[6:7]
	v_add_f64 v[4:5], v[4:5], v[6:7]
	s_waitcnt lgkmcnt(0)
	v_mul_f64 v[62:63], v[52:53], v[58:59]
	v_fmac_f64_e32 v[62:63], v[54:55], v[56:57]
	v_add_f64 v[68:69], v[60:61], v[62:63]
	ds_read_b128 v[60:63], v2 offset:1760
	v_mul_f64 v[6:7], v[54:55], v[58:59]
	v_fma_f64 v[6:7], v[52:53], v[56:57], -v[6:7]
	v_add_f64 v[4:5], v[4:5], v[6:7]
	s_waitcnt lgkmcnt(0)
	v_mul_f64 v[70:71], v[60:61], v[66:67]
	v_fmac_f64_e32 v[70:71], v[62:63], v[64:65]
	v_add_f64 v[76:77], v[68:69], v[70:71]
	ds_read_b128 v[68:71], v2 offset:1776
	v_mul_f64 v[6:7], v[62:63], v[66:67]
	v_fma_f64 v[6:7], v[60:61], v[64:65], -v[6:7]
	v_add_f64 v[4:5], v[4:5], v[6:7]
	s_waitcnt lgkmcnt(0)
	v_mul_f64 v[78:79], v[68:69], v[74:75]
	v_fmac_f64_e32 v[78:79], v[70:71], v[72:73]
	v_add_f64 v[84:85], v[76:77], v[78:79]
	ds_read_b128 v[76:79], v2 offset:1792
	v_mul_f64 v[6:7], v[70:71], v[74:75]
	v_fma_f64 v[6:7], v[68:69], v[72:73], -v[6:7]
	v_add_f64 v[4:5], v[4:5], v[6:7]
	s_waitcnt lgkmcnt(0)
	v_mul_f64 v[86:87], v[76:77], v[82:83]
	v_fmac_f64_e32 v[86:87], v[78:79], v[80:81]
	v_add_f64 v[92:93], v[84:85], v[86:87]
	ds_read_b128 v[84:87], v2 offset:1808
	v_mul_f64 v[6:7], v[78:79], v[82:83]
	v_fma_f64 v[6:7], v[76:77], v[80:81], -v[6:7]
	v_add_f64 v[4:5], v[4:5], v[6:7]
	s_waitcnt lgkmcnt(0)
	v_mul_f64 v[94:95], v[84:85], v[90:91]
	v_fmac_f64_e32 v[94:95], v[86:87], v[88:89]
	v_add_f64 v[100:101], v[92:93], v[94:95]
	ds_read_b128 v[92:95], v2 offset:1824
	v_mul_f64 v[6:7], v[86:87], v[90:91]
	v_fma_f64 v[6:7], v[84:85], v[88:89], -v[6:7]
	v_add_f64 v[4:5], v[4:5], v[6:7]
	s_waitcnt lgkmcnt(0)
	v_mul_f64 v[102:103], v[92:93], v[98:99]
	v_fmac_f64_e32 v[102:103], v[94:95], v[96:97]
	v_add_f64 v[104:105], v[100:101], v[102:103]
	ds_read_b128 v[100:103], v2 offset:1840
	v_mul_f64 v[6:7], v[94:95], v[98:99]
	v_fma_f64 v[6:7], v[92:93], v[96:97], -v[6:7]
	v_add_f64 v[4:5], v[4:5], v[6:7]
	s_waitcnt lgkmcnt(0)
	v_mul_f64 v[110:111], v[100:101], v[108:109]
	v_fmac_f64_e32 v[110:111], v[102:103], v[106:107]
	v_add_f64 v[104:105], v[104:105], v[110:111]
	ds_read_b128 v[110:113], v2 offset:1856
	v_mul_f64 v[6:7], v[102:103], v[108:109]
	v_fma_f64 v[6:7], v[100:101], v[106:107], -v[6:7]
	v_add_f64 v[4:5], v[4:5], v[6:7]
	s_waitcnt lgkmcnt(0)
	v_mul_f64 v[118:119], v[110:111], v[116:117]
	v_fmac_f64_e32 v[118:119], v[112:113], v[114:115]
	v_add_f64 v[104:105], v[104:105], v[118:119]
	ds_read_b128 v[118:121], v2 offset:1872
	v_mul_f64 v[6:7], v[112:113], v[116:117]
	v_fma_f64 v[6:7], v[110:111], v[114:115], -v[6:7]
	v_add_f64 v[4:5], v[4:5], v[6:7]
	s_waitcnt lgkmcnt(0)
	v_mul_f64 v[126:127], v[118:119], v[124:125]
	v_fmac_f64_e32 v[126:127], v[120:121], v[122:123]
	v_add_f64 v[104:105], v[104:105], v[126:127]
	ds_read_b128 v[126:129], v2 offset:1888
	v_mul_f64 v[6:7], v[120:121], v[124:125]
	v_fma_f64 v[6:7], v[118:119], v[122:123], -v[6:7]
	v_add_f64 v[4:5], v[4:5], v[6:7]
	s_waitcnt lgkmcnt(0)
	v_mul_f64 v[134:135], v[126:127], v[132:133]
	v_fmac_f64_e32 v[134:135], v[128:129], v[130:131]
	v_add_f64 v[104:105], v[104:105], v[134:135]
	ds_read_b128 v[134:137], v2 offset:1904
	v_mul_f64 v[6:7], v[128:129], v[132:133]
	v_fma_f64 v[6:7], v[126:127], v[130:131], -v[6:7]
	v_add_f64 v[4:5], v[4:5], v[6:7]
	s_waitcnt lgkmcnt(0)
	v_mul_f64 v[142:143], v[134:135], v[140:141]
	v_fmac_f64_e32 v[142:143], v[136:137], v[138:139]
	v_add_f64 v[104:105], v[104:105], v[142:143]
	ds_read_b128 v[142:145], v2 offset:1920
	v_mul_f64 v[6:7], v[136:137], v[140:141]
	v_fma_f64 v[6:7], v[134:135], v[138:139], -v[6:7]
	v_add_f64 v[4:5], v[4:5], v[6:7]
	s_waitcnt lgkmcnt(0)
	v_mul_f64 v[150:151], v[142:143], v[148:149]
	v_fmac_f64_e32 v[150:151], v[144:145], v[146:147]
	v_add_f64 v[104:105], v[104:105], v[150:151]
	ds_read_b128 v[150:153], v2 offset:1936
	v_mul_f64 v[6:7], v[144:145], v[148:149]
	v_fma_f64 v[6:7], v[142:143], v[146:147], -v[6:7]
	v_add_f64 v[4:5], v[4:5], v[6:7]
	s_waitcnt lgkmcnt(0)
	v_mul_f64 v[158:159], v[150:151], v[156:157]
	v_fmac_f64_e32 v[158:159], v[152:153], v[154:155]
	v_add_f64 v[104:105], v[104:105], v[158:159]
	ds_read_b128 v[158:161], v2 offset:1952
	v_mul_f64 v[6:7], v[152:153], v[156:157]
	v_fma_f64 v[6:7], v[150:151], v[154:155], -v[6:7]
	v_add_f64 v[4:5], v[4:5], v[6:7]
	s_waitcnt lgkmcnt(0)
	v_mul_f64 v[166:167], v[158:159], v[164:165]
	v_fmac_f64_e32 v[166:167], v[160:161], v[162:163]
	v_add_f64 v[104:105], v[104:105], v[166:167]
	ds_read_b128 v[166:169], v2 offset:1968
	v_mul_f64 v[6:7], v[160:161], v[164:165]
	v_fma_f64 v[6:7], v[158:159], v[162:163], -v[6:7]
	v_add_f64 v[4:5], v[4:5], v[6:7]
	s_waitcnt lgkmcnt(0)
	v_mul_f64 v[6:7], v[168:169], v[172:173]
	v_fma_f64 v[6:7], v[166:167], v[170:171], -v[6:7]
	v_add_f64 v[8:9], v[4:5], v[6:7]
	scratch_load_dwordx4 v[4:7], off, off offset:656
	v_mul_f64 v[174:175], v[166:167], v[172:173]
	v_fmac_f64_e32 v[174:175], v[168:169], v[170:171]
	v_add_f64 v[104:105], v[104:105], v[174:175]
	s_waitcnt vmcnt(0)
	v_add_f64 v[4:5], v[4:5], -v[8:9]
	v_add_f64 v[6:7], v[6:7], -v[104:105]
	scratch_store_dwordx4 off, v[4:7], off offset:656
	s_and_saveexec_b64 s[0:1], vcc
	s_cbranch_execz .LBB125_319
; %bb.318:
	scratch_load_dwordx4 v[6:9], off, s26
	v_mov_b32_e32 v3, v2
	v_mov_b32_e32 v4, v2
	;; [unrolled: 1-line block ×3, first 2 shown]
	v_accvgpr_read_b32 v1, a1
	scratch_store_dwordx4 off, v[2:5], off offset:640
	s_waitcnt vmcnt(1)
	ds_write_b128 v1, v[6:9]
.LBB125_319:
	s_or_b64 exec, exec, s[0:1]
	s_waitcnt lgkmcnt(0)
	; wave barrier
	ds_read_b128 v[16:19], v2 offset:1632
	ds_read_b128 v[12:15], v2 offset:1648
	;; [unrolled: 1-line block ×4, first 2 shown]
	scratch_load_dwordx4 v[20:23], off, off offset:656
	scratch_load_dwordx4 v[40:43], off, off offset:720
	;; [unrolled: 1-line block ×16, first 2 shown]
	v_cmp_lt_u32_e32 vcc, 38, v0
	scratch_load_dwordx4 v[48:51], off, off offset:736
	scratch_load_dwordx4 v[56:59], off, off offset:752
	;; [unrolled: 1-line block ×3, first 2 shown]
	s_waitcnt vmcnt(18) lgkmcnt(3)
	v_mul_f64 v[24:25], v[16:17], v[22:23]
	v_fmac_f64_e32 v[24:25], v[18:19], v[20:21]
	v_add_f64 v[28:29], v[24:25], 0
	scratch_load_dwordx4 v[24:27], off, off offset:672
	s_waitcnt vmcnt(0) lgkmcnt(2)
	v_mul_f64 v[30:31], v[12:13], v[26:27]
	v_fmac_f64_e32 v[30:31], v[14:15], v[24:25]
	v_add_f64 v[32:33], v[28:29], v[30:31]
	scratch_load_dwordx4 v[28:31], off, off offset:688
	v_mul_f64 v[14:15], v[14:15], v[26:27]
	v_fma_f64 v[12:13], v[12:13], v[24:25], -v[14:15]
	s_waitcnt vmcnt(0) lgkmcnt(1)
	v_mul_f64 v[34:35], v[8:9], v[30:31]
	v_fmac_f64_e32 v[34:35], v[10:11], v[28:29]
	v_add_f64 v[36:37], v[32:33], v[34:35]
	scratch_load_dwordx4 v[32:35], off, off offset:704
	v_mul_f64 v[10:11], v[10:11], v[30:31]
	v_fma_f64 v[8:9], v[8:9], v[28:29], -v[10:11]
	s_waitcnt vmcnt(0) lgkmcnt(0)
	v_mul_f64 v[38:39], v[4:5], v[34:35]
	v_fmac_f64_e32 v[38:39], v[6:7], v[32:33]
	v_add_f64 v[44:45], v[36:37], v[38:39]
	ds_read_b128 v[36:39], v2 offset:1696
	v_mul_f64 v[6:7], v[6:7], v[34:35]
	v_fma_f64 v[4:5], v[4:5], v[32:33], -v[6:7]
	s_waitcnt lgkmcnt(0)
	v_mul_f64 v[46:47], v[36:37], v[42:43]
	v_fmac_f64_e32 v[46:47], v[38:39], v[40:41]
	v_add_f64 v[52:53], v[44:45], v[46:47]
	ds_read_b128 v[44:47], v2 offset:1712
	s_waitcnt lgkmcnt(0)
	v_mul_f64 v[54:55], v[44:45], v[50:51]
	v_fmac_f64_e32 v[54:55], v[46:47], v[48:49]
	v_add_f64 v[60:61], v[52:53], v[54:55]
	ds_read_b128 v[52:55], v2 offset:1728
	;; [unrolled: 5-line block ×17, first 2 shown]
	s_waitcnt lgkmcnt(0)
	v_mul_f64 v[2:3], v[174:175], v[180:181]
	v_fmac_f64_e32 v[2:3], v[176:177], v[178:179]
	v_add_f64 v[120:121], v[120:121], v[2:3]
	v_mul_f64 v[2:3], v[18:19], v[22:23]
	v_fma_f64 v[2:3], v[16:17], v[20:21], -v[2:3]
	v_add_f64 v[2:3], v[2:3], 0
	v_add_f64 v[2:3], v[2:3], v[12:13]
	;; [unrolled: 1-line block ×4, first 2 shown]
	v_mul_f64 v[4:5], v[38:39], v[42:43]
	v_fma_f64 v[4:5], v[36:37], v[40:41], -v[4:5]
	v_add_f64 v[2:3], v[2:3], v[4:5]
	v_mul_f64 v[4:5], v[46:47], v[50:51]
	v_fma_f64 v[4:5], v[44:45], v[48:49], -v[4:5]
	v_add_f64 v[2:3], v[2:3], v[4:5]
	v_mul_f64 v[4:5], v[54:55], v[58:59]
	v_fma_f64 v[4:5], v[52:53], v[56:57], -v[4:5]
	v_add_f64 v[2:3], v[2:3], v[4:5]
	v_mul_f64 v[4:5], v[62:63], v[66:67]
	v_fma_f64 v[4:5], v[60:61], v[64:65], -v[4:5]
	v_add_f64 v[2:3], v[2:3], v[4:5]
	v_mul_f64 v[4:5], v[70:71], v[74:75]
	v_fma_f64 v[4:5], v[68:69], v[72:73], -v[4:5]
	v_add_f64 v[2:3], v[2:3], v[4:5]
	v_mul_f64 v[4:5], v[78:79], v[82:83]
	v_fma_f64 v[4:5], v[76:77], v[80:81], -v[4:5]
	v_add_f64 v[2:3], v[2:3], v[4:5]
	v_mul_f64 v[4:5], v[86:87], v[90:91]
	v_fma_f64 v[4:5], v[84:85], v[88:89], -v[4:5]
	v_add_f64 v[2:3], v[2:3], v[4:5]
	v_mul_f64 v[4:5], v[94:95], v[98:99]
	v_fma_f64 v[4:5], v[92:93], v[96:97], -v[4:5]
	v_add_f64 v[2:3], v[2:3], v[4:5]
	v_mul_f64 v[4:5], v[102:103], v[106:107]
	v_fma_f64 v[4:5], v[100:101], v[104:105], -v[4:5]
	v_add_f64 v[2:3], v[2:3], v[4:5]
	v_mul_f64 v[4:5], v[110:111], v[114:115]
	v_fma_f64 v[4:5], v[108:109], v[112:113], -v[4:5]
	v_add_f64 v[2:3], v[2:3], v[4:5]
	v_mul_f64 v[4:5], v[118:119], v[124:125]
	v_fma_f64 v[4:5], v[116:117], v[122:123], -v[4:5]
	v_add_f64 v[2:3], v[2:3], v[4:5]
	v_mul_f64 v[4:5], v[128:129], v[132:133]
	v_fma_f64 v[4:5], v[126:127], v[130:131], -v[4:5]
	v_add_f64 v[2:3], v[2:3], v[4:5]
	v_mul_f64 v[4:5], v[136:137], v[140:141]
	v_fma_f64 v[4:5], v[134:135], v[138:139], -v[4:5]
	v_add_f64 v[2:3], v[2:3], v[4:5]
	v_mul_f64 v[4:5], v[144:145], v[148:149]
	v_fma_f64 v[4:5], v[142:143], v[146:147], -v[4:5]
	v_add_f64 v[2:3], v[2:3], v[4:5]
	v_mul_f64 v[4:5], v[152:153], v[156:157]
	v_fma_f64 v[4:5], v[150:151], v[154:155], -v[4:5]
	v_add_f64 v[2:3], v[2:3], v[4:5]
	v_mul_f64 v[4:5], v[160:161], v[164:165]
	v_fma_f64 v[4:5], v[158:159], v[162:163], -v[4:5]
	v_add_f64 v[2:3], v[2:3], v[4:5]
	v_mul_f64 v[4:5], v[168:169], v[172:173]
	v_fma_f64 v[4:5], v[166:167], v[170:171], -v[4:5]
	v_add_f64 v[2:3], v[2:3], v[4:5]
	v_mul_f64 v[4:5], v[176:177], v[180:181]
	v_fma_f64 v[4:5], v[174:175], v[178:179], -v[4:5]
	v_add_f64 v[6:7], v[2:3], v[4:5]
	scratch_load_dwordx4 v[2:5], off, off offset:640
	s_waitcnt vmcnt(0)
	v_add_f64 v[2:3], v[2:3], -v[6:7]
	v_add_f64 v[4:5], v[4:5], -v[120:121]
	scratch_store_dwordx4 off, v[2:5], off offset:640
	s_and_saveexec_b64 s[0:1], vcc
	s_cbranch_execz .LBB125_321
; %bb.320:
	scratch_load_dwordx4 v[2:5], off, s27
	v_mov_b32_e32 v6, 0
	v_mov_b32_e32 v7, v6
	;; [unrolled: 1-line block ×4, first 2 shown]
	v_accvgpr_read_b32 v1, a1
	scratch_store_dwordx4 off, v[6:9], off offset:624
	s_waitcnt vmcnt(1)
	ds_write_b128 v1, v[2:5]
.LBB125_321:
	s_or_b64 exec, exec, s[0:1]
	v_mov_b32_e32 v2, 0
	s_waitcnt lgkmcnt(0)
	; wave barrier
	ds_read_b128 v[16:19], v2 offset:1616
	ds_read_b128 v[12:15], v2 offset:1632
	;; [unrolled: 1-line block ×4, first 2 shown]
	scratch_load_dwordx4 v[20:23], off, off offset:640
	scratch_load_dwordx4 v[40:43], off, off offset:704
	;; [unrolled: 1-line block ×17, first 2 shown]
	v_cmp_lt_u32_e32 vcc, 37, v0
	scratch_load_dwordx4 v[48:51], off, off offset:720
	scratch_load_dwordx4 v[56:59], off, off offset:736
	;; [unrolled: 1-line block ×3, first 2 shown]
	s_waitcnt vmcnt(19) lgkmcnt(3)
	v_mul_f64 v[24:25], v[16:17], v[22:23]
	v_fmac_f64_e32 v[24:25], v[18:19], v[20:21]
	v_add_f64 v[28:29], v[24:25], 0
	scratch_load_dwordx4 v[24:27], off, off offset:656
	v_mul_f64 v[18:19], v[18:19], v[22:23]
	v_fma_f64 v[16:17], v[16:17], v[20:21], -v[18:19]
	v_add_f64 v[16:17], v[16:17], 0
	s_waitcnt vmcnt(0) lgkmcnt(2)
	v_mul_f64 v[30:31], v[12:13], v[26:27]
	v_fmac_f64_e32 v[30:31], v[14:15], v[24:25]
	v_add_f64 v[32:33], v[28:29], v[30:31]
	scratch_load_dwordx4 v[28:31], off, off offset:672
	v_mul_f64 v[14:15], v[14:15], v[26:27]
	v_fma_f64 v[12:13], v[12:13], v[24:25], -v[14:15]
	v_add_f64 v[12:13], v[16:17], v[12:13]
	;; [unrolled: 8-line block ×3, first 2 shown]
	s_waitcnt vmcnt(0) lgkmcnt(0)
	v_mul_f64 v[38:39], v[4:5], v[34:35]
	v_fmac_f64_e32 v[38:39], v[6:7], v[32:33]
	v_add_f64 v[44:45], v[36:37], v[38:39]
	ds_read_b128 v[36:39], v2 offset:1680
	v_mul_f64 v[6:7], v[6:7], v[34:35]
	v_fma_f64 v[4:5], v[4:5], v[32:33], -v[6:7]
	v_add_f64 v[4:5], v[8:9], v[4:5]
	s_waitcnt lgkmcnt(0)
	v_mul_f64 v[46:47], v[36:37], v[42:43]
	v_fmac_f64_e32 v[46:47], v[38:39], v[40:41]
	v_add_f64 v[52:53], v[44:45], v[46:47]
	ds_read_b128 v[44:47], v2 offset:1696
	v_mul_f64 v[6:7], v[38:39], v[42:43]
	v_fma_f64 v[6:7], v[36:37], v[40:41], -v[6:7]
	v_add_f64 v[4:5], v[4:5], v[6:7]
	s_waitcnt lgkmcnt(0)
	;; [unrolled: 8-line block ×19, first 2 shown]
	v_mul_f64 v[6:7], v[184:185], v[188:189]
	v_fma_f64 v[6:7], v[182:183], v[186:187], -v[6:7]
	v_add_f64 v[8:9], v[4:5], v[6:7]
	scratch_load_dwordx4 v[4:7], off, off offset:624
	v_mul_f64 v[190:191], v[182:183], v[188:189]
	v_fmac_f64_e32 v[190:191], v[184:185], v[186:187]
	v_add_f64 v[128:129], v[128:129], v[190:191]
	s_waitcnt vmcnt(0)
	v_add_f64 v[4:5], v[4:5], -v[8:9]
	v_add_f64 v[6:7], v[6:7], -v[128:129]
	scratch_store_dwordx4 off, v[4:7], off offset:624
	s_and_saveexec_b64 s[0:1], vcc
	s_cbranch_execz .LBB125_323
; %bb.322:
	scratch_load_dwordx4 v[6:9], off, s28
	v_mov_b32_e32 v3, v2
	v_mov_b32_e32 v4, v2
	;; [unrolled: 1-line block ×3, first 2 shown]
	v_accvgpr_read_b32 v1, a1
	scratch_store_dwordx4 off, v[2:5], off offset:608
	s_waitcnt vmcnt(1)
	ds_write_b128 v1, v[6:9]
.LBB125_323:
	s_or_b64 exec, exec, s[0:1]
	s_waitcnt lgkmcnt(0)
	; wave barrier
	ds_read_b128 v[16:19], v2 offset:1600
	ds_read_b128 v[12:15], v2 offset:1616
	;; [unrolled: 1-line block ×4, first 2 shown]
	scratch_load_dwordx4 v[20:23], off, off offset:624
	scratch_load_dwordx4 v[40:43], off, off offset:688
	;; [unrolled: 1-line block ×18, first 2 shown]
	v_cmp_lt_u32_e32 vcc, 36, v0
	scratch_load_dwordx4 v[48:51], off, off offset:704
	scratch_load_dwordx4 v[56:59], off, off offset:720
	;; [unrolled: 1-line block ×3, first 2 shown]
	s_waitcnt vmcnt(20) lgkmcnt(3)
	v_mul_f64 v[24:25], v[16:17], v[22:23]
	v_fmac_f64_e32 v[24:25], v[18:19], v[20:21]
	v_add_f64 v[28:29], v[24:25], 0
	scratch_load_dwordx4 v[24:27], off, off offset:640
	s_waitcnt vmcnt(0) lgkmcnt(2)
	v_mul_f64 v[30:31], v[12:13], v[26:27]
	v_fmac_f64_e32 v[30:31], v[14:15], v[24:25]
	v_add_f64 v[32:33], v[28:29], v[30:31]
	scratch_load_dwordx4 v[28:31], off, off offset:656
	v_mul_f64 v[14:15], v[14:15], v[26:27]
	v_fma_f64 v[12:13], v[12:13], v[24:25], -v[14:15]
	s_waitcnt vmcnt(0) lgkmcnt(1)
	v_mul_f64 v[34:35], v[8:9], v[30:31]
	v_fmac_f64_e32 v[34:35], v[10:11], v[28:29]
	v_add_f64 v[36:37], v[32:33], v[34:35]
	scratch_load_dwordx4 v[32:35], off, off offset:672
	v_mul_f64 v[10:11], v[10:11], v[30:31]
	v_fma_f64 v[8:9], v[8:9], v[28:29], -v[10:11]
	s_waitcnt vmcnt(0) lgkmcnt(0)
	v_mul_f64 v[38:39], v[4:5], v[34:35]
	v_fmac_f64_e32 v[38:39], v[6:7], v[32:33]
	v_add_f64 v[44:45], v[36:37], v[38:39]
	ds_read_b128 v[36:39], v2 offset:1664
	v_mul_f64 v[6:7], v[6:7], v[34:35]
	v_fma_f64 v[4:5], v[4:5], v[32:33], -v[6:7]
	s_waitcnt lgkmcnt(0)
	v_mul_f64 v[46:47], v[36:37], v[42:43]
	v_fmac_f64_e32 v[46:47], v[38:39], v[40:41]
	v_add_f64 v[52:53], v[44:45], v[46:47]
	ds_read_b128 v[44:47], v2 offset:1680
	s_waitcnt lgkmcnt(0)
	v_mul_f64 v[54:55], v[44:45], v[50:51]
	v_fmac_f64_e32 v[54:55], v[46:47], v[48:49]
	v_add_f64 v[60:61], v[52:53], v[54:55]
	ds_read_b128 v[52:55], v2 offset:1696
	;; [unrolled: 5-line block ×19, first 2 shown]
	s_waitcnt lgkmcnt(0)
	v_mul_f64 v[2:3], v[190:191], v[196:197]
	v_fmac_f64_e32 v[2:3], v[192:193], v[194:195]
	v_add_f64 v[152:153], v[152:153], v[2:3]
	v_mul_f64 v[2:3], v[18:19], v[22:23]
	v_fma_f64 v[2:3], v[16:17], v[20:21], -v[2:3]
	v_add_f64 v[2:3], v[2:3], 0
	v_add_f64 v[2:3], v[2:3], v[12:13]
	;; [unrolled: 1-line block ×4, first 2 shown]
	v_mul_f64 v[4:5], v[38:39], v[42:43]
	v_fma_f64 v[4:5], v[36:37], v[40:41], -v[4:5]
	v_add_f64 v[2:3], v[2:3], v[4:5]
	v_mul_f64 v[4:5], v[46:47], v[50:51]
	v_fma_f64 v[4:5], v[44:45], v[48:49], -v[4:5]
	v_add_f64 v[2:3], v[2:3], v[4:5]
	;; [unrolled: 3-line block ×20, first 2 shown]
	scratch_load_dwordx4 v[2:5], off, off offset:608
	s_waitcnt vmcnt(0)
	v_add_f64 v[2:3], v[2:3], -v[6:7]
	v_add_f64 v[4:5], v[4:5], -v[152:153]
	scratch_store_dwordx4 off, v[2:5], off offset:608
	s_and_saveexec_b64 s[0:1], vcc
	s_cbranch_execz .LBB125_325
; %bb.324:
	scratch_load_dwordx4 v[2:5], off, s29
	v_mov_b32_e32 v6, 0
	v_mov_b32_e32 v7, v6
	;; [unrolled: 1-line block ×4, first 2 shown]
	v_accvgpr_read_b32 v1, a1
	scratch_store_dwordx4 off, v[6:9], off offset:592
	s_waitcnt vmcnt(1)
	ds_write_b128 v1, v[2:5]
.LBB125_325:
	s_or_b64 exec, exec, s[0:1]
	v_mov_b32_e32 v2, 0
	s_waitcnt lgkmcnt(0)
	; wave barrier
	ds_read_b128 v[16:19], v2 offset:1584
	ds_read_b128 v[12:15], v2 offset:1600
	;; [unrolled: 1-line block ×4, first 2 shown]
	scratch_load_dwordx4 v[20:23], off, off offset:608
	scratch_load_dwordx4 v[40:43], off, off offset:672
	;; [unrolled: 1-line block ×19, first 2 shown]
	v_cmp_lt_u32_e32 vcc, 35, v0
	scratch_load_dwordx4 v[48:51], off, off offset:688
	scratch_load_dwordx4 v[56:59], off, off offset:704
	;; [unrolled: 1-line block ×3, first 2 shown]
	s_waitcnt vmcnt(21) lgkmcnt(3)
	v_mul_f64 v[24:25], v[16:17], v[22:23]
	v_fmac_f64_e32 v[24:25], v[18:19], v[20:21]
	v_add_f64 v[28:29], v[24:25], 0
	scratch_load_dwordx4 v[24:27], off, off offset:624
	v_mul_f64 v[18:19], v[18:19], v[22:23]
	v_fma_f64 v[16:17], v[16:17], v[20:21], -v[18:19]
	v_add_f64 v[16:17], v[16:17], 0
	s_waitcnt vmcnt(0) lgkmcnt(2)
	v_mul_f64 v[30:31], v[12:13], v[26:27]
	v_fmac_f64_e32 v[30:31], v[14:15], v[24:25]
	v_add_f64 v[32:33], v[28:29], v[30:31]
	scratch_load_dwordx4 v[28:31], off, off offset:640
	v_mul_f64 v[14:15], v[14:15], v[26:27]
	v_fma_f64 v[12:13], v[12:13], v[24:25], -v[14:15]
	v_add_f64 v[12:13], v[16:17], v[12:13]
	;; [unrolled: 8-line block ×3, first 2 shown]
	s_waitcnt vmcnt(0) lgkmcnt(0)
	v_mul_f64 v[38:39], v[4:5], v[34:35]
	v_fmac_f64_e32 v[38:39], v[6:7], v[32:33]
	v_add_f64 v[44:45], v[36:37], v[38:39]
	ds_read_b128 v[36:39], v2 offset:1648
	v_mul_f64 v[6:7], v[6:7], v[34:35]
	v_fma_f64 v[4:5], v[4:5], v[32:33], -v[6:7]
	v_add_f64 v[4:5], v[8:9], v[4:5]
	s_waitcnt lgkmcnt(0)
	v_mul_f64 v[46:47], v[36:37], v[42:43]
	v_fmac_f64_e32 v[46:47], v[38:39], v[40:41]
	v_add_f64 v[52:53], v[44:45], v[46:47]
	ds_read_b128 v[44:47], v2 offset:1664
	v_mul_f64 v[6:7], v[38:39], v[42:43]
	v_fma_f64 v[6:7], v[36:37], v[40:41], -v[6:7]
	v_add_f64 v[4:5], v[4:5], v[6:7]
	s_waitcnt lgkmcnt(0)
	;; [unrolled: 8-line block ×21, first 2 shown]
	v_mul_f64 v[6:7], v[200:201], v[204:205]
	v_fma_f64 v[6:7], v[198:199], v[202:203], -v[6:7]
	v_add_f64 v[8:9], v[4:5], v[6:7]
	scratch_load_dwordx4 v[4:7], off, off offset:592
	v_mul_f64 v[206:207], v[198:199], v[204:205]
	v_fmac_f64_e32 v[206:207], v[200:201], v[202:203]
	v_add_f64 v[144:145], v[144:145], v[206:207]
	s_waitcnt vmcnt(0)
	v_add_f64 v[4:5], v[4:5], -v[8:9]
	v_add_f64 v[6:7], v[6:7], -v[144:145]
	scratch_store_dwordx4 off, v[4:7], off offset:592
	s_and_saveexec_b64 s[0:1], vcc
	s_cbranch_execz .LBB125_327
; %bb.326:
	scratch_load_dwordx4 v[6:9], off, s53
	v_mov_b32_e32 v3, v2
	v_mov_b32_e32 v4, v2
	;; [unrolled: 1-line block ×3, first 2 shown]
	v_accvgpr_read_b32 v1, a1
	scratch_store_dwordx4 off, v[2:5], off offset:576
	s_waitcnt vmcnt(1)
	ds_write_b128 v1, v[6:9]
.LBB125_327:
	s_or_b64 exec, exec, s[0:1]
	s_waitcnt lgkmcnt(0)
	; wave barrier
	ds_read_b128 v[16:19], v2 offset:1568
	ds_read_b128 v[12:15], v2 offset:1584
	;; [unrolled: 1-line block ×4, first 2 shown]
	scratch_load_dwordx4 v[20:23], off, off offset:592
	scratch_load_dwordx4 v[40:43], off, off offset:656
	;; [unrolled: 1-line block ×20, first 2 shown]
	v_cmp_lt_u32_e32 vcc, 34, v0
	scratch_load_dwordx4 v[48:51], off, off offset:672
	scratch_load_dwordx4 v[56:59], off, off offset:688
	;; [unrolled: 1-line block ×3, first 2 shown]
	s_waitcnt vmcnt(22) lgkmcnt(3)
	v_mul_f64 v[24:25], v[16:17], v[22:23]
	v_fmac_f64_e32 v[24:25], v[18:19], v[20:21]
	v_add_f64 v[28:29], v[24:25], 0
	scratch_load_dwordx4 v[24:27], off, off offset:608
	s_waitcnt vmcnt(0) lgkmcnt(2)
	v_mul_f64 v[30:31], v[12:13], v[26:27]
	v_fmac_f64_e32 v[30:31], v[14:15], v[24:25]
	v_add_f64 v[32:33], v[28:29], v[30:31]
	scratch_load_dwordx4 v[28:31], off, off offset:624
	v_mul_f64 v[14:15], v[14:15], v[26:27]
	v_fma_f64 v[12:13], v[12:13], v[24:25], -v[14:15]
	s_waitcnt vmcnt(0) lgkmcnt(1)
	v_mul_f64 v[34:35], v[8:9], v[30:31]
	v_fmac_f64_e32 v[34:35], v[10:11], v[28:29]
	v_add_f64 v[36:37], v[32:33], v[34:35]
	scratch_load_dwordx4 v[32:35], off, off offset:640
	v_mul_f64 v[10:11], v[10:11], v[30:31]
	v_fma_f64 v[8:9], v[8:9], v[28:29], -v[10:11]
	s_waitcnt vmcnt(0) lgkmcnt(0)
	v_mul_f64 v[38:39], v[4:5], v[34:35]
	v_fmac_f64_e32 v[38:39], v[6:7], v[32:33]
	v_add_f64 v[44:45], v[36:37], v[38:39]
	ds_read_b128 v[36:39], v2 offset:1632
	v_mul_f64 v[6:7], v[6:7], v[34:35]
	v_fma_f64 v[4:5], v[4:5], v[32:33], -v[6:7]
	s_waitcnt lgkmcnt(0)
	v_mul_f64 v[46:47], v[36:37], v[42:43]
	v_fmac_f64_e32 v[46:47], v[38:39], v[40:41]
	v_add_f64 v[52:53], v[44:45], v[46:47]
	ds_read_b128 v[44:47], v2 offset:1648
	s_waitcnt lgkmcnt(0)
	v_mul_f64 v[54:55], v[44:45], v[50:51]
	v_fmac_f64_e32 v[54:55], v[46:47], v[48:49]
	v_add_f64 v[60:61], v[52:53], v[54:55]
	ds_read_b128 v[52:55], v2 offset:1664
	;; [unrolled: 5-line block ×21, first 2 shown]
	s_waitcnt lgkmcnt(0)
	v_mul_f64 v[2:3], v[206:207], v[212:213]
	v_fmac_f64_e32 v[2:3], v[208:209], v[210:211]
	v_add_f64 v[168:169], v[168:169], v[2:3]
	v_mul_f64 v[2:3], v[18:19], v[22:23]
	v_fma_f64 v[2:3], v[16:17], v[20:21], -v[2:3]
	v_add_f64 v[2:3], v[2:3], 0
	v_add_f64 v[2:3], v[2:3], v[12:13]
	;; [unrolled: 1-line block ×4, first 2 shown]
	v_mul_f64 v[4:5], v[38:39], v[42:43]
	v_fma_f64 v[4:5], v[36:37], v[40:41], -v[4:5]
	v_add_f64 v[2:3], v[2:3], v[4:5]
	v_mul_f64 v[4:5], v[46:47], v[50:51]
	v_fma_f64 v[4:5], v[44:45], v[48:49], -v[4:5]
	v_add_f64 v[2:3], v[2:3], v[4:5]
	;; [unrolled: 3-line block ×22, first 2 shown]
	scratch_load_dwordx4 v[2:5], off, off offset:576
	s_waitcnt vmcnt(0)
	v_add_f64 v[2:3], v[2:3], -v[6:7]
	v_add_f64 v[4:5], v[4:5], -v[168:169]
	scratch_store_dwordx4 off, v[2:5], off offset:576
	s_and_saveexec_b64 s[0:1], vcc
	s_cbranch_execz .LBB125_329
; %bb.328:
	scratch_load_dwordx4 v[2:5], off, s54
	v_mov_b32_e32 v6, 0
	v_mov_b32_e32 v7, v6
	;; [unrolled: 1-line block ×4, first 2 shown]
	v_accvgpr_read_b32 v1, a1
	scratch_store_dwordx4 off, v[6:9], off offset:560
	s_waitcnt vmcnt(1)
	ds_write_b128 v1, v[2:5]
.LBB125_329:
	s_or_b64 exec, exec, s[0:1]
	v_mov_b32_e32 v2, 0
	s_waitcnt lgkmcnt(0)
	; wave barrier
	ds_read_b128 v[16:19], v2 offset:1552
	ds_read_b128 v[12:15], v2 offset:1568
	;; [unrolled: 1-line block ×4, first 2 shown]
	scratch_load_dwordx4 v[20:23], off, off offset:576
	scratch_load_dwordx4 v[40:43], off, off offset:640
	;; [unrolled: 1-line block ×21, first 2 shown]
	v_cmp_lt_u32_e32 vcc, 33, v0
	scratch_load_dwordx4 v[48:51], off, off offset:656
	scratch_load_dwordx4 v[56:59], off, off offset:672
	scratch_load_dwordx4 v[64:67], off, off offset:688
	s_waitcnt vmcnt(23) lgkmcnt(3)
	v_mul_f64 v[24:25], v[16:17], v[22:23]
	v_fmac_f64_e32 v[24:25], v[18:19], v[20:21]
	v_add_f64 v[28:29], v[24:25], 0
	scratch_load_dwordx4 v[24:27], off, off offset:592
	v_mul_f64 v[18:19], v[18:19], v[22:23]
	v_fma_f64 v[16:17], v[16:17], v[20:21], -v[18:19]
	v_add_f64 v[16:17], v[16:17], 0
	s_waitcnt vmcnt(0) lgkmcnt(2)
	v_mul_f64 v[30:31], v[12:13], v[26:27]
	v_fmac_f64_e32 v[30:31], v[14:15], v[24:25]
	v_add_f64 v[32:33], v[28:29], v[30:31]
	scratch_load_dwordx4 v[28:31], off, off offset:608
	v_mul_f64 v[14:15], v[14:15], v[26:27]
	v_fma_f64 v[12:13], v[12:13], v[24:25], -v[14:15]
	v_add_f64 v[12:13], v[16:17], v[12:13]
	;; [unrolled: 8-line block ×3, first 2 shown]
	s_waitcnt vmcnt(0) lgkmcnt(0)
	v_mul_f64 v[38:39], v[4:5], v[34:35]
	v_fmac_f64_e32 v[38:39], v[6:7], v[32:33]
	v_add_f64 v[44:45], v[36:37], v[38:39]
	ds_read_b128 v[36:39], v2 offset:1616
	v_mul_f64 v[6:7], v[6:7], v[34:35]
	v_fma_f64 v[4:5], v[4:5], v[32:33], -v[6:7]
	v_add_f64 v[4:5], v[8:9], v[4:5]
	s_waitcnt lgkmcnt(0)
	v_mul_f64 v[46:47], v[36:37], v[42:43]
	v_fmac_f64_e32 v[46:47], v[38:39], v[40:41]
	v_add_f64 v[52:53], v[44:45], v[46:47]
	ds_read_b128 v[44:47], v2 offset:1632
	v_mul_f64 v[6:7], v[38:39], v[42:43]
	v_fma_f64 v[6:7], v[36:37], v[40:41], -v[6:7]
	v_add_f64 v[4:5], v[4:5], v[6:7]
	s_waitcnt lgkmcnt(0)
	;; [unrolled: 8-line block ×23, first 2 shown]
	v_mul_f64 v[6:7], v[216:217], v[220:221]
	v_fma_f64 v[6:7], v[214:215], v[218:219], -v[6:7]
	v_add_f64 v[8:9], v[4:5], v[6:7]
	scratch_load_dwordx4 v[4:7], off, off offset:560
	v_mul_f64 v[222:223], v[214:215], v[220:221]
	v_fmac_f64_e32 v[222:223], v[216:217], v[218:219]
	v_add_f64 v[160:161], v[160:161], v[222:223]
	s_waitcnt vmcnt(0)
	v_add_f64 v[4:5], v[4:5], -v[8:9]
	v_add_f64 v[6:7], v[6:7], -v[160:161]
	scratch_store_dwordx4 off, v[4:7], off offset:560
	s_and_saveexec_b64 s[0:1], vcc
	s_cbranch_execz .LBB125_331
; %bb.330:
	scratch_load_dwordx4 v[6:9], off, s55
	v_mov_b32_e32 v3, v2
	v_mov_b32_e32 v4, v2
	;; [unrolled: 1-line block ×3, first 2 shown]
	v_accvgpr_read_b32 v1, a1
	scratch_store_dwordx4 off, v[2:5], off offset:544
	s_waitcnt vmcnt(1)
	ds_write_b128 v1, v[6:9]
.LBB125_331:
	s_or_b64 exec, exec, s[0:1]
	s_waitcnt lgkmcnt(0)
	; wave barrier
	ds_read_b128 v[16:19], v2 offset:1536
	ds_read_b128 v[12:15], v2 offset:1552
	;; [unrolled: 1-line block ×4, first 2 shown]
	scratch_load_dwordx4 v[20:23], off, off offset:560
	scratch_load_dwordx4 v[40:43], off, off offset:624
	;; [unrolled: 1-line block ×22, first 2 shown]
	v_cmp_lt_u32_e32 vcc, 32, v0
	scratch_load_dwordx4 v[48:51], off, off offset:640
	scratch_load_dwordx4 v[56:59], off, off offset:656
	;; [unrolled: 1-line block ×3, first 2 shown]
	s_waitcnt vmcnt(24) lgkmcnt(3)
	v_mul_f64 v[24:25], v[16:17], v[22:23]
	v_fmac_f64_e32 v[24:25], v[18:19], v[20:21]
	v_add_f64 v[28:29], v[24:25], 0
	scratch_load_dwordx4 v[24:27], off, off offset:576
	s_waitcnt vmcnt(0) lgkmcnt(2)
	v_mul_f64 v[30:31], v[12:13], v[26:27]
	v_fmac_f64_e32 v[30:31], v[14:15], v[24:25]
	v_add_f64 v[32:33], v[28:29], v[30:31]
	scratch_load_dwordx4 v[28:31], off, off offset:592
	v_mul_f64 v[14:15], v[14:15], v[26:27]
	v_fma_f64 v[12:13], v[12:13], v[24:25], -v[14:15]
	s_waitcnt vmcnt(0) lgkmcnt(1)
	v_mul_f64 v[34:35], v[8:9], v[30:31]
	v_fmac_f64_e32 v[34:35], v[10:11], v[28:29]
	v_add_f64 v[36:37], v[32:33], v[34:35]
	scratch_load_dwordx4 v[32:35], off, off offset:608
	v_mul_f64 v[10:11], v[10:11], v[30:31]
	v_fma_f64 v[8:9], v[8:9], v[28:29], -v[10:11]
	s_waitcnt vmcnt(0) lgkmcnt(0)
	v_mul_f64 v[38:39], v[4:5], v[34:35]
	v_fmac_f64_e32 v[38:39], v[6:7], v[32:33]
	v_add_f64 v[44:45], v[36:37], v[38:39]
	ds_read_b128 v[36:39], v2 offset:1600
	v_mul_f64 v[6:7], v[6:7], v[34:35]
	v_fma_f64 v[4:5], v[4:5], v[32:33], -v[6:7]
	s_waitcnt lgkmcnt(0)
	v_mul_f64 v[46:47], v[36:37], v[42:43]
	v_fmac_f64_e32 v[46:47], v[38:39], v[40:41]
	v_add_f64 v[52:53], v[44:45], v[46:47]
	ds_read_b128 v[44:47], v2 offset:1616
	s_waitcnt lgkmcnt(0)
	v_mul_f64 v[54:55], v[44:45], v[50:51]
	v_fmac_f64_e32 v[54:55], v[46:47], v[48:49]
	v_add_f64 v[60:61], v[52:53], v[54:55]
	ds_read_b128 v[52:55], v2 offset:1632
	;; [unrolled: 5-line block ×23, first 2 shown]
	s_waitcnt lgkmcnt(0)
	v_mul_f64 v[2:3], v[222:223], v[228:229]
	v_fmac_f64_e32 v[2:3], v[224:225], v[226:227]
	v_add_f64 v[176:177], v[176:177], v[2:3]
	v_mul_f64 v[2:3], v[18:19], v[22:23]
	v_fma_f64 v[2:3], v[16:17], v[20:21], -v[2:3]
	v_add_f64 v[2:3], v[2:3], 0
	v_add_f64 v[2:3], v[2:3], v[12:13]
	;; [unrolled: 1-line block ×4, first 2 shown]
	v_mul_f64 v[4:5], v[38:39], v[42:43]
	v_fma_f64 v[4:5], v[36:37], v[40:41], -v[4:5]
	v_add_f64 v[2:3], v[2:3], v[4:5]
	v_mul_f64 v[4:5], v[46:47], v[50:51]
	v_fma_f64 v[4:5], v[44:45], v[48:49], -v[4:5]
	v_add_f64 v[2:3], v[2:3], v[4:5]
	;; [unrolled: 3-line block ×24, first 2 shown]
	scratch_load_dwordx4 v[2:5], off, off offset:544
	s_waitcnt vmcnt(0)
	v_add_f64 v[2:3], v[2:3], -v[6:7]
	v_add_f64 v[4:5], v[4:5], -v[176:177]
	scratch_store_dwordx4 off, v[2:5], off offset:544
	s_and_saveexec_b64 s[0:1], vcc
	s_cbranch_execz .LBB125_333
; %bb.332:
	scratch_load_dwordx4 v[2:5], off, s56
	v_mov_b32_e32 v6, 0
	v_mov_b32_e32 v7, v6
	;; [unrolled: 1-line block ×4, first 2 shown]
	v_accvgpr_read_b32 v1, a1
	scratch_store_dwordx4 off, v[6:9], off offset:528
	s_waitcnt vmcnt(1)
	ds_write_b128 v1, v[2:5]
.LBB125_333:
	s_or_b64 exec, exec, s[0:1]
	v_mov_b32_e32 v2, 0
	s_waitcnt lgkmcnt(0)
	; wave barrier
	ds_read_b128 v[16:19], v2 offset:1520
	ds_read_b128 v[12:15], v2 offset:1536
	;; [unrolled: 1-line block ×4, first 2 shown]
	scratch_load_dwordx4 v[20:23], off, off offset:544
	scratch_load_dwordx4 v[40:43], off, off offset:608
	;; [unrolled: 1-line block ×23, first 2 shown]
	v_cmp_lt_u32_e32 vcc, 31, v0
	scratch_load_dwordx4 v[48:51], off, off offset:624
	scratch_load_dwordx4 v[56:59], off, off offset:640
	;; [unrolled: 1-line block ×3, first 2 shown]
	s_waitcnt vmcnt(25) lgkmcnt(3)
	v_mul_f64 v[24:25], v[16:17], v[22:23]
	v_fmac_f64_e32 v[24:25], v[18:19], v[20:21]
	v_add_f64 v[28:29], v[24:25], 0
	scratch_load_dwordx4 v[24:27], off, off offset:560
	v_mul_f64 v[18:19], v[18:19], v[22:23]
	v_fma_f64 v[16:17], v[16:17], v[20:21], -v[18:19]
	v_add_f64 v[16:17], v[16:17], 0
	s_waitcnt vmcnt(0) lgkmcnt(2)
	v_mul_f64 v[30:31], v[12:13], v[26:27]
	v_fmac_f64_e32 v[30:31], v[14:15], v[24:25]
	v_add_f64 v[32:33], v[28:29], v[30:31]
	scratch_load_dwordx4 v[28:31], off, off offset:576
	v_mul_f64 v[14:15], v[14:15], v[26:27]
	v_fma_f64 v[12:13], v[12:13], v[24:25], -v[14:15]
	v_add_f64 v[12:13], v[16:17], v[12:13]
	;; [unrolled: 8-line block ×3, first 2 shown]
	s_waitcnt vmcnt(0) lgkmcnt(0)
	v_mul_f64 v[38:39], v[4:5], v[34:35]
	v_fmac_f64_e32 v[38:39], v[6:7], v[32:33]
	v_add_f64 v[44:45], v[36:37], v[38:39]
	ds_read_b128 v[36:39], v2 offset:1584
	v_mul_f64 v[6:7], v[6:7], v[34:35]
	v_fma_f64 v[4:5], v[4:5], v[32:33], -v[6:7]
	v_add_f64 v[4:5], v[8:9], v[4:5]
	s_waitcnt lgkmcnt(0)
	v_mul_f64 v[46:47], v[36:37], v[42:43]
	v_fmac_f64_e32 v[46:47], v[38:39], v[40:41]
	v_add_f64 v[52:53], v[44:45], v[46:47]
	ds_read_b128 v[44:47], v2 offset:1600
	v_mul_f64 v[6:7], v[38:39], v[42:43]
	v_fma_f64 v[6:7], v[36:37], v[40:41], -v[6:7]
	v_add_f64 v[4:5], v[4:5], v[6:7]
	s_waitcnt lgkmcnt(0)
	;; [unrolled: 8-line block ×25, first 2 shown]
	v_mul_f64 v[6:7], v[232:233], v[236:237]
	v_fma_f64 v[6:7], v[230:231], v[234:235], -v[6:7]
	v_add_f64 v[8:9], v[4:5], v[6:7]
	scratch_load_dwordx4 v[4:7], off, off offset:528
	v_mul_f64 v[238:239], v[230:231], v[236:237]
	v_fmac_f64_e32 v[238:239], v[232:233], v[234:235]
	v_add_f64 v[176:177], v[176:177], v[238:239]
	s_waitcnt vmcnt(0)
	v_add_f64 v[4:5], v[4:5], -v[8:9]
	v_add_f64 v[6:7], v[6:7], -v[176:177]
	scratch_store_dwordx4 off, v[4:7], off offset:528
	s_and_saveexec_b64 s[0:1], vcc
	s_cbranch_execz .LBB125_335
; %bb.334:
	scratch_load_dwordx4 v[6:9], off, s57
	v_mov_b32_e32 v3, v2
	v_mov_b32_e32 v4, v2
	;; [unrolled: 1-line block ×3, first 2 shown]
	v_accvgpr_read_b32 v1, a1
	scratch_store_dwordx4 off, v[2:5], off offset:512
	s_waitcnt vmcnt(1)
	ds_write_b128 v1, v[6:9]
.LBB125_335:
	s_or_b64 exec, exec, s[0:1]
	s_waitcnt lgkmcnt(0)
	; wave barrier
	ds_read_b128 v[16:19], v2 offset:1504
	ds_read_b128 v[12:15], v2 offset:1520
	;; [unrolled: 1-line block ×4, first 2 shown]
	scratch_load_dwordx4 v[20:23], off, off offset:528
	scratch_load_dwordx4 v[40:43], off, off offset:592
	;; [unrolled: 1-line block ×24, first 2 shown]
	v_cmp_lt_u32_e32 vcc, 30, v0
	scratch_load_dwordx4 v[48:51], off, off offset:608
	scratch_load_dwordx4 v[56:59], off, off offset:624
	;; [unrolled: 1-line block ×3, first 2 shown]
	ds_read_b128 v[244:247], v2 offset:1968
	s_waitcnt vmcnt(26) lgkmcnt(4)
	v_mul_f64 v[24:25], v[16:17], v[22:23]
	v_fmac_f64_e32 v[24:25], v[18:19], v[20:21]
	v_add_f64 v[28:29], v[24:25], 0
	scratch_load_dwordx4 v[24:27], off, off offset:544
	s_waitcnt vmcnt(0) lgkmcnt(3)
	v_mul_f64 v[30:31], v[12:13], v[26:27]
	v_fmac_f64_e32 v[30:31], v[14:15], v[24:25]
	v_add_f64 v[32:33], v[28:29], v[30:31]
	scratch_load_dwordx4 v[28:31], off, off offset:560
	v_mul_f64 v[14:15], v[14:15], v[26:27]
	v_fma_f64 v[12:13], v[12:13], v[24:25], -v[14:15]
	s_waitcnt vmcnt(0) lgkmcnt(2)
	v_mul_f64 v[34:35], v[8:9], v[30:31]
	v_fmac_f64_e32 v[34:35], v[10:11], v[28:29]
	v_add_f64 v[36:37], v[32:33], v[34:35]
	scratch_load_dwordx4 v[32:35], off, off offset:576
	v_mul_f64 v[10:11], v[10:11], v[30:31]
	v_fma_f64 v[8:9], v[8:9], v[28:29], -v[10:11]
	s_waitcnt vmcnt(0) lgkmcnt(1)
	v_mul_f64 v[38:39], v[4:5], v[34:35]
	v_fmac_f64_e32 v[38:39], v[6:7], v[32:33]
	v_add_f64 v[44:45], v[36:37], v[38:39]
	ds_read_b128 v[36:39], v2 offset:1568
	v_mul_f64 v[6:7], v[6:7], v[34:35]
	v_fma_f64 v[4:5], v[4:5], v[32:33], -v[6:7]
	s_waitcnt lgkmcnt(0)
	v_mul_f64 v[46:47], v[36:37], v[42:43]
	v_fmac_f64_e32 v[46:47], v[38:39], v[40:41]
	v_add_f64 v[52:53], v[44:45], v[46:47]
	ds_read_b128 v[44:47], v2 offset:1584
	s_waitcnt lgkmcnt(0)
	v_mul_f64 v[54:55], v[44:45], v[50:51]
	v_fmac_f64_e32 v[54:55], v[46:47], v[48:49]
	v_add_f64 v[60:61], v[52:53], v[54:55]
	ds_read_b128 v[52:55], v2 offset:1600
	;; [unrolled: 5-line block ×24, first 2 shown]
	v_mul_f64 v[2:3], v[244:245], v[250:251]
	v_fmac_f64_e32 v[2:3], v[246:247], v[248:249]
	s_waitcnt lgkmcnt(0)
	v_mul_f64 v[238:239], v[230:231], v[236:237]
	v_fmac_f64_e32 v[238:239], v[232:233], v[234:235]
	v_add_f64 v[188:189], v[188:189], v[238:239]
	v_add_f64 v[188:189], v[188:189], v[2:3]
	v_mul_f64 v[2:3], v[18:19], v[22:23]
	v_fma_f64 v[2:3], v[16:17], v[20:21], -v[2:3]
	v_add_f64 v[2:3], v[2:3], 0
	v_add_f64 v[2:3], v[2:3], v[12:13]
	v_add_f64 v[2:3], v[2:3], v[8:9]
	v_add_f64 v[2:3], v[2:3], v[4:5]
	v_mul_f64 v[4:5], v[38:39], v[42:43]
	v_fma_f64 v[4:5], v[36:37], v[40:41], -v[4:5]
	v_add_f64 v[2:3], v[2:3], v[4:5]
	v_mul_f64 v[4:5], v[46:47], v[50:51]
	v_fma_f64 v[4:5], v[44:45], v[48:49], -v[4:5]
	v_add_f64 v[2:3], v[2:3], v[4:5]
	;; [unrolled: 3-line block ×26, first 2 shown]
	scratch_load_dwordx4 v[2:5], off, off offset:512
	s_waitcnt vmcnt(0)
	v_add_f64 v[2:3], v[2:3], -v[6:7]
	v_add_f64 v[4:5], v[4:5], -v[188:189]
	scratch_store_dwordx4 off, v[2:5], off offset:512
	s_and_saveexec_b64 s[0:1], vcc
	s_cbranch_execz .LBB125_337
; %bb.336:
	scratch_load_dwordx4 v[2:5], off, s58
	v_mov_b32_e32 v6, 0
	v_mov_b32_e32 v7, v6
	;; [unrolled: 1-line block ×4, first 2 shown]
	v_accvgpr_read_b32 v1, a1
	scratch_store_dwordx4 off, v[6:9], off offset:496
	s_waitcnt vmcnt(1)
	ds_write_b128 v1, v[2:5]
.LBB125_337:
	s_or_b64 exec, exec, s[0:1]
	s_waitcnt lgkmcnt(0)
	; wave barrier
	scratch_load_dwordx4 v[16:19], off, off offset:512
	scratch_load_dwordx4 v[12:15], off, off offset:528
	;; [unrolled: 1-line block ×32, first 2 shown]
	v_mov_b32_e32 v2, 0
	ds_read_b128 v[132:135], v2 offset:1488
	ds_read_b128 v[136:139], v2 offset:1504
	;; [unrolled: 1-line block ×17, first 2 shown]
	v_cmp_lt_u32_e32 vcc, 29, v0
	s_waitcnt vmcnt(31) lgkmcnt(14)
	v_mul_f64 v[200:201], v[132:133], v[18:19]
	s_waitcnt vmcnt(30)
	v_mul_f64 v[202:203], v[136:137], v[14:15]
	v_fmac_f64_e32 v[200:201], v[134:135], v[16:17]
	s_waitcnt vmcnt(29)
	v_mul_f64 v[204:205], v[140:141], v[10:11]
	v_fmac_f64_e32 v[202:203], v[138:139], v[12:13]
	v_add_f64 v[200:201], v[200:201], 0
	s_waitcnt vmcnt(28) lgkmcnt(13)
	v_mul_f64 v[206:207], v[144:145], v[6:7]
	v_fmac_f64_e32 v[204:205], v[142:143], v[8:9]
	v_add_f64 v[200:201], v[200:201], v[202:203]
	s_waitcnt vmcnt(27) lgkmcnt(12)
	;; [unrolled: 4-line block ×12, first 2 shown]
	v_mul_f64 v[228:229], v[188:189], v[62:63]
	v_fmac_f64_e32 v[226:227], v[186:187], v[56:57]
	v_add_f64 v[200:201], v[200:201], v[224:225]
	v_fmac_f64_e32 v[228:229], v[190:191], v[60:61]
	v_add_f64 v[200:201], v[200:201], v[226:227]
	s_waitcnt vmcnt(16) lgkmcnt(1)
	v_mul_f64 v[202:203], v[192:193], v[66:67]
	v_add_f64 v[200:201], v[200:201], v[228:229]
	v_fmac_f64_e32 v[202:203], v[194:195], v[64:65]
	s_waitcnt vmcnt(15) lgkmcnt(0)
	v_mul_f64 v[206:207], v[196:197], v[70:71]
	v_add_f64 v[204:205], v[200:201], v[202:203]
	ds_read_b128 v[200:203], v2 offset:1760
	v_fmac_f64_e32 v[206:207], v[198:199], v[68:69]
	v_add_f64 v[208:209], v[204:205], v[206:207]
	ds_read_b128 v[204:207], v2 offset:1776
	v_mul_f64 v[18:19], v[134:135], v[18:19]
	s_waitcnt vmcnt(14) lgkmcnt(1)
	v_mul_f64 v[210:211], v[200:201], v[74:75]
	v_fmac_f64_e32 v[210:211], v[202:203], v[72:73]
	v_add_f64 v[212:213], v[208:209], v[210:211]
	s_waitcnt vmcnt(13) lgkmcnt(0)
	v_mul_f64 v[214:215], v[204:205], v[78:79]
	ds_read_b128 v[208:211], v2 offset:1792
	v_fmac_f64_e32 v[214:215], v[206:207], v[76:77]
	v_add_f64 v[216:217], v[212:213], v[214:215]
	ds_read_b128 v[212:215], v2 offset:1808
	v_fma_f64 v[242:243], v[132:133], v[16:17], -v[18:19]
	s_waitcnt vmcnt(12) lgkmcnt(1)
	v_mul_f64 v[218:219], v[208:209], v[82:83]
	v_fmac_f64_e32 v[218:219], v[210:211], v[80:81]
	v_add_f64 v[220:221], v[216:217], v[218:219]
	s_waitcnt vmcnt(11) lgkmcnt(0)
	v_mul_f64 v[222:223], v[212:213], v[86:87]
	ds_read_b128 v[216:219], v2 offset:1824
	v_fmac_f64_e32 v[222:223], v[214:215], v[84:85]
	v_add_f64 v[224:225], v[220:221], v[222:223]
	ds_read_b128 v[220:223], v2 offset:1840
	ds_read_b128 v[16:19], v2 offset:1920
	s_waitcnt vmcnt(10) lgkmcnt(2)
	v_mul_f64 v[226:227], v[216:217], v[90:91]
	v_fmac_f64_e32 v[226:227], v[218:219], v[88:89]
	v_add_f64 v[228:229], v[224:225], v[226:227]
	s_waitcnt vmcnt(9) lgkmcnt(1)
	v_mul_f64 v[230:231], v[220:221], v[94:95]
	ds_read_b128 v[224:227], v2 offset:1856
	v_fmac_f64_e32 v[230:231], v[222:223], v[92:93]
	v_add_f64 v[232:233], v[228:229], v[230:231]
	ds_read_b128 v[228:231], v2 offset:1872
	v_mul_f64 v[14:15], v[138:139], v[14:15]
	s_waitcnt vmcnt(8) lgkmcnt(1)
	v_mul_f64 v[234:235], v[224:225], v[98:99]
	v_fmac_f64_e32 v[234:235], v[226:227], v[96:97]
	v_add_f64 v[236:237], v[232:233], v[234:235]
	s_waitcnt vmcnt(7) lgkmcnt(0)
	v_mul_f64 v[238:239], v[228:229], v[102:103]
	ds_read_b128 v[232:235], v2 offset:1888
	v_fmac_f64_e32 v[238:239], v[230:231], v[100:101]
	v_add_f64 v[240:241], v[236:237], v[238:239]
	ds_read_b128 v[236:239], v2 offset:1904
	v_fma_f64 v[136:137], v[136:137], v[12:13], -v[14:15]
	s_waitcnt vmcnt(6) lgkmcnt(1)
	v_mul_f64 v[132:133], v[232:233], v[106:107]
	v_fmac_f64_e32 v[132:133], v[234:235], v[104:105]
	v_add_f64 v[132:133], v[240:241], v[132:133]
	s_waitcnt vmcnt(5) lgkmcnt(0)
	v_mul_f64 v[134:135], v[236:237], v[110:111]
	v_fmac_f64_e32 v[134:135], v[238:239], v[108:109]
	v_add_f64 v[132:133], v[132:133], v[134:135]
	ds_read_b128 v[12:15], v2 offset:1936
	s_waitcnt vmcnt(4)
	v_mul_f64 v[134:135], v[16:17], v[114:115]
	v_fmac_f64_e32 v[134:135], v[18:19], v[112:113]
	v_add_f64 v[138:139], v[132:133], v[134:135]
	ds_read_b128 v[132:135], v2 offset:1952
	v_mul_f64 v[10:11], v[142:143], v[10:11]
	v_fma_f64 v[140:141], v[140:141], v[8:9], -v[10:11]
	ds_read_b128 v[8:11], v2 offset:1968
	s_waitcnt vmcnt(3) lgkmcnt(2)
	v_mul_f64 v[142:143], v[12:13], v[118:119]
	v_fmac_f64_e32 v[142:143], v[14:15], v[116:117]
	v_add_f64 v[138:139], v[138:139], v[142:143]
	s_waitcnt vmcnt(2) lgkmcnt(1)
	v_mul_f64 v[142:143], v[132:133], v[122:123]
	v_fmac_f64_e32 v[142:143], v[134:135], v[120:121]
	v_add_f64 v[138:139], v[138:139], v[142:143]
	;; [unrolled: 4-line block ×3, first 2 shown]
	v_add_f64 v[142:143], v[242:243], 0
	v_add_f64 v[136:137], v[142:143], v[136:137]
	v_mul_f64 v[6:7], v[146:147], v[6:7]
	v_add_f64 v[136:137], v[136:137], v[140:141]
	v_fma_f64 v[4:5], v[144:145], v[4:5], -v[6:7]
	v_mul_f64 v[6:7], v[150:151], v[22:23]
	v_add_f64 v[4:5], v[136:137], v[4:5]
	v_fma_f64 v[6:7], v[148:149], v[20:21], -v[6:7]
	v_add_f64 v[4:5], v[4:5], v[6:7]
	v_mul_f64 v[6:7], v[154:155], v[26:27]
	v_fma_f64 v[6:7], v[152:153], v[24:25], -v[6:7]
	v_add_f64 v[4:5], v[4:5], v[6:7]
	v_mul_f64 v[6:7], v[158:159], v[30:31]
	v_fma_f64 v[6:7], v[156:157], v[28:29], -v[6:7]
	v_add_f64 v[4:5], v[4:5], v[6:7]
	v_mul_f64 v[6:7], v[162:163], v[34:35]
	v_fma_f64 v[6:7], v[160:161], v[32:33], -v[6:7]
	v_add_f64 v[4:5], v[4:5], v[6:7]
	v_mul_f64 v[6:7], v[166:167], v[38:39]
	v_fma_f64 v[6:7], v[164:165], v[36:37], -v[6:7]
	v_add_f64 v[4:5], v[4:5], v[6:7]
	v_mul_f64 v[6:7], v[170:171], v[42:43]
	v_fma_f64 v[6:7], v[168:169], v[40:41], -v[6:7]
	v_add_f64 v[4:5], v[4:5], v[6:7]
	v_mul_f64 v[6:7], v[174:175], v[46:47]
	v_fma_f64 v[6:7], v[172:173], v[44:45], -v[6:7]
	v_add_f64 v[4:5], v[4:5], v[6:7]
	v_mul_f64 v[6:7], v[178:179], v[50:51]
	v_fma_f64 v[6:7], v[176:177], v[48:49], -v[6:7]
	v_add_f64 v[4:5], v[4:5], v[6:7]
	v_mul_f64 v[6:7], v[182:183], v[54:55]
	v_fma_f64 v[6:7], v[180:181], v[52:53], -v[6:7]
	v_add_f64 v[4:5], v[4:5], v[6:7]
	v_mul_f64 v[6:7], v[186:187], v[58:59]
	v_fma_f64 v[6:7], v[184:185], v[56:57], -v[6:7]
	v_add_f64 v[4:5], v[4:5], v[6:7]
	v_mul_f64 v[6:7], v[190:191], v[62:63]
	v_fma_f64 v[6:7], v[188:189], v[60:61], -v[6:7]
	v_add_f64 v[4:5], v[4:5], v[6:7]
	v_mul_f64 v[6:7], v[194:195], v[66:67]
	v_fma_f64 v[6:7], v[192:193], v[64:65], -v[6:7]
	v_add_f64 v[4:5], v[4:5], v[6:7]
	v_mul_f64 v[6:7], v[198:199], v[70:71]
	v_fma_f64 v[6:7], v[196:197], v[68:69], -v[6:7]
	v_add_f64 v[4:5], v[4:5], v[6:7]
	v_mul_f64 v[6:7], v[202:203], v[74:75]
	v_fma_f64 v[6:7], v[200:201], v[72:73], -v[6:7]
	v_add_f64 v[4:5], v[4:5], v[6:7]
	v_mul_f64 v[6:7], v[206:207], v[78:79]
	v_fma_f64 v[6:7], v[204:205], v[76:77], -v[6:7]
	v_add_f64 v[4:5], v[4:5], v[6:7]
	v_mul_f64 v[6:7], v[210:211], v[82:83]
	v_fma_f64 v[6:7], v[208:209], v[80:81], -v[6:7]
	v_add_f64 v[4:5], v[4:5], v[6:7]
	v_mul_f64 v[6:7], v[214:215], v[86:87]
	v_fma_f64 v[6:7], v[212:213], v[84:85], -v[6:7]
	v_add_f64 v[4:5], v[4:5], v[6:7]
	v_mul_f64 v[6:7], v[218:219], v[90:91]
	v_fma_f64 v[6:7], v[216:217], v[88:89], -v[6:7]
	v_add_f64 v[4:5], v[4:5], v[6:7]
	v_mul_f64 v[6:7], v[222:223], v[94:95]
	v_fma_f64 v[6:7], v[220:221], v[92:93], -v[6:7]
	v_add_f64 v[4:5], v[4:5], v[6:7]
	v_mul_f64 v[6:7], v[226:227], v[98:99]
	v_fma_f64 v[6:7], v[224:225], v[96:97], -v[6:7]
	v_add_f64 v[4:5], v[4:5], v[6:7]
	v_mul_f64 v[6:7], v[230:231], v[102:103]
	v_fma_f64 v[6:7], v[228:229], v[100:101], -v[6:7]
	v_add_f64 v[4:5], v[4:5], v[6:7]
	v_mul_f64 v[6:7], v[234:235], v[106:107]
	v_fma_f64 v[6:7], v[232:233], v[104:105], -v[6:7]
	v_add_f64 v[4:5], v[4:5], v[6:7]
	v_mul_f64 v[6:7], v[238:239], v[110:111]
	v_fma_f64 v[6:7], v[236:237], v[108:109], -v[6:7]
	v_add_f64 v[4:5], v[4:5], v[6:7]
	v_mul_f64 v[6:7], v[18:19], v[114:115]
	v_fma_f64 v[6:7], v[16:17], v[112:113], -v[6:7]
	v_add_f64 v[4:5], v[4:5], v[6:7]
	v_mul_f64 v[6:7], v[14:15], v[118:119]
	v_fma_f64 v[6:7], v[12:13], v[116:117], -v[6:7]
	v_add_f64 v[4:5], v[4:5], v[6:7]
	v_mul_f64 v[6:7], v[134:135], v[122:123]
	v_fma_f64 v[6:7], v[132:133], v[120:121], -v[6:7]
	v_add_f64 v[4:5], v[4:5], v[6:7]
	v_mul_f64 v[6:7], v[10:11], v[126:127]
	v_fma_f64 v[6:7], v[8:9], v[124:125], -v[6:7]
	v_add_f64 v[4:5], v[4:5], v[6:7]
	s_waitcnt vmcnt(0)
	v_add_f64 v[4:5], v[128:129], -v[4:5]
	v_add_f64 v[6:7], v[130:131], -v[138:139]
	scratch_store_dwordx4 off, v[4:7], off offset:496
	s_and_saveexec_b64 s[0:1], vcc
	s_cbranch_execz .LBB125_339
; %bb.338:
	scratch_load_dwordx4 v[6:9], off, s59
	v_mov_b32_e32 v3, v2
	v_mov_b32_e32 v4, v2
	;; [unrolled: 1-line block ×3, first 2 shown]
	v_accvgpr_read_b32 v1, a1
	scratch_store_dwordx4 off, v[2:5], off offset:480
	s_waitcnt vmcnt(1)
	ds_write_b128 v1, v[6:9]
.LBB125_339:
	s_or_b64 exec, exec, s[0:1]
	s_waitcnt lgkmcnt(0)
	; wave barrier
	scratch_load_dwordx4 v[140:143], off, off offset:496
	scratch_load_dwordx4 v[148:151], off, off offset:512
	;; [unrolled: 1-line block ×16, first 2 shown]
	ds_read_b128 v[188:191], v2 offset:1472
	ds_read_b128 v[184:187], v2 offset:1488
	scratch_load_dwordx4 v[56:59], off, off offset:752
	ds_read_b128 v[192:195], v2 offset:1504
	ds_read_b128 v[68:71], v2 offset:1520
	scratch_load_dwordx4 v[60:63], off, off offset:768
	ds_read_b128 v[88:91], v2 offset:1536
	ds_read_b128 v[84:87], v2 offset:1552
	;; [unrolled: 1-line block ×4, first 2 shown]
	scratch_load_dwordx4 v[64:67], off, off offset:784
	ds_read_b128 v[100:103], v2 offset:1600
	ds_read_b128 v[96:99], v2 offset:1616
	scratch_load_dwordx4 v[72:75], off, off offset:800
	ds_read_b128 v[116:119], v2 offset:1632
	ds_read_b128 v[112:115], v2 offset:1648
	;; [unrolled: 1-line block ×4, first 2 shown]
	scratch_load_dwordx4 v[92:95], off, off offset:816
	ds_read_b128 v[132:135], v2 offset:1696
	ds_read_b128 v[128:131], v2 offset:1712
	;; [unrolled: 1-line block ×3, first 2 shown]
	scratch_load_dwordx4 v[120:123], off, off offset:832
	scratch_load_dwordx4 v[136:139], off, off offset:848
	;; [unrolled: 1-line block ×11, first 2 shown]
	v_cmp_lt_u32_e32 vcc, 28, v0
	s_waitcnt vmcnt(31) lgkmcnt(14)
	v_mul_f64 v[200:201], v[188:189], v[142:143]
	s_waitcnt vmcnt(30)
	v_mul_f64 v[202:203], v[184:185], v[150:151]
	v_fmac_f64_e32 v[200:201], v[190:191], v[140:141]
	s_waitcnt vmcnt(29)
	v_mul_f64 v[204:205], v[192:193], v[154:155]
	v_fmac_f64_e32 v[202:203], v[186:187], v[148:149]
	v_add_f64 v[200:201], v[200:201], 0
	s_waitcnt vmcnt(28) lgkmcnt(13)
	v_mul_f64 v[206:207], v[68:69], v[6:7]
	v_fmac_f64_e32 v[204:205], v[194:195], v[152:153]
	v_add_f64 v[200:201], v[200:201], v[202:203]
	s_waitcnt vmcnt(27) lgkmcnt(12)
	;; [unrolled: 4-line block ×13, first 2 shown]
	v_mul_f64 v[230:231], v[128:129], v[54:55]
	v_fmac_f64_e32 v[228:229], v[134:135], v[48:49]
	v_add_f64 v[200:201], v[200:201], v[226:227]
	v_add_f64 v[200:201], v[200:201], v[228:229]
	v_fmac_f64_e32 v[230:231], v[130:131], v[52:53]
	s_waitcnt vmcnt(15) lgkmcnt(0)
	v_mul_f64 v[206:207], v[124:125], v[58:59]
	v_add_f64 v[204:205], v[200:201], v[230:231]
	ds_read_b128 v[200:203], v2 offset:1744
	v_fmac_f64_e32 v[206:207], v[126:127], v[56:57]
	v_add_f64 v[208:209], v[204:205], v[206:207]
	ds_read_b128 v[204:207], v2 offset:1760
	v_mul_f64 v[142:143], v[190:191], v[142:143]
	s_waitcnt vmcnt(14) lgkmcnt(1)
	v_mul_f64 v[210:211], v[200:201], v[62:63]
	v_fmac_f64_e32 v[210:211], v[202:203], v[60:61]
	v_add_f64 v[212:213], v[208:209], v[210:211]
	s_waitcnt vmcnt(13) lgkmcnt(0)
	v_mul_f64 v[214:215], v[204:205], v[66:67]
	ds_read_b128 v[208:211], v2 offset:1776
	v_fmac_f64_e32 v[214:215], v[206:207], v[64:65]
	v_add_f64 v[216:217], v[212:213], v[214:215]
	ds_read_b128 v[212:215], v2 offset:1792
	v_fma_f64 v[244:245], v[188:189], v[140:141], -v[142:143]
	s_waitcnt vmcnt(12) lgkmcnt(1)
	v_mul_f64 v[218:219], v[208:209], v[74:75]
	v_fmac_f64_e32 v[218:219], v[210:211], v[72:73]
	v_add_f64 v[220:221], v[216:217], v[218:219]
	s_waitcnt vmcnt(11) lgkmcnt(0)
	v_mul_f64 v[222:223], v[212:213], v[94:95]
	ds_read_b128 v[216:219], v2 offset:1808
	v_fmac_f64_e32 v[222:223], v[214:215], v[92:93]
	v_add_f64 v[224:225], v[220:221], v[222:223]
	ds_read_b128 v[220:223], v2 offset:1824
	ds_read_b128 v[140:143], v2 offset:1904
	s_waitcnt vmcnt(10) lgkmcnt(2)
	v_mul_f64 v[226:227], v[216:217], v[122:123]
	v_fmac_f64_e32 v[226:227], v[218:219], v[120:121]
	v_add_f64 v[228:229], v[224:225], v[226:227]
	s_waitcnt vmcnt(9) lgkmcnt(1)
	v_mul_f64 v[230:231], v[220:221], v[138:139]
	ds_read_b128 v[224:227], v2 offset:1840
	v_fmac_f64_e32 v[230:231], v[222:223], v[136:137]
	v_add_f64 v[232:233], v[228:229], v[230:231]
	ds_read_b128 v[228:231], v2 offset:1856
	v_mul_f64 v[150:151], v[186:187], v[150:151]
	s_waitcnt vmcnt(8) lgkmcnt(1)
	v_mul_f64 v[234:235], v[224:225], v[146:147]
	v_fmac_f64_e32 v[234:235], v[226:227], v[144:145]
	v_add_f64 v[236:237], v[232:233], v[234:235]
	s_waitcnt vmcnt(7) lgkmcnt(0)
	v_mul_f64 v[238:239], v[228:229], v[158:159]
	ds_read_b128 v[232:235], v2 offset:1872
	v_fmac_f64_e32 v[238:239], v[230:231], v[156:157]
	v_add_f64 v[240:241], v[236:237], v[238:239]
	ds_read_b128 v[236:239], v2 offset:1888
	v_fma_f64 v[246:247], v[184:185], v[148:149], -v[150:151]
	s_waitcnt vmcnt(6) lgkmcnt(1)
	v_mul_f64 v[242:243], v[232:233], v[162:163]
	v_fmac_f64_e32 v[242:243], v[234:235], v[160:161]
	ds_read_b128 v[148:151], v2 offset:1920
	s_waitcnt vmcnt(5) lgkmcnt(1)
	v_mul_f64 v[188:189], v[236:237], v[166:167]
	v_add_f64 v[240:241], v[240:241], v[242:243]
	v_fmac_f64_e32 v[188:189], v[238:239], v[164:165]
	s_waitcnt vmcnt(4)
	v_mul_f64 v[184:185], v[140:141], v[170:171]
	v_add_f64 v[188:189], v[240:241], v[188:189]
	v_fmac_f64_e32 v[184:185], v[142:143], v[168:169]
	v_add_f64 v[188:189], v[188:189], v[184:185]
	ds_read_b128 v[184:187], v2 offset:1936
	v_mul_f64 v[154:155], v[194:195], v[154:155]
	s_waitcnt vmcnt(3) lgkmcnt(1)
	v_mul_f64 v[190:191], v[148:149], v[174:175]
	v_fma_f64 v[242:243], v[192:193], v[152:153], -v[154:155]
	ds_read_b128 v[152:155], v2 offset:1952
	v_fmac_f64_e32 v[190:191], v[150:151], v[172:173]
	v_add_f64 v[240:241], v[188:189], v[190:191]
	ds_read_b128 v[188:191], v2 offset:1968
	s_waitcnt vmcnt(2) lgkmcnt(2)
	v_mul_f64 v[192:193], v[184:185], v[178:179]
	v_fmac_f64_e32 v[192:193], v[186:187], v[176:177]
	v_add_f64 v[2:3], v[240:241], v[192:193]
	s_waitcnt vmcnt(1) lgkmcnt(1)
	v_mul_f64 v[192:193], v[152:153], v[182:183]
	v_fmac_f64_e32 v[192:193], v[154:155], v[180:181]
	v_add_f64 v[2:3], v[2:3], v[192:193]
	;; [unrolled: 4-line block ×3, first 2 shown]
	scratch_load_dwordx4 v[192:195], off, off offset:480
	v_add_f64 v[240:241], v[244:245], 0
	v_add_f64 v[240:241], v[240:241], v[246:247]
	v_mul_f64 v[6:7], v[70:71], v[6:7]
	v_add_f64 v[240:241], v[240:241], v[242:243]
	v_fma_f64 v[4:5], v[68:69], v[4:5], -v[6:7]
	v_mul_f64 v[6:7], v[90:91], v[10:11]
	v_add_f64 v[4:5], v[240:241], v[4:5]
	v_fma_f64 v[6:7], v[88:89], v[8:9], -v[6:7]
	v_add_f64 v[4:5], v[4:5], v[6:7]
	v_mul_f64 v[6:7], v[86:87], v[14:15]
	v_fma_f64 v[6:7], v[84:85], v[12:13], -v[6:7]
	v_add_f64 v[4:5], v[4:5], v[6:7]
	v_mul_f64 v[6:7], v[82:83], v[18:19]
	;; [unrolled: 3-line block ×27, first 2 shown]
	v_fma_f64 v[6:7], v[188:189], v[196:197], -v[6:7]
	v_add_f64 v[4:5], v[4:5], v[6:7]
	s_waitcnt vmcnt(0)
	v_add_f64 v[4:5], v[192:193], -v[4:5]
	v_add_f64 v[6:7], v[194:195], -v[2:3]
	scratch_store_dwordx4 off, v[4:7], off offset:480
	s_and_saveexec_b64 s[0:1], vcc
	s_cbranch_execz .LBB125_341
; %bb.340:
	scratch_load_dwordx4 v[2:5], off, s60
	v_mov_b32_e32 v6, 0
	v_mov_b32_e32 v7, v6
	;; [unrolled: 1-line block ×4, first 2 shown]
	v_accvgpr_read_b32 v1, a1
	scratch_store_dwordx4 off, v[6:9], off offset:464
	s_waitcnt vmcnt(1)
	ds_write_b128 v1, v[2:5]
.LBB125_341:
	s_or_b64 exec, exec, s[0:1]
	s_waitcnt lgkmcnt(0)
	; wave barrier
	scratch_load_dwordx4 v[108:111], off, off offset:480
	scratch_load_dwordx4 v[116:119], off, off offset:496
	;; [unrolled: 1-line block ×33, first 2 shown]
	v_mov_b32_e32 v2, 0
	ds_read_b128 v[220:223], v2 offset:1456
	ds_read_b128 v[224:227], v2 offset:1472
	;; [unrolled: 1-line block ×16, first 2 shown]
	v_cmp_lt_u32_e32 vcc, 27, v0
	s_waitcnt vmcnt(32) lgkmcnt(14)
	v_mul_f64 v[180:181], v[220:221], v[110:111]
	s_waitcnt vmcnt(31)
	v_mul_f64 v[182:183], v[224:225], v[118:119]
	v_fmac_f64_e32 v[180:181], v[222:223], v[108:109]
	s_waitcnt vmcnt(30) lgkmcnt(13)
	v_mul_f64 v[184:185], v[234:235], v[122:123]
	v_fmac_f64_e32 v[182:183], v[226:227], v[116:117]
	v_add_f64 v[180:181], v[180:181], 0
	s_waitcnt vmcnt(29) lgkmcnt(12)
	v_mul_f64 v[186:187], v[244:245], v[126:127]
	v_fmac_f64_e32 v[184:185], v[236:237], v[120:121]
	v_add_f64 v[180:181], v[180:181], v[182:183]
	;; [unrolled: 4-line block ×13, first 2 shown]
	v_fmac_f64_e32 v[208:209], v[142:143], v[40:41]
	v_add_f64 v[180:181], v[180:181], v[206:207]
	v_add_f64 v[184:185], v[180:181], v[208:209]
	ds_read_b128 v[180:183], v2 offset:1712
	s_waitcnt vmcnt(17) lgkmcnt(1)
	v_mul_f64 v[186:187], v[136:137], v[46:47]
	v_fmac_f64_e32 v[186:187], v[138:139], v[44:45]
	v_add_f64 v[188:189], v[184:185], v[186:187]
	ds_read_b128 v[184:187], v2 offset:1728
	s_waitcnt vmcnt(16) lgkmcnt(1)
	v_mul_f64 v[190:191], v[180:181], v[50:51]
	v_fmac_f64_e32 v[190:191], v[182:183], v[48:49]
	;; [unrolled: 5-line block ×7, first 2 shown]
	v_mul_f64 v[126:127], v[246:247], v[126:127]
	v_add_f64 v[212:213], v[208:209], v[210:211]
	ds_read_b128 v[208:211], v2 offset:1824
	s_waitcnt vmcnt(10) lgkmcnt(1)
	v_mul_f64 v[214:215], v[204:205], v[74:75]
	v_mul_f64 v[122:123], v[236:237], v[122:123]
	v_fma_f64 v[236:237], v[244:245], v[124:125], -v[126:127]
	scratch_load_dwordx4 v[244:247], off, off offset:464
	v_fmac_f64_e32 v[214:215], v[206:207], v[72:73]
	v_add_f64 v[216:217], v[212:213], v[214:215]
	ds_read_b128 v[212:215], v2 offset:1840
	s_waitcnt vmcnt(10) lgkmcnt(1)
	v_mul_f64 v[218:219], v[208:209], v[78:79]
	v_fmac_f64_e32 v[218:219], v[210:211], v[76:77]
	v_add_f64 v[228:229], v[216:217], v[218:219]
	ds_read_b128 v[216:219], v2 offset:1856
	s_waitcnt vmcnt(9) lgkmcnt(1)
	v_mul_f64 v[230:231], v[212:213], v[82:83]
	v_fmac_f64_e32 v[230:231], v[214:215], v[80:81]
	v_mul_f64 v[110:111], v[222:223], v[110:111]
	v_add_f64 v[228:229], v[228:229], v[230:231]
	v_fma_f64 v[230:231], v[220:221], v[108:109], -v[110:111]
	ds_read_b128 v[108:111], v2 offset:1872
	s_waitcnt vmcnt(8) lgkmcnt(1)
	v_mul_f64 v[220:221], v[216:217], v[86:87]
	v_mul_f64 v[118:119], v[226:227], v[118:119]
	v_fmac_f64_e32 v[220:221], v[218:219], v[84:85]
	v_fma_f64 v[232:233], v[224:225], v[116:117], -v[118:119]
	ds_read_b128 v[116:119], v2 offset:1888
	s_waitcnt vmcnt(7) lgkmcnt(1)
	v_mul_f64 v[222:223], v[108:109], v[90:91]
	v_add_f64 v[220:221], v[228:229], v[220:221]
	v_fmac_f64_e32 v[222:223], v[110:111], v[88:89]
	v_add_f64 v[224:225], v[220:221], v[222:223]
	ds_read_b128 v[220:223], v2 offset:1904
	v_fma_f64 v[234:235], v[234:235], v[120:121], -v[122:123]
	ds_read_b128 v[120:123], v2 offset:1920
	s_waitcnt vmcnt(6) lgkmcnt(2)
	v_mul_f64 v[226:227], v[116:117], v[94:95]
	v_fmac_f64_e32 v[226:227], v[118:119], v[92:93]
	v_add_f64 v[224:225], v[224:225], v[226:227]
	s_waitcnt vmcnt(5) lgkmcnt(1)
	v_mul_f64 v[226:227], v[220:221], v[98:99]
	v_add_f64 v[230:231], v[230:231], 0
	v_fmac_f64_e32 v[226:227], v[222:223], v[96:97]
	s_waitcnt vmcnt(4) lgkmcnt(0)
	v_mul_f64 v[238:239], v[120:121], v[102:103]
	v_add_f64 v[230:231], v[230:231], v[232:233]
	v_add_f64 v[228:229], v[224:225], v[226:227]
	v_fmac_f64_e32 v[238:239], v[122:123], v[100:101]
	v_mul_f64 v[130:131], v[250:251], v[130:131]
	v_add_f64 v[230:231], v[230:231], v[234:235]
	v_add_f64 v[228:229], v[228:229], v[238:239]
	v_fma_f64 v[238:239], v[248:249], v[128:129], -v[130:131]
	v_add_f64 v[230:231], v[230:231], v[236:237]
	v_mul_f64 v[6:7], v[178:179], v[6:7]
	v_add_f64 v[230:231], v[230:231], v[238:239]
	v_fma_f64 v[4:5], v[176:177], v[4:5], -v[6:7]
	v_mul_f64 v[6:7], v[174:175], v[10:11]
	v_add_f64 v[4:5], v[230:231], v[4:5]
	v_fma_f64 v[6:7], v[172:173], v[8:9], -v[6:7]
	v_add_f64 v[4:5], v[4:5], v[6:7]
	v_mul_f64 v[6:7], v[170:171], v[14:15]
	v_fma_f64 v[6:7], v[168:169], v[12:13], -v[6:7]
	v_add_f64 v[4:5], v[4:5], v[6:7]
	v_mul_f64 v[6:7], v[166:167], v[18:19]
	;; [unrolled: 3-line block ×21, first 2 shown]
	ds_read_b128 v[124:127], v2 offset:1936
	ds_read_b128 v[224:227], v2 offset:1952
	v_fma_f64 v[6:7], v[116:117], v[92:93], -v[6:7]
	v_add_f64 v[4:5], v[4:5], v[6:7]
	v_mul_f64 v[6:7], v[222:223], v[98:99]
	v_fma_f64 v[6:7], v[220:221], v[96:97], -v[6:7]
	v_add_f64 v[4:5], v[4:5], v[6:7]
	v_mul_f64 v[6:7], v[122:123], v[102:103]
	ds_read_b128 v[128:131], v2 offset:1968
	v_fma_f64 v[6:7], v[120:121], v[100:101], -v[6:7]
	s_waitcnt vmcnt(3) lgkmcnt(2)
	v_mul_f64 v[240:241], v[124:125], v[106:107]
	v_add_f64 v[4:5], v[4:5], v[6:7]
	v_mul_f64 v[6:7], v[126:127], v[106:107]
	v_fmac_f64_e32 v[240:241], v[126:127], v[104:105]
	v_fma_f64 v[6:7], v[124:125], v[104:105], -v[6:7]
	v_add_f64 v[228:229], v[228:229], v[240:241]
	s_waitcnt vmcnt(2) lgkmcnt(1)
	v_mul_f64 v[240:241], v[224:225], v[114:115]
	v_add_f64 v[4:5], v[4:5], v[6:7]
	v_mul_f64 v[6:7], v[226:227], v[114:115]
	v_fmac_f64_e32 v[240:241], v[226:227], v[112:113]
	v_fma_f64 v[6:7], v[224:225], v[112:113], -v[6:7]
	v_add_f64 v[228:229], v[228:229], v[240:241]
	;; [unrolled: 7-line block ×3, first 2 shown]
	v_add_f64 v[4:5], v[4:5], v[6:7]
	s_waitcnt vmcnt(0)
	v_add_f64 v[4:5], v[244:245], -v[4:5]
	v_add_f64 v[6:7], v[246:247], -v[228:229]
	scratch_store_dwordx4 off, v[4:7], off offset:464
	s_and_saveexec_b64 s[0:1], vcc
	s_cbranch_execz .LBB125_343
; %bb.342:
	scratch_load_dwordx4 v[6:9], off, s61
	v_mov_b32_e32 v3, v2
	v_mov_b32_e32 v4, v2
	;; [unrolled: 1-line block ×3, first 2 shown]
	v_accvgpr_read_b32 v1, a1
	scratch_store_dwordx4 off, v[2:5], off offset:448
	s_waitcnt vmcnt(1)
	ds_write_b128 v1, v[6:9]
.LBB125_343:
	s_or_b64 exec, exec, s[0:1]
	s_waitcnt lgkmcnt(0)
	; wave barrier
	scratch_load_dwordx4 v[144:147], off, off offset:464
	scratch_load_dwordx4 v[152:155], off, off offset:480
	scratch_load_dwordx4 v[156:159], off, off offset:496
	scratch_load_dwordx4 v[160:163], off, off offset:512
	scratch_load_dwordx4 v[168:171], off, off offset:528
	scratch_load_dwordx4 v[4:7], off, off offset:544
	scratch_load_dwordx4 v[8:11], off, off offset:560
	scratch_load_dwordx4 v[12:15], off, off offset:576
	scratch_load_dwordx4 v[16:19], off, off offset:592
	scratch_load_dwordx4 v[20:23], off, off offset:608
	scratch_load_dwordx4 v[24:27], off, off offset:624
	scratch_load_dwordx4 v[28:31], off, off offset:640
	scratch_load_dwordx4 v[32:35], off, off offset:656
	scratch_load_dwordx4 v[36:39], off, off offset:672
	scratch_load_dwordx4 v[40:43], off, off offset:688
	scratch_load_dwordx4 v[44:47], off, off offset:704
	ds_read_b128 v[196:199], v2 offset:1440
	ds_read_b128 v[188:191], v2 offset:1456
	ds_read_b128 v[180:183], v2 offset:1472
	scratch_load_dwordx4 v[48:51], off, off offset:720
	ds_read_b128 v[192:195], v2 offset:1488
	ds_read_b128 v[184:187], v2 offset:1504
	ds_read_b128 v[64:67], v2 offset:1520
	scratch_load_dwordx4 v[52:55], off, off offset:736
	;; [unrolled: 4-line block ×5, first 2 shown]
	ds_read_b128 v[116:119], v2 offset:1680
	ds_read_b128 v[112:115], v2 offset:1696
	scratch_load_dwordx4 v[108:111], off, off offset:800
	scratch_load_dwordx4 v[120:123], off, off offset:816
	;; [unrolled: 1-line block ×12, first 2 shown]
	v_cmp_lt_u32_e32 vcc, 26, v0
	s_waitcnt vmcnt(32) lgkmcnt(14)
	v_mul_f64 v[204:205], v[196:197], v[146:147]
	s_waitcnt vmcnt(31)
	v_mul_f64 v[206:207], v[188:189], v[154:155]
	v_fmac_f64_e32 v[204:205], v[198:199], v[144:145]
	s_waitcnt vmcnt(30)
	v_mul_f64 v[208:209], v[180:181], v[158:159]
	v_fmac_f64_e32 v[206:207], v[190:191], v[152:153]
	v_add_f64 v[204:205], v[204:205], 0
	s_waitcnt vmcnt(29) lgkmcnt(13)
	v_mul_f64 v[210:211], v[192:193], v[162:163]
	v_fmac_f64_e32 v[208:209], v[182:183], v[156:157]
	v_add_f64 v[204:205], v[204:205], v[206:207]
	s_waitcnt vmcnt(28) lgkmcnt(12)
	;; [unrolled: 4-line block ×12, first 2 shown]
	v_mul_f64 v[232:233], v[96:97], v[42:43]
	v_fmac_f64_e32 v[230:231], v[102:103], v[36:37]
	v_add_f64 v[204:205], v[204:205], v[228:229]
	v_fmac_f64_e32 v[232:233], v[98:99], v[40:41]
	v_add_f64 v[204:205], v[204:205], v[230:231]
	s_waitcnt vmcnt(17) lgkmcnt(1)
	v_mul_f64 v[206:207], v[116:117], v[46:47]
	v_add_f64 v[204:205], v[204:205], v[232:233]
	v_fmac_f64_e32 v[206:207], v[118:119], v[44:45]
	s_waitcnt vmcnt(16) lgkmcnt(0)
	v_mul_f64 v[210:211], v[112:113], v[50:51]
	v_add_f64 v[208:209], v[204:205], v[206:207]
	ds_read_b128 v[204:207], v2 offset:1712
	v_fmac_f64_e32 v[210:211], v[114:115], v[48:49]
	v_add_f64 v[212:213], v[208:209], v[210:211]
	ds_read_b128 v[208:211], v2 offset:1728
	v_mul_f64 v[146:147], v[198:199], v[146:147]
	s_waitcnt vmcnt(15) lgkmcnt(1)
	v_mul_f64 v[214:215], v[204:205], v[54:55]
	v_fmac_f64_e32 v[214:215], v[206:207], v[52:53]
	v_add_f64 v[216:217], v[212:213], v[214:215]
	s_waitcnt vmcnt(14) lgkmcnt(0)
	v_mul_f64 v[218:219], v[208:209], v[58:59]
	ds_read_b128 v[212:215], v2 offset:1744
	v_fmac_f64_e32 v[218:219], v[210:211], v[56:57]
	v_add_f64 v[220:221], v[216:217], v[218:219]
	ds_read_b128 v[216:219], v2 offset:1760
	v_mul_f64 v[154:155], v[190:191], v[154:155]
	s_waitcnt vmcnt(13) lgkmcnt(1)
	v_mul_f64 v[222:223], v[212:213], v[62:63]
	v_fmac_f64_e32 v[222:223], v[214:215], v[60:61]
	v_add_f64 v[224:225], v[220:221], v[222:223]
	s_waitcnt vmcnt(12) lgkmcnt(0)
	v_mul_f64 v[226:227], v[216:217], v[94:95]
	ds_read_b128 v[220:223], v2 offset:1776
	v_fmac_f64_e32 v[226:227], v[218:219], v[92:93]
	v_add_f64 v[228:229], v[224:225], v[226:227]
	ds_read_b128 v[224:227], v2 offset:1792
	v_fma_f64 v[244:245], v[188:189], v[152:153], -v[154:155]
	s_waitcnt vmcnt(11) lgkmcnt(1)
	v_mul_f64 v[230:231], v[220:221], v[110:111]
	v_fmac_f64_e32 v[230:231], v[222:223], v[108:109]
	v_add_f64 v[232:233], v[228:229], v[230:231]
	s_waitcnt vmcnt(10) lgkmcnt(0)
	v_mul_f64 v[234:235], v[224:225], v[122:123]
	ds_read_b128 v[228:231], v2 offset:1808
	v_fmac_f64_e32 v[234:235], v[226:227], v[120:121]
	v_add_f64 v[236:237], v[232:233], v[234:235]
	ds_read_b128 v[232:235], v2 offset:1824
	ds_read_b128 v[152:155], v2 offset:1872
	s_waitcnt vmcnt(9) lgkmcnt(2)
	v_mul_f64 v[238:239], v[228:229], v[126:127]
	v_fmac_f64_e32 v[238:239], v[230:231], v[124:125]
	v_add_f64 v[240:241], v[236:237], v[238:239]
	s_waitcnt vmcnt(8) lgkmcnt(1)
	v_mul_f64 v[242:243], v[232:233], v[130:131]
	ds_read_b128 v[236:239], v2 offset:1840
	v_fmac_f64_e32 v[242:243], v[234:235], v[128:129]
	v_add_f64 v[240:241], v[240:241], v[242:243]
	v_fma_f64 v[242:243], v[196:197], v[144:145], -v[146:147]
	ds_read_b128 v[144:147], v2 offset:1856
	s_waitcnt vmcnt(7) lgkmcnt(1)
	v_mul_f64 v[196:197], v[236:237], v[134:135]
	v_fmac_f64_e32 v[196:197], v[238:239], v[132:133]
	v_add_f64 v[188:189], v[240:241], v[196:197]
	v_mul_f64 v[158:159], v[182:183], v[158:159]
	s_waitcnt vmcnt(6) lgkmcnt(0)
	v_mul_f64 v[190:191], v[144:145], v[138:139]
	v_fmac_f64_e32 v[190:191], v[146:147], v[136:137]
	v_add_f64 v[196:197], v[188:189], v[190:191]
	ds_read_b128 v[188:191], v2 offset:1888
	v_fma_f64 v[240:241], v[180:181], v[156:157], -v[158:159]
	ds_read_b128 v[156:159], v2 offset:1904
	s_waitcnt vmcnt(5)
	v_mul_f64 v[198:199], v[152:153], v[142:143]
	v_fmac_f64_e32 v[198:199], v[154:155], v[140:141]
	s_waitcnt vmcnt(4) lgkmcnt(1)
	v_mul_f64 v[180:181], v[188:189], v[150:151]
	v_add_f64 v[196:197], v[196:197], v[198:199]
	v_fmac_f64_e32 v[180:181], v[190:191], v[148:149]
	v_mul_f64 v[162:163], v[194:195], v[162:163]
	v_add_f64 v[198:199], v[196:197], v[180:181]
	v_fma_f64 v[196:197], v[192:193], v[160:161], -v[162:163]
	ds_read_b128 v[160:163], v2 offset:1920
	s_waitcnt vmcnt(3) lgkmcnt(1)
	v_mul_f64 v[192:193], v[156:157], v[166:167]
	ds_read_b128 v[180:183], v2 offset:1936
	v_fmac_f64_e32 v[192:193], v[158:159], v[164:165]
	v_mul_f64 v[170:171], v[186:187], v[170:171]
	v_add_f64 v[192:193], v[198:199], v[192:193]
	v_fma_f64 v[198:199], v[184:185], v[168:169], -v[170:171]
	ds_read_b128 v[168:171], v2 offset:1952
	s_waitcnt vmcnt(2) lgkmcnt(2)
	v_mul_f64 v[184:185], v[160:161], v[174:175]
	v_fmac_f64_e32 v[184:185], v[162:163], v[172:173]
	s_waitcnt vmcnt(1) lgkmcnt(1)
	v_mul_f64 v[186:187], v[180:181], v[178:179]
	v_add_f64 v[184:185], v[192:193], v[184:185]
	v_fmac_f64_e32 v[186:187], v[182:183], v[176:177]
	v_add_f64 v[184:185], v[184:185], v[186:187]
	s_waitcnt vmcnt(0) lgkmcnt(0)
	v_mul_f64 v[186:187], v[168:169], v[202:203]
	v_fmac_f64_e32 v[186:187], v[170:171], v[200:201]
	v_add_f64 v[246:247], v[184:185], v[186:187]
	scratch_load_dwordx4 v[184:187], off, off offset:992
	ds_read_b128 v[192:195], v2 offset:1968
	v_add_f64 v[242:243], v[242:243], 0
	v_add_f64 v[242:243], v[242:243], v[244:245]
	;; [unrolled: 1-line block ×4, first 2 shown]
	v_mul_f64 v[6:7], v[66:67], v[6:7]
	v_add_f64 v[196:197], v[196:197], v[198:199]
	v_fma_f64 v[4:5], v[64:65], v[4:5], -v[6:7]
	v_mul_f64 v[6:7], v[78:79], v[10:11]
	v_add_f64 v[4:5], v[196:197], v[4:5]
	v_fma_f64 v[6:7], v[76:77], v[8:9], -v[6:7]
	v_add_f64 v[4:5], v[4:5], v[6:7]
	v_mul_f64 v[6:7], v[74:75], v[14:15]
	v_fma_f64 v[6:7], v[72:73], v[12:13], -v[6:7]
	v_add_f64 v[4:5], v[4:5], v[6:7]
	v_mul_f64 v[6:7], v[70:71], v[18:19]
	;; [unrolled: 3-line block ×23, first 2 shown]
	s_waitcnt vmcnt(0) lgkmcnt(0)
	v_mul_f64 v[2:3], v[192:193], v[186:187]
	v_fmac_f64_e32 v[2:3], v[194:195], v[184:185]
	v_add_f64 v[2:3], v[246:247], v[2:3]
	scratch_load_dwordx4 v[246:249], off, off offset:448
	v_fma_f64 v[6:7], v[156:157], v[164:165], -v[6:7]
	v_add_f64 v[4:5], v[4:5], v[6:7]
	v_mul_f64 v[6:7], v[162:163], v[174:175]
	v_fma_f64 v[6:7], v[160:161], v[172:173], -v[6:7]
	v_add_f64 v[4:5], v[4:5], v[6:7]
	v_mul_f64 v[6:7], v[182:183], v[178:179]
	;; [unrolled: 3-line block ×4, first 2 shown]
	v_fma_f64 v[6:7], v[192:193], v[184:185], -v[6:7]
	v_add_f64 v[4:5], v[4:5], v[6:7]
	s_waitcnt vmcnt(0)
	v_add_f64 v[4:5], v[246:247], -v[4:5]
	v_add_f64 v[6:7], v[248:249], -v[2:3]
	scratch_store_dwordx4 off, v[4:7], off offset:448
	s_and_saveexec_b64 s[0:1], vcc
	s_cbranch_execz .LBB125_345
; %bb.344:
	scratch_load_dwordx4 v[2:5], off, s62
	v_mov_b32_e32 v6, 0
	v_mov_b32_e32 v7, v6
	;; [unrolled: 1-line block ×4, first 2 shown]
	v_accvgpr_read_b32 v1, a1
	scratch_store_dwordx4 off, v[6:9], off offset:432
	s_waitcnt vmcnt(1)
	ds_write_b128 v1, v[2:5]
.LBB125_345:
	s_or_b64 exec, exec, s[0:1]
	s_waitcnt lgkmcnt(0)
	; wave barrier
	scratch_load_dwordx4 v[184:187], off, off offset:448
	scratch_load_dwordx4 v[188:191], off, off offset:464
	;; [unrolled: 1-line block ×32, first 2 shown]
	v_mov_b32_e32 v2, 0
	ds_read_b128 v[192:195], v2 offset:1424
	ds_read_b128 v[204:207], v2 offset:1440
	;; [unrolled: 1-line block ×16, first 2 shown]
	v_cmp_lt_u32_e32 vcc, 25, v0
	s_waitcnt vmcnt(31) lgkmcnt(14)
	v_mul_f64 v[104:105], v[192:193], v[186:187]
	s_waitcnt vmcnt(30)
	v_mul_f64 v[106:107], v[204:205], v[190:191]
	v_fmac_f64_e32 v[104:105], v[194:195], v[184:185]
	s_waitcnt vmcnt(29) lgkmcnt(13)
	v_mul_f64 v[112:113], v[216:217], v[198:199]
	v_fmac_f64_e32 v[106:107], v[206:207], v[188:189]
	v_add_f64 v[104:105], v[104:105], 0
	s_waitcnt vmcnt(28) lgkmcnt(12)
	v_mul_f64 v[114:115], v[224:225], v[202:203]
	v_fmac_f64_e32 v[112:113], v[218:219], v[196:197]
	v_add_f64 v[104:105], v[104:105], v[106:107]
	;; [unrolled: 4-line block ×10, first 2 shown]
	ds_read_b128 v[152:155], v2 offset:1680
	ds_read_b128 v[156:159], v2 offset:1696
	s_waitcnt vmcnt(19) lgkmcnt(5)
	v_mul_f64 v[164:165], v[124:125], v[26:27]
	v_fmac_f64_e32 v[162:163], v[134:135], v[20:21]
	v_add_f64 v[104:105], v[104:105], v[160:161]
	s_waitcnt vmcnt(18) lgkmcnt(4)
	v_mul_f64 v[166:167], v[120:121], v[30:31]
	v_fmac_f64_e32 v[164:165], v[126:127], v[24:25]
	v_add_f64 v[104:105], v[104:105], v[162:163]
	;; [unrolled: 4-line block ×4, first 2 shown]
	v_add_f64 v[112:113], v[104:105], v[168:169]
	v_fmac_f64_e32 v[170:171], v[110:111], v[36:37]
	scratch_load_dwordx4 v[104:107], off, off offset:960
	s_waitcnt vmcnt(16) lgkmcnt(1)
	v_mul_f64 v[114:115], v[152:153], v[42:43]
	v_add_f64 v[112:113], v[112:113], v[170:171]
	v_fmac_f64_e32 v[114:115], v[154:155], v[40:41]
	v_add_f64 v[128:129], v[112:113], v[114:115]
	scratch_load_dwordx4 v[112:115], off, off offset:976
	s_waitcnt vmcnt(16) lgkmcnt(0)
	v_mul_f64 v[130:131], v[156:157], v[46:47]
	v_fmac_f64_e32 v[130:131], v[158:159], v[44:45]
	v_add_f64 v[168:169], v[128:129], v[130:131]
	scratch_load_dwordx4 v[128:131], off, off offset:992
	ds_read_b128 v[160:163], v2 offset:1712
	ds_read_b128 v[164:167], v2 offset:1728
	v_mul_f64 v[186:187], v[194:195], v[186:187]
	v_fma_f64 v[240:241], v[192:193], v[184:185], -v[186:187]
	ds_read_b128 v[184:187], v2 offset:1808
	s_waitcnt vmcnt(16) lgkmcnt(2)
	v_mul_f64 v[170:171], v[160:161], v[50:51]
	v_fmac_f64_e32 v[170:171], v[162:163], v[48:49]
	s_waitcnt vmcnt(15) lgkmcnt(1)
	v_mul_f64 v[174:175], v[164:165], v[54:55]
	v_add_f64 v[172:173], v[168:169], v[170:171]
	ds_read_b128 v[168:171], v2 offset:1744
	v_fmac_f64_e32 v[174:175], v[166:167], v[52:53]
	v_add_f64 v[176:177], v[172:173], v[174:175]
	ds_read_b128 v[172:175], v2 offset:1760
	v_mul_f64 v[190:191], v[206:207], v[190:191]
	s_waitcnt vmcnt(14) lgkmcnt(1)
	v_mul_f64 v[178:179], v[168:169], v[58:59]
	v_fmac_f64_e32 v[178:179], v[170:171], v[56:57]
	v_add_f64 v[180:181], v[176:177], v[178:179]
	s_waitcnt vmcnt(13) lgkmcnt(0)
	v_mul_f64 v[182:183], v[172:173], v[62:63]
	ds_read_b128 v[176:179], v2 offset:1776
	v_fmac_f64_e32 v[182:183], v[174:175], v[60:61]
	v_add_f64 v[232:233], v[180:181], v[182:183]
	ds_read_b128 v[180:183], v2 offset:1792
	v_fma_f64 v[242:243], v[204:205], v[188:189], -v[190:191]
	s_waitcnt vmcnt(12) lgkmcnt(1)
	v_mul_f64 v[234:235], v[176:177], v[66:67]
	v_fmac_f64_e32 v[234:235], v[178:179], v[64:65]
	v_add_f64 v[232:233], v[232:233], v[234:235]
	s_waitcnt vmcnt(11) lgkmcnt(0)
	v_mul_f64 v[192:193], v[180:181], v[70:71]
	v_fmac_f64_e32 v[192:193], v[182:183], v[68:69]
	ds_read_b128 v[188:191], v2 offset:1824
	s_waitcnt vmcnt(10)
	v_mul_f64 v[194:195], v[184:185], v[74:75]
	v_add_f64 v[192:193], v[232:233], v[192:193]
	v_fmac_f64_e32 v[194:195], v[186:187], v[72:73]
	v_add_f64 v[204:205], v[192:193], v[194:195]
	ds_read_b128 v[192:195], v2 offset:1840
	v_mul_f64 v[198:199], v[218:219], v[198:199]
	v_fma_f64 v[252:253], v[216:217], v[196:197], -v[198:199]
	ds_read_b128 v[196:199], v2 offset:1856
	s_waitcnt vmcnt(9) lgkmcnt(2)
	v_mul_f64 v[206:207], v[188:189], v[78:79]
	v_fmac_f64_e32 v[206:207], v[190:191], v[76:77]
	v_add_f64 v[204:205], v[204:205], v[206:207]
	s_waitcnt vmcnt(8) lgkmcnt(1)
	v_mul_f64 v[206:207], v[192:193], v[82:83]
	v_fmac_f64_e32 v[206:207], v[194:195], v[80:81]
	v_mul_f64 v[202:203], v[226:227], v[202:203]
	v_add_f64 v[204:205], v[204:205], v[206:207]
	v_fma_f64 v[234:235], v[224:225], v[200:201], -v[202:203]
	ds_read_b128 v[200:203], v2 offset:1872
	s_waitcnt vmcnt(7) lgkmcnt(1)
	v_mul_f64 v[206:207], v[196:197], v[86:87]
	v_fmac_f64_e32 v[206:207], v[198:199], v[84:85]
	v_add_f64 v[216:217], v[204:205], v[206:207]
	ds_read_b128 v[204:207], v2 offset:1888
	v_mul_f64 v[210:211], v[230:231], v[210:211]
	v_fma_f64 v[236:237], v[228:229], v[208:209], -v[210:211]
	ds_read_b128 v[208:211], v2 offset:1904
	s_waitcnt vmcnt(6) lgkmcnt(2)
	v_mul_f64 v[218:219], v[200:201], v[90:91]
	v_fmac_f64_e32 v[218:219], v[202:203], v[88:89]
	v_add_f64 v[216:217], v[216:217], v[218:219]
	s_waitcnt vmcnt(5) lgkmcnt(1)
	v_mul_f64 v[218:219], v[204:205], v[94:95]
	v_fmac_f64_e32 v[218:219], v[206:207], v[92:93]
	v_mul_f64 v[214:215], v[246:247], v[214:215]
	v_fma_f64 v[238:239], v[244:245], v[212:213], -v[214:215]
	ds_read_b128 v[212:215], v2 offset:1920
	v_add_f64 v[216:217], v[216:217], v[218:219]
	s_waitcnt vmcnt(4) lgkmcnt(1)
	v_mul_f64 v[218:219], v[208:209], v[102:103]
	v_fmac_f64_e32 v[218:219], v[210:211], v[100:101]
	v_add_f64 v[224:225], v[216:217], v[218:219]
	ds_read_b128 v[216:219], v2 offset:1936
	v_mul_f64 v[222:223], v[250:251], v[222:223]
	v_fma_f64 v[244:245], v[248:249], v[220:221], -v[222:223]
	ds_read_b128 v[220:223], v2 offset:1952
	s_waitcnt vmcnt(3) lgkmcnt(2)
	v_mul_f64 v[226:227], v[212:213], v[98:99]
	v_fmac_f64_e32 v[226:227], v[214:215], v[96:97]
	v_add_f64 v[224:225], v[224:225], v[226:227]
	s_waitcnt vmcnt(2) lgkmcnt(1)
	v_mul_f64 v[226:227], v[216:217], v[106:107]
	v_fmac_f64_e32 v[226:227], v[218:219], v[104:105]
	v_add_f64 v[224:225], v[224:225], v[226:227]
	;; [unrolled: 4-line block ×3, first 2 shown]
	ds_read_b128 v[224:227], v2 offset:1968
	v_mul_f64 v[6:7], v[150:151], v[6:7]
	v_fma_f64 v[4:5], v[148:149], v[4:5], -v[6:7]
	v_mul_f64 v[6:7], v[146:147], v[10:11]
	v_fma_f64 v[6:7], v[144:145], v[8:9], -v[6:7]
	s_waitcnt vmcnt(0) lgkmcnt(0)
	v_mul_f64 v[230:231], v[224:225], v[130:131]
	v_fmac_f64_e32 v[230:231], v[226:227], v[128:129]
	v_add_f64 v[232:233], v[228:229], v[230:231]
	v_add_f64 v[228:229], v[240:241], 0
	;; [unrolled: 1-line block ×4, first 2 shown]
	scratch_load_dwordx4 v[228:231], off, off offset:432
	v_add_f64 v[234:235], v[246:247], v[234:235]
	v_add_f64 v[234:235], v[234:235], v[236:237]
	;; [unrolled: 1-line block ×6, first 2 shown]
	v_mul_f64 v[6:7], v[142:143], v[14:15]
	v_fma_f64 v[6:7], v[140:141], v[12:13], -v[6:7]
	v_add_f64 v[4:5], v[4:5], v[6:7]
	v_mul_f64 v[6:7], v[138:139], v[18:19]
	v_fma_f64 v[6:7], v[136:137], v[16:17], -v[6:7]
	v_add_f64 v[4:5], v[4:5], v[6:7]
	;; [unrolled: 3-line block ×26, first 2 shown]
	s_waitcnt vmcnt(0)
	v_add_f64 v[4:5], v[228:229], -v[4:5]
	v_add_f64 v[6:7], v[230:231], -v[232:233]
	scratch_store_dwordx4 off, v[4:7], off offset:432
	s_and_saveexec_b64 s[0:1], vcc
	s_cbranch_execz .LBB125_347
; %bb.346:
	scratch_load_dwordx4 v[6:9], off, s63
	v_mov_b32_e32 v3, v2
	v_mov_b32_e32 v4, v2
	;; [unrolled: 1-line block ×3, first 2 shown]
	v_accvgpr_read_b32 v1, a1
	scratch_store_dwordx4 off, v[2:5], off offset:416
	s_waitcnt vmcnt(1)
	ds_write_b128 v1, v[6:9]
.LBB125_347:
	s_or_b64 exec, exec, s[0:1]
	s_waitcnt lgkmcnt(0)
	; wave barrier
	scratch_load_dwordx4 v[140:143], off, off offset:432
	scratch_load_dwordx4 v[144:147], off, off offset:448
	;; [unrolled: 1-line block ×16, first 2 shown]
	ds_read_b128 v[208:211], v2 offset:1408
	ds_read_b128 v[200:203], v2 offset:1424
	;; [unrolled: 1-line block ×3, first 2 shown]
	scratch_load_dwordx4 v[40:43], off, off offset:688
	ds_read_b128 v[204:207], v2 offset:1456
	ds_read_b128 v[192:195], v2 offset:1472
	;; [unrolled: 1-line block ×3, first 2 shown]
	scratch_load_dwordx4 v[44:47], off, off offset:704
	ds_read_b128 v[196:199], v2 offset:1504
	ds_read_b128 v[64:67], v2 offset:1520
	ds_read_b128 v[60:63], v2 offset:1536
	ds_read_b128 v[52:55], v2 offset:1552
	scratch_load_dwordx4 v[48:51], off, off offset:720
	ds_read_b128 v[72:75], v2 offset:1568
	ds_read_b128 v[68:71], v2 offset:1584
	scratch_load_dwordx4 v[56:59], off, off offset:736
	ds_read_b128 v[92:95], v2 offset:1600
	ds_read_b128 v[88:91], v2 offset:1616
	;; [unrolled: 1-line block ×4, first 2 shown]
	scratch_load_dwordx4 v[76:79], off, off offset:752
	scratch_load_dwordx4 v[96:99], off, off offset:768
	;; [unrolled: 1-line block ×12, first 2 shown]
	ds_read_b128 v[168:171], v2 offset:1664
	v_mov_b32_e32 v254, v0
	v_cmp_lt_u32_e32 vcc, 24, v0
	s_waitcnt vmcnt(31) lgkmcnt(14)
	v_mul_f64 v[172:173], v[208:209], v[142:143]
	s_waitcnt vmcnt(30)
	v_mul_f64 v[174:175], v[200:201], v[146:147]
	v_fmac_f64_e32 v[172:173], v[210:211], v[140:141]
	s_waitcnt vmcnt(29)
	v_mul_f64 v[176:177], v[188:189], v[150:151]
	v_fmac_f64_e32 v[174:175], v[202:203], v[144:145]
	v_add_f64 v[172:173], v[172:173], 0
	s_waitcnt vmcnt(28) lgkmcnt(13)
	v_mul_f64 v[178:179], v[204:205], v[154:155]
	v_fmac_f64_e32 v[176:177], v[190:191], v[148:149]
	v_add_f64 v[172:173], v[172:173], v[174:175]
	s_waitcnt vmcnt(27) lgkmcnt(12)
	;; [unrolled: 4-line block ×10, first 2 shown]
	v_mul_f64 v[224:225], v[92:93], v[26:27]
	v_fmac_f64_e32 v[222:223], v[70:71], v[20:21]
	v_add_f64 v[172:173], v[172:173], v[220:221]
	ds_read_b128 v[212:215], v2 offset:1680
	s_waitcnt vmcnt(18) lgkmcnt(4)
	v_mul_f64 v[226:227], v[88:89], v[30:31]
	v_fmac_f64_e32 v[224:225], v[94:95], v[24:25]
	v_add_f64 v[172:173], v[172:173], v[222:223]
	ds_read_b128 v[216:219], v2 offset:1696
	ds_read_b128 v[220:223], v2 offset:1712
	s_waitcnt vmcnt(17) lgkmcnt(5)
	v_mul_f64 v[228:229], v[84:85], v[34:35]
	v_fmac_f64_e32 v[226:227], v[90:91], v[28:29]
	v_add_f64 v[172:173], v[172:173], v[224:225]
	s_waitcnt vmcnt(16) lgkmcnt(4)
	v_mul_f64 v[230:231], v[80:81], v[38:39]
	v_fmac_f64_e32 v[228:229], v[86:87], v[32:33]
	v_add_f64 v[172:173], v[172:173], v[226:227]
	v_add_f64 v[176:177], v[172:173], v[228:229]
	v_fmac_f64_e32 v[230:231], v[82:83], v[36:37]
	s_waitcnt vmcnt(15) lgkmcnt(3)
	v_mul_f64 v[178:179], v[168:169], v[42:43]
	v_add_f64 v[176:177], v[176:177], v[230:231]
	v_fmac_f64_e32 v[178:179], v[170:171], v[40:41]
	s_waitcnt vmcnt(14) lgkmcnt(2)
	v_mul_f64 v[182:183], v[212:213], v[46:47]
	;; [unrolled: 4-line block ×3, first 2 shown]
	v_add_f64 v[224:225], v[180:181], v[182:183]
	v_fmac_f64_e32 v[226:227], v[218:219], v[48:49]
	v_add_f64 v[228:229], v[224:225], v[226:227]
	ds_read_b128 v[224:227], v2 offset:1728
	s_waitcnt vmcnt(12) lgkmcnt(1)
	v_mul_f64 v[230:231], v[220:221], v[58:59]
	v_fmac_f64_e32 v[230:231], v[222:223], v[56:57]
	v_add_f64 v[232:233], v[228:229], v[230:231]
	ds_read_b128 v[228:231], v2 offset:1744
	s_waitcnt vmcnt(11) lgkmcnt(1)
	v_mul_f64 v[234:235], v[224:225], v[78:79]
	;; [unrolled: 5-line block ×4, first 2 shown]
	v_fmac_f64_e32 v[242:243], v[234:235], v[100:101]
	v_mul_f64 v[142:143], v[210:211], v[142:143]
	v_add_f64 v[240:241], v[240:241], v[242:243]
	v_fma_f64 v[242:243], v[208:209], v[140:141], -v[142:143]
	ds_read_b128 v[140:143], v2 offset:1792
	s_waitcnt vmcnt(8) lgkmcnt(1)
	v_mul_f64 v[208:209], v[236:237], v[106:107]
	v_fmac_f64_e32 v[208:209], v[238:239], v[104:105]
	v_mul_f64 v[146:147], v[202:203], v[146:147]
	v_add_f64 v[208:209], v[240:241], v[208:209]
	v_fma_f64 v[240:241], v[200:201], v[144:145], -v[146:147]
	ds_read_b128 v[144:147], v2 offset:1808
	s_waitcnt vmcnt(7) lgkmcnt(1)
	v_mul_f64 v[200:201], v[140:141], v[110:111]
	scratch_load_dwordx4 v[172:175], off, off offset:944
	v_fmac_f64_e32 v[200:201], v[142:143], v[108:109]
	v_add_f64 v[208:209], v[208:209], v[200:201]
	ds_read_b128 v[200:203], v2 offset:1824
	v_mul_f64 v[150:151], v[190:191], v[150:151]
	scratch_load_dwordx4 v[176:179], off, off offset:960
	scratch_load_dwordx4 v[180:183], off, off offset:976
	v_fma_f64 v[244:245], v[188:189], v[148:149], -v[150:151]
	ds_read_b128 v[148:151], v2 offset:1840
	s_waitcnt vmcnt(9) lgkmcnt(2)
	v_mul_f64 v[210:211], v[144:145], v[114:115]
	v_fmac_f64_e32 v[210:211], v[146:147], v[112:113]
	s_waitcnt vmcnt(8) lgkmcnt(1)
	v_mul_f64 v[188:189], v[200:201], v[118:119]
	v_add_f64 v[208:209], v[208:209], v[210:211]
	v_fmac_f64_e32 v[188:189], v[202:203], v[116:117]
	v_mul_f64 v[154:155], v[206:207], v[154:155]
	s_waitcnt vmcnt(7) lgkmcnt(0)
	v_mul_f64 v[190:191], v[148:149], v[122:123]
	v_add_f64 v[188:189], v[208:209], v[188:189]
	v_fma_f64 v[246:247], v[204:205], v[152:153], -v[154:155]
	ds_read_b128 v[152:155], v2 offset:1856
	v_fmac_f64_e32 v[190:191], v[150:151], v[120:121]
	v_add_f64 v[204:205], v[188:189], v[190:191]
	ds_read_b128 v[188:191], v2 offset:1872
	v_mul_f64 v[158:159], v[194:195], v[158:159]
	s_waitcnt vmcnt(6) lgkmcnt(1)
	v_mul_f64 v[206:207], v[152:153], v[126:127]
	v_fmac_f64_e32 v[206:207], v[154:155], v[124:125]
	v_fma_f64 v[248:249], v[192:193], v[156:157], -v[158:159]
	s_waitcnt vmcnt(5) lgkmcnt(0)
	v_mul_f64 v[192:193], v[188:189], v[130:131]
	v_add_f64 v[204:205], v[204:205], v[206:207]
	v_fmac_f64_e32 v[192:193], v[190:191], v[128:129]
	v_mul_f64 v[162:163], v[186:187], v[162:163]
	v_add_f64 v[242:243], v[242:243], 0
	v_fma_f64 v[208:209], v[184:185], v[160:161], -v[162:163]
	v_add_f64 v[184:185], v[204:205], v[192:193]
	scratch_load_dwordx4 v[204:207], off, off offset:992
	v_add_f64 v[240:241], v[242:243], v[240:241]
	v_add_f64 v[240:241], v[240:241], v[244:245]
	;; [unrolled: 1-line block ×4, first 2 shown]
	scratch_load_dwordx4 v[246:249], off, off offset:416
	v_mul_f64 v[166:167], v[198:199], v[166:167]
	v_fma_f64 v[210:211], v[196:197], v[164:165], -v[166:167]
	v_add_f64 v[208:209], v[244:245], v[208:209]
	v_mul_f64 v[6:7], v[66:67], v[6:7]
	v_add_f64 v[208:209], v[208:209], v[210:211]
	v_fma_f64 v[4:5], v[64:65], v[4:5], -v[6:7]
	v_mul_f64 v[6:7], v[62:63], v[10:11]
	v_add_f64 v[4:5], v[208:209], v[4:5]
	v_fma_f64 v[6:7], v[60:61], v[8:9], -v[6:7]
	v_add_f64 v[4:5], v[4:5], v[6:7]
	v_mul_f64 v[6:7], v[54:55], v[14:15]
	v_fma_f64 v[6:7], v[52:53], v[12:13], -v[6:7]
	v_add_f64 v[4:5], v[4:5], v[6:7]
	v_mul_f64 v[6:7], v[74:75], v[18:19]
	v_fma_f64 v[6:7], v[72:73], v[16:17], -v[6:7]
	v_add_f64 v[4:5], v[4:5], v[6:7]
	v_mul_f64 v[6:7], v[70:71], v[22:23]
	v_fma_f64 v[6:7], v[68:69], v[20:21], -v[6:7]
	v_add_f64 v[4:5], v[4:5], v[6:7]
	v_mul_f64 v[6:7], v[94:95], v[26:27]
	v_fma_f64 v[6:7], v[92:93], v[24:25], -v[6:7]
	v_add_f64 v[4:5], v[4:5], v[6:7]
	v_mul_f64 v[6:7], v[90:91], v[30:31]
	v_fma_f64 v[6:7], v[88:89], v[28:29], -v[6:7]
	v_add_f64 v[4:5], v[4:5], v[6:7]
	v_mul_f64 v[6:7], v[86:87], v[34:35]
	v_fma_f64 v[6:7], v[84:85], v[32:33], -v[6:7]
	v_add_f64 v[4:5], v[4:5], v[6:7]
	v_mul_f64 v[6:7], v[82:83], v[38:39]
	v_fma_f64 v[6:7], v[80:81], v[36:37], -v[6:7]
	v_add_f64 v[4:5], v[4:5], v[6:7]
	v_mul_f64 v[6:7], v[170:171], v[42:43]
	v_fma_f64 v[6:7], v[168:169], v[40:41], -v[6:7]
	v_add_f64 v[4:5], v[4:5], v[6:7]
	v_mul_f64 v[6:7], v[214:215], v[46:47]
	v_fma_f64 v[6:7], v[212:213], v[44:45], -v[6:7]
	v_add_f64 v[4:5], v[4:5], v[6:7]
	v_mul_f64 v[6:7], v[218:219], v[50:51]
	v_fma_f64 v[6:7], v[216:217], v[48:49], -v[6:7]
	v_add_f64 v[4:5], v[4:5], v[6:7]
	v_mul_f64 v[6:7], v[222:223], v[58:59]
	v_fma_f64 v[6:7], v[220:221], v[56:57], -v[6:7]
	v_add_f64 v[4:5], v[4:5], v[6:7]
	v_mul_f64 v[6:7], v[226:227], v[78:79]
	v_fma_f64 v[6:7], v[224:225], v[76:77], -v[6:7]
	ds_read_b128 v[156:159], v2 offset:1888
	ds_read_b128 v[160:163], v2 offset:1904
	v_add_f64 v[4:5], v[4:5], v[6:7]
	v_mul_f64 v[6:7], v[230:231], v[98:99]
	v_fma_f64 v[6:7], v[228:229], v[96:97], -v[6:7]
	v_add_f64 v[4:5], v[4:5], v[6:7]
	v_mul_f64 v[6:7], v[234:235], v[102:103]
	v_fma_f64 v[6:7], v[232:233], v[100:101], -v[6:7]
	v_add_f64 v[4:5], v[4:5], v[6:7]
	v_mul_f64 v[6:7], v[238:239], v[106:107]
	s_waitcnt vmcnt(6) lgkmcnt(1)
	v_mul_f64 v[186:187], v[156:157], v[138:139]
	v_fma_f64 v[6:7], v[236:237], v[104:105], -v[6:7]
	v_fmac_f64_e32 v[186:187], v[158:159], v[136:137]
	v_add_f64 v[4:5], v[4:5], v[6:7]
	v_mul_f64 v[6:7], v[142:143], v[110:111]
	v_add_f64 v[192:193], v[184:185], v[186:187]
	ds_read_b128 v[184:187], v2 offset:1920
	ds_read_b128 v[164:167], v2 offset:1936
	v_fma_f64 v[6:7], v[140:141], v[108:109], -v[6:7]
	v_add_f64 v[4:5], v[4:5], v[6:7]
	v_mul_f64 v[6:7], v[146:147], v[114:115]
	v_fma_f64 v[6:7], v[144:145], v[112:113], -v[6:7]
	s_waitcnt vmcnt(5) lgkmcnt(2)
	v_mul_f64 v[194:195], v[160:161], v[134:135]
	v_add_f64 v[4:5], v[4:5], v[6:7]
	v_mul_f64 v[6:7], v[202:203], v[118:119]
	v_fmac_f64_e32 v[194:195], v[162:163], v[132:133]
	v_fma_f64 v[6:7], v[200:201], v[116:117], -v[6:7]
	v_add_f64 v[192:193], v[192:193], v[194:195]
	s_waitcnt vmcnt(4) lgkmcnt(1)
	v_mul_f64 v[194:195], v[184:185], v[174:175]
	v_add_f64 v[4:5], v[4:5], v[6:7]
	v_mul_f64 v[6:7], v[150:151], v[122:123]
	v_fmac_f64_e32 v[194:195], v[186:187], v[172:173]
	v_fma_f64 v[6:7], v[148:149], v[120:121], -v[6:7]
	v_add_f64 v[192:193], v[192:193], v[194:195]
	;; [unrolled: 7-line block ×3, first 2 shown]
	ds_read_b128 v[192:195], v2 offset:1952
	v_add_f64 v[4:5], v[4:5], v[6:7]
	v_mul_f64 v[6:7], v[190:191], v[130:131]
	v_fma_f64 v[6:7], v[188:189], v[128:129], -v[6:7]
	v_add_f64 v[4:5], v[4:5], v[6:7]
	v_mul_f64 v[6:7], v[158:159], v[138:139]
	v_fma_f64 v[6:7], v[156:157], v[136:137], -v[6:7]
	v_add_f64 v[4:5], v[4:5], v[6:7]
	v_mul_f64 v[6:7], v[162:163], v[134:135]
	s_waitcnt vmcnt(2) lgkmcnt(0)
	v_mul_f64 v[198:199], v[192:193], v[182:183]
	v_fma_f64 v[6:7], v[160:161], v[132:133], -v[6:7]
	v_fmac_f64_e32 v[198:199], v[194:195], v[180:181]
	v_add_f64 v[4:5], v[4:5], v[6:7]
	v_mul_f64 v[6:7], v[186:187], v[174:175]
	v_add_f64 v[250:251], v[196:197], v[198:199]
	ds_read_b128 v[196:199], v2 offset:1968
	v_fma_f64 v[6:7], v[184:185], v[172:173], -v[6:7]
	v_add_f64 v[4:5], v[4:5], v[6:7]
	v_mul_f64 v[6:7], v[166:167], v[178:179]
	v_fma_f64 v[6:7], v[164:165], v[176:177], -v[6:7]
	v_add_f64 v[4:5], v[4:5], v[6:7]
	v_mul_f64 v[6:7], v[194:195], v[182:183]
	v_fma_f64 v[6:7], v[192:193], v[180:181], -v[6:7]
	s_waitcnt vmcnt(1) lgkmcnt(0)
	v_mul_f64 v[2:3], v[196:197], v[206:207]
	v_add_f64 v[4:5], v[4:5], v[6:7]
	v_mul_f64 v[6:7], v[198:199], v[206:207]
	v_fmac_f64_e32 v[2:3], v[198:199], v[204:205]
	v_fma_f64 v[6:7], v[196:197], v[204:205], -v[6:7]
	v_add_f64 v[2:3], v[250:251], v[2:3]
	v_add_f64 v[4:5], v[4:5], v[6:7]
	s_waitcnt vmcnt(0)
	v_add_f64 v[4:5], v[246:247], -v[4:5]
	v_add_f64 v[6:7], v[248:249], -v[2:3]
	scratch_store_dwordx4 off, v[4:7], off offset:416
	s_and_saveexec_b64 s[0:1], vcc
	s_cbranch_execz .LBB125_349
; %bb.348:
	scratch_load_dwordx4 v[2:5], off, s64
	v_mov_b32_e32 v6, 0
	v_mov_b32_e32 v7, v6
	v_mov_b32_e32 v8, v6
	v_mov_b32_e32 v9, v6
	v_accvgpr_read_b32 v0, a1
	scratch_store_dwordx4 off, v[6:9], off offset:400
	s_waitcnt vmcnt(1)
	ds_write_b128 v0, v[2:5]
.LBB125_349:
	s_or_b64 exec, exec, s[0:1]
	s_waitcnt lgkmcnt(0)
	; wave barrier
	scratch_load_dwordx4 v[168:171], off, off offset:416
	scratch_load_dwordx4 v[172:175], off, off offset:432
	scratch_load_dwordx4 v[180:183], off, off offset:448
	scratch_load_dwordx4 v[184:187], off, off offset:464
	scratch_load_dwordx4 v[192:195], off, off offset:480
	scratch_load_dwordx4 v[196:199], off, off offset:496
	scratch_load_dwordx4 v[204:207], off, off offset:512
	scratch_load_dwordx4 v[208:211], off, off offset:528
	scratch_load_dwordx4 v[216:219], off, off offset:544
	scratch_load_dwordx4 v[4:7], off, off offset:560
	scratch_load_dwordx4 v[8:11], off, off offset:576
	scratch_load_dwordx4 v[12:15], off, off offset:592
	scratch_load_dwordx4 v[16:19], off, off offset:608
	scratch_load_dwordx4 v[20:23], off, off offset:624
	scratch_load_dwordx4 v[24:27], off, off offset:640
	scratch_load_dwordx4 v[28:31], off, off offset:656
	scratch_load_dwordx4 v[32:35], off, off offset:672
	scratch_load_dwordx4 v[36:39], off, off offset:688
	scratch_load_dwordx4 v[40:43], off, off offset:704
	scratch_load_dwordx4 v[44:47], off, off offset:720
	scratch_load_dwordx4 v[48:51], off, off offset:736
	scratch_load_dwordx4 v[52:55], off, off offset:752
	scratch_load_dwordx4 v[56:59], off, off offset:768
	scratch_load_dwordx4 v[60:63], off, off offset:784
	scratch_load_dwordx4 v[64:67], off, off offset:800
	scratch_load_dwordx4 v[68:71], off, off offset:816
	scratch_load_dwordx4 v[72:75], off, off offset:832
	scratch_load_dwordx4 v[76:79], off, off offset:848
	scratch_load_dwordx4 v[80:83], off, off offset:864
	scratch_load_dwordx4 v[84:87], off, off offset:880
	scratch_load_dwordx4 v[92:95], off, off offset:896
	scratch_load_dwordx4 v[88:91], off, off offset:912
	v_mov_b32_e32 v2, 0
	ds_read_b128 v[176:179], v2 offset:1392
	ds_read_b128 v[188:191], v2 offset:1408
	;; [unrolled: 1-line block ×17, first 2 shown]
	v_cmp_lt_u32_e32 vcc, 23, v254
	s_waitcnt vmcnt(31) lgkmcnt(14)
	v_mul_f64 v[104:105], v[176:177], v[170:171]
	s_waitcnt vmcnt(30)
	v_mul_f64 v[106:107], v[188:189], v[174:175]
	v_fmac_f64_e32 v[104:105], v[178:179], v[168:169]
	s_waitcnt vmcnt(29)
	v_mul_f64 v[108:109], v[200:201], v[182:183]
	v_fmac_f64_e32 v[106:107], v[190:191], v[172:173]
	v_add_f64 v[104:105], v[104:105], 0
	s_waitcnt vmcnt(28) lgkmcnt(13)
	v_mul_f64 v[110:111], v[212:213], v[186:187]
	v_fmac_f64_e32 v[108:109], v[202:203], v[180:181]
	v_add_f64 v[104:105], v[104:105], v[106:107]
	s_waitcnt vmcnt(27) lgkmcnt(12)
	;; [unrolled: 4-line block ×12, first 2 shown]
	v_mul_f64 v[156:157], v[112:113], v[26:27]
	v_fmac_f64_e32 v[154:155], v[118:119], v[20:21]
	v_add_f64 v[104:105], v[104:105], v[152:153]
	v_fmac_f64_e32 v[156:157], v[114:115], v[24:25]
	v_add_f64 v[104:105], v[104:105], v[154:155]
	s_waitcnt vmcnt(16) lgkmcnt(1)
	v_mul_f64 v[106:107], v[100:101], v[30:31]
	v_add_f64 v[104:105], v[104:105], v[156:157]
	v_fmac_f64_e32 v[106:107], v[102:103], v[28:29]
	v_add_f64 v[108:109], v[104:105], v[106:107]
	ds_read_b128 v[144:147], v2 offset:1664
	ds_read_b128 v[148:151], v2 offset:1680
	scratch_load_dwordx4 v[104:107], off, off offset:928
	s_waitcnt vmcnt(16) lgkmcnt(2)
	v_mul_f64 v[110:111], v[96:97], v[34:35]
	v_fmac_f64_e32 v[110:111], v[98:99], v[32:33]
	v_add_f64 v[120:121], v[108:109], v[110:111]
	scratch_load_dwordx4 v[108:111], off, off offset:944
	s_waitcnt vmcnt(16) lgkmcnt(1)
	v_mul_f64 v[122:123], v[144:145], v[38:39]
	v_fmac_f64_e32 v[122:123], v[146:147], v[36:37]
	v_add_f64 v[132:133], v[120:121], v[122:123]
	s_waitcnt vmcnt(15) lgkmcnt(0)
	v_mul_f64 v[134:135], v[148:149], v[42:43]
	scratch_load_dwordx4 v[120:123], off, off offset:960
	v_fmac_f64_e32 v[134:135], v[150:151], v[40:41]
	v_add_f64 v[160:161], v[132:133], v[134:135]
	scratch_load_dwordx4 v[132:135], off, off offset:976
	ds_read_b128 v[152:155], v2 offset:1696
	ds_read_b128 v[156:159], v2 offset:1712
	v_mul_f64 v[170:171], v[178:179], v[170:171]
	v_fma_f64 v[240:241], v[176:177], v[168:169], -v[170:171]
	ds_read_b128 v[168:171], v2 offset:1760
	s_waitcnt vmcnt(16) lgkmcnt(2)
	v_mul_f64 v[162:163], v[152:153], v[46:47]
	v_fmac_f64_e32 v[162:163], v[154:155], v[44:45]
	s_waitcnt vmcnt(15) lgkmcnt(1)
	v_mul_f64 v[166:167], v[156:157], v[50:51]
	v_add_f64 v[164:165], v[160:161], v[162:163]
	ds_read_b128 v[160:163], v2 offset:1728
	v_fmac_f64_e32 v[166:167], v[158:159], v[48:49]
	v_add_f64 v[232:233], v[164:165], v[166:167]
	ds_read_b128 v[164:167], v2 offset:1744
	v_mul_f64 v[174:175], v[190:191], v[174:175]
	s_waitcnt vmcnt(14) lgkmcnt(1)
	v_mul_f64 v[234:235], v[160:161], v[54:55]
	v_fmac_f64_e32 v[234:235], v[162:163], v[52:53]
	v_add_f64 v[232:233], v[232:233], v[234:235]
	s_waitcnt vmcnt(13) lgkmcnt(0)
	v_mul_f64 v[176:177], v[164:165], v[58:59]
	v_fmac_f64_e32 v[176:177], v[166:167], v[56:57]
	v_fma_f64 v[242:243], v[188:189], v[172:173], -v[174:175]
	ds_read_b128 v[172:175], v2 offset:1776
	s_waitcnt vmcnt(12)
	v_mul_f64 v[178:179], v[168:169], v[62:63]
	v_add_f64 v[176:177], v[232:233], v[176:177]
	v_fmac_f64_e32 v[178:179], v[170:171], v[60:61]
	v_add_f64 v[188:189], v[176:177], v[178:179]
	ds_read_b128 v[176:179], v2 offset:1792
	v_mul_f64 v[182:183], v[202:203], v[182:183]
	v_fma_f64 v[252:253], v[200:201], v[180:181], -v[182:183]
	ds_read_b128 v[180:183], v2 offset:1808
	s_waitcnt vmcnt(11) lgkmcnt(2)
	v_mul_f64 v[190:191], v[172:173], v[66:67]
	v_fmac_f64_e32 v[190:191], v[174:175], v[64:65]
	v_add_f64 v[188:189], v[188:189], v[190:191]
	s_waitcnt vmcnt(10) lgkmcnt(1)
	v_mul_f64 v[190:191], v[176:177], v[70:71]
	v_fmac_f64_e32 v[190:191], v[178:179], v[68:69]
	v_mul_f64 v[186:187], v[214:215], v[186:187]
	v_fma_f64 v[232:233], v[212:213], v[184:185], -v[186:187]
	ds_read_b128 v[184:187], v2 offset:1824
	v_add_f64 v[188:189], v[188:189], v[190:191]
	s_waitcnt vmcnt(9) lgkmcnt(1)
	v_mul_f64 v[190:191], v[180:181], v[74:75]
	v_fmac_f64_e32 v[190:191], v[182:183], v[72:73]
	v_add_f64 v[200:201], v[188:189], v[190:191]
	ds_read_b128 v[188:191], v2 offset:1840
	v_mul_f64 v[194:195], v[222:223], v[194:195]
	v_fma_f64 v[0:1], v[220:221], v[192:193], -v[194:195]
	ds_read_b128 v[192:195], v2 offset:1856
	s_waitcnt vmcnt(8) lgkmcnt(2)
	v_mul_f64 v[202:203], v[184:185], v[78:79]
	v_fmac_f64_e32 v[202:203], v[186:187], v[76:77]
	v_add_f64 v[200:201], v[200:201], v[202:203]
	s_waitcnt vmcnt(7) lgkmcnt(1)
	v_mul_f64 v[202:203], v[188:189], v[82:83]
	v_fmac_f64_e32 v[202:203], v[190:191], v[80:81]
	v_mul_f64 v[198:199], v[226:227], v[198:199]
	v_add_f64 v[200:201], v[200:201], v[202:203]
	v_fma_f64 v[234:235], v[224:225], v[196:197], -v[198:199]
	ds_read_b128 v[196:199], v2 offset:1872
	s_waitcnt vmcnt(6) lgkmcnt(1)
	v_mul_f64 v[202:203], v[192:193], v[86:87]
	v_fmac_f64_e32 v[202:203], v[194:195], v[84:85]
	v_add_f64 v[212:213], v[200:201], v[202:203]
	ds_read_b128 v[200:203], v2 offset:1888
	v_mul_f64 v[206:207], v[230:231], v[206:207]
	v_fma_f64 v[236:237], v[228:229], v[204:205], -v[206:207]
	ds_read_b128 v[204:207], v2 offset:1904
	s_waitcnt vmcnt(5) lgkmcnt(2)
	v_mul_f64 v[214:215], v[196:197], v[94:95]
	v_fmac_f64_e32 v[214:215], v[198:199], v[92:93]
	v_add_f64 v[212:213], v[212:213], v[214:215]
	s_waitcnt vmcnt(4) lgkmcnt(1)
	v_mul_f64 v[214:215], v[200:201], v[90:91]
	v_fmac_f64_e32 v[214:215], v[202:203], v[88:89]
	v_mul_f64 v[210:211], v[246:247], v[210:211]
	v_fma_f64 v[238:239], v[244:245], v[208:209], -v[210:211]
	ds_read_b128 v[208:211], v2 offset:1920
	v_add_f64 v[212:213], v[212:213], v[214:215]
	s_waitcnt vmcnt(3) lgkmcnt(1)
	v_mul_f64 v[214:215], v[204:205], v[106:107]
	v_fmac_f64_e32 v[214:215], v[206:207], v[104:105]
	v_add_f64 v[220:221], v[212:213], v[214:215]
	ds_read_b128 v[212:215], v2 offset:1936
	v_mul_f64 v[218:219], v[250:251], v[218:219]
	v_fma_f64 v[244:245], v[248:249], v[216:217], -v[218:219]
	ds_read_b128 v[216:219], v2 offset:1952
	ds_read_b128 v[224:227], v2 offset:1968
	s_waitcnt vmcnt(2) lgkmcnt(3)
	v_mul_f64 v[222:223], v[208:209], v[110:111]
	v_fmac_f64_e32 v[222:223], v[210:211], v[108:109]
	v_add_f64 v[220:221], v[220:221], v[222:223]
	s_waitcnt vmcnt(1) lgkmcnt(2)
	v_mul_f64 v[222:223], v[212:213], v[122:123]
	v_fmac_f64_e32 v[222:223], v[214:215], v[120:121]
	v_add_f64 v[220:221], v[220:221], v[222:223]
	;; [unrolled: 4-line block ×3, first 2 shown]
	scratch_load_dwordx4 v[220:223], off, off offset:992
	v_mul_f64 v[6:7], v[142:143], v[6:7]
	v_fma_f64 v[4:5], v[140:141], v[4:5], -v[6:7]
	s_waitcnt vmcnt(0) lgkmcnt(0)
	v_mul_f64 v[230:231], v[224:225], v[222:223]
	v_fmac_f64_e32 v[230:231], v[226:227], v[220:221]
	v_add_f64 v[248:249], v[228:229], v[230:231]
	v_add_f64 v[228:229], v[240:241], 0
	;; [unrolled: 1-line block ×6, first 2 shown]
	scratch_load_dwordx4 v[228:231], off, off offset:400
	v_add_f64 v[0:1], v[246:247], v[234:235]
	v_add_f64 v[0:1], v[0:1], v[236:237]
	;; [unrolled: 1-line block ×5, first 2 shown]
	v_mul_f64 v[4:5], v[138:139], v[10:11]
	v_fma_f64 v[4:5], v[136:137], v[8:9], -v[4:5]
	v_add_f64 v[0:1], v[0:1], v[4:5]
	v_mul_f64 v[4:5], v[130:131], v[14:15]
	v_fma_f64 v[4:5], v[128:129], v[12:13], -v[4:5]
	v_add_f64 v[0:1], v[0:1], v[4:5]
	;; [unrolled: 3-line block ×27, first 2 shown]
	s_waitcnt vmcnt(0)
	v_add_f64 v[4:5], v[228:229], -v[0:1]
	v_add_f64 v[6:7], v[230:231], -v[248:249]
	scratch_store_dwordx4 off, v[4:7], off offset:400
	s_and_saveexec_b64 s[0:1], vcc
	s_cbranch_execz .LBB125_351
; %bb.350:
	scratch_load_dwordx4 v[6:9], off, s65
	v_mov_b32_e32 v3, v2
	v_mov_b32_e32 v4, v2
	;; [unrolled: 1-line block ×3, first 2 shown]
	v_accvgpr_read_b32 v0, a1
	scratch_store_dwordx4 off, v[2:5], off offset:384
	s_waitcnt vmcnt(1)
	ds_write_b128 v0, v[6:9]
.LBB125_351:
	s_or_b64 exec, exec, s[0:1]
	s_waitcnt lgkmcnt(0)
	; wave barrier
	scratch_load_dwordx4 v[168:171], off, off offset:400
	scratch_load_dwordx4 v[172:175], off, off offset:416
	;; [unrolled: 1-line block ×16, first 2 shown]
	ds_read_b128 v[232:235], v2 offset:1376
	ds_read_b128 v[176:179], v2 offset:1392
	scratch_load_dwordx4 v[32:35], off, off offset:656
	ds_read_b128 v[236:239], v2 offset:1408
	ds_read_b128 v[188:191], v2 offset:1424
	;; [unrolled: 1-line block ×5, first 2 shown]
	scratch_load_dwordx4 v[36:39], off, off offset:672
	ds_read_b128 v[224:227], v2 offset:1488
	ds_read_b128 v[220:223], v2 offset:1504
	;; [unrolled: 1-line block ×3, first 2 shown]
	scratch_load_dwordx4 v[40:43], off, off offset:688
	ds_read_b128 v[64:67], v2 offset:1536
	ds_read_b128 v[60:63], v2 offset:1552
	;; [unrolled: 1-line block ×4, first 2 shown]
	scratch_load_dwordx4 v[48:51], off, off offset:704
	ds_read_b128 v[80:83], v2 offset:1600
	ds_read_b128 v[72:75], v2 offset:1616
	;; [unrolled: 1-line block ×3, first 2 shown]
	scratch_load_dwordx4 v[76:79], off, off offset:720
	scratch_load_dwordx4 v[84:87], off, off offset:736
	;; [unrolled: 1-line block ×12, first 2 shown]
	v_cmp_lt_u32_e32 vcc, 22, v254
	s_waitcnt vmcnt(31) lgkmcnt(14)
	v_mul_f64 v[128:129], v[232:233], v[170:171]
	s_waitcnt vmcnt(30)
	v_mul_f64 v[130:131], v[176:177], v[174:175]
	v_fmac_f64_e32 v[128:129], v[234:235], v[168:169]
	s_waitcnt vmcnt(29)
	v_mul_f64 v[132:133], v[236:237], v[182:183]
	v_fmac_f64_e32 v[130:131], v[178:179], v[172:173]
	v_add_f64 v[128:129], v[128:129], 0
	s_waitcnt vmcnt(28) lgkmcnt(13)
	v_mul_f64 v[134:135], v[188:189], v[186:187]
	v_fmac_f64_e32 v[132:133], v[238:239], v[180:181]
	v_add_f64 v[128:129], v[128:129], v[130:131]
	s_waitcnt vmcnt(27) lgkmcnt(12)
	v_mul_f64 v[136:137], v[228:229], v[194:195]
	v_fmac_f64_e32 v[134:135], v[190:191], v[184:185]
	v_add_f64 v[128:129], v[128:129], v[132:133]
	s_waitcnt vmcnt(26) lgkmcnt(11)
	v_mul_f64 v[138:139], v[200:201], v[198:199]
	v_fmac_f64_e32 v[136:137], v[230:231], v[192:193]
	v_add_f64 v[128:129], v[128:129], v[134:135]
	s_waitcnt vmcnt(25) lgkmcnt(10)
	v_mul_f64 v[140:141], v[212:213], v[206:207]
	v_fmac_f64_e32 v[138:139], v[202:203], v[196:197]
	v_add_f64 v[128:129], v[128:129], v[136:137]
	s_waitcnt vmcnt(24) lgkmcnt(9)
	v_mul_f64 v[142:143], v[224:225], v[210:211]
	v_fmac_f64_e32 v[140:141], v[214:215], v[204:205]
	v_add_f64 v[128:129], v[128:129], v[138:139]
	s_waitcnt vmcnt(23) lgkmcnt(8)
	v_mul_f64 v[144:145], v[220:221], v[218:219]
	v_fmac_f64_e32 v[142:143], v[226:227], v[208:209]
	v_add_f64 v[128:129], v[128:129], v[140:141]
	s_waitcnt vmcnt(22) lgkmcnt(7)
	v_mul_f64 v[146:147], v[44:45], v[6:7]
	v_fmac_f64_e32 v[144:145], v[222:223], v[216:217]
	v_add_f64 v[128:129], v[128:129], v[142:143]
	s_waitcnt vmcnt(21) lgkmcnt(6)
	v_mul_f64 v[148:149], v[64:65], v[10:11]
	v_fmac_f64_e32 v[146:147], v[46:47], v[4:5]
	v_add_f64 v[128:129], v[128:129], v[144:145]
	s_waitcnt vmcnt(20) lgkmcnt(5)
	v_mul_f64 v[150:151], v[60:61], v[14:15]
	v_fmac_f64_e32 v[148:149], v[66:67], v[8:9]
	v_add_f64 v[128:129], v[128:129], v[146:147]
	s_waitcnt vmcnt(19) lgkmcnt(4)
	v_mul_f64 v[152:153], v[56:57], v[18:19]
	v_fmac_f64_e32 v[150:151], v[62:63], v[12:13]
	v_add_f64 v[128:129], v[128:129], v[148:149]
	s_waitcnt vmcnt(18) lgkmcnt(3)
	v_mul_f64 v[154:155], v[52:53], v[22:23]
	v_fmac_f64_e32 v[152:153], v[58:59], v[16:17]
	v_add_f64 v[128:129], v[128:129], v[150:151]
	s_waitcnt vmcnt(17) lgkmcnt(2)
	v_mul_f64 v[156:157], v[80:81], v[26:27]
	v_fmac_f64_e32 v[154:155], v[54:55], v[20:21]
	v_add_f64 v[128:129], v[128:129], v[152:153]
	s_waitcnt vmcnt(16) lgkmcnt(1)
	v_mul_f64 v[158:159], v[72:73], v[30:31]
	v_fmac_f64_e32 v[156:157], v[82:83], v[24:25]
	v_add_f64 v[128:129], v[128:129], v[154:155]
	v_add_f64 v[128:129], v[128:129], v[156:157]
	v_fmac_f64_e32 v[158:159], v[74:75], v[28:29]
	v_add_f64 v[132:133], v[128:129], v[158:159]
	ds_read_b128 v[144:147], v2 offset:1648
	ds_read_b128 v[148:151], v2 offset:1664
	scratch_load_dwordx4 v[128:131], off, off offset:912
	s_waitcnt vmcnt(16) lgkmcnt(2)
	v_mul_f64 v[134:135], v[68:69], v[34:35]
	v_fmac_f64_e32 v[134:135], v[70:71], v[32:33]
	s_waitcnt vmcnt(15) lgkmcnt(1)
	v_mul_f64 v[138:139], v[144:145], v[38:39]
	v_add_f64 v[136:137], v[132:133], v[134:135]
	scratch_load_dwordx4 v[132:135], off, off offset:928
	v_fmac_f64_e32 v[138:139], v[146:147], v[36:37]
	v_add_f64 v[140:141], v[136:137], v[138:139]
	s_waitcnt vmcnt(15) lgkmcnt(0)
	v_mul_f64 v[142:143], v[148:149], v[42:43]
	scratch_load_dwordx4 v[136:139], off, off offset:944
	v_fmac_f64_e32 v[142:143], v[150:151], v[40:41]
	v_add_f64 v[160:161], v[140:141], v[142:143]
	scratch_load_dwordx4 v[140:143], off, off offset:960
	ds_read_b128 v[152:155], v2 offset:1680
	ds_read_b128 v[156:159], v2 offset:1696
	v_mul_f64 v[170:171], v[234:235], v[170:171]
	v_mul_f64 v[174:175], v[178:179], v[174:175]
	;; [unrolled: 1-line block ×3, first 2 shown]
	s_waitcnt vmcnt(16) lgkmcnt(1)
	v_mul_f64 v[162:163], v[152:153], v[50:51]
	v_fmac_f64_e32 v[162:163], v[154:155], v[48:49]
	v_add_f64 v[164:165], v[160:161], v[162:163]
	ds_read_b128 v[160:163], v2 offset:1712
	s_waitcnt vmcnt(15) lgkmcnt(1)
	v_mul_f64 v[166:167], v[156:157], v[78:79]
	v_fmac_f64_e32 v[166:167], v[158:159], v[76:77]
	v_add_f64 v[240:241], v[164:165], v[166:167]
	ds_read_b128 v[164:167], v2 offset:1728
	s_waitcnt vmcnt(14) lgkmcnt(1)
	v_mul_f64 v[242:243], v[160:161], v[86:87]
	v_fmac_f64_e32 v[242:243], v[162:163], v[84:85]
	v_add_f64 v[240:241], v[240:241], v[242:243]
	v_fma_f64 v[242:243], v[232:233], v[168:169], -v[170:171]
	ds_read_b128 v[168:171], v2 offset:1744
	s_waitcnt vmcnt(13) lgkmcnt(1)
	v_mul_f64 v[232:233], v[164:165], v[90:91]
	v_fmac_f64_e32 v[232:233], v[166:167], v[88:89]
	v_add_f64 v[232:233], v[240:241], v[232:233]
	v_fma_f64 v[240:241], v[176:177], v[172:173], -v[174:175]
	ds_read_b128 v[172:175], v2 offset:1760
	s_waitcnt vmcnt(12) lgkmcnt(1)
	v_mul_f64 v[176:177], v[168:169], v[94:95]
	v_fmac_f64_e32 v[176:177], v[170:171], v[92:93]
	v_add_f64 v[232:233], v[232:233], v[176:177]
	ds_read_b128 v[176:179], v2 offset:1776
	v_fma_f64 v[236:237], v[236:237], v[180:181], -v[182:183]
	ds_read_b128 v[180:183], v2 offset:1792
	s_waitcnt vmcnt(11) lgkmcnt(2)
	v_mul_f64 v[234:235], v[172:173], v[98:99]
	v_fmac_f64_e32 v[234:235], v[174:175], v[96:97]
	v_add_f64 v[232:233], v[232:233], v[234:235]
	s_waitcnt vmcnt(10) lgkmcnt(1)
	v_mul_f64 v[234:235], v[176:177], v[102:103]
	v_fmac_f64_e32 v[234:235], v[178:179], v[100:101]
	v_mul_f64 v[186:187], v[190:191], v[186:187]
	s_waitcnt vmcnt(9) lgkmcnt(0)
	v_mul_f64 v[190:191], v[180:181], v[106:107]
	v_fma_f64 v[238:239], v[188:189], v[184:185], -v[186:187]
	ds_read_b128 v[184:187], v2 offset:1808
	v_add_f64 v[188:189], v[232:233], v[234:235]
	v_fmac_f64_e32 v[190:191], v[182:183], v[104:105]
	v_add_f64 v[232:233], v[188:189], v[190:191]
	ds_read_b128 v[188:191], v2 offset:1824
	v_mul_f64 v[194:195], v[230:231], v[194:195]
	v_fma_f64 v[248:249], v[228:229], v[192:193], -v[194:195]
	ds_read_b128 v[192:195], v2 offset:1840
	s_waitcnt vmcnt(8) lgkmcnt(2)
	v_mul_f64 v[234:235], v[184:185], v[110:111]
	v_fmac_f64_e32 v[234:235], v[186:187], v[108:109]
	s_waitcnt vmcnt(7) lgkmcnt(1)
	v_mul_f64 v[228:229], v[188:189], v[114:115]
	v_mul_f64 v[198:199], v[202:203], v[198:199]
	v_add_f64 v[232:233], v[232:233], v[234:235]
	v_fmac_f64_e32 v[228:229], v[190:191], v[112:113]
	v_fma_f64 v[250:251], v[200:201], v[196:197], -v[198:199]
	ds_read_b128 v[196:199], v2 offset:1856
	s_waitcnt vmcnt(6) lgkmcnt(1)
	v_mul_f64 v[200:201], v[192:193], v[118:119]
	v_add_f64 v[228:229], v[232:233], v[228:229]
	v_fmac_f64_e32 v[200:201], v[194:195], v[116:117]
	v_add_f64 v[228:229], v[228:229], v[200:201]
	ds_read_b128 v[200:203], v2 offset:1872
	v_mul_f64 v[206:207], v[214:215], v[206:207]
	v_fma_f64 v[252:253], v[212:213], v[204:205], -v[206:207]
	ds_read_b128 v[204:207], v2 offset:1888
	s_waitcnt vmcnt(5) lgkmcnt(2)
	v_mul_f64 v[230:231], v[196:197], v[126:127]
	v_fmac_f64_e32 v[230:231], v[198:199], v[124:125]
	s_waitcnt vmcnt(4) lgkmcnt(1)
	v_mul_f64 v[212:213], v[200:201], v[122:123]
	v_add_f64 v[228:229], v[228:229], v[230:231]
	v_fmac_f64_e32 v[212:213], v[202:203], v[120:121]
	v_mul_f64 v[210:211], v[226:227], v[210:211]
	s_waitcnt vmcnt(3) lgkmcnt(0)
	v_mul_f64 v[214:215], v[204:205], v[130:131]
	v_fma_f64 v[244:245], v[224:225], v[208:209], -v[210:211]
	ds_read_b128 v[208:211], v2 offset:1904
	v_add_f64 v[212:213], v[228:229], v[212:213]
	v_fmac_f64_e32 v[214:215], v[206:207], v[128:129]
	v_add_f64 v[224:225], v[212:213], v[214:215]
	ds_read_b128 v[212:215], v2 offset:1920
	v_mul_f64 v[218:219], v[222:223], v[218:219]
	v_fma_f64 v[246:247], v[220:221], v[216:217], -v[218:219]
	ds_read_b128 v[216:219], v2 offset:1936
	s_waitcnt vmcnt(2) lgkmcnt(2)
	v_mul_f64 v[220:221], v[208:209], v[134:135]
	v_fmac_f64_e32 v[220:221], v[210:211], v[132:133]
	s_waitcnt vmcnt(1) lgkmcnt(1)
	v_mul_f64 v[222:223], v[212:213], v[138:139]
	v_add_f64 v[220:221], v[224:225], v[220:221]
	v_fmac_f64_e32 v[222:223], v[214:215], v[136:137]
	v_add_f64 v[220:221], v[220:221], v[222:223]
	ds_read_b128 v[224:227], v2 offset:1952
	s_waitcnt vmcnt(0) lgkmcnt(1)
	v_mul_f64 v[222:223], v[216:217], v[142:143]
	v_fmac_f64_e32 v[222:223], v[218:219], v[140:141]
	v_add_f64 v[228:229], v[220:221], v[222:223]
	scratch_load_dwordx4 v[220:223], off, off offset:976
	scratch_load_dwordx4 v[232:235], off, off offset:992
	v_mul_f64 v[6:7], v[46:47], v[6:7]
	v_fma_f64 v[4:5], v[44:45], v[4:5], -v[6:7]
	s_waitcnt vmcnt(1) lgkmcnt(0)
	v_mul_f64 v[230:231], v[224:225], v[222:223]
	v_fmac_f64_e32 v[230:231], v[226:227], v[220:221]
	v_add_f64 v[0:1], v[228:229], v[230:231]
	ds_read_b128 v[228:231], v2 offset:1968
	s_waitcnt vmcnt(0) lgkmcnt(0)
	v_mul_f64 v[2:3], v[228:229], v[234:235]
	v_fmac_f64_e32 v[2:3], v[230:231], v[232:233]
	v_add_f64 v[2:3], v[0:1], v[2:3]
	v_add_f64 v[0:1], v[242:243], 0
	;; [unrolled: 1-line block ×5, first 2 shown]
	scratch_load_dwordx4 v[236:239], off, off offset:384
	v_add_f64 v[0:1], v[0:1], v[248:249]
	v_add_f64 v[0:1], v[0:1], v[250:251]
	v_add_f64 v[248:249], v[0:1], v[252:253]
	v_add_f64 v[0:1], v[248:249], v[244:245]
	v_add_f64 v[0:1], v[0:1], v[246:247]
	v_add_f64 v[0:1], v[0:1], v[4:5]
	v_mul_f64 v[4:5], v[66:67], v[10:11]
	v_fma_f64 v[4:5], v[64:65], v[8:9], -v[4:5]
	v_add_f64 v[0:1], v[0:1], v[4:5]
	v_mul_f64 v[4:5], v[62:63], v[14:15]
	v_fma_f64 v[4:5], v[60:61], v[12:13], -v[4:5]
	v_add_f64 v[0:1], v[0:1], v[4:5]
	;; [unrolled: 3-line block ×28, first 2 shown]
	s_waitcnt vmcnt(0)
	v_add_f64 v[4:5], v[236:237], -v[0:1]
	v_add_f64 v[6:7], v[238:239], -v[2:3]
	scratch_store_dwordx4 off, v[4:7], off offset:384
	s_and_saveexec_b64 s[0:1], vcc
	s_cbranch_execz .LBB125_353
; %bb.352:
	scratch_load_dwordx4 v[2:5], off, s66
	v_mov_b32_e32 v6, 0
	v_mov_b32_e32 v7, v6
	;; [unrolled: 1-line block ×4, first 2 shown]
	v_accvgpr_read_b32 v0, a1
	scratch_store_dwordx4 off, v[6:9], off offset:368
	s_waitcnt vmcnt(1)
	ds_write_b128 v0, v[2:5]
.LBB125_353:
	s_or_b64 exec, exec, s[0:1]
	s_waitcnt lgkmcnt(0)
	; wave barrier
	scratch_load_dwordx4 v[80:83], off, off offset:384
	scratch_load_dwordx4 v[84:87], off, off offset:400
	;; [unrolled: 1-line block ×31, first 2 shown]
	v_mov_b32_e32 v2, 0
	ds_read_b128 v[196:199], v2 offset:1360
	ds_read_b128 v[200:203], v2 offset:1376
	;; [unrolled: 1-line block ×20, first 2 shown]
	v_cmp_lt_u32_e32 vcc, 21, v254
	s_waitcnt vmcnt(30) lgkmcnt(14)
	v_mul_f64 v[0:1], v[196:197], v[82:83]
	s_waitcnt vmcnt(29)
	v_mul_f64 v[140:141], v[200:201], v[86:87]
	v_fmac_f64_e32 v[0:1], v[198:199], v[80:81]
	s_waitcnt vmcnt(28)
	v_mul_f64 v[142:143], v[204:205], v[90:91]
	v_fmac_f64_e32 v[140:141], v[202:203], v[84:85]
	v_add_f64 v[0:1], v[0:1], 0
	s_waitcnt vmcnt(27)
	v_mul_f64 v[152:153], v[208:209], v[94:95]
	v_fmac_f64_e32 v[142:143], v[206:207], v[88:89]
	v_add_f64 v[0:1], v[0:1], v[140:141]
	;; [unrolled: 4-line block ×4, first 2 shown]
	s_waitcnt vmcnt(24) lgkmcnt(13)
	v_mul_f64 v[162:163], v[220:221], v[106:107]
	v_fmac_f64_e32 v[160:161], v[218:219], v[100:101]
	v_add_f64 v[0:1], v[0:1], v[154:155]
	s_waitcnt vmcnt(23) lgkmcnt(12)
	v_mul_f64 v[164:165], v[224:225], v[110:111]
	v_fmac_f64_e32 v[162:163], v[222:223], v[104:105]
	v_add_f64 v[0:1], v[0:1], v[160:161]
	;; [unrolled: 4-line block ×9, first 2 shown]
	v_fmac_f64_e32 v[178:179], v[138:139], v[16:17]
	v_add_f64 v[0:1], v[0:1], v[176:177]
	scratch_load_dwordx4 v[140:143], off, off offset:880
	v_add_f64 v[0:1], v[0:1], v[178:179]
	ds_read_b128 v[176:179], v2 offset:1632
	s_waitcnt vmcnt(16) lgkmcnt(5)
	v_mul_f64 v[180:181], v[132:133], v[22:23]
	v_fmac_f64_e32 v[180:181], v[134:135], v[20:21]
	s_waitcnt vmcnt(15) lgkmcnt(4)
	v_mul_f64 v[152:153], v[128:129], v[26:27]
	v_add_f64 v[0:1], v[0:1], v[180:181]
	v_fmac_f64_e32 v[152:153], v[130:131], v[24:25]
	v_add_f64 v[0:1], v[0:1], v[152:153]
	ds_read_b128 v[180:183], v2 offset:1648
	s_waitcnt vmcnt(14) lgkmcnt(1)
	v_mul_f64 v[160:161], v[176:177], v[30:31]
	scratch_load_dwordx4 v[152:155], off, off offset:896
	v_fmac_f64_e32 v[160:161], v[178:179], v[28:29]
	v_add_f64 v[0:1], v[0:1], v[160:161]
	scratch_load_dwordx4 v[160:163], off, off offset:912
	s_waitcnt vmcnt(15) lgkmcnt(0)
	v_mul_f64 v[164:165], v[180:181], v[34:35]
	v_fmac_f64_e32 v[164:165], v[182:183], v[32:33]
	v_add_f64 v[0:1], v[0:1], v[164:165]
	s_waitcnt vmcnt(14)
	v_mul_f64 v[168:169], v[184:185], v[38:39]
	scratch_load_dwordx4 v[164:167], off, off offset:928
	v_fmac_f64_e32 v[168:169], v[186:187], v[36:37]
	v_add_f64 v[0:1], v[0:1], v[168:169]
	s_waitcnt vmcnt(14)
	v_mul_f64 v[168:169], v[188:189], v[42:43]
	scratch_load_dwordx4 v[172:175], off, off offset:944
	v_fmac_f64_e32 v[168:169], v[190:191], v[40:41]
	v_add_f64 v[0:1], v[0:1], v[168:169]
	scratch_load_dwordx4 v[168:171], off, off offset:960
	v_mul_f64 v[82:83], v[198:199], v[82:83]
	v_fma_f64 v[240:241], v[196:197], v[80:81], -v[82:83]
	ds_read_b128 v[196:199], v2 offset:1712
	s_waitcnt vmcnt(15)
	v_mul_f64 v[80:81], v[192:193], v[46:47]
	v_fmac_f64_e32 v[80:81], v[194:195], v[44:45]
	v_add_f64 v[0:1], v[0:1], v[80:81]
	v_mul_f64 v[80:81], v[202:203], v[86:87]
	v_fma_f64 v[242:243], v[200:201], v[84:85], -v[80:81]
	scratch_load_dwordx4 v[80:83], off, off offset:976
	ds_read_b128 v[84:87], v2 offset:1728
	v_mul_f64 v[90:91], v[206:207], v[90:91]
	v_fma_f64 v[252:253], v[204:205], v[88:89], -v[90:91]
	ds_read_b128 v[88:91], v2 offset:1744
	s_waitcnt vmcnt(15) lgkmcnt(2)
	v_mul_f64 v[200:201], v[196:197], v[50:51]
	v_fmac_f64_e32 v[200:201], v[198:199], v[48:49]
	v_add_f64 v[0:1], v[0:1], v[200:201]
	s_waitcnt vmcnt(14) lgkmcnt(1)
	v_mul_f64 v[200:201], v[84:85], v[54:55]
	v_fmac_f64_e32 v[200:201], v[86:87], v[52:53]
	v_mul_f64 v[94:95], v[210:211], v[94:95]
	v_add_f64 v[0:1], v[0:1], v[200:201]
	s_waitcnt vmcnt(13) lgkmcnt(0)
	v_mul_f64 v[200:201], v[88:89], v[58:59]
	v_fma_f64 v[232:233], v[208:209], v[92:93], -v[94:95]
	ds_read_b128 v[92:95], v2 offset:1760
	v_fmac_f64_e32 v[200:201], v[90:91], v[56:57]
	v_add_f64 v[0:1], v[0:1], v[200:201]
	ds_read_b128 v[200:203], v2 offset:1776
	v_accvgpr_write_b32 a129, v7
	s_waitcnt vmcnt(12) lgkmcnt(1)
	v_mul_f64 v[204:205], v[92:93], v[62:63]
	v_accvgpr_write_b32 a128, v6
	v_accvgpr_write_b32 a127, v5
	v_accvgpr_write_b32 a126, v4
	v_fmac_f64_e32 v[204:205], v[94:95], v[60:61]
	v_mul_f64 v[98:99], v[214:215], v[98:99]
	s_waitcnt vmcnt(11) lgkmcnt(0)
	v_mul_f64 v[6:7], v[200:201], v[66:67]
	v_add_f64 v[0:1], v[0:1], v[204:205]
	v_fma_f64 v[8:9], v[212:213], v[96:97], -v[98:99]
	ds_read_b128 v[96:99], v2 offset:1792
	v_fmac_f64_e32 v[6:7], v[202:203], v[64:65]
	v_add_f64 v[0:1], v[0:1], v[6:7]
	v_mul_f64 v[6:7], v[218:219], v[102:103]
	v_fma_f64 v[4:5], v[216:217], v[100:101], -v[6:7]
	ds_read_b128 v[100:103], v2 offset:1808
	s_waitcnt vmcnt(10) lgkmcnt(1)
	v_mul_f64 v[6:7], v[96:97], v[70:71]
	v_fmac_f64_e32 v[6:7], v[98:99], v[68:69]
	v_add_f64 v[0:1], v[0:1], v[6:7]
	ds_read_b128 v[204:207], v2 offset:1824
	s_waitcnt vmcnt(9) lgkmcnt(1)
	v_mul_f64 v[6:7], v[100:101], v[74:75]
	v_fmac_f64_e32 v[6:7], v[102:103], v[72:73]
	v_add_f64 v[0:1], v[0:1], v[6:7]
	v_mul_f64 v[6:7], v[222:223], v[106:107]
	v_fma_f64 v[10:11], v[220:221], v[104:105], -v[6:7]
	ds_read_b128 v[104:107], v2 offset:1840
	v_mul_f64 v[6:7], v[226:227], v[110:111]
	v_fma_f64 v[6:7], v[224:225], v[108:109], -v[6:7]
	ds_read_b128 v[108:111], v2 offset:1856
	s_waitcnt vmcnt(8) lgkmcnt(2)
	v_mul_f64 v[208:209], v[204:205], v[78:79]
	v_fmac_f64_e32 v[208:209], v[206:207], v[76:77]
	v_add_f64 v[0:1], v[0:1], v[208:209]
	s_waitcnt vmcnt(7) lgkmcnt(1)
	v_mul_f64 v[208:209], v[104:105], v[126:127]
	v_fmac_f64_e32 v[208:209], v[106:107], v[124:125]
	v_add_f64 v[0:1], v[0:1], v[208:209]
	ds_read_b128 v[208:211], v2 offset:1872
	s_waitcnt vmcnt(6) lgkmcnt(1)
	v_mul_f64 v[212:213], v[108:109], v[142:143]
	v_fmac_f64_e32 v[212:213], v[110:111], v[140:141]
	v_add_f64 v[212:213], v[0:1], v[212:213]
	v_mul_f64 v[0:1], v[230:231], v[114:115]
	v_fma_f64 v[0:1], v[228:229], v[112:113], -v[0:1]
	ds_read_b128 v[112:115], v2 offset:1888
	s_waitcnt vmcnt(5) lgkmcnt(1)
	v_mul_f64 v[214:215], v[208:209], v[154:155]
	v_fmac_f64_e32 v[214:215], v[210:211], v[152:153]
	v_mul_f64 v[118:119], v[246:247], v[118:119]
	v_add_f64 v[212:213], v[212:213], v[214:215]
	v_fma_f64 v[238:239], v[244:245], v[116:117], -v[118:119]
	ds_read_b128 v[116:119], v2 offset:1904
	s_waitcnt vmcnt(4) lgkmcnt(1)
	v_mul_f64 v[214:215], v[112:113], v[162:163]
	v_fmac_f64_e32 v[214:215], v[114:115], v[160:161]
	v_add_f64 v[216:217], v[212:213], v[214:215]
	ds_read_b128 v[212:215], v2 offset:1920
	v_mul_f64 v[122:123], v[250:251], v[122:123]
	v_fma_f64 v[244:245], v[248:249], v[120:121], -v[122:123]
	ds_read_b128 v[120:123], v2 offset:1936
	s_waitcnt vmcnt(3) lgkmcnt(2)
	v_mul_f64 v[218:219], v[116:117], v[166:167]
	v_fmac_f64_e32 v[218:219], v[118:119], v[164:165]
	v_add_f64 v[216:217], v[216:217], v[218:219]
	s_waitcnt vmcnt(2) lgkmcnt(1)
	v_mul_f64 v[218:219], v[212:213], v[174:175]
	v_fmac_f64_e32 v[218:219], v[214:215], v[172:173]
	v_add_f64 v[216:217], v[216:217], v[218:219]
	;; [unrolled: 4-line block ×3, first 2 shown]
	ds_read_b128 v[216:219], v2 offset:1952
	ds_read_b128 v[224:227], v2 offset:1968
	s_waitcnt vmcnt(0) lgkmcnt(1)
	v_mul_f64 v[222:223], v[216:217], v[82:83]
	v_fmac_f64_e32 v[222:223], v[218:219], v[80:81]
	v_add_f64 v[228:229], v[220:221], v[222:223]
	scratch_load_dwordx4 v[220:223], off, off offset:992
	s_waitcnt vmcnt(0) lgkmcnt(0)
	v_mul_f64 v[230:231], v[224:225], v[222:223]
	v_fmac_f64_e32 v[230:231], v[226:227], v[220:221]
	v_add_f64 v[248:249], v[228:229], v[230:231]
	v_add_f64 v[228:229], v[240:241], 0
	;; [unrolled: 1-line block ×6, first 2 shown]
	scratch_load_dwordx4 v[228:231], off, off offset:368
	v_add_f64 v[4:5], v[8:9], v[4:5]
	v_add_f64 v[246:247], v[4:5], v[10:11]
	;; [unrolled: 1-line block ×3, first 2 shown]
	v_accvgpr_read_b32 v6, a126
	v_add_f64 v[0:1], v[4:5], v[0:1]
	v_accvgpr_read_b32 v8, a128
	v_accvgpr_read_b32 v9, a129
	v_add_f64 v[0:1], v[0:1], v[238:239]
	v_accvgpr_read_b32 v7, a127
	v_mul_f64 v[4:5], v[158:159], v[8:9]
	v_add_f64 v[0:1], v[0:1], v[244:245]
	v_fma_f64 v[4:5], v[156:157], v[6:7], -v[4:5]
	v_add_f64 v[0:1], v[0:1], v[4:5]
	v_mul_f64 v[4:5], v[150:151], v[236:237]
	v_fma_f64 v[4:5], v[148:149], v[234:235], -v[4:5]
	v_add_f64 v[0:1], v[0:1], v[4:5]
	v_mul_f64 v[4:5], v[146:147], v[14:15]
	;; [unrolled: 3-line block ×27, first 2 shown]
	v_fma_f64 v[4:5], v[224:225], v[220:221], -v[4:5]
	v_add_f64 v[0:1], v[0:1], v[4:5]
	s_waitcnt vmcnt(0)
	v_add_f64 v[4:5], v[228:229], -v[0:1]
	v_add_f64 v[6:7], v[230:231], -v[248:249]
	scratch_store_dwordx4 off, v[4:7], off offset:368
	s_and_saveexec_b64 s[0:1], vcc
	s_cbranch_execz .LBB125_355
; %bb.354:
	scratch_load_dwordx4 v[6:9], off, s67
	v_mov_b32_e32 v3, v2
	v_mov_b32_e32 v4, v2
	;; [unrolled: 1-line block ×3, first 2 shown]
	v_accvgpr_read_b32 v0, a1
	scratch_store_dwordx4 off, v[2:5], off offset:352
	s_waitcnt vmcnt(1)
	ds_write_b128 v0, v[6:9]
.LBB125_355:
	s_or_b64 exec, exec, s[0:1]
	s_waitcnt lgkmcnt(0)
	; wave barrier
	scratch_load_dwordx4 v[132:135], off, off offset:368
	scratch_load_dwordx4 v[160:163], off, off offset:384
	;; [unrolled: 1-line block ×16, first 2 shown]
	ds_read_b128 v[156:159], v2 offset:1344
	ds_read_b128 v[172:175], v2 offset:1360
	scratch_load_dwordx4 v[24:27], off, off offset:624
	ds_read_b128 v[232:235], v2 offset:1376
	ds_read_b128 v[228:231], v2 offset:1392
	scratch_load_dwordx4 v[28:31], off, off offset:640
	ds_read_b128 v[236:239], v2 offset:1408
	ds_read_b128 v[184:187], v2 offset:1424
	;; [unrolled: 1-line block ×5, first 2 shown]
	scratch_load_dwordx4 v[32:35], off, off offset:656
	ds_read_b128 v[220:223], v2 offset:1488
	ds_read_b128 v[216:219], v2 offset:1504
	;; [unrolled: 1-line block ×3, first 2 shown]
	scratch_load_dwordx4 v[36:39], off, off offset:672
	ds_read_b128 v[64:67], v2 offset:1536
	ds_read_b128 v[60:63], v2 offset:1552
	;; [unrolled: 1-line block ×5, first 2 shown]
	scratch_load_dwordx4 v[52:55], off, off offset:688
	scratch_load_dwordx4 v[68:71], off, off offset:704
	;; [unrolled: 1-line block ×11, first 2 shown]
	ds_read_b128 v[144:147], v2 offset:1648
	ds_read_b128 v[148:151], v2 offset:1664
	ds_read_b128 v[152:155], v2 offset:1680
	v_cmp_lt_u32_e32 vcc, 20, v254
	s_waitcnt vmcnt(30) lgkmcnt(14)
	v_mul_f64 v[0:1], v[156:157], v[134:135]
	s_waitcnt vmcnt(29)
	v_mul_f64 v[108:109], v[172:173], v[162:163]
	v_fmac_f64_e32 v[0:1], v[158:159], v[132:133]
	s_waitcnt vmcnt(28)
	v_mul_f64 v[110:111], v[232:233], v[166:167]
	v_fmac_f64_e32 v[108:109], v[174:175], v[160:161]
	v_add_f64 v[0:1], v[0:1], 0
	s_waitcnt vmcnt(27)
	v_mul_f64 v[112:113], v[228:229], v[170:171]
	v_fmac_f64_e32 v[110:111], v[234:235], v[164:165]
	v_add_f64 v[0:1], v[0:1], v[108:109]
	s_waitcnt vmcnt(26)
	v_mul_f64 v[114:115], v[236:237], v[178:179]
	v_fmac_f64_e32 v[112:113], v[230:231], v[168:169]
	v_add_f64 v[0:1], v[0:1], v[110:111]
	s_waitcnt vmcnt(25)
	v_mul_f64 v[116:117], v[184:185], v[182:183]
	v_fmac_f64_e32 v[114:115], v[238:239], v[176:177]
	v_add_f64 v[0:1], v[0:1], v[112:113]
	s_waitcnt vmcnt(24) lgkmcnt(13)
	v_mul_f64 v[118:119], v[224:225], v[190:191]
	v_fmac_f64_e32 v[116:117], v[186:187], v[180:181]
	v_add_f64 v[0:1], v[0:1], v[114:115]
	s_waitcnt vmcnt(23) lgkmcnt(12)
	v_mul_f64 v[120:121], v[196:197], v[194:195]
	v_fmac_f64_e32 v[118:119], v[226:227], v[188:189]
	v_add_f64 v[0:1], v[0:1], v[116:117]
	;; [unrolled: 4-line block ×9, first 2 shown]
	v_fmac_f64_e32 v[138:139], v[58:59], v[16:17]
	v_add_f64 v[0:1], v[0:1], v[136:137]
	v_add_f64 v[0:1], v[0:1], v[138:139]
	ds_read_b128 v[136:139], v2 offset:1616
	s_waitcnt vmcnt(15) lgkmcnt(5)
	v_mul_f64 v[140:141], v[48:49], v[22:23]
	v_fmac_f64_e32 v[140:141], v[50:51], v[20:21]
	s_waitcnt vmcnt(14) lgkmcnt(4)
	v_mul_f64 v[112:113], v[44:45], v[26:27]
	scratch_load_dwordx4 v[108:111], off, off offset:864
	v_add_f64 v[0:1], v[0:1], v[140:141]
	v_fmac_f64_e32 v[112:113], v[46:47], v[24:25]
	v_add_f64 v[0:1], v[0:1], v[112:113]
	scratch_load_dwordx4 v[112:115], off, off offset:880
	ds_read_b128 v[140:143], v2 offset:1632
	s_waitcnt vmcnt(15) lgkmcnt(1)
	v_mul_f64 v[116:117], v[136:137], v[30:31]
	v_fmac_f64_e32 v[116:117], v[138:139], v[28:29]
	v_add_f64 v[0:1], v[0:1], v[116:117]
	scratch_load_dwordx4 v[116:119], off, off offset:896
	s_waitcnt vmcnt(15) lgkmcnt(0)
	v_mul_f64 v[120:121], v[140:141], v[34:35]
	v_fmac_f64_e32 v[120:121], v[142:143], v[32:33]
	v_add_f64 v[0:1], v[0:1], v[120:121]
	s_waitcnt vmcnt(14)
	v_mul_f64 v[124:125], v[144:145], v[38:39]
	scratch_load_dwordx4 v[120:123], off, off offset:912
	v_fmac_f64_e32 v[124:125], v[146:147], v[36:37]
	v_add_f64 v[0:1], v[0:1], v[124:125]
	s_waitcnt vmcnt(14)
	v_mul_f64 v[124:125], v[148:149], v[54:55]
	scratch_load_dwordx4 v[128:131], off, off offset:928
	v_fmac_f64_e32 v[124:125], v[150:151], v[52:53]
	v_add_f64 v[0:1], v[0:1], v[124:125]
	scratch_load_dwordx4 v[124:127], off, off offset:944
	v_mul_f64 v[134:135], v[158:159], v[134:135]
	v_fma_f64 v[240:241], v[156:157], v[132:133], -v[134:135]
	ds_read_b128 v[156:159], v2 offset:1696
	s_waitcnt vmcnt(15)
	v_mul_f64 v[132:133], v[152:153], v[70:71]
	v_fmac_f64_e32 v[132:133], v[154:155], v[68:69]
	v_add_f64 v[0:1], v[0:1], v[132:133]
	v_mul_f64 v[132:133], v[174:175], v[162:163]
	v_fma_f64 v[242:243], v[172:173], v[160:161], -v[132:133]
	scratch_load_dwordx4 v[132:135], off, off offset:960
	ds_read_b128 v[160:163], v2 offset:1712
	v_mul_f64 v[166:167], v[234:235], v[166:167]
	v_fma_f64 v[248:249], v[232:233], v[164:165], -v[166:167]
	ds_read_b128 v[164:167], v2 offset:1728
	s_waitcnt vmcnt(15) lgkmcnt(2)
	v_mul_f64 v[172:173], v[156:157], v[74:75]
	v_fmac_f64_e32 v[172:173], v[158:159], v[72:73]
	v_add_f64 v[0:1], v[0:1], v[172:173]
	s_waitcnt vmcnt(14) lgkmcnt(1)
	v_mul_f64 v[172:173], v[160:161], v[78:79]
	v_fmac_f64_e32 v[172:173], v[162:163], v[76:77]
	v_mul_f64 v[170:171], v[230:231], v[170:171]
	v_fma_f64 v[250:251], v[228:229], v[168:169], -v[170:171]
	ds_read_b128 v[168:171], v2 offset:1744
	v_add_f64 v[0:1], v[0:1], v[172:173]
	s_waitcnt vmcnt(13) lgkmcnt(1)
	v_mul_f64 v[172:173], v[164:165], v[82:83]
	v_fmac_f64_e32 v[172:173], v[166:167], v[80:81]
	v_add_f64 v[0:1], v[0:1], v[172:173]
	ds_read_b128 v[172:175], v2 offset:1760
	v_mul_f64 v[178:179], v[238:239], v[178:179]
	v_fma_f64 v[236:237], v[236:237], v[176:177], -v[178:179]
	ds_read_b128 v[176:179], v2 offset:1776
	s_waitcnt vmcnt(12) lgkmcnt(2)
	v_mul_f64 v[228:229], v[168:169], v[86:87]
	v_fmac_f64_e32 v[228:229], v[170:171], v[84:85]
	v_add_f64 v[0:1], v[0:1], v[228:229]
	s_waitcnt vmcnt(11) lgkmcnt(1)
	v_mul_f64 v[228:229], v[172:173], v[90:91]
	v_mul_f64 v[182:183], v[186:187], v[182:183]
	v_fmac_f64_e32 v[228:229], v[174:175], v[88:89]
	v_fma_f64 v[238:239], v[184:185], v[180:181], -v[182:183]
	ds_read_b128 v[180:183], v2 offset:1792
	s_waitcnt vmcnt(10) lgkmcnt(1)
	v_mul_f64 v[184:185], v[176:177], v[94:95]
	v_add_f64 v[0:1], v[0:1], v[228:229]
	v_fmac_f64_e32 v[184:185], v[178:179], v[92:93]
	v_add_f64 v[0:1], v[0:1], v[184:185]
	ds_read_b128 v[184:187], v2 offset:1808
	v_mul_f64 v[190:191], v[226:227], v[190:191]
	v_fma_f64 v[252:253], v[224:225], v[188:189], -v[190:191]
	ds_read_b128 v[188:191], v2 offset:1824
	s_waitcnt vmcnt(9) lgkmcnt(2)
	v_mul_f64 v[228:229], v[180:181], v[98:99]
	v_fmac_f64_e32 v[228:229], v[182:183], v[96:97]
	s_waitcnt vmcnt(8) lgkmcnt(1)
	v_mul_f64 v[224:225], v[184:185], v[102:103]
	v_mul_f64 v[194:195], v[198:199], v[194:195]
	v_add_f64 v[0:1], v[0:1], v[228:229]
	v_fmac_f64_e32 v[224:225], v[186:187], v[100:101]
	v_fma_f64 v[244:245], v[196:197], v[192:193], -v[194:195]
	s_waitcnt vmcnt(7) lgkmcnt(0)
	v_mul_f64 v[196:197], v[188:189], v[106:107]
	ds_read_b128 v[192:195], v2 offset:1840
	v_add_f64 v[0:1], v[0:1], v[224:225]
	v_fmac_f64_e32 v[196:197], v[190:191], v[104:105]
	v_add_f64 v[0:1], v[0:1], v[196:197]
	ds_read_b128 v[196:199], v2 offset:1856
	v_accvgpr_write_b32 a129, v7
	v_mul_f64 v[202:203], v[210:211], v[202:203]
	v_accvgpr_write_b32 a128, v6
	v_accvgpr_write_b32 a127, v5
	;; [unrolled: 1-line block ×3, first 2 shown]
	v_fma_f64 v[4:5], v[208:209], v[200:201], -v[202:203]
	ds_read_b128 v[200:203], v2 offset:1872
	s_waitcnt vmcnt(6) lgkmcnt(2)
	v_mul_f64 v[224:225], v[192:193], v[110:111]
	v_fmac_f64_e32 v[224:225], v[194:195], v[108:109]
	s_waitcnt vmcnt(5) lgkmcnt(1)
	v_mul_f64 v[6:7], v[196:197], v[114:115]
	v_add_f64 v[0:1], v[0:1], v[224:225]
	v_fmac_f64_e32 v[6:7], v[198:199], v[112:113]
	v_add_f64 v[6:7], v[0:1], v[6:7]
	v_mul_f64 v[0:1], v[222:223], v[206:207]
	v_fma_f64 v[0:1], v[220:221], v[204:205], -v[0:1]
	ds_read_b128 v[204:207], v2 offset:1888
	s_waitcnt vmcnt(4) lgkmcnt(1)
	v_mul_f64 v[208:209], v[200:201], v[118:119]
	v_fmac_f64_e32 v[208:209], v[202:203], v[116:117]
	v_add_f64 v[6:7], v[6:7], v[208:209]
	ds_read_b128 v[208:211], v2 offset:1904
	v_mul_f64 v[214:215], v[218:219], v[214:215]
	v_fma_f64 v[246:247], v[216:217], v[212:213], -v[214:215]
	ds_read_b128 v[212:215], v2 offset:1920
	s_waitcnt vmcnt(3) lgkmcnt(2)
	v_mul_f64 v[216:217], v[204:205], v[122:123]
	v_fmac_f64_e32 v[216:217], v[206:207], v[120:121]
	v_add_f64 v[6:7], v[6:7], v[216:217]
	s_waitcnt vmcnt(2) lgkmcnt(1)
	v_mul_f64 v[216:217], v[208:209], v[130:131]
	v_fmac_f64_e32 v[216:217], v[210:211], v[128:129]
	v_add_f64 v[6:7], v[6:7], v[216:217]
	;; [unrolled: 4-line block ×3, first 2 shown]
	ds_read_b128 v[216:219], v2 offset:1936
	ds_read_b128 v[224:227], v2 offset:1952
	scratch_load_dwordx4 v[232:235], off, off offset:992
	s_waitcnt vmcnt(1) lgkmcnt(1)
	v_mul_f64 v[220:221], v[216:217], v[134:135]
	v_fmac_f64_e32 v[220:221], v[218:219], v[132:133]
	v_add_f64 v[6:7], v[6:7], v[220:221]
	scratch_load_dwordx4 v[220:223], off, off offset:976
	s_waitcnt vmcnt(0) lgkmcnt(0)
	v_mul_f64 v[228:229], v[224:225], v[222:223]
	v_fmac_f64_e32 v[228:229], v[226:227], v[220:221]
	v_add_f64 v[6:7], v[6:7], v[228:229]
	ds_read_b128 v[228:231], v2 offset:1968
	s_waitcnt lgkmcnt(0)
	v_mul_f64 v[2:3], v[228:229], v[234:235]
	v_fmac_f64_e32 v[2:3], v[230:231], v[232:233]
	v_add_f64 v[2:3], v[6:7], v[2:3]
	v_add_f64 v[6:7], v[240:241], 0
	;; [unrolled: 1-line block ×7, first 2 shown]
	scratch_load_dwordx4 v[236:239], off, off offset:352
	v_add_f64 v[6:7], v[6:7], v[252:253]
	v_add_f64 v[6:7], v[6:7], v[244:245]
	v_accvgpr_read_b32 v243, a129
	v_add_f64 v[248:249], v[6:7], v[4:5]
	v_accvgpr_read_b32 v242, a128
	v_add_f64 v[0:1], v[248:249], v[0:1]
	v_accvgpr_read_b32 v241, a127
	v_accvgpr_read_b32 v240, a126
	v_mul_f64 v[4:5], v[42:43], v[242:243]
	v_add_f64 v[0:1], v[0:1], v[246:247]
	v_fma_f64 v[4:5], v[40:41], v[240:241], -v[4:5]
	v_add_f64 v[0:1], v[0:1], v[4:5]
	v_mul_f64 v[4:5], v[66:67], v[10:11]
	v_fma_f64 v[4:5], v[64:65], v[8:9], -v[4:5]
	v_add_f64 v[0:1], v[0:1], v[4:5]
	v_mul_f64 v[4:5], v[62:63], v[14:15]
	;; [unrolled: 3-line block ×28, first 2 shown]
	v_fma_f64 v[4:5], v[228:229], v[232:233], -v[4:5]
	v_add_f64 v[0:1], v[0:1], v[4:5]
	s_waitcnt vmcnt(0)
	v_add_f64 v[4:5], v[236:237], -v[0:1]
	v_add_f64 v[6:7], v[238:239], -v[2:3]
	scratch_store_dwordx4 off, v[4:7], off offset:352
	s_and_saveexec_b64 s[0:1], vcc
	s_cbranch_execz .LBB125_357
; %bb.356:
	scratch_load_dwordx4 v[2:5], off, s68
	v_mov_b32_e32 v6, 0
	v_mov_b32_e32 v7, v6
	;; [unrolled: 1-line block ×4, first 2 shown]
	v_accvgpr_read_b32 v0, a1
	scratch_store_dwordx4 off, v[6:9], off offset:336
	s_waitcnt vmcnt(1)
	ds_write_b128 v0, v[2:5]
.LBB125_357:
	s_or_b64 exec, exec, s[0:1]
	s_waitcnt lgkmcnt(0)
	; wave barrier
	scratch_load_dwordx4 v[112:115], off, off offset:352
	scratch_load_dwordx4 v[116:119], off, off offset:368
	;; [unrolled: 1-line block ×30, first 2 shown]
	v_mov_b32_e32 v2, 0
	ds_read_b128 v[144:147], v2 offset:1328
	ds_read_b128 v[156:159], v2 offset:1344
	ds_read_b128 v[168:171], v2 offset:1360
	ds_read_b128 v[180:183], v2 offset:1376
	ds_read_b128 v[192:195], v2 offset:1392
	ds_read_b128 v[204:207], v2 offset:1408
	ds_read_b128 v[212:215], v2 offset:1424
	ds_read_b128 v[216:219], v2 offset:1440
	ds_read_b128 v[220:223], v2 offset:1456
	ds_read_b128 v[224:227], v2 offset:1472
	ds_read_b128 v[228:231], v2 offset:1488
	ds_read_b128 v[244:247], v2 offset:1504
	ds_read_b128 v[248:251], v2 offset:1520
	ds_read_b128 v[84:87], v2 offset:1536
	ds_read_b128 v[80:83], v2 offset:1552
	ds_read_b128 v[76:79], v2 offset:1568
	ds_read_b128 v[72:75], v2 offset:1584
	ds_read_b128 v[132:135], v2 offset:1632
	ds_read_b128 v[136:139], v2 offset:1648
	ds_read_b128 v[140:143], v2 offset:1664
	v_cmp_lt_u32_e32 vcc, 19, v254
	s_waitcnt vmcnt(29) lgkmcnt(14)
	v_mul_f64 v[0:1], v[144:145], v[114:115]
	s_waitcnt vmcnt(28)
	v_mul_f64 v[88:89], v[156:157], v[118:119]
	v_fmac_f64_e32 v[0:1], v[146:147], v[112:113]
	s_waitcnt vmcnt(27)
	v_mul_f64 v[90:91], v[168:169], v[122:123]
	v_fmac_f64_e32 v[88:89], v[158:159], v[116:117]
	v_add_f64 v[0:1], v[0:1], 0
	s_waitcnt vmcnt(26)
	v_mul_f64 v[92:93], v[180:181], v[154:155]
	v_fmac_f64_e32 v[90:91], v[170:171], v[120:121]
	v_add_f64 v[0:1], v[0:1], v[88:89]
	;; [unrolled: 4-line block ×4, first 2 shown]
	s_waitcnt vmcnt(23) lgkmcnt(13)
	v_mul_f64 v[98:99], v[212:213], v[174:175]
	v_fmac_f64_e32 v[96:97], v[206:207], v[164:165]
	v_add_f64 v[0:1], v[0:1], v[94:95]
	s_waitcnt vmcnt(22) lgkmcnt(12)
	v_mul_f64 v[100:101], v[216:217], v[178:179]
	v_fmac_f64_e32 v[98:99], v[214:215], v[172:173]
	v_add_f64 v[0:1], v[0:1], v[96:97]
	;; [unrolled: 4-line block ×9, first 2 shown]
	v_fmac_f64_e32 v[126:127], v[82:83], v[8:9]
	v_add_f64 v[0:1], v[0:1], v[124:125]
	scratch_load_dwordx4 v[88:91], off, off offset:832
	s_waitcnt vmcnt(15) lgkmcnt(4)
	v_mul_f64 v[128:129], v[76:77], v[236:237]
	v_add_f64 v[0:1], v[0:1], v[126:127]
	ds_read_b128 v[124:127], v2 offset:1600
	v_fmac_f64_e32 v[128:129], v[78:79], v[234:235]
	v_add_f64 v[0:1], v[0:1], v[128:129]
	ds_read_b128 v[128:131], v2 offset:1616
	s_waitcnt vmcnt(14) lgkmcnt(5)
	v_mul_f64 v[92:93], v[72:73], v[18:19]
	v_fmac_f64_e32 v[92:93], v[74:75], v[16:17]
	v_add_f64 v[0:1], v[0:1], v[92:93]
	s_waitcnt vmcnt(13) lgkmcnt(1)
	v_mul_f64 v[96:97], v[124:125], v[22:23]
	scratch_load_dwordx4 v[92:95], off, off offset:848
	v_fmac_f64_e32 v[96:97], v[126:127], v[20:21]
	v_add_f64 v[0:1], v[0:1], v[96:97]
	s_waitcnt vmcnt(13) lgkmcnt(0)
	v_mul_f64 v[100:101], v[128:129], v[26:27]
	scratch_load_dwordx4 v[96:99], off, off offset:864
	v_fmac_f64_e32 v[100:101], v[130:131], v[24:25]
	v_add_f64 v[0:1], v[0:1], v[100:101]
	scratch_load_dwordx4 v[100:103], off, off offset:880
	s_waitcnt vmcnt(14)
	v_mul_f64 v[104:105], v[132:133], v[30:31]
	v_fmac_f64_e32 v[104:105], v[134:135], v[28:29]
	v_add_f64 v[0:1], v[0:1], v[104:105]
	s_waitcnt vmcnt(13)
	v_mul_f64 v[104:105], v[136:137], v[34:35]
	v_fmac_f64_e32 v[104:105], v[138:139], v[32:33]
	v_add_f64 v[0:1], v[0:1], v[104:105]
	scratch_load_dwordx4 v[104:107], off, off offset:896
	s_waitcnt vmcnt(13)
	v_mul_f64 v[108:109], v[140:141], v[38:39]
	v_fmac_f64_e32 v[108:109], v[142:143], v[36:37]
	v_add_f64 v[0:1], v[0:1], v[108:109]
	scratch_load_dwordx4 v[108:111], off, off offset:912
	v_mul_f64 v[114:115], v[146:147], v[114:115]
	v_fma_f64 v[240:241], v[144:145], v[112:113], -v[114:115]
	v_mul_f64 v[112:113], v[158:159], v[118:119]
	ds_read_b128 v[148:151], v2 offset:1680
	ds_read_b128 v[144:147], v2 offset:1696
	v_fma_f64 v[242:243], v[156:157], v[116:117], -v[112:113]
	scratch_load_dwordx4 v[116:119], off, off offset:928
	scratch_load_dwordx4 v[112:115], off, off offset:944
	v_mul_f64 v[122:123], v[170:171], v[122:123]
	v_fma_f64 v[252:253], v[168:169], v[120:121], -v[122:123]
	scratch_load_dwordx4 v[120:123], off, off offset:960
	s_waitcnt vmcnt(16) lgkmcnt(1)
	v_mul_f64 v[156:157], v[148:149], v[42:43]
	v_fmac_f64_e32 v[156:157], v[150:151], v[40:41]
	v_add_f64 v[0:1], v[0:1], v[156:157]
	v_mul_f64 v[154:155], v[182:183], v[154:155]
	s_waitcnt vmcnt(15) lgkmcnt(0)
	v_mul_f64 v[156:157], v[144:145], v[46:47]
	v_fma_f64 v[232:233], v[180:181], v[152:153], -v[154:155]
	ds_read_b128 v[152:155], v2 offset:1712
	v_fmac_f64_e32 v[156:157], v[146:147], v[44:45]
	v_add_f64 v[0:1], v[0:1], v[156:157]
	ds_read_b128 v[156:159], v2 offset:1728
	v_accvgpr_write_b32 a129, v7
	s_waitcnt vmcnt(14) lgkmcnt(1)
	v_mul_f64 v[168:169], v[152:153], v[50:51]
	v_mul_f64 v[162:163], v[194:195], v[162:163]
	v_accvgpr_write_b32 a128, v6
	v_accvgpr_write_b32 a127, v5
	;; [unrolled: 1-line block ×3, first 2 shown]
	v_fmac_f64_e32 v[168:169], v[154:155], v[48:49]
	v_fma_f64 v[12:13], v[192:193], v[160:161], -v[162:163]
	ds_read_b128 v[160:163], v2 offset:1744
	s_waitcnt vmcnt(13) lgkmcnt(1)
	v_mul_f64 v[6:7], v[156:157], v[54:55]
	v_add_f64 v[0:1], v[0:1], v[168:169]
	v_fmac_f64_e32 v[6:7], v[158:159], v[52:53]
	v_accvgpr_write_b32 a133, v11
	v_add_f64 v[0:1], v[0:1], v[6:7]
	v_mul_f64 v[6:7], v[206:207], v[166:167]
	v_accvgpr_write_b32 a132, v10
	v_accvgpr_write_b32 a131, v9
	;; [unrolled: 1-line block ×3, first 2 shown]
	v_fma_f64 v[8:9], v[204:205], v[164:165], -v[6:7]
	ds_read_b128 v[164:167], v2 offset:1760
	s_waitcnt vmcnt(12) lgkmcnt(1)
	v_mul_f64 v[6:7], v[160:161], v[58:59]
	ds_read_b128 v[168:171], v2 offset:1776
	v_fmac_f64_e32 v[6:7], v[162:163], v[56:57]
	v_add_f64 v[0:1], v[0:1], v[6:7]
	v_mul_f64 v[6:7], v[214:215], v[174:175]
	v_fma_f64 v[10:11], v[212:213], v[172:173], -v[6:7]
	s_waitcnt vmcnt(11) lgkmcnt(1)
	v_mul_f64 v[6:7], v[164:165], v[62:63]
	v_fmac_f64_e32 v[6:7], v[166:167], v[60:61]
	ds_read_b128 v[172:175], v2 offset:1792
	v_add_f64 v[0:1], v[0:1], v[6:7]
	s_waitcnt vmcnt(10) lgkmcnt(1)
	v_mul_f64 v[6:7], v[168:169], v[66:67]
	v_fmac_f64_e32 v[6:7], v[170:171], v[64:65]
	v_add_f64 v[0:1], v[0:1], v[6:7]
	v_mul_f64 v[6:7], v[218:219], v[178:179]
	v_fma_f64 v[4:5], v[216:217], v[176:177], -v[6:7]
	ds_read_b128 v[176:179], v2 offset:1808
	ds_read_b128 v[180:183], v2 offset:1824
	s_waitcnt vmcnt(9) lgkmcnt(2)
	v_mul_f64 v[6:7], v[172:173], v[70:71]
	v_fmac_f64_e32 v[6:7], v[174:175], v[68:69]
	v_add_f64 v[0:1], v[0:1], v[6:7]
	s_waitcnt vmcnt(8) lgkmcnt(1)
	v_mul_f64 v[6:7], v[176:177], v[90:91]
	v_fmac_f64_e32 v[6:7], v[178:179], v[88:89]
	v_add_f64 v[0:1], v[0:1], v[6:7]
	v_mul_f64 v[6:7], v[222:223], v[186:187]
	v_fma_f64 v[14:15], v[220:221], v[184:185], -v[6:7]
	ds_read_b128 v[184:187], v2 offset:1840
	v_mul_f64 v[6:7], v[226:227], v[190:191]
	v_fma_f64 v[6:7], v[224:225], v[188:189], -v[6:7]
	ds_read_b128 v[188:191], v2 offset:1856
	s_waitcnt vmcnt(7) lgkmcnt(2)
	v_mul_f64 v[192:193], v[180:181], v[94:95]
	v_fmac_f64_e32 v[192:193], v[182:183], v[92:93]
	v_add_f64 v[0:1], v[0:1], v[192:193]
	s_waitcnt vmcnt(6) lgkmcnt(1)
	v_mul_f64 v[192:193], v[184:185], v[98:99]
	v_fmac_f64_e32 v[192:193], v[186:187], v[96:97]
	v_add_f64 v[0:1], v[0:1], v[192:193]
	s_waitcnt vmcnt(5) lgkmcnt(0)
	v_mul_f64 v[204:205], v[188:189], v[102:103]
	ds_read_b128 v[192:195], v2 offset:1872
	v_fmac_f64_e32 v[204:205], v[190:191], v[100:101]
	v_add_f64 v[204:205], v[0:1], v[204:205]
	v_mul_f64 v[0:1], v[230:231], v[198:199]
	v_fma_f64 v[0:1], v[228:229], v[196:197], -v[0:1]
	ds_read_b128 v[196:199], v2 offset:1888
	v_mul_f64 v[202:203], v[246:247], v[202:203]
	s_waitcnt vmcnt(4) lgkmcnt(1)
	v_mul_f64 v[206:207], v[192:193], v[106:107]
	v_fma_f64 v[238:239], v[244:245], v[200:201], -v[202:203]
	ds_read_b128 v[200:203], v2 offset:1904
	v_fmac_f64_e32 v[206:207], v[194:195], v[104:105]
	v_add_f64 v[212:213], v[204:205], v[206:207]
	ds_read_b128 v[204:207], v2 offset:1920
	s_waitcnt vmcnt(3) lgkmcnt(2)
	v_mul_f64 v[214:215], v[196:197], v[110:111]
	v_mul_f64 v[210:211], v[250:251], v[210:211]
	v_fmac_f64_e32 v[214:215], v[198:199], v[108:109]
	v_fma_f64 v[244:245], v[248:249], v[208:209], -v[210:211]
	ds_read_b128 v[208:211], v2 offset:1936
	ds_read_b128 v[216:219], v2 offset:1952
	v_add_f64 v[212:213], v[212:213], v[214:215]
	s_waitcnt vmcnt(2) lgkmcnt(3)
	v_mul_f64 v[214:215], v[200:201], v[118:119]
	v_fmac_f64_e32 v[214:215], v[202:203], v[116:117]
	v_add_f64 v[212:213], v[212:213], v[214:215]
	s_waitcnt vmcnt(1) lgkmcnt(2)
	v_mul_f64 v[214:215], v[204:205], v[114:115]
	v_fmac_f64_e32 v[214:215], v[206:207], v[112:113]
	;; [unrolled: 4-line block ×3, first 2 shown]
	v_add_f64 v[220:221], v[212:213], v[214:215]
	scratch_load_dwordx4 v[212:215], off, off offset:976
	ds_read_b128 v[224:227], v2 offset:1968
	s_waitcnt vmcnt(0) lgkmcnt(1)
	v_mul_f64 v[222:223], v[216:217], v[214:215]
	v_fmac_f64_e32 v[222:223], v[218:219], v[212:213]
	v_add_f64 v[228:229], v[220:221], v[222:223]
	scratch_load_dwordx4 v[220:223], off, off offset:992
	s_waitcnt vmcnt(0) lgkmcnt(0)
	v_mul_f64 v[230:231], v[224:225], v[222:223]
	v_fmac_f64_e32 v[230:231], v[226:227], v[220:221]
	v_add_f64 v[248:249], v[228:229], v[230:231]
	v_add_f64 v[228:229], v[240:241], 0
	;; [unrolled: 1-line block ×6, first 2 shown]
	scratch_load_dwordx4 v[228:231], off, off offset:336
	v_add_f64 v[8:9], v[12:13], v[8:9]
	v_add_f64 v[8:9], v[8:9], v[10:11]
	;; [unrolled: 1-line block ×5, first 2 shown]
	v_accvgpr_read_b32 v6, a126
	v_accvgpr_read_b32 v8, a128
	;; [unrolled: 1-line block ×3, first 2 shown]
	v_add_f64 v[0:1], v[4:5], v[0:1]
	v_accvgpr_read_b32 v7, a127
	v_mul_f64 v[4:5], v[86:87], v[8:9]
	v_add_f64 v[0:1], v[0:1], v[238:239]
	v_fma_f64 v[4:5], v[84:85], v[6:7], -v[4:5]
	v_accvgpr_read_b32 v6, a130
	v_add_f64 v[0:1], v[0:1], v[244:245]
	v_accvgpr_read_b32 v8, a132
	v_accvgpr_read_b32 v9, a133
	v_add_f64 v[0:1], v[0:1], v[4:5]
	v_accvgpr_read_b32 v7, a131
	v_mul_f64 v[4:5], v[82:83], v[8:9]
	v_fma_f64 v[4:5], v[80:81], v[6:7], -v[4:5]
	v_add_f64 v[0:1], v[0:1], v[4:5]
	v_mul_f64 v[4:5], v[78:79], v[236:237]
	v_fma_f64 v[4:5], v[76:77], v[234:235], -v[4:5]
	v_add_f64 v[0:1], v[0:1], v[4:5]
	;; [unrolled: 3-line block ×27, first 2 shown]
	s_waitcnt vmcnt(0)
	v_add_f64 v[4:5], v[228:229], -v[0:1]
	v_add_f64 v[6:7], v[230:231], -v[248:249]
	scratch_store_dwordx4 off, v[4:7], off offset:336
	s_and_saveexec_b64 s[0:1], vcc
	s_cbranch_execz .LBB125_359
; %bb.358:
	scratch_load_dwordx4 v[6:9], off, s69
	v_mov_b32_e32 v3, v2
	v_mov_b32_e32 v4, v2
	;; [unrolled: 1-line block ×3, first 2 shown]
	v_accvgpr_read_b32 v0, a1
	scratch_store_dwordx4 off, v[2:5], off offset:320
	s_waitcnt vmcnt(1)
	ds_write_b128 v0, v[6:9]
.LBB125_359:
	s_or_b64 exec, exec, s[0:1]
	s_waitcnt lgkmcnt(0)
	; wave barrier
	scratch_load_dwordx4 v[88:91], off, off offset:336
	scratch_load_dwordx4 v[92:95], off, off offset:352
	;; [unrolled: 1-line block ×17, first 2 shown]
	ds_read_b128 v[212:215], v2 offset:1312
	ds_read_b128 v[204:207], v2 offset:1328
	;; [unrolled: 1-line block ×3, first 2 shown]
	scratch_load_dwordx4 v[20:23], off, off offset:608
	ds_read_b128 v[216:219], v2 offset:1360
	ds_read_b128 v[208:211], v2 offset:1376
	;; [unrolled: 1-line block ×5, first 2 shown]
	scratch_load_dwordx4 v[24:27], off, off offset:624
	ds_read_b128 v[180:183], v2 offset:1440
	ds_read_b128 v[160:163], v2 offset:1456
	;; [unrolled: 1-line block ×3, first 2 shown]
	scratch_load_dwordx4 v[28:31], off, off offset:640
	ds_read_b128 v[172:175], v2 offset:1488
	ds_read_b128 v[148:151], v2 offset:1504
	;; [unrolled: 1-line block ×5, first 2 shown]
	scratch_load_dwordx4 v[36:39], off, off offset:656
	ds_read_b128 v[48:51], v2 offset:1568
	scratch_load_dwordx4 v[52:55], off, off offset:672
	scratch_load_dwordx4 v[56:59], off, off offset:688
	;; [unrolled: 1-line block ×9, first 2 shown]
	ds_read_b128 v[140:143], v2 offset:1584
	ds_read_b128 v[232:235], v2 offset:1648
	v_cmp_lt_u32_e32 vcc, 18, v254
	ds_read_b128 v[228:231], v2 offset:1632
	s_waitcnt vmcnt(29) lgkmcnt(14)
	v_mul_f64 v[0:1], v[212:213], v[90:91]
	s_waitcnt vmcnt(28)
	v_mul_f64 v[152:153], v[204:205], v[94:95]
	v_fmac_f64_e32 v[0:1], v[214:215], v[88:89]
	s_waitcnt vmcnt(27)
	v_mul_f64 v[154:155], v[196:197], v[98:99]
	v_fmac_f64_e32 v[152:153], v[206:207], v[92:93]
	v_add_f64 v[0:1], v[0:1], 0
	s_waitcnt vmcnt(26)
	v_mul_f64 v[164:165], v[216:217], v[102:103]
	v_fmac_f64_e32 v[154:155], v[198:199], v[96:97]
	v_add_f64 v[0:1], v[0:1], v[152:153]
	;; [unrolled: 4-line block ×4, first 2 shown]
	s_waitcnt vmcnt(23) lgkmcnt(13)
	v_mul_f64 v[170:171], v[184:185], v[114:115]
	v_fmac_f64_e32 v[168:169], v[202:203], v[108:109]
	v_add_f64 v[0:1], v[0:1], v[166:167]
	s_waitcnt vmcnt(22) lgkmcnt(12)
	v_mul_f64 v[176:177], v[156:157], v[118:119]
	v_fmac_f64_e32 v[170:171], v[186:187], v[112:113]
	v_add_f64 v[0:1], v[0:1], v[168:169]
	;; [unrolled: 4-line block ×9, first 2 shown]
	v_fmac_f64_e32 v[222:223], v[42:43], v[8:9]
	v_add_f64 v[0:1], v[0:1], v[220:221]
	s_waitcnt vmcnt(14) lgkmcnt(4)
	v_mul_f64 v[224:225], v[32:33], v[14:15]
	v_add_f64 v[0:1], v[0:1], v[222:223]
	ds_read_b128 v[220:223], v2 offset:1600
	v_fmac_f64_e32 v[224:225], v[34:35], v[12:13]
	s_waitcnt vmcnt(13) lgkmcnt(4)
	v_mul_f64 v[164:165], v[48:49], v[18:19]
	v_add_f64 v[0:1], v[0:1], v[224:225]
	scratch_load_dwordx4 v[152:155], off, off offset:816
	v_fmac_f64_e32 v[164:165], v[50:51], v[16:17]
	ds_read_b128 v[224:227], v2 offset:1616
	v_add_f64 v[0:1], v[0:1], v[164:165]
	s_waitcnt vmcnt(13) lgkmcnt(4)
	v_mul_f64 v[168:169], v[140:141], v[22:23]
	scratch_load_dwordx4 v[164:167], off, off offset:832
	v_fmac_f64_e32 v[168:169], v[142:143], v[20:21]
	v_add_f64 v[0:1], v[0:1], v[168:169]
	s_waitcnt vmcnt(13) lgkmcnt(1)
	v_mul_f64 v[176:177], v[220:221], v[26:27]
	scratch_load_dwordx4 v[168:171], off, off offset:848
	v_fmac_f64_e32 v[176:177], v[222:223], v[24:25]
	;; [unrolled: 5-line block ×3, first 2 shown]
	v_add_f64 v[0:1], v[0:1], v[188:189]
	s_waitcnt vmcnt(13)
	v_mul_f64 v[188:189], v[228:229], v[38:39]
	v_fmac_f64_e32 v[188:189], v[230:231], v[36:37]
	v_add_f64 v[0:1], v[0:1], v[188:189]
	scratch_load_dwordx4 v[188:191], off, off offset:880
	s_waitcnt vmcnt(13)
	v_mul_f64 v[192:193], v[232:233], v[54:55]
	v_fmac_f64_e32 v[192:193], v[234:235], v[52:53]
	v_add_f64 v[0:1], v[0:1], v[192:193]
	scratch_load_dwordx4 v[192:195], off, off offset:896
	v_mul_f64 v[90:91], v[214:215], v[90:91]
	v_fma_f64 v[240:241], v[212:213], v[88:89], -v[90:91]
	v_mul_f64 v[88:89], v[206:207], v[94:95]
	ds_read_b128 v[236:239], v2 offset:1664
	ds_read_b128 v[212:215], v2 offset:1680
	v_fma_f64 v[242:243], v[204:205], v[92:93], -v[88:89]
	scratch_load_dwordx4 v[92:95], off, off offset:912
	scratch_load_dwordx4 v[88:91], off, off offset:928
	v_mul_f64 v[98:99], v[198:199], v[98:99]
	v_fma_f64 v[248:249], v[196:197], v[96:97], -v[98:99]
	scratch_load_dwordx4 v[96:99], off, off offset:944
	s_waitcnt vmcnt(16) lgkmcnt(1)
	v_mul_f64 v[204:205], v[236:237], v[58:59]
	v_mul_f64 v[102:103], v[218:219], v[102:103]
	v_fmac_f64_e32 v[204:205], v[238:239], v[56:57]
	v_fma_f64 v[216:217], v[216:217], v[100:101], -v[102:103]
	ds_read_b128 v[100:103], v2 offset:1696
	s_waitcnt vmcnt(15) lgkmcnt(1)
	v_mul_f64 v[196:197], v[212:213], v[62:63]
	v_add_f64 v[0:1], v[0:1], v[204:205]
	v_fmac_f64_e32 v[196:197], v[214:215], v[60:61]
	v_add_f64 v[0:1], v[0:1], v[196:197]
	ds_read_b128 v[196:199], v2 offset:1712
	v_mul_f64 v[106:107], v[210:211], v[106:107]
	v_fma_f64 v[218:219], v[208:209], v[104:105], -v[106:107]
	ds_read_b128 v[104:107], v2 offset:1728
	s_waitcnt vmcnt(14) lgkmcnt(2)
	v_mul_f64 v[204:205], v[100:101], v[66:67]
	v_fmac_f64_e32 v[204:205], v[102:103], v[64:65]
	v_add_f64 v[0:1], v[0:1], v[204:205]
	s_waitcnt vmcnt(13) lgkmcnt(1)
	v_mul_f64 v[204:205], v[196:197], v[70:71]
	v_mul_f64 v[110:111], v[202:203], v[110:111]
	v_fmac_f64_e32 v[204:205], v[198:199], v[68:69]
	v_fma_f64 v[250:251], v[200:201], v[108:109], -v[110:111]
	ds_read_b128 v[108:111], v2 offset:1744
	s_waitcnt vmcnt(12) lgkmcnt(1)
	v_mul_f64 v[200:201], v[104:105], v[74:75]
	v_add_f64 v[0:1], v[0:1], v[204:205]
	v_fmac_f64_e32 v[200:201], v[106:107], v[72:73]
	v_add_f64 v[0:1], v[0:1], v[200:201]
	ds_read_b128 v[200:203], v2 offset:1760
	v_mul_f64 v[114:115], v[186:187], v[114:115]
	v_fma_f64 v[252:253], v[184:185], v[112:113], -v[114:115]
	ds_read_b128 v[112:115], v2 offset:1776
	s_waitcnt vmcnt(11) lgkmcnt(2)
	v_mul_f64 v[184:185], v[108:109], v[78:79]
	v_fmac_f64_e32 v[184:185], v[110:111], v[76:77]
	v_add_f64 v[0:1], v[0:1], v[184:185]
	s_waitcnt vmcnt(10) lgkmcnt(1)
	v_mul_f64 v[184:185], v[200:201], v[82:83]
	v_mul_f64 v[118:119], v[158:159], v[118:119]
	v_fmac_f64_e32 v[184:185], v[202:203], v[80:81]
	v_fma_f64 v[244:245], v[156:157], v[116:117], -v[118:119]
	s_waitcnt vmcnt(9) lgkmcnt(0)
	v_mul_f64 v[156:157], v[112:113], v[86:87]
	v_add_f64 v[0:1], v[0:1], v[184:185]
	ds_read_b128 v[116:119], v2 offset:1792
	v_fmac_f64_e32 v[156:157], v[114:115], v[84:85]
	v_add_f64 v[0:1], v[0:1], v[156:157]
	ds_read_b128 v[156:159], v2 offset:1808
	v_accvgpr_write_b32 a133, v11
	v_mul_f64 v[122:123], v[182:183], v[122:123]
	v_accvgpr_write_b32 a132, v10
	v_accvgpr_write_b32 a131, v9
	;; [unrolled: 1-line block ×3, first 2 shown]
	v_fma_f64 v[8:9], v[180:181], v[120:121], -v[122:123]
	ds_read_b128 v[120:123], v2 offset:1824
	v_mul_f64 v[126:127], v[162:163], v[126:127]
	v_accvgpr_write_b32 a129, v7
	s_waitcnt vmcnt(8) lgkmcnt(2)
	v_mul_f64 v[184:185], v[116:117], v[154:155]
	v_fma_f64 v[246:247], v[160:161], v[124:125], -v[126:127]
	ds_read_b128 v[124:127], v2 offset:1840
	v_accvgpr_write_b32 a128, v6
	v_accvgpr_write_b32 a127, v5
	;; [unrolled: 1-line block ×3, first 2 shown]
	v_fmac_f64_e32 v[184:185], v[118:119], v[152:153]
	s_waitcnt vmcnt(7) lgkmcnt(2)
	v_mul_f64 v[6:7], v[156:157], v[166:167]
	v_add_f64 v[0:1], v[0:1], v[184:185]
	v_fmac_f64_e32 v[6:7], v[158:159], v[164:165]
	v_add_f64 v[0:1], v[0:1], v[6:7]
	s_waitcnt vmcnt(6) lgkmcnt(1)
	v_mul_f64 v[6:7], v[120:121], v[170:171]
	v_fmac_f64_e32 v[6:7], v[122:123], v[168:169]
	ds_read_b128 v[160:163], v2 offset:1856
	v_add_f64 v[0:1], v[0:1], v[6:7]
	s_waitcnt vmcnt(5) lgkmcnt(1)
	v_mul_f64 v[6:7], v[124:125], v[178:179]
	v_fmac_f64_e32 v[6:7], v[126:127], v[176:177]
	v_add_f64 v[0:1], v[0:1], v[6:7]
	v_mul_f64 v[6:7], v[146:147], v[130:131]
	v_fma_f64 v[4:5], v[144:145], v[128:129], -v[6:7]
	ds_read_b128 v[128:131], v2 offset:1872
	s_waitcnt vmcnt(4) lgkmcnt(1)
	v_mul_f64 v[6:7], v[160:161], v[190:191]
	v_fmac_f64_e32 v[6:7], v[162:163], v[188:189]
	v_add_f64 v[6:7], v[0:1], v[6:7]
	v_mul_f64 v[0:1], v[174:175], v[134:135]
	v_fma_f64 v[0:1], v[172:173], v[132:133], -v[0:1]
	ds_read_b128 v[132:135], v2 offset:1888
	ds_read_b128 v[144:147], v2 offset:1904
	s_waitcnt vmcnt(3) lgkmcnt(2)
	v_mul_f64 v[10:11], v[128:129], v[194:195]
	v_fmac_f64_e32 v[10:11], v[130:131], v[192:193]
	v_add_f64 v[10:11], v[6:7], v[10:11]
	v_mul_f64 v[6:7], v[150:151], v[138:139]
	v_fma_f64 v[6:7], v[148:149], v[136:137], -v[6:7]
	ds_read_b128 v[136:139], v2 offset:1920
	ds_read_b128 v[172:175], v2 offset:1936
	s_waitcnt vmcnt(2) lgkmcnt(3)
	v_mul_f64 v[148:149], v[132:133], v[94:95]
	v_fmac_f64_e32 v[148:149], v[134:135], v[92:93]
	v_add_f64 v[10:11], v[10:11], v[148:149]
	s_waitcnt vmcnt(1) lgkmcnt(2)
	v_mul_f64 v[148:149], v[144:145], v[90:91]
	v_fmac_f64_e32 v[148:149], v[146:147], v[88:89]
	v_add_f64 v[10:11], v[10:11], v[148:149]
	scratch_load_dwordx4 v[208:211], off, off offset:992
	s_waitcnt vmcnt(1) lgkmcnt(1)
	v_mul_f64 v[148:149], v[136:137], v[98:99]
	v_fmac_f64_e32 v[148:149], v[138:139], v[96:97]
	v_add_f64 v[10:11], v[10:11], v[148:149]
	scratch_load_dwordx4 v[148:151], off, off offset:960
	ds_read_b128 v[184:187], v2 offset:1952
	s_waitcnt vmcnt(0) lgkmcnt(1)
	v_mul_f64 v[180:181], v[172:173], v[150:151]
	v_fmac_f64_e32 v[180:181], v[174:175], v[148:149]
	v_add_f64 v[10:11], v[10:11], v[180:181]
	scratch_load_dwordx4 v[180:183], off, off offset:976
	s_waitcnt vmcnt(0) lgkmcnt(0)
	v_mul_f64 v[204:205], v[184:185], v[182:183]
	v_fmac_f64_e32 v[204:205], v[186:187], v[180:181]
	v_add_f64 v[10:11], v[10:11], v[204:205]
	ds_read_b128 v[204:207], v2 offset:1968
	s_waitcnt lgkmcnt(0)
	v_mul_f64 v[2:3], v[204:205], v[210:211]
	v_fmac_f64_e32 v[2:3], v[206:207], v[208:209]
	v_add_f64 v[2:3], v[10:11], v[2:3]
	v_add_f64 v[10:11], v[240:241], 0
	;; [unrolled: 1-line block ×6, first 2 shown]
	scratch_load_dwordx4 v[216:219], off, off offset:320
	v_add_f64 v[10:11], v[10:11], v[250:251]
	v_add_f64 v[10:11], v[10:11], v[252:253]
	;; [unrolled: 1-line block ×8, first 2 shown]
	v_accvgpr_read_b32 v6, a126
	v_accvgpr_read_b32 v8, a128
	;; [unrolled: 1-line block ×4, first 2 shown]
	v_mul_f64 v[4:5], v[46:47], v[8:9]
	v_fma_f64 v[4:5], v[44:45], v[6:7], -v[4:5]
	v_accvgpr_read_b32 v6, a130
	v_accvgpr_read_b32 v8, a132
	;; [unrolled: 1-line block ×3, first 2 shown]
	v_add_f64 v[0:1], v[0:1], v[4:5]
	v_accvgpr_read_b32 v7, a131
	v_mul_f64 v[4:5], v[42:43], v[8:9]
	v_fma_f64 v[4:5], v[40:41], v[6:7], -v[4:5]
	v_add_f64 v[0:1], v[0:1], v[4:5]
	v_mul_f64 v[4:5], v[34:35], v[14:15]
	v_fma_f64 v[4:5], v[32:33], v[12:13], -v[4:5]
	v_add_f64 v[0:1], v[0:1], v[4:5]
	v_mul_f64 v[4:5], v[50:51], v[18:19]
	v_fma_f64 v[4:5], v[48:49], v[16:17], -v[4:5]
	v_add_f64 v[0:1], v[0:1], v[4:5]
	v_mul_f64 v[4:5], v[142:143], v[22:23]
	v_fma_f64 v[4:5], v[140:141], v[20:21], -v[4:5]
	v_add_f64 v[0:1], v[0:1], v[4:5]
	v_mul_f64 v[4:5], v[222:223], v[26:27]
	v_fma_f64 v[4:5], v[220:221], v[24:25], -v[4:5]
	v_add_f64 v[0:1], v[0:1], v[4:5]
	v_mul_f64 v[4:5], v[226:227], v[30:31]
	v_fma_f64 v[4:5], v[224:225], v[28:29], -v[4:5]
	v_add_f64 v[0:1], v[0:1], v[4:5]
	v_mul_f64 v[4:5], v[230:231], v[38:39]
	v_fma_f64 v[4:5], v[228:229], v[36:37], -v[4:5]
	v_add_f64 v[0:1], v[0:1], v[4:5]
	v_mul_f64 v[4:5], v[234:235], v[54:55]
	v_fma_f64 v[4:5], v[232:233], v[52:53], -v[4:5]
	v_add_f64 v[0:1], v[0:1], v[4:5]
	v_mul_f64 v[4:5], v[238:239], v[58:59]
	v_fma_f64 v[4:5], v[236:237], v[56:57], -v[4:5]
	v_add_f64 v[0:1], v[0:1], v[4:5]
	v_mul_f64 v[4:5], v[214:215], v[62:63]
	v_fma_f64 v[4:5], v[212:213], v[60:61], -v[4:5]
	v_add_f64 v[0:1], v[0:1], v[4:5]
	v_mul_f64 v[4:5], v[102:103], v[66:67]
	v_fma_f64 v[4:5], v[100:101], v[64:65], -v[4:5]
	v_add_f64 v[0:1], v[0:1], v[4:5]
	v_mul_f64 v[4:5], v[198:199], v[70:71]
	v_fma_f64 v[4:5], v[196:197], v[68:69], -v[4:5]
	v_add_f64 v[0:1], v[0:1], v[4:5]
	v_mul_f64 v[4:5], v[106:107], v[74:75]
	v_fma_f64 v[4:5], v[104:105], v[72:73], -v[4:5]
	v_add_f64 v[0:1], v[0:1], v[4:5]
	v_mul_f64 v[4:5], v[110:111], v[78:79]
	v_fma_f64 v[4:5], v[108:109], v[76:77], -v[4:5]
	v_add_f64 v[0:1], v[0:1], v[4:5]
	v_mul_f64 v[4:5], v[202:203], v[82:83]
	v_fma_f64 v[4:5], v[200:201], v[80:81], -v[4:5]
	v_add_f64 v[0:1], v[0:1], v[4:5]
	v_mul_f64 v[4:5], v[114:115], v[86:87]
	v_fma_f64 v[4:5], v[112:113], v[84:85], -v[4:5]
	v_add_f64 v[0:1], v[0:1], v[4:5]
	v_mul_f64 v[4:5], v[118:119], v[154:155]
	v_fma_f64 v[4:5], v[116:117], v[152:153], -v[4:5]
	v_add_f64 v[0:1], v[0:1], v[4:5]
	v_mul_f64 v[4:5], v[158:159], v[166:167]
	v_fma_f64 v[4:5], v[156:157], v[164:165], -v[4:5]
	v_add_f64 v[0:1], v[0:1], v[4:5]
	v_mul_f64 v[4:5], v[122:123], v[170:171]
	v_fma_f64 v[4:5], v[120:121], v[168:169], -v[4:5]
	v_add_f64 v[0:1], v[0:1], v[4:5]
	v_mul_f64 v[4:5], v[126:127], v[178:179]
	v_fma_f64 v[4:5], v[124:125], v[176:177], -v[4:5]
	v_add_f64 v[0:1], v[0:1], v[4:5]
	v_mul_f64 v[4:5], v[162:163], v[190:191]
	v_fma_f64 v[4:5], v[160:161], v[188:189], -v[4:5]
	v_add_f64 v[0:1], v[0:1], v[4:5]
	v_mul_f64 v[4:5], v[130:131], v[194:195]
	v_fma_f64 v[4:5], v[128:129], v[192:193], -v[4:5]
	v_add_f64 v[0:1], v[0:1], v[4:5]
	v_mul_f64 v[4:5], v[134:135], v[94:95]
	v_fma_f64 v[4:5], v[132:133], v[92:93], -v[4:5]
	v_add_f64 v[0:1], v[0:1], v[4:5]
	v_mul_f64 v[4:5], v[146:147], v[90:91]
	v_fma_f64 v[4:5], v[144:145], v[88:89], -v[4:5]
	v_add_f64 v[0:1], v[0:1], v[4:5]
	v_mul_f64 v[4:5], v[138:139], v[98:99]
	v_fma_f64 v[4:5], v[136:137], v[96:97], -v[4:5]
	v_add_f64 v[0:1], v[0:1], v[4:5]
	v_mul_f64 v[4:5], v[174:175], v[150:151]
	v_fma_f64 v[4:5], v[172:173], v[148:149], -v[4:5]
	v_add_f64 v[0:1], v[0:1], v[4:5]
	v_mul_f64 v[4:5], v[186:187], v[182:183]
	v_fma_f64 v[4:5], v[184:185], v[180:181], -v[4:5]
	v_add_f64 v[0:1], v[0:1], v[4:5]
	v_mul_f64 v[4:5], v[206:207], v[210:211]
	v_fma_f64 v[4:5], v[204:205], v[208:209], -v[4:5]
	v_add_f64 v[0:1], v[0:1], v[4:5]
	s_waitcnt vmcnt(0)
	v_add_f64 v[4:5], v[216:217], -v[0:1]
	v_add_f64 v[6:7], v[218:219], -v[2:3]
	scratch_store_dwordx4 off, v[4:7], off offset:320
	s_and_saveexec_b64 s[0:1], vcc
	s_cbranch_execz .LBB125_361
; %bb.360:
	scratch_load_dwordx4 v[2:5], off, s70
	v_mov_b32_e32 v6, 0
	v_mov_b32_e32 v7, v6
	;; [unrolled: 1-line block ×4, first 2 shown]
	v_accvgpr_read_b32 v0, a1
	scratch_store_dwordx4 off, v[6:9], off offset:304
	s_waitcnt vmcnt(1)
	ds_write_b128 v0, v[2:5]
.LBB125_361:
	s_or_b64 exec, exec, s[0:1]
	s_waitcnt lgkmcnt(0)
	; wave barrier
	scratch_load_dwordx4 v[96:99], off, off offset:320
	scratch_load_dwordx4 v[100:103], off, off offset:336
	;; [unrolled: 1-line block ×30, first 2 shown]
	v_mov_b32_e32 v2, 0
	ds_read_b128 v[136:139], v2 offset:1296
	ds_read_b128 v[144:147], v2 offset:1312
	;; [unrolled: 1-line block ×20, first 2 shown]
	v_cmp_lt_u32_e32 vcc, 17, v254
	s_waitcnt vmcnt(29) lgkmcnt(14)
	v_mul_f64 v[0:1], v[136:137], v[98:99]
	s_waitcnt vmcnt(28)
	v_mul_f64 v[72:73], v[144:145], v[102:103]
	v_fmac_f64_e32 v[0:1], v[138:139], v[96:97]
	s_waitcnt vmcnt(27)
	v_mul_f64 v[74:75], v[148:149], v[106:107]
	v_fmac_f64_e32 v[72:73], v[146:147], v[100:101]
	v_add_f64 v[0:1], v[0:1], 0
	s_waitcnt vmcnt(26)
	v_mul_f64 v[76:77], v[164:165], v[110:111]
	v_fmac_f64_e32 v[74:75], v[150:151], v[104:105]
	v_add_f64 v[0:1], v[0:1], v[72:73]
	;; [unrolled: 4-line block ×4, first 2 shown]
	s_waitcnt vmcnt(23) lgkmcnt(13)
	v_mul_f64 v[82:83], v[200:201], v[158:159]
	v_fmac_f64_e32 v[80:81], v[190:191], v[152:153]
	v_add_f64 v[0:1], v[0:1], v[78:79]
	s_waitcnt vmcnt(22) lgkmcnt(12)
	v_mul_f64 v[84:85], v[208:209], v[162:163]
	v_fmac_f64_e32 v[82:83], v[202:203], v[156:157]
	v_add_f64 v[0:1], v[0:1], v[80:81]
	;; [unrolled: 4-line block ×9, first 2 shown]
	s_waitcnt vmcnt(14) lgkmcnt(4)
	v_mul_f64 v[120:121], v[68:69], v[6:7]
	v_fmac_f64_e32 v[118:119], v[250:251], v[204:205]
	v_accvgpr_write_b32 a129, v7
	v_add_f64 v[0:1], v[0:1], v[116:117]
	v_fmac_f64_e32 v[120:121], v[70:71], v[4:5]
	v_accvgpr_write_b32 a128, v6
	v_accvgpr_write_b32 a127, v5
	;; [unrolled: 1-line block ×3, first 2 shown]
	v_add_f64 v[0:1], v[0:1], v[118:119]
	ds_read_b128 v[116:119], v2 offset:1568
	s_waitcnt vmcnt(13)
	v_mov_b64_e32 v[4:5], v[8:9]
	v_mov_b64_e32 v[6:7], v[10:11]
	s_waitcnt lgkmcnt(4)
	v_mul_f64 v[76:77], v[64:65], v[6:7]
	scratch_load_dwordx4 v[72:75], off, off offset:800
	v_add_f64 v[0:1], v[0:1], v[120:121]
	v_fmac_f64_e32 v[76:77], v[66:67], v[4:5]
	s_waitcnt vmcnt(13)
	v_mov_b64_e32 v[4:5], v[12:13]
	v_add_f64 v[0:1], v[0:1], v[76:77]
	v_mov_b64_e32 v[6:7], v[14:15]
	scratch_load_dwordx4 v[76:79], off, off offset:816
	ds_read_b128 v[120:123], v2 offset:1584
	s_waitcnt lgkmcnt(1)
	v_mul_f64 v[80:81], v[116:117], v[6:7]
	v_fmac_f64_e32 v[80:81], v[118:119], v[4:5]
	v_add_f64 v[0:1], v[0:1], v[80:81]
	scratch_load_dwordx4 v[80:83], off, off offset:832
	s_waitcnt vmcnt(14) lgkmcnt(0)
	v_mul_f64 v[84:85], v[120:121], v[236:237]
	v_fmac_f64_e32 v[84:85], v[122:123], v[234:235]
	s_waitcnt vmcnt(13)
	v_mul_f64 v[88:89], v[124:125], v[22:23]
	v_add_f64 v[0:1], v[0:1], v[84:85]
	v_fmac_f64_e32 v[88:89], v[126:127], v[20:21]
	scratch_load_dwordx4 v[84:87], off, off offset:848
	v_add_f64 v[0:1], v[0:1], v[88:89]
	s_waitcnt vmcnt(13)
	v_mul_f64 v[88:89], v[128:129], v[26:27]
	v_fmac_f64_e32 v[88:89], v[130:131], v[24:25]
	v_add_f64 v[0:1], v[0:1], v[88:89]
	scratch_load_dwordx4 v[88:91], off, off offset:864
	s_waitcnt vmcnt(13)
	v_mul_f64 v[92:93], v[132:133], v[30:31]
	v_fmac_f64_e32 v[92:93], v[134:135], v[28:29]
	v_add_f64 v[0:1], v[0:1], v[92:93]
	scratch_load_dwordx4 v[92:95], off, off offset:880
	v_mul_f64 v[98:99], v[138:139], v[98:99]
	v_fma_f64 v[240:241], v[136:137], v[96:97], -v[98:99]
	v_mul_f64 v[96:97], v[146:147], v[102:103]
	ds_read_b128 v[140:143], v2 offset:1648
	ds_read_b128 v[136:139], v2 offset:1664
	v_fma_f64 v[242:243], v[144:145], v[100:101], -v[96:97]
	scratch_load_dwordx4 v[100:103], off, off offset:896
	scratch_load_dwordx4 v[96:99], off, off offset:912
	v_mul_f64 v[106:107], v[150:151], v[106:107]
	v_fma_f64 v[252:253], v[148:149], v[104:105], -v[106:107]
	v_mul_f64 v[104:105], v[166:167], v[110:111]
	v_fma_f64 v[232:233], v[164:165], v[108:109], -v[104:105]
	scratch_load_dwordx4 v[104:107], off, off offset:928
	v_mul_f64 v[108:109], v[178:179], v[114:115]
	v_fma_f64 v[16:17], v[176:177], v[112:113], -v[108:109]
	scratch_load_dwordx4 v[108:111], off, off offset:944
	scratch_load_dwordx4 v[112:115], off, off offset:960
	s_waitcnt vmcnt(18) lgkmcnt(1)
	v_mul_f64 v[144:145], v[140:141], v[34:35]
	v_fmac_f64_e32 v[144:145], v[142:143], v[32:33]
	v_add_f64 v[0:1], v[0:1], v[144:145]
	s_waitcnt vmcnt(17) lgkmcnt(0)
	v_mul_f64 v[144:145], v[136:137], v[38:39]
	v_fmac_f64_e32 v[144:145], v[138:139], v[36:37]
	v_add_f64 v[0:1], v[0:1], v[144:145]
	ds_read_b128 v[144:147], v2 offset:1680
	ds_read_b128 v[148:151], v2 offset:1696
	v_accvgpr_write_b32 a137, v15
	v_accvgpr_write_b32 a136, v14
	;; [unrolled: 1-line block ×3, first 2 shown]
	s_waitcnt vmcnt(16) lgkmcnt(1)
	v_mul_f64 v[6:7], v[144:145], v[42:43]
	v_fmac_f64_e32 v[6:7], v[146:147], v[40:41]
	v_add_f64 v[0:1], v[0:1], v[6:7]
	v_mul_f64 v[6:7], v[190:191], v[154:155]
	v_accvgpr_write_b32 a134, v12
	v_fma_f64 v[12:13], v[188:189], v[152:153], -v[6:7]
	ds_read_b128 v[152:155], v2 offset:1712
	s_waitcnt vmcnt(15) lgkmcnt(1)
	v_mul_f64 v[6:7], v[148:149], v[46:47]
	v_fmac_f64_e32 v[6:7], v[150:151], v[44:45]
	v_accvgpr_write_b32 a133, v11
	v_add_f64 v[0:1], v[0:1], v[6:7]
	v_mul_f64 v[6:7], v[202:203], v[158:159]
	v_accvgpr_write_b32 a132, v10
	v_accvgpr_write_b32 a131, v9
	;; [unrolled: 1-line block ×3, first 2 shown]
	v_fma_f64 v[10:11], v[200:201], v[156:157], -v[6:7]
	ds_read_b128 v[156:159], v2 offset:1728
	s_waitcnt vmcnt(14) lgkmcnt(1)
	v_mul_f64 v[6:7], v[152:153], v[50:51]
	v_fmac_f64_e32 v[6:7], v[154:155], v[48:49]
	v_add_f64 v[0:1], v[0:1], v[6:7]
	v_mul_f64 v[6:7], v[210:211], v[162:163]
	v_fma_f64 v[8:9], v[208:209], v[160:161], -v[6:7]
	ds_read_b128 v[160:163], v2 offset:1744
	ds_read_b128 v[164:167], v2 offset:1760
	s_waitcnt vmcnt(13) lgkmcnt(2)
	v_mul_f64 v[6:7], v[156:157], v[54:55]
	v_fmac_f64_e32 v[6:7], v[158:159], v[52:53]
	v_add_f64 v[0:1], v[0:1], v[6:7]
	s_waitcnt vmcnt(12) lgkmcnt(1)
	v_mul_f64 v[6:7], v[160:161], v[62:63]
	v_fmac_f64_e32 v[6:7], v[162:163], v[60:61]
	v_add_f64 v[0:1], v[0:1], v[6:7]
	v_mul_f64 v[6:7], v[214:215], v[170:171]
	v_fma_f64 v[14:15], v[212:213], v[168:169], -v[6:7]
	s_waitcnt vmcnt(11) lgkmcnt(0)
	v_mul_f64 v[6:7], v[164:165], v[58:59]
	v_fmac_f64_e32 v[6:7], v[166:167], v[56:57]
	ds_read_b128 v[168:171], v2 offset:1776
	v_add_f64 v[0:1], v[0:1], v[6:7]
	v_mul_f64 v[6:7], v[218:219], v[174:175]
	v_fma_f64 v[4:5], v[216:217], v[172:173], -v[6:7]
	ds_read_b128 v[172:175], v2 offset:1792
	s_waitcnt vmcnt(10) lgkmcnt(1)
	v_mul_f64 v[6:7], v[168:169], v[74:75]
	ds_read_b128 v[176:179], v2 offset:1808
	v_fmac_f64_e32 v[6:7], v[170:171], v[72:73]
	v_add_f64 v[0:1], v[0:1], v[6:7]
	s_waitcnt vmcnt(9) lgkmcnt(1)
	v_mul_f64 v[6:7], v[172:173], v[78:79]
	v_fmac_f64_e32 v[6:7], v[174:175], v[76:77]
	v_add_f64 v[0:1], v[0:1], v[6:7]
	v_mul_f64 v[6:7], v[222:223], v[182:183]
	v_fma_f64 v[18:19], v[220:221], v[180:181], -v[6:7]
	ds_read_b128 v[180:183], v2 offset:1824
	s_waitcnt vmcnt(8) lgkmcnt(1)
	v_mul_f64 v[6:7], v[176:177], v[82:83]
	v_fmac_f64_e32 v[6:7], v[178:179], v[80:81]
	v_add_f64 v[0:1], v[0:1], v[6:7]
	v_mul_f64 v[6:7], v[226:227], v[186:187]
	v_fma_f64 v[6:7], v[224:225], v[184:185], -v[6:7]
	ds_read_b128 v[184:187], v2 offset:1840
	s_waitcnt vmcnt(7) lgkmcnt(1)
	v_mul_f64 v[188:189], v[180:181], v[86:87]
	v_fmac_f64_e32 v[188:189], v[182:183], v[84:85]
	v_add_f64 v[0:1], v[0:1], v[188:189]
	ds_read_b128 v[188:191], v2 offset:1856
	s_waitcnt vmcnt(6) lgkmcnt(1)
	v_mul_f64 v[200:201], v[184:185], v[90:91]
	v_fmac_f64_e32 v[200:201], v[186:187], v[88:89]
	v_add_f64 v[200:201], v[0:1], v[200:201]
	v_mul_f64 v[0:1], v[230:231], v[194:195]
	v_fma_f64 v[0:1], v[228:229], v[192:193], -v[0:1]
	ds_read_b128 v[192:195], v2 offset:1872
	s_waitcnt vmcnt(5) lgkmcnt(1)
	v_mul_f64 v[202:203], v[188:189], v[94:95]
	v_fmac_f64_e32 v[202:203], v[190:191], v[92:93]
	v_mul_f64 v[198:199], v[246:247], v[198:199]
	v_fma_f64 v[238:239], v[244:245], v[196:197], -v[198:199]
	ds_read_b128 v[196:199], v2 offset:1888
	v_add_f64 v[200:201], v[200:201], v[202:203]
	s_waitcnt vmcnt(4) lgkmcnt(1)
	v_mul_f64 v[202:203], v[192:193], v[102:103]
	v_fmac_f64_e32 v[202:203], v[194:195], v[100:101]
	v_add_f64 v[208:209], v[200:201], v[202:203]
	ds_read_b128 v[200:203], v2 offset:1904
	v_mul_f64 v[206:207], v[250:251], v[206:207]
	v_fma_f64 v[244:245], v[248:249], v[204:205], -v[206:207]
	ds_read_b128 v[204:207], v2 offset:1920
	s_waitcnt vmcnt(3) lgkmcnt(2)
	v_mul_f64 v[210:211], v[196:197], v[98:99]
	v_fmac_f64_e32 v[210:211], v[198:199], v[96:97]
	v_add_f64 v[208:209], v[208:209], v[210:211]
	s_waitcnt vmcnt(2) lgkmcnt(1)
	v_mul_f64 v[210:211], v[200:201], v[106:107]
	v_fmac_f64_e32 v[210:211], v[202:203], v[104:105]
	v_add_f64 v[208:209], v[208:209], v[210:211]
	;; [unrolled: 4-line block ×3, first 2 shown]
	ds_read_b128 v[208:211], v2 offset:1936
	ds_read_b128 v[216:219], v2 offset:1952
	;; [unrolled: 1-line block ×3, first 2 shown]
	s_waitcnt vmcnt(0) lgkmcnt(2)
	v_mul_f64 v[214:215], v[208:209], v[114:115]
	v_fmac_f64_e32 v[214:215], v[210:211], v[112:113]
	v_add_f64 v[220:221], v[212:213], v[214:215]
	scratch_load_dwordx4 v[212:215], off, off offset:976
	s_waitcnt vmcnt(0) lgkmcnt(1)
	v_mul_f64 v[222:223], v[216:217], v[214:215]
	v_fmac_f64_e32 v[222:223], v[218:219], v[212:213]
	v_add_f64 v[228:229], v[220:221], v[222:223]
	scratch_load_dwordx4 v[220:223], off, off offset:992
	s_waitcnt vmcnt(0) lgkmcnt(0)
	v_mul_f64 v[230:231], v[224:225], v[222:223]
	v_fmac_f64_e32 v[230:231], v[226:227], v[220:221]
	v_add_f64 v[248:249], v[228:229], v[230:231]
	v_add_f64 v[228:229], v[240:241], 0
	;; [unrolled: 1-line block ×6, first 2 shown]
	scratch_load_dwordx4 v[228:231], off, off offset:304
	v_add_f64 v[12:13], v[16:17], v[12:13]
	v_add_f64 v[10:11], v[12:13], v[10:11]
	v_add_f64 v[8:9], v[10:11], v[8:9]
	v_add_f64 v[8:9], v[8:9], v[14:15]
	v_add_f64 v[4:5], v[8:9], v[4:5]
	v_add_f64 v[246:247], v[4:5], v[18:19]
	v_add_f64 v[4:5], v[246:247], v[6:7]
	v_accvgpr_read_b32 v6, a126
	v_accvgpr_read_b32 v8, a128
	;; [unrolled: 1-line block ×3, first 2 shown]
	v_add_f64 v[0:1], v[4:5], v[0:1]
	v_accvgpr_read_b32 v7, a127
	v_mul_f64 v[4:5], v[70:71], v[8:9]
	v_add_f64 v[0:1], v[0:1], v[238:239]
	v_fma_f64 v[4:5], v[68:69], v[6:7], -v[4:5]
	v_accvgpr_read_b32 v6, a130
	v_add_f64 v[0:1], v[0:1], v[244:245]
	v_accvgpr_read_b32 v8, a132
	v_accvgpr_read_b32 v9, a133
	v_add_f64 v[0:1], v[0:1], v[4:5]
	v_accvgpr_read_b32 v7, a131
	v_mul_f64 v[4:5], v[66:67], v[8:9]
	v_fma_f64 v[4:5], v[64:65], v[6:7], -v[4:5]
	v_accvgpr_read_b32 v6, a134
	v_accvgpr_read_b32 v8, a136
	;; [unrolled: 1-line block ×3, first 2 shown]
	v_add_f64 v[0:1], v[0:1], v[4:5]
	v_accvgpr_read_b32 v7, a135
	v_mul_f64 v[4:5], v[118:119], v[8:9]
	v_fma_f64 v[4:5], v[116:117], v[6:7], -v[4:5]
	v_add_f64 v[0:1], v[0:1], v[4:5]
	v_mul_f64 v[4:5], v[122:123], v[236:237]
	v_fma_f64 v[4:5], v[120:121], v[234:235], -v[4:5]
	v_add_f64 v[0:1], v[0:1], v[4:5]
	v_mul_f64 v[4:5], v[126:127], v[22:23]
	v_fma_f64 v[4:5], v[124:125], v[20:21], -v[4:5]
	v_add_f64 v[0:1], v[0:1], v[4:5]
	v_mul_f64 v[4:5], v[130:131], v[26:27]
	v_fma_f64 v[4:5], v[128:129], v[24:25], -v[4:5]
	v_add_f64 v[0:1], v[0:1], v[4:5]
	v_mul_f64 v[4:5], v[134:135], v[30:31]
	v_fma_f64 v[4:5], v[132:133], v[28:29], -v[4:5]
	v_add_f64 v[0:1], v[0:1], v[4:5]
	v_mul_f64 v[4:5], v[142:143], v[34:35]
	v_fma_f64 v[4:5], v[140:141], v[32:33], -v[4:5]
	v_add_f64 v[0:1], v[0:1], v[4:5]
	v_mul_f64 v[4:5], v[138:139], v[38:39]
	v_fma_f64 v[4:5], v[136:137], v[36:37], -v[4:5]
	v_add_f64 v[0:1], v[0:1], v[4:5]
	v_mul_f64 v[4:5], v[146:147], v[42:43]
	v_fma_f64 v[4:5], v[144:145], v[40:41], -v[4:5]
	v_add_f64 v[0:1], v[0:1], v[4:5]
	v_mul_f64 v[4:5], v[150:151], v[46:47]
	v_fma_f64 v[4:5], v[148:149], v[44:45], -v[4:5]
	v_add_f64 v[0:1], v[0:1], v[4:5]
	v_mul_f64 v[4:5], v[154:155], v[50:51]
	v_fma_f64 v[4:5], v[152:153], v[48:49], -v[4:5]
	v_add_f64 v[0:1], v[0:1], v[4:5]
	v_mul_f64 v[4:5], v[158:159], v[54:55]
	v_fma_f64 v[4:5], v[156:157], v[52:53], -v[4:5]
	v_add_f64 v[0:1], v[0:1], v[4:5]
	v_mul_f64 v[4:5], v[162:163], v[62:63]
	v_fma_f64 v[4:5], v[160:161], v[60:61], -v[4:5]
	v_add_f64 v[0:1], v[0:1], v[4:5]
	v_mul_f64 v[4:5], v[166:167], v[58:59]
	v_fma_f64 v[4:5], v[164:165], v[56:57], -v[4:5]
	v_add_f64 v[0:1], v[0:1], v[4:5]
	v_mul_f64 v[4:5], v[170:171], v[74:75]
	v_fma_f64 v[4:5], v[168:169], v[72:73], -v[4:5]
	v_add_f64 v[0:1], v[0:1], v[4:5]
	v_mul_f64 v[4:5], v[174:175], v[78:79]
	v_fma_f64 v[4:5], v[172:173], v[76:77], -v[4:5]
	v_add_f64 v[0:1], v[0:1], v[4:5]
	v_mul_f64 v[4:5], v[178:179], v[82:83]
	v_fma_f64 v[4:5], v[176:177], v[80:81], -v[4:5]
	v_add_f64 v[0:1], v[0:1], v[4:5]
	v_mul_f64 v[4:5], v[182:183], v[86:87]
	v_fma_f64 v[4:5], v[180:181], v[84:85], -v[4:5]
	v_add_f64 v[0:1], v[0:1], v[4:5]
	v_mul_f64 v[4:5], v[186:187], v[90:91]
	v_fma_f64 v[4:5], v[184:185], v[88:89], -v[4:5]
	v_add_f64 v[0:1], v[0:1], v[4:5]
	v_mul_f64 v[4:5], v[190:191], v[94:95]
	v_fma_f64 v[4:5], v[188:189], v[92:93], -v[4:5]
	v_add_f64 v[0:1], v[0:1], v[4:5]
	v_mul_f64 v[4:5], v[194:195], v[102:103]
	v_fma_f64 v[4:5], v[192:193], v[100:101], -v[4:5]
	v_add_f64 v[0:1], v[0:1], v[4:5]
	v_mul_f64 v[4:5], v[198:199], v[98:99]
	v_fma_f64 v[4:5], v[196:197], v[96:97], -v[4:5]
	v_add_f64 v[0:1], v[0:1], v[4:5]
	v_mul_f64 v[4:5], v[202:203], v[106:107]
	v_fma_f64 v[4:5], v[200:201], v[104:105], -v[4:5]
	v_add_f64 v[0:1], v[0:1], v[4:5]
	v_mul_f64 v[4:5], v[206:207], v[110:111]
	v_fma_f64 v[4:5], v[204:205], v[108:109], -v[4:5]
	v_add_f64 v[0:1], v[0:1], v[4:5]
	v_mul_f64 v[4:5], v[210:211], v[114:115]
	v_fma_f64 v[4:5], v[208:209], v[112:113], -v[4:5]
	v_add_f64 v[0:1], v[0:1], v[4:5]
	v_mul_f64 v[4:5], v[218:219], v[214:215]
	v_fma_f64 v[4:5], v[216:217], v[212:213], -v[4:5]
	v_add_f64 v[0:1], v[0:1], v[4:5]
	v_mul_f64 v[4:5], v[226:227], v[222:223]
	v_fma_f64 v[4:5], v[224:225], v[220:221], -v[4:5]
	v_add_f64 v[0:1], v[0:1], v[4:5]
	s_waitcnt vmcnt(0)
	v_add_f64 v[4:5], v[228:229], -v[0:1]
	v_add_f64 v[6:7], v[230:231], -v[248:249]
	scratch_store_dwordx4 off, v[4:7], off offset:304
	s_and_saveexec_b64 s[0:1], vcc
	s_cbranch_execz .LBB125_363
; %bb.362:
	scratch_load_dwordx4 v[6:9], off, s71
	v_mov_b32_e32 v3, v2
	v_mov_b32_e32 v4, v2
	;; [unrolled: 1-line block ×3, first 2 shown]
	v_accvgpr_read_b32 v0, a1
	scratch_store_dwordx4 off, v[2:5], off offset:288
	s_waitcnt vmcnt(1)
	ds_write_b128 v0, v[6:9]
.LBB125_363:
	s_or_b64 exec, exec, s[0:1]
	s_waitcnt lgkmcnt(0)
	; wave barrier
	scratch_load_dwordx4 v[72:75], off, off offset:304
	scratch_load_dwordx4 v[76:79], off, off offset:320
	;; [unrolled: 1-line block ×17, first 2 shown]
	ds_read_b128 v[176:179], v2 offset:1280
	ds_read_b128 v[192:195], v2 offset:1296
	;; [unrolled: 1-line block ×3, first 2 shown]
	scratch_load_dwordx4 v[62:65], off, off offset:576
	ds_read_b128 v[236:239], v2 offset:1328
	ds_read_b128 v[232:235], v2 offset:1344
	;; [unrolled: 1-line block ×5, first 2 shown]
	scratch_load_dwordx4 v[58:61], off, off offset:592
	ds_read_b128 v[224:227], v2 offset:1408
	ds_read_b128 v[212:215], v2 offset:1424
	;; [unrolled: 1-line block ×3, first 2 shown]
	scratch_load_dwordx4 v[54:57], off, off offset:608
	ds_read_b128 v[216:219], v2 offset:1456
	ds_read_b128 v[204:207], v2 offset:1472
	;; [unrolled: 1-line block ×5, first 2 shown]
	scratch_load_dwordx4 v[50:53], off, off offset:624
	ds_read_b128 v[20:23], v2 offset:1536
	scratch_load_dwordx4 v[46:49], off, off offset:640
	scratch_load_dwordx4 v[38:41], off, off offset:656
	;; [unrolled: 1-line block ×9, first 2 shown]
	ds_read_b128 v[132:135], v2 offset:1552
	ds_read_b128 v[172:175], v2 offset:1616
	s_waitcnt lgkmcnt(3)
	v_accvgpr_write_b32 a133, v19
	s_waitcnt lgkmcnt(2)
	v_accvgpr_write_b32 a161, v23
	v_accvgpr_write_b32 a160, v22
	;; [unrolled: 1-line block ×7, first 2 shown]
	v_cmp_lt_u32_e32 vcc, 16, v254
	ds_read_b128 v[168:171], v2 offset:1600
	s_waitcnt vmcnt(29)
	v_mul_f64 v[0:1], v[176:177], v[74:75]
	s_waitcnt vmcnt(28)
	v_mul_f64 v[136:137], v[192:193], v[78:79]
	v_fmac_f64_e32 v[0:1], v[178:179], v[72:73]
	s_waitcnt vmcnt(27)
	v_mul_f64 v[138:139], v[188:189], v[82:83]
	v_fmac_f64_e32 v[136:137], v[194:195], v[76:77]
	v_add_f64 v[0:1], v[0:1], 0
	s_waitcnt vmcnt(26)
	v_mul_f64 v[140:141], v[236:237], v[86:87]
	v_fmac_f64_e32 v[138:139], v[190:191], v[80:81]
	v_add_f64 v[0:1], v[0:1], v[136:137]
	;; [unrolled: 4-line block ×11, first 2 shown]
	scratch_load_dwordx4 v[136:139], off, off offset:784
	s_waitcnt vmcnt(17)
	v_mul_f64 v[160:161], v[196:197], v[126:127]
	v_fmac_f64_e32 v[158:159], v[206:207], v[120:121]
	v_add_f64 v[0:1], v[0:1], v[156:157]
	s_waitcnt vmcnt(16)
	v_mul_f64 v[162:163], v[184:185], v[130:131]
	v_fmac_f64_e32 v[160:161], v[198:199], v[124:125]
	v_add_f64 v[0:1], v[0:1], v[158:159]
	;; [unrolled: 4-line block ×3, first 2 shown]
	v_fmac_f64_e32 v[164:165], v[18:19], v[4:5]
	v_add_f64 v[0:1], v[0:1], v[162:163]
	s_waitcnt vmcnt(14)
	v_mul_f64 v[140:141], v[20:21], v[68:69]
	v_add_f64 v[0:1], v[0:1], v[164:165]
	v_fmac_f64_e32 v[140:141], v[22:23], v[66:67]
	ds_read_b128 v[160:163], v2 offset:1568
	s_waitcnt vmcnt(13) lgkmcnt(3)
	v_mul_f64 v[144:145], v[132:133], v[64:65]
	v_add_f64 v[0:1], v[0:1], v[140:141]
	v_fmac_f64_e32 v[144:145], v[134:135], v[62:63]
	scratch_load_dwordx4 v[140:143], off, off offset:800
	ds_read_b128 v[164:167], v2 offset:1584
	v_add_f64 v[0:1], v[0:1], v[144:145]
	scratch_load_dwordx4 v[144:147], off, off offset:816
	s_waitcnt vmcnt(14) lgkmcnt(1)
	v_mul_f64 v[148:149], v[160:161], v[60:61]
	v_fmac_f64_e32 v[148:149], v[162:163], v[58:59]
	s_waitcnt vmcnt(13) lgkmcnt(0)
	v_mul_f64 v[152:153], v[164:165], v[56:57]
	v_add_f64 v[0:1], v[0:1], v[148:149]
	v_fmac_f64_e32 v[152:153], v[166:167], v[54:55]
	scratch_load_dwordx4 v[148:151], off, off offset:832
	v_add_f64 v[0:1], v[0:1], v[152:153]
	s_waitcnt vmcnt(13)
	v_mul_f64 v[152:153], v[168:169], v[52:53]
	v_fmac_f64_e32 v[152:153], v[170:171], v[50:51]
	v_add_f64 v[0:1], v[0:1], v[152:153]
	scratch_load_dwordx4 v[152:155], off, off offset:848
	s_waitcnt vmcnt(13)
	v_mul_f64 v[156:157], v[172:173], v[48:49]
	v_fmac_f64_e32 v[156:157], v[174:175], v[46:47]
	v_mul_f64 v[74:75], v[178:179], v[74:75]
	v_add_f64 v[0:1], v[0:1], v[156:157]
	scratch_load_dwordx4 v[156:159], off, off offset:864
	v_fma_f64 v[240:241], v[176:177], v[72:73], -v[74:75]
	v_mul_f64 v[72:73], v[194:195], v[78:79]
	ds_read_b128 v[180:183], v2 offset:1632
	ds_read_b128 v[176:179], v2 offset:1648
	v_fma_f64 v[242:243], v[192:193], v[76:77], -v[72:73]
	scratch_load_dwordx4 v[76:79], off, off offset:880
	scratch_load_dwordx4 v[72:75], off, off offset:896
	v_mul_f64 v[82:83], v[190:191], v[82:83]
	v_fma_f64 v[248:249], v[188:189], v[80:81], -v[82:83]
	v_mul_f64 v[80:81], v[238:239], v[86:87]
	v_fma_f64 v[236:237], v[236:237], v[84:85], -v[80:81]
	scratch_load_dwordx4 v[80:83], off, off offset:912
	ds_read_b128 v[188:191], v2 offset:1664
	v_mul_f64 v[84:85], v[234:235], v[90:91]
	s_waitcnt vmcnt(16) lgkmcnt(2)
	v_mul_f64 v[192:193], v[180:181], v[40:41]
	v_fma_f64 v[238:239], v[232:233], v[88:89], -v[84:85]
	scratch_load_dwordx4 v[84:87], off, off offset:928
	v_fmac_f64_e32 v[192:193], v[182:183], v[38:39]
	v_add_f64 v[0:1], v[0:1], v[192:193]
	s_waitcnt vmcnt(16) lgkmcnt(1)
	v_mul_f64 v[192:193], v[176:177], v[44:45]
	v_fmac_f64_e32 v[192:193], v[178:179], v[42:43]
	v_add_f64 v[0:1], v[0:1], v[192:193]
	ds_read_b128 v[192:195], v2 offset:1680
	s_waitcnt vmcnt(15) lgkmcnt(1)
	v_mul_f64 v[88:89], v[188:189], v[36:37]
	v_fmac_f64_e32 v[88:89], v[190:191], v[34:35]
	v_add_f64 v[0:1], v[0:1], v[88:89]
	v_mul_f64 v[88:89], v[230:231], v[94:95]
	v_fma_f64 v[250:251], v[228:229], v[92:93], -v[88:89]
	scratch_load_dwordx4 v[88:91], off, off offset:944
	scratch_load_dwordx4 v[232:235], off, off offset:992
	ds_read_b128 v[92:95], v2 offset:1696
	v_mul_f64 v[98:99], v[222:223], v[98:99]
	v_fma_f64 v[252:253], v[220:221], v[96:97], -v[98:99]
	ds_read_b128 v[96:99], v2 offset:1712
	v_mul_f64 v[102:103], v[210:211], v[102:103]
	s_waitcnt vmcnt(16) lgkmcnt(2)
	v_mul_f64 v[228:229], v[192:193], v[32:33]
	v_fma_f64 v[244:245], v[208:209], v[100:101], -v[102:103]
	ds_read_b128 v[100:103], v2 offset:1728
	ds_read_b128 v[208:211], v2 offset:1744
	v_fmac_f64_e32 v[228:229], v[194:195], v[30:31]
	s_waitcnt vmcnt(15) lgkmcnt(3)
	v_mul_f64 v[220:221], v[92:93], v[28:29]
	s_waitcnt vmcnt(14)
	v_accvgpr_read_b32 v22, a146
	v_add_f64 v[0:1], v[0:1], v[228:229]
	v_fmac_f64_e32 v[220:221], v[94:95], v[26:27]
	v_accvgpr_read_b32 v24, a148
	v_accvgpr_read_b32 v25, a149
	v_add_f64 v[0:1], v[0:1], v[220:221]
	v_accvgpr_read_b32 v23, a147
	s_waitcnt lgkmcnt(2)
	v_mul_f64 v[220:221], v[96:97], v[24:25]
	s_waitcnt vmcnt(13)
	v_accvgpr_read_b32 v18, a154
	v_mul_f64 v[106:107], v[226:227], v[106:107]
	v_fmac_f64_e32 v[220:221], v[98:99], v[22:23]
	v_accvgpr_read_b32 v20, a156
	v_accvgpr_read_b32 v21, a157
	v_fma_f64 v[12:13], v[224:225], v[104:105], -v[106:107]
	s_waitcnt vmcnt(12)
	v_accvgpr_read_b32 v14, a150
	ds_read_b128 v[104:107], v2 offset:1760
	v_accvgpr_write_b32 a129, v7
	v_add_f64 v[0:1], v[0:1], v[220:221]
	v_accvgpr_read_b32 v19, a155
	s_waitcnt lgkmcnt(2)
	v_mul_f64 v[220:221], v[100:101], v[20:21]
	v_accvgpr_read_b32 v16, a152
	v_accvgpr_read_b32 v17, a153
	v_accvgpr_write_b32 a128, v6
	v_accvgpr_write_b32 a127, v5
	;; [unrolled: 1-line block ×3, first 2 shown]
	v_fmac_f64_e32 v[220:221], v[102:103], v[18:19]
	v_accvgpr_read_b32 v15, a151
	s_waitcnt lgkmcnt(1)
	v_mul_f64 v[6:7], v[208:209], v[16:17]
	v_add_f64 v[0:1], v[0:1], v[220:221]
	v_fmac_f64_e32 v[6:7], v[210:211], v[14:15]
	v_add_f64 v[0:1], v[0:1], v[6:7]
	v_mul_f64 v[6:7], v[214:215], v[110:111]
	v_fma_f64 v[8:9], v[212:213], v[108:109], -v[6:7]
	ds_read_b128 v[108:111], v2 offset:1776
	s_waitcnt vmcnt(11) lgkmcnt(1)
	v_mul_f64 v[212:213], v[104:105], v[138:139]
	v_fmac_f64_e32 v[212:213], v[106:107], v[136:137]
	v_add_f64 v[0:1], v[0:1], v[212:213]
	ds_read_b128 v[212:215], v2 offset:1792
	s_waitcnt vmcnt(10) lgkmcnt(1)
	v_mul_f64 v[220:221], v[108:109], v[142:143]
	v_mul_f64 v[114:115], v[202:203], v[114:115]
	v_fmac_f64_e32 v[220:221], v[110:111], v[140:141]
	v_fma_f64 v[6:7], v[200:201], v[112:113], -v[114:115]
	ds_read_b128 v[112:115], v2 offset:1808
	s_waitcnt vmcnt(9) lgkmcnt(1)
	v_mul_f64 v[10:11], v[212:213], v[146:147]
	v_add_f64 v[0:1], v[0:1], v[220:221]
	v_fmac_f64_e32 v[10:11], v[214:215], v[144:145]
	v_add_f64 v[0:1], v[0:1], v[10:11]
	v_mul_f64 v[10:11], v[218:219], v[118:119]
	v_fma_f64 v[10:11], v[216:217], v[116:117], -v[10:11]
	ds_read_b128 v[116:119], v2 offset:1824
	s_waitcnt vmcnt(8) lgkmcnt(1)
	v_mul_f64 v[200:201], v[112:113], v[150:151]
	v_fmac_f64_e32 v[200:201], v[114:115], v[148:149]
	v_add_f64 v[0:1], v[0:1], v[200:201]
	ds_read_b128 v[200:203], v2 offset:1840
	s_waitcnt vmcnt(7) lgkmcnt(1)
	v_mul_f64 v[216:217], v[116:117], v[154:155]
	v_fmac_f64_e32 v[216:217], v[118:119], v[152:153]
	v_add_f64 v[216:217], v[0:1], v[216:217]
	v_mul_f64 v[0:1], v[206:207], v[122:123]
	v_fma_f64 v[4:5], v[204:205], v[120:121], -v[0:1]
	ds_read_b128 v[120:123], v2 offset:1856
	s_waitcnt vmcnt(6) lgkmcnt(1)
	v_mul_f64 v[204:205], v[200:201], v[158:159]
	v_mul_f64 v[126:127], v[198:199], v[126:127]
	v_fmac_f64_e32 v[204:205], v[202:203], v[156:157]
	v_fma_f64 v[70:71], v[196:197], v[124:125], -v[126:127]
	ds_read_b128 v[124:127], v2 offset:1872
	s_waitcnt vmcnt(5) lgkmcnt(1)
	v_mul_f64 v[198:199], v[120:121], v[78:79]
	v_add_f64 v[196:197], v[216:217], v[204:205]
	v_fmac_f64_e32 v[198:199], v[122:123], v[76:77]
	v_add_f64 v[204:205], v[196:197], v[198:199]
	ds_read_b128 v[196:199], v2 offset:1888
	v_mul_f64 v[130:131], v[186:187], v[130:131]
	v_fma_f64 v[246:247], v[184:185], v[128:129], -v[130:131]
	ds_read_b128 v[128:131], v2 offset:1904
	s_waitcnt vmcnt(4) lgkmcnt(2)
	v_mul_f64 v[184:185], v[124:125], v[74:75]
	v_fmac_f64_e32 v[184:185], v[126:127], v[72:73]
	s_waitcnt vmcnt(3) lgkmcnt(1)
	v_mul_f64 v[186:187], v[196:197], v[82:83]
	v_add_f64 v[184:185], v[204:205], v[184:185]
	v_fmac_f64_e32 v[186:187], v[198:199], v[80:81]
	v_add_f64 v[184:185], v[184:185], v[186:187]
	s_waitcnt vmcnt(2) lgkmcnt(0)
	v_mul_f64 v[186:187], v[128:129], v[86:87]
	v_fmac_f64_e32 v[186:187], v[130:131], v[84:85]
	v_add_f64 v[204:205], v[184:185], v[186:187]
	ds_read_b128 v[184:187], v2 offset:1920
	ds_read_b128 v[216:219], v2 offset:1936
	;; [unrolled: 1-line block ×3, first 2 shown]
	s_waitcnt vmcnt(1) lgkmcnt(2)
	v_mul_f64 v[206:207], v[184:185], v[90:91]
	v_fmac_f64_e32 v[206:207], v[186:187], v[88:89]
	v_add_f64 v[220:221], v[204:205], v[206:207]
	scratch_load_dwordx4 v[204:207], off, off offset:960
	s_waitcnt vmcnt(0) lgkmcnt(1)
	v_mul_f64 v[222:223], v[216:217], v[206:207]
	v_fmac_f64_e32 v[222:223], v[218:219], v[204:205]
	v_add_f64 v[228:229], v[220:221], v[222:223]
	scratch_load_dwordx4 v[220:223], off, off offset:976
	s_waitcnt vmcnt(0) lgkmcnt(0)
	v_mul_f64 v[230:231], v[224:225], v[222:223]
	v_fmac_f64_e32 v[230:231], v[226:227], v[220:221]
	v_add_f64 v[0:1], v[228:229], v[230:231]
	ds_read_b128 v[228:231], v2 offset:1968
	s_waitcnt lgkmcnt(0)
	v_mul_f64 v[2:3], v[228:229], v[234:235]
	v_fmac_f64_e32 v[2:3], v[230:231], v[232:233]
	v_add_f64 v[2:3], v[0:1], v[2:3]
	v_add_f64 v[0:1], v[240:241], 0
	;; [unrolled: 1-line block ×6, first 2 shown]
	scratch_load_dwordx4 v[236:239], off, off offset:288
	v_add_f64 v[0:1], v[0:1], v[250:251]
	v_add_f64 v[0:1], v[0:1], v[252:253]
	;; [unrolled: 1-line block ×7, first 2 shown]
	v_accvgpr_read_b32 v6, a126
	v_accvgpr_read_b32 v10, a130
	;; [unrolled: 1-line block ×6, first 2 shown]
	v_add_f64 v[248:249], v[0:1], v[4:5]
	v_accvgpr_read_b32 v7, a127
	v_accvgpr_read_b32 v11, a131
	v_mul_f64 v[4:5], v[12:13], v[8:9]
	v_add_f64 v[0:1], v[248:249], v[70:71]
	v_fma_f64 v[4:5], v[10:11], v[6:7], -v[4:5]
	v_accvgpr_read_b32 v6, a158
	v_add_f64 v[0:1], v[0:1], v[246:247]
	v_accvgpr_read_b32 v8, a160
	v_accvgpr_read_b32 v9, a161
	v_add_f64 v[0:1], v[0:1], v[4:5]
	v_accvgpr_read_b32 v7, a159
	v_mul_f64 v[4:5], v[8:9], v[68:69]
	v_fma_f64 v[4:5], v[6:7], v[66:67], -v[4:5]
	v_add_f64 v[0:1], v[0:1], v[4:5]
	v_mul_f64 v[4:5], v[134:135], v[64:65]
	v_fma_f64 v[4:5], v[132:133], v[62:63], -v[4:5]
	v_add_f64 v[0:1], v[0:1], v[4:5]
	;; [unrolled: 3-line block ×28, first 2 shown]
	s_waitcnt vmcnt(0)
	v_add_f64 v[4:5], v[236:237], -v[0:1]
	v_add_f64 v[6:7], v[238:239], -v[2:3]
	scratch_store_dwordx4 off, v[4:7], off offset:288
	s_and_saveexec_b64 s[0:1], vcc
	s_cbranch_execz .LBB125_365
; %bb.364:
	scratch_load_dwordx4 v[2:5], off, s72
	v_mov_b32_e32 v6, 0
	v_mov_b32_e32 v7, v6
	v_mov_b32_e32 v8, v6
	v_mov_b32_e32 v9, v6
	v_accvgpr_read_b32 v0, a1
	scratch_store_dwordx4 off, v[6:9], off offset:272
	s_waitcnt vmcnt(1)
	ds_write_b128 v0, v[2:5]
.LBB125_365:
	s_or_b64 exec, exec, s[0:1]
	s_waitcnt lgkmcnt(0)
	; wave barrier
	scratch_load_dwordx4 v[80:83], off, off offset:288
	scratch_load_dwordx4 v[84:87], off, off offset:304
	;; [unrolled: 1-line block ×29, first 2 shown]
	v_mov_b32_e32 v2, 0
	ds_read_b128 v[132:135], v2 offset:1264
	ds_read_b128 v[136:139], v2 offset:1280
	;; [unrolled: 1-line block ×22, first 2 shown]
	v_cmp_lt_u32_e32 vcc, 15, v254
	s_waitcnt vmcnt(28) lgkmcnt(14)
	v_mul_f64 v[0:1], v[132:133], v[82:83]
	s_waitcnt vmcnt(27)
	v_mul_f64 v[56:57], v[136:137], v[86:87]
	v_fmac_f64_e32 v[0:1], v[134:135], v[80:81]
	s_waitcnt vmcnt(26)
	v_mul_f64 v[58:59], v[140:141], v[90:91]
	v_fmac_f64_e32 v[56:57], v[138:139], v[84:85]
	v_add_f64 v[0:1], v[0:1], 0
	s_waitcnt vmcnt(25)
	v_mul_f64 v[60:61], v[148:149], v[94:95]
	v_fmac_f64_e32 v[58:59], v[142:143], v[88:89]
	v_add_f64 v[0:1], v[0:1], v[56:57]
	;; [unrolled: 4-line block ×6, first 2 shown]
	s_waitcnt vmcnt(20) lgkmcnt(13)
	v_mul_f64 v[70:71], v[204:205], v[154:155]
	v_fmac_f64_e32 v[68:69], v[198:199], v[144:145]
	v_add_f64 v[0:1], v[0:1], v[66:67]
	s_waitcnt vmcnt(19) lgkmcnt(12)
	v_mul_f64 v[72:73], v[208:209], v[158:159]
	v_fmac_f64_e32 v[70:71], v[206:207], v[152:153]
	v_add_f64 v[0:1], v[0:1], v[68:69]
	;; [unrolled: 4-line block ×8, first 2 shown]
	v_fmac_f64_e32 v[112:113], v[246:247], v[192:193]
	v_add_f64 v[0:1], v[0:1], v[110:111]
	s_waitcnt vmcnt(12) lgkmcnt(5)
	v_mul_f64 v[60:61], v[248:249], v[202:203]
	scratch_load_dwordx4 v[56:59], off, off offset:752
	ds_read_b128 v[108:111], v2 offset:1552
	v_add_f64 v[0:1], v[0:1], v[112:113]
	v_fmac_f64_e32 v[60:61], v[250:251], v[200:201]
	v_add_f64 v[0:1], v[0:1], v[60:61]
	s_waitcnt vmcnt(12) lgkmcnt(5)
	v_mul_f64 v[64:65], v[52:53], v[6:7]
	scratch_load_dwordx4 v[60:63], off, off offset:768
	v_accvgpr_write_b32 a129, v7
	v_fmac_f64_e32 v[64:65], v[54:55], v[4:5]
	v_accvgpr_write_b32 a128, v6
	v_accvgpr_write_b32 a127, v5
	;; [unrolled: 1-line block ×3, first 2 shown]
	ds_read_b128 v[112:115], v2 offset:1568
	s_waitcnt vmcnt(12)
	v_mov_b64_e32 v[4:5], v[8:9]
	v_mov_b64_e32 v[6:7], v[10:11]
	s_waitcnt lgkmcnt(1)
	v_mul_f64 v[68:69], v[108:109], v[6:7]
	v_fmac_f64_e32 v[68:69], v[110:111], v[4:5]
	s_waitcnt vmcnt(11)
	v_mov_b64_e32 v[4:5], v[12:13]
	v_add_f64 v[0:1], v[0:1], v[64:65]
	v_mov_b64_e32 v[6:7], v[14:15]
	scratch_load_dwordx4 v[64:67], off, off offset:784
	v_add_f64 v[0:1], v[0:1], v[68:69]
	s_waitcnt lgkmcnt(0)
	v_mul_f64 v[68:69], v[112:113], v[6:7]
	v_fmac_f64_e32 v[68:69], v[114:115], v[4:5]
	s_waitcnt vmcnt(11)
	v_mov_b64_e32 v[4:5], v[16:17]
	v_add_f64 v[0:1], v[0:1], v[68:69]
	scratch_load_dwordx4 v[68:71], off, off offset:800
	v_mov_b64_e32 v[6:7], v[18:19]
	v_mul_f64 v[76:77], v[116:117], v[6:7]
	scratch_load_dwordx4 v[72:75], off, off offset:816
	v_fmac_f64_e32 v[76:77], v[118:119], v[4:5]
	v_add_f64 v[0:1], v[0:1], v[76:77]
	s_waitcnt vmcnt(12)
	v_mul_f64 v[76:77], v[120:121], v[236:237]
	v_fmac_f64_e32 v[76:77], v[122:123], v[234:235]
	v_add_f64 v[0:1], v[0:1], v[76:77]
	scratch_load_dwordx4 v[76:79], off, off offset:832
	v_mul_f64 v[82:83], v[134:135], v[82:83]
	v_fma_f64 v[240:241], v[132:133], v[80:81], -v[82:83]
	scratch_load_dwordx4 v[80:83], off, off offset:848
	v_mul_f64 v[86:87], v[138:139], v[86:87]
	v_fma_f64 v[242:243], v[136:137], v[84:85], -v[86:87]
	scratch_load_dwordx4 v[84:87], off, off offset:864
	v_mul_f64 v[90:91], v[142:143], v[90:91]
	s_waitcnt vmcnt(14)
	v_mul_f64 v[132:133], v[124:125], v[26:27]
	v_fma_f64 v[252:253], v[140:141], v[88:89], -v[90:91]
	scratch_load_dwordx4 v[88:91], off, off offset:880
	v_fmac_f64_e32 v[132:133], v[126:127], v[24:25]
	s_waitcnt vmcnt(14)
	v_mul_f64 v[136:137], v[128:129], v[30:31]
	v_mul_f64 v[94:95], v[150:151], v[94:95]
	v_add_f64 v[0:1], v[0:1], v[132:133]
	v_fmac_f64_e32 v[136:137], v[130:131], v[28:29]
	v_fma_f64 v[232:233], v[148:149], v[92:93], -v[94:95]
	v_mul_f64 v[92:93], v[162:163], v[98:99]
	ds_read_b128 v[132:135], v2 offset:1648
	v_add_f64 v[0:1], v[0:1], v[136:137]
	ds_read_b128 v[136:139], v2 offset:1664
	v_fma_f64 v[20:21], v[160:161], v[96:97], -v[92:93]
	scratch_load_dwordx4 v[96:99], off, off offset:896
	scratch_load_dwordx4 v[92:95], off, off offset:912
	v_accvgpr_write_b32 a133, v11
	v_accvgpr_write_b32 a141, v19
	v_mul_f64 v[102:103], v[174:175], v[102:103]
	v_accvgpr_write_b32 a132, v10
	v_accvgpr_write_b32 a131, v9
	;; [unrolled: 1-line block ×7, first 2 shown]
	v_fma_f64 v[16:17], v[172:173], v[100:101], -v[102:103]
	scratch_load_dwordx4 v[100:103], off, off offset:928
	v_mul_f64 v[10:11], v[186:187], v[106:107]
	v_accvgpr_write_b32 a136, v14
	v_accvgpr_write_b32 a135, v13
	;; [unrolled: 1-line block ×3, first 2 shown]
	v_fma_f64 v[12:13], v[184:185], v[104:105], -v[10:11]
	v_mul_f64 v[104:105], v[198:199], v[146:147]
	v_fma_f64 v[10:11], v[196:197], v[144:145], -v[104:105]
	scratch_load_dwordx4 v[104:107], off, off offset:944
	s_waitcnt vmcnt(17) lgkmcnt(1)
	v_mul_f64 v[140:141], v[132:133], v[34:35]
	v_fmac_f64_e32 v[140:141], v[134:135], v[32:33]
	v_add_f64 v[0:1], v[0:1], v[140:141]
	ds_read_b128 v[140:143], v2 offset:1680
	ds_read_b128 v[144:147], v2 offset:1696
	s_waitcnt vmcnt(16) lgkmcnt(2)
	v_mul_f64 v[6:7], v[136:137], v[38:39]
	v_fmac_f64_e32 v[6:7], v[138:139], v[36:37]
	v_add_f64 v[0:1], v[0:1], v[6:7]
	s_waitcnt vmcnt(15) lgkmcnt(1)
	v_mul_f64 v[6:7], v[140:141], v[42:43]
	ds_read_b128 v[148:151], v2 offset:1712
	v_fmac_f64_e32 v[6:7], v[142:143], v[40:41]
	v_add_f64 v[0:1], v[0:1], v[6:7]
	s_waitcnt vmcnt(14) lgkmcnt(1)
	v_mul_f64 v[6:7], v[144:145], v[46:47]
	v_fmac_f64_e32 v[6:7], v[146:147], v[44:45]
	v_add_f64 v[0:1], v[0:1], v[6:7]
	v_mul_f64 v[6:7], v[206:207], v[154:155]
	v_fma_f64 v[14:15], v[204:205], v[152:153], -v[6:7]
	ds_read_b128 v[152:155], v2 offset:1728
	s_waitcnt vmcnt(13) lgkmcnt(1)
	v_mul_f64 v[6:7], v[148:149], v[50:51]
	v_fmac_f64_e32 v[6:7], v[150:151], v[48:49]
	v_add_f64 v[0:1], v[0:1], v[6:7]
	v_mul_f64 v[6:7], v[210:211], v[158:159]
	v_fma_f64 v[8:9], v[208:209], v[156:157], -v[6:7]
	ds_read_b128 v[156:159], v2 offset:1744
	ds_read_b128 v[160:163], v2 offset:1760
	s_waitcnt vmcnt(12) lgkmcnt(2)
	v_mul_f64 v[6:7], v[152:153], v[58:59]
	v_fmac_f64_e32 v[6:7], v[154:155], v[56:57]
	v_add_f64 v[0:1], v[0:1], v[6:7]
	s_waitcnt vmcnt(11) lgkmcnt(1)
	v_mul_f64 v[6:7], v[156:157], v[62:63]
	v_fmac_f64_e32 v[6:7], v[158:159], v[60:61]
	v_add_f64 v[0:1], v[0:1], v[6:7]
	v_mul_f64 v[6:7], v[214:215], v[166:167]
	v_fma_f64 v[18:19], v[212:213], v[164:165], -v[6:7]
	ds_read_b128 v[164:167], v2 offset:1776
	v_mul_f64 v[170:171], v[218:219], v[170:171]
	v_fma_f64 v[4:5], v[216:217], v[168:169], -v[170:171]
	ds_read_b128 v[168:171], v2 offset:1792
	s_waitcnt vmcnt(10) lgkmcnt(2)
	v_mul_f64 v[6:7], v[160:161], v[66:67]
	v_fmac_f64_e32 v[6:7], v[162:163], v[64:65]
	v_add_f64 v[0:1], v[0:1], v[6:7]
	s_waitcnt vmcnt(9) lgkmcnt(1)
	v_mul_f64 v[6:7], v[164:165], v[70:71]
	ds_read_b128 v[172:175], v2 offset:1808
	v_fmac_f64_e32 v[6:7], v[166:167], v[68:69]
	v_add_f64 v[0:1], v[0:1], v[6:7]
	s_waitcnt vmcnt(8) lgkmcnt(1)
	v_mul_f64 v[6:7], v[168:169], v[74:75]
	v_fmac_f64_e32 v[6:7], v[170:171], v[72:73]
	v_add_f64 v[0:1], v[0:1], v[6:7]
	v_mul_f64 v[6:7], v[222:223], v[178:179]
	v_fma_f64 v[22:23], v[220:221], v[176:177], -v[6:7]
	ds_read_b128 v[176:179], v2 offset:1824
	s_waitcnt vmcnt(7) lgkmcnt(1)
	v_mul_f64 v[6:7], v[172:173], v[78:79]
	v_fmac_f64_e32 v[6:7], v[174:175], v[76:77]
	v_add_f64 v[0:1], v[0:1], v[6:7]
	v_mul_f64 v[6:7], v[226:227], v[182:183]
	v_fma_f64 v[6:7], v[224:225], v[180:181], -v[6:7]
	ds_read_b128 v[180:183], v2 offset:1840
	s_waitcnt vmcnt(6) lgkmcnt(1)
	v_mul_f64 v[184:185], v[176:177], v[82:83]
	v_fmac_f64_e32 v[184:185], v[178:179], v[80:81]
	v_add_f64 v[0:1], v[0:1], v[184:185]
	ds_read_b128 v[184:187], v2 offset:1856
	s_waitcnt vmcnt(5) lgkmcnt(1)
	v_mul_f64 v[196:197], v[180:181], v[86:87]
	v_fmac_f64_e32 v[196:197], v[182:183], v[84:85]
	v_add_f64 v[196:197], v[0:1], v[196:197]
	v_mul_f64 v[0:1], v[230:231], v[190:191]
	v_fma_f64 v[0:1], v[228:229], v[188:189], -v[0:1]
	ds_read_b128 v[188:191], v2 offset:1872
	s_waitcnt vmcnt(4) lgkmcnt(1)
	v_mul_f64 v[198:199], v[184:185], v[90:91]
	v_fmac_f64_e32 v[198:199], v[186:187], v[88:89]
	v_mul_f64 v[194:195], v[246:247], v[194:195]
	v_fma_f64 v[238:239], v[244:245], v[192:193], -v[194:195]
	ds_read_b128 v[192:195], v2 offset:1888
	v_add_f64 v[196:197], v[196:197], v[198:199]
	s_waitcnt vmcnt(3) lgkmcnt(1)
	v_mul_f64 v[198:199], v[188:189], v[98:99]
	v_fmac_f64_e32 v[198:199], v[190:191], v[96:97]
	v_add_f64 v[204:205], v[196:197], v[198:199]
	ds_read_b128 v[196:199], v2 offset:1904
	v_mul_f64 v[202:203], v[250:251], v[202:203]
	v_fma_f64 v[244:245], v[248:249], v[200:201], -v[202:203]
	ds_read_b128 v[200:203], v2 offset:1920
	s_waitcnt vmcnt(2) lgkmcnt(2)
	v_mul_f64 v[206:207], v[192:193], v[94:95]
	v_fmac_f64_e32 v[206:207], v[194:195], v[92:93]
	v_add_f64 v[204:205], v[204:205], v[206:207]
	s_waitcnt vmcnt(1) lgkmcnt(1)
	v_mul_f64 v[206:207], v[196:197], v[102:103]
	v_fmac_f64_e32 v[206:207], v[198:199], v[100:101]
	v_add_f64 v[204:205], v[204:205], v[206:207]
	;; [unrolled: 4-line block ×3, first 2 shown]
	scratch_load_dwordx4 v[204:207], off, off offset:960
	ds_read_b128 v[208:211], v2 offset:1936
	ds_read_b128 v[216:219], v2 offset:1952
	;; [unrolled: 1-line block ×3, first 2 shown]
	s_waitcnt vmcnt(0) lgkmcnt(2)
	v_mul_f64 v[214:215], v[208:209], v[206:207]
	v_fmac_f64_e32 v[214:215], v[210:211], v[204:205]
	v_add_f64 v[220:221], v[212:213], v[214:215]
	scratch_load_dwordx4 v[212:215], off, off offset:976
	s_waitcnt vmcnt(0) lgkmcnt(1)
	v_mul_f64 v[222:223], v[216:217], v[214:215]
	v_fmac_f64_e32 v[222:223], v[218:219], v[212:213]
	v_add_f64 v[228:229], v[220:221], v[222:223]
	scratch_load_dwordx4 v[220:223], off, off offset:992
	s_waitcnt vmcnt(0) lgkmcnt(0)
	v_mul_f64 v[230:231], v[224:225], v[222:223]
	v_fmac_f64_e32 v[230:231], v[226:227], v[220:221]
	v_add_f64 v[248:249], v[228:229], v[230:231]
	v_add_f64 v[228:229], v[240:241], 0
	;; [unrolled: 1-line block ×6, first 2 shown]
	scratch_load_dwordx4 v[228:231], off, off offset:272
	v_add_f64 v[16:17], v[20:21], v[16:17]
	v_add_f64 v[12:13], v[16:17], v[12:13]
	;; [unrolled: 1-line block ×9, first 2 shown]
	v_accvgpr_read_b32 v6, a126
	v_accvgpr_read_b32 v8, a128
	;; [unrolled: 1-line block ×3, first 2 shown]
	v_add_f64 v[0:1], v[4:5], v[0:1]
	v_accvgpr_read_b32 v7, a127
	v_mul_f64 v[4:5], v[54:55], v[8:9]
	v_add_f64 v[0:1], v[0:1], v[238:239]
	v_fma_f64 v[4:5], v[52:53], v[6:7], -v[4:5]
	v_accvgpr_read_b32 v6, a130
	v_add_f64 v[0:1], v[0:1], v[244:245]
	v_accvgpr_read_b32 v8, a132
	v_accvgpr_read_b32 v9, a133
	v_add_f64 v[0:1], v[0:1], v[4:5]
	v_accvgpr_read_b32 v7, a131
	v_mul_f64 v[4:5], v[110:111], v[8:9]
	v_fma_f64 v[4:5], v[108:109], v[6:7], -v[4:5]
	v_accvgpr_read_b32 v6, a134
	v_accvgpr_read_b32 v8, a136
	;; [unrolled: 1-line block ×3, first 2 shown]
	v_add_f64 v[0:1], v[0:1], v[4:5]
	v_accvgpr_read_b32 v7, a135
	v_mul_f64 v[4:5], v[114:115], v[8:9]
	v_fma_f64 v[4:5], v[112:113], v[6:7], -v[4:5]
	v_accvgpr_read_b32 v6, a138
	v_accvgpr_read_b32 v8, a140
	;; [unrolled: 1-line block ×3, first 2 shown]
	v_add_f64 v[0:1], v[0:1], v[4:5]
	v_accvgpr_read_b32 v7, a139
	v_mul_f64 v[4:5], v[118:119], v[8:9]
	v_fma_f64 v[4:5], v[116:117], v[6:7], -v[4:5]
	v_add_f64 v[0:1], v[0:1], v[4:5]
	v_mul_f64 v[4:5], v[122:123], v[236:237]
	v_fma_f64 v[4:5], v[120:121], v[234:235], -v[4:5]
	v_add_f64 v[0:1], v[0:1], v[4:5]
	v_mul_f64 v[4:5], v[126:127], v[26:27]
	v_fma_f64 v[4:5], v[124:125], v[24:25], -v[4:5]
	v_add_f64 v[0:1], v[0:1], v[4:5]
	v_mul_f64 v[4:5], v[130:131], v[30:31]
	v_fma_f64 v[4:5], v[128:129], v[28:29], -v[4:5]
	v_add_f64 v[0:1], v[0:1], v[4:5]
	v_mul_f64 v[4:5], v[134:135], v[34:35]
	v_fma_f64 v[4:5], v[132:133], v[32:33], -v[4:5]
	v_add_f64 v[0:1], v[0:1], v[4:5]
	v_mul_f64 v[4:5], v[138:139], v[38:39]
	v_fma_f64 v[4:5], v[136:137], v[36:37], -v[4:5]
	v_add_f64 v[0:1], v[0:1], v[4:5]
	v_mul_f64 v[4:5], v[142:143], v[42:43]
	v_fma_f64 v[4:5], v[140:141], v[40:41], -v[4:5]
	v_add_f64 v[0:1], v[0:1], v[4:5]
	v_mul_f64 v[4:5], v[146:147], v[46:47]
	v_fma_f64 v[4:5], v[144:145], v[44:45], -v[4:5]
	v_add_f64 v[0:1], v[0:1], v[4:5]
	v_mul_f64 v[4:5], v[150:151], v[50:51]
	v_fma_f64 v[4:5], v[148:149], v[48:49], -v[4:5]
	v_add_f64 v[0:1], v[0:1], v[4:5]
	v_mul_f64 v[4:5], v[154:155], v[58:59]
	v_fma_f64 v[4:5], v[152:153], v[56:57], -v[4:5]
	v_add_f64 v[0:1], v[0:1], v[4:5]
	v_mul_f64 v[4:5], v[158:159], v[62:63]
	v_fma_f64 v[4:5], v[156:157], v[60:61], -v[4:5]
	v_add_f64 v[0:1], v[0:1], v[4:5]
	v_mul_f64 v[4:5], v[162:163], v[66:67]
	v_fma_f64 v[4:5], v[160:161], v[64:65], -v[4:5]
	v_add_f64 v[0:1], v[0:1], v[4:5]
	v_mul_f64 v[4:5], v[166:167], v[70:71]
	v_fma_f64 v[4:5], v[164:165], v[68:69], -v[4:5]
	v_add_f64 v[0:1], v[0:1], v[4:5]
	v_mul_f64 v[4:5], v[170:171], v[74:75]
	v_fma_f64 v[4:5], v[168:169], v[72:73], -v[4:5]
	v_add_f64 v[0:1], v[0:1], v[4:5]
	v_mul_f64 v[4:5], v[174:175], v[78:79]
	v_fma_f64 v[4:5], v[172:173], v[76:77], -v[4:5]
	v_add_f64 v[0:1], v[0:1], v[4:5]
	v_mul_f64 v[4:5], v[178:179], v[82:83]
	v_fma_f64 v[4:5], v[176:177], v[80:81], -v[4:5]
	v_add_f64 v[0:1], v[0:1], v[4:5]
	v_mul_f64 v[4:5], v[182:183], v[86:87]
	v_fma_f64 v[4:5], v[180:181], v[84:85], -v[4:5]
	v_add_f64 v[0:1], v[0:1], v[4:5]
	v_mul_f64 v[4:5], v[186:187], v[90:91]
	v_fma_f64 v[4:5], v[184:185], v[88:89], -v[4:5]
	v_add_f64 v[0:1], v[0:1], v[4:5]
	v_mul_f64 v[4:5], v[190:191], v[98:99]
	v_fma_f64 v[4:5], v[188:189], v[96:97], -v[4:5]
	v_add_f64 v[0:1], v[0:1], v[4:5]
	v_mul_f64 v[4:5], v[194:195], v[94:95]
	v_fma_f64 v[4:5], v[192:193], v[92:93], -v[4:5]
	v_add_f64 v[0:1], v[0:1], v[4:5]
	v_mul_f64 v[4:5], v[198:199], v[102:103]
	v_fma_f64 v[4:5], v[196:197], v[100:101], -v[4:5]
	v_add_f64 v[0:1], v[0:1], v[4:5]
	v_mul_f64 v[4:5], v[202:203], v[106:107]
	v_fma_f64 v[4:5], v[200:201], v[104:105], -v[4:5]
	v_add_f64 v[0:1], v[0:1], v[4:5]
	v_mul_f64 v[4:5], v[210:211], v[206:207]
	v_fma_f64 v[4:5], v[208:209], v[204:205], -v[4:5]
	v_add_f64 v[0:1], v[0:1], v[4:5]
	v_mul_f64 v[4:5], v[218:219], v[214:215]
	v_fma_f64 v[4:5], v[216:217], v[212:213], -v[4:5]
	v_add_f64 v[0:1], v[0:1], v[4:5]
	v_mul_f64 v[4:5], v[226:227], v[222:223]
	v_fma_f64 v[4:5], v[224:225], v[220:221], -v[4:5]
	v_add_f64 v[0:1], v[0:1], v[4:5]
	s_waitcnt vmcnt(0)
	v_add_f64 v[4:5], v[228:229], -v[0:1]
	v_add_f64 v[6:7], v[230:231], -v[248:249]
	scratch_store_dwordx4 off, v[4:7], off offset:272
	s_and_saveexec_b64 s[0:1], vcc
	s_cbranch_execz .LBB125_367
; %bb.366:
	scratch_load_dwordx4 v[6:9], off, s73
	v_mov_b32_e32 v3, v2
	v_mov_b32_e32 v4, v2
	;; [unrolled: 1-line block ×3, first 2 shown]
	v_accvgpr_read_b32 v0, a1
	scratch_store_dwordx4 off, v[2:5], off offset:256
	s_waitcnt vmcnt(1)
	ds_write_b128 v0, v[6:9]
.LBB125_367:
	s_or_b64 exec, exec, s[0:1]
	s_waitcnt lgkmcnt(0)
	; wave barrier
	scratch_load_dwordx4 v[80:83], off, off offset:272
	scratch_load_dwordx4 v[84:87], off, off offset:288
	;; [unrolled: 1-line block ×17, first 2 shown]
	ds_read_b128 v[136:139], v2 offset:1248
	ds_read_b128 v[132:135], v2 offset:1264
	scratch_load_dwordx4 v[4:7], off, off offset:544
	ds_read_b128 v[236:239], v2 offset:1280
	ds_read_b128 v[228:231], v2 offset:1296
	;; [unrolled: 1-line block ×5, first 2 shown]
	scratch_load_dwordx4 v[8:11], off, off offset:560
	ds_read_b128 v[232:235], v2 offset:1360
	ds_read_b128 v[216:219], v2 offset:1376
	;; [unrolled: 1-line block ×3, first 2 shown]
	scratch_load_dwordx4 v[12:15], off, off offset:576
	ds_read_b128 v[220:223], v2 offset:1408
	ds_read_b128 v[172:175], v2 offset:1424
	;; [unrolled: 1-line block ×5, first 2 shown]
	scratch_load_dwordx4 v[16:19], off, off offset:592
	ds_read_b128 v[208:211], v2 offset:1488
	ds_read_b128 v[204:207], v2 offset:1504
	ds_read_b128 v[20:23], v2 offset:1520
	scratch_load_dwordx4 v[24:27], off, off offset:608
	scratch_load_dwordx4 v[28:31], off, off offset:624
	;; [unrolled: 1-line block ×8, first 2 shown]
	ds_read_b128 v[116:119], v2 offset:1568
	ds_read_b128 v[120:123], v2 offset:1584
	;; [unrolled: 1-line block ×4, first 2 shown]
	v_cmp_lt_u32_e32 vcc, 14, v254
	s_waitcnt vmcnt(28) lgkmcnt(14)
	v_mul_f64 v[0:1], v[136:137], v[82:83]
	s_waitcnt vmcnt(27)
	v_mul_f64 v[56:57], v[132:133], v[86:87]
	v_fmac_f64_e32 v[0:1], v[138:139], v[80:81]
	s_waitcnt vmcnt(26)
	v_mul_f64 v[58:59], v[236:237], v[90:91]
	v_fmac_f64_e32 v[56:57], v[134:135], v[84:85]
	v_add_f64 v[0:1], v[0:1], 0
	s_waitcnt vmcnt(25)
	v_mul_f64 v[60:61], v[228:229], v[94:95]
	v_fmac_f64_e32 v[58:59], v[238:239], v[88:89]
	v_add_f64 v[0:1], v[0:1], v[56:57]
	s_waitcnt vmcnt(24)
	v_mul_f64 v[62:63], v[224:225], v[98:99]
	v_fmac_f64_e32 v[60:61], v[230:231], v[92:93]
	v_add_f64 v[0:1], v[0:1], v[58:59]
	s_waitcnt vmcnt(23)
	v_mul_f64 v[64:65], v[148:149], v[102:103]
	v_fmac_f64_e32 v[62:63], v[226:227], v[96:97]
	v_add_f64 v[0:1], v[0:1], v[60:61]
	s_waitcnt vmcnt(22)
	v_mul_f64 v[66:67], v[140:141], v[106:107]
	v_fmac_f64_e32 v[64:65], v[150:151], v[100:101]
	v_add_f64 v[0:1], v[0:1], v[62:63]
	s_waitcnt vmcnt(21)
	v_mul_f64 v[68:69], v[232:233], v[146:147]
	v_fmac_f64_e32 v[66:67], v[142:143], v[104:105]
	v_add_f64 v[0:1], v[0:1], v[64:65]
	s_waitcnt vmcnt(20) lgkmcnt(13)
	v_mul_f64 v[70:71], v[216:217], v[154:155]
	v_fmac_f64_e32 v[68:69], v[234:235], v[144:145]
	v_add_f64 v[0:1], v[0:1], v[66:67]
	s_waitcnt vmcnt(19) lgkmcnt(12)
	v_mul_f64 v[72:73], v[160:161], v[158:159]
	v_fmac_f64_e32 v[70:71], v[218:219], v[152:153]
	v_add_f64 v[0:1], v[0:1], v[68:69]
	;; [unrolled: 4-line block ×7, first 2 shown]
	v_fmac_f64_e32 v[110:111], v[198:199], v[188:189]
	v_add_f64 v[0:1], v[0:1], v[108:109]
	s_waitcnt vmcnt(13) lgkmcnt(6)
	v_mul_f64 v[112:113], v[208:209], v[194:195]
	v_add_f64 v[0:1], v[0:1], v[110:111]
	ds_read_b128 v[108:111], v2 offset:1536
	s_waitcnt vmcnt(12) lgkmcnt(6)
	v_mul_f64 v[114:115], v[204:205], v[202:203]
	v_fmac_f64_e32 v[112:113], v[210:211], v[192:193]
	scratch_load_dwordx4 v[56:59], off, off offset:736
	scratch_load_dwordx4 v[60:63], off, off offset:752
	v_add_f64 v[0:1], v[0:1], v[112:113]
	v_fmac_f64_e32 v[114:115], v[206:207], v[200:201]
	s_waitcnt vmcnt(13) lgkmcnt(5)
	v_mul_f64 v[64:65], v[20:21], v[6:7]
	v_accvgpr_write_b32 a129, v7
	v_add_f64 v[0:1], v[0:1], v[114:115]
	v_fmac_f64_e32 v[64:65], v[22:23], v[4:5]
	v_accvgpr_write_b32 a128, v6
	v_accvgpr_write_b32 a127, v5
	;; [unrolled: 1-line block ×3, first 2 shown]
	ds_read_b128 v[112:115], v2 offset:1552
	s_waitcnt vmcnt(12)
	v_mov_b64_e32 v[4:5], v[8:9]
	v_mov_b64_e32 v[6:7], v[10:11]
	s_waitcnt lgkmcnt(1)
	v_mul_f64 v[68:69], v[108:109], v[6:7]
	v_fmac_f64_e32 v[68:69], v[110:111], v[4:5]
	s_waitcnt vmcnt(11)
	v_mov_b64_e32 v[4:5], v[12:13]
	v_add_f64 v[0:1], v[0:1], v[64:65]
	v_mov_b64_e32 v[6:7], v[14:15]
	scratch_load_dwordx4 v[64:67], off, off offset:768
	v_add_f64 v[0:1], v[0:1], v[68:69]
	s_waitcnt lgkmcnt(0)
	v_mul_f64 v[68:69], v[112:113], v[6:7]
	v_fmac_f64_e32 v[68:69], v[114:115], v[4:5]
	s_waitcnt vmcnt(11)
	v_mov_b64_e32 v[4:5], v[16:17]
	v_add_f64 v[0:1], v[0:1], v[68:69]
	scratch_load_dwordx4 v[68:71], off, off offset:784
	v_mov_b64_e32 v[6:7], v[18:19]
	v_mul_f64 v[76:77], v[116:117], v[6:7]
	scratch_load_dwordx4 v[72:75], off, off offset:800
	v_fmac_f64_e32 v[76:77], v[118:119], v[4:5]
	v_add_f64 v[0:1], v[0:1], v[76:77]
	s_waitcnt vmcnt(12)
	v_mul_f64 v[76:77], v[120:121], v[26:27]
	v_fmac_f64_e32 v[76:77], v[122:123], v[24:25]
	v_add_f64 v[0:1], v[0:1], v[76:77]
	scratch_load_dwordx4 v[76:79], off, off offset:816
	v_mul_f64 v[82:83], v[138:139], v[82:83]
	v_fma_f64 v[240:241], v[136:137], v[80:81], -v[82:83]
	scratch_load_dwordx4 v[80:83], off, off offset:832
	v_mul_f64 v[86:87], v[134:135], v[86:87]
	v_fma_f64 v[242:243], v[132:133], v[84:85], -v[86:87]
	scratch_load_dwordx4 v[84:87], off, off offset:848
	s_waitcnt vmcnt(14)
	v_mul_f64 v[136:137], v[124:125], v[30:31]
	v_mul_f64 v[90:91], v[238:239], v[90:91]
	v_fmac_f64_e32 v[136:137], v[126:127], v[28:29]
	v_fma_f64 v[236:237], v[236:237], v[88:89], -v[90:91]
	scratch_load_dwordx4 v[88:91], off, off offset:864
	v_add_f64 v[0:1], v[0:1], v[136:137]
	s_waitcnt vmcnt(14)
	v_mul_f64 v[136:137], v[128:129], v[34:35]
	v_mul_f64 v[94:95], v[230:231], v[94:95]
	v_fmac_f64_e32 v[136:137], v[130:131], v[32:33]
	v_fma_f64 v[238:239], v[228:229], v[92:93], -v[94:95]
	v_mul_f64 v[92:93], v[226:227], v[98:99]
	ds_read_b128 v[132:135], v2 offset:1632
	v_add_f64 v[0:1], v[0:1], v[136:137]
	ds_read_b128 v[136:139], v2 offset:1648
	v_fma_f64 v[248:249], v[224:225], v[96:97], -v[92:93]
	scratch_load_dwordx4 v[96:99], off, off offset:880
	scratch_load_dwordx4 v[92:95], off, off offset:896
	v_mul_f64 v[102:103], v[150:151], v[102:103]
	v_fma_f64 v[250:251], v[148:149], v[100:101], -v[102:103]
	scratch_load_dwordx4 v[100:103], off, off offset:912
	v_mul_f64 v[106:107], v[142:143], v[106:107]
	v_fma_f64 v[252:253], v[140:141], v[104:105], -v[106:107]
	v_mul_f64 v[104:105], v[234:235], v[146:147]
	v_fma_f64 v[244:245], v[232:233], v[144:145], -v[104:105]
	scratch_load_dwordx4 v[104:107], off, off offset:928
	ds_read_b128 v[140:143], v2 offset:1664
	ds_read_b128 v[144:147], v2 offset:1680
	s_waitcnt vmcnt(17) lgkmcnt(3)
	v_mul_f64 v[228:229], v[132:133], v[38:39]
	v_fmac_f64_e32 v[228:229], v[134:135], v[36:37]
	s_waitcnt vmcnt(16) lgkmcnt(2)
	v_mul_f64 v[224:225], v[136:137], v[42:43]
	v_add_f64 v[0:1], v[0:1], v[228:229]
	v_fmac_f64_e32 v[224:225], v[138:139], v[40:41]
	s_waitcnt vmcnt(15) lgkmcnt(1)
	v_mul_f64 v[148:149], v[140:141], v[46:47]
	v_add_f64 v[0:1], v[0:1], v[224:225]
	v_fmac_f64_e32 v[148:149], v[142:143], v[44:45]
	v_add_f64 v[0:1], v[0:1], v[148:149]
	ds_read_b128 v[148:151], v2 offset:1696
	v_accvgpr_write_b32 a141, v19
	v_mul_f64 v[154:155], v[218:219], v[154:155]
	v_accvgpr_write_b32 a140, v18
	v_accvgpr_write_b32 a139, v17
	;; [unrolled: 1-line block ×3, first 2 shown]
	v_fma_f64 v[16:17], v[216:217], v[152:153], -v[154:155]
	ds_read_b128 v[152:155], v2 offset:1712
	s_waitcnt vmcnt(14) lgkmcnt(2)
	v_mul_f64 v[224:225], v[144:145], v[50:51]
	v_fmac_f64_e32 v[224:225], v[146:147], v[48:49]
	s_waitcnt vmcnt(13) lgkmcnt(1)
	v_mul_f64 v[6:7], v[148:149], v[54:55]
	v_add_f64 v[0:1], v[0:1], v[224:225]
	v_fmac_f64_e32 v[6:7], v[150:151], v[52:53]
	v_accvgpr_write_b32 a137, v15
	v_add_f64 v[0:1], v[0:1], v[6:7]
	v_mul_f64 v[6:7], v[162:163], v[158:159]
	v_accvgpr_write_b32 a136, v14
	v_accvgpr_write_b32 a135, v13
	;; [unrolled: 1-line block ×3, first 2 shown]
	v_fma_f64 v[12:13], v[160:161], v[156:157], -v[6:7]
	s_waitcnt vmcnt(12) lgkmcnt(0)
	v_mul_f64 v[160:161], v[152:153], v[58:59]
	ds_read_b128 v[156:159], v2 offset:1728
	v_fmac_f64_e32 v[160:161], v[154:155], v[56:57]
	v_add_f64 v[0:1], v[0:1], v[160:161]
	ds_read_b128 v[160:163], v2 offset:1744
	v_accvgpr_write_b32 a133, v11
	v_mul_f64 v[166:167], v[222:223], v[166:167]
	v_accvgpr_write_b32 a132, v10
	v_accvgpr_write_b32 a131, v9
	;; [unrolled: 1-line block ×3, first 2 shown]
	v_fma_f64 v[8:9], v[220:221], v[164:165], -v[166:167]
	ds_read_b128 v[164:167], v2 offset:1760
	v_mul_f64 v[170:171], v[174:175], v[170:171]
	s_waitcnt vmcnt(11) lgkmcnt(2)
	v_mul_f64 v[216:217], v[156:157], v[62:63]
	v_fma_f64 v[246:247], v[172:173], v[168:169], -v[170:171]
	ds_read_b128 v[168:171], v2 offset:1776
	v_fmac_f64_e32 v[216:217], v[158:159], v[60:61]
	s_waitcnt vmcnt(10) lgkmcnt(2)
	v_mul_f64 v[10:11], v[160:161], v[66:67]
	v_add_f64 v[0:1], v[0:1], v[216:217]
	v_fmac_f64_e32 v[10:11], v[162:163], v[64:65]
	v_add_f64 v[0:1], v[0:1], v[10:11]
	s_waitcnt vmcnt(9) lgkmcnt(1)
	v_mul_f64 v[10:11], v[164:165], v[70:71]
	ds_read_b128 v[172:175], v2 offset:1792
	v_fmac_f64_e32 v[10:11], v[166:167], v[68:69]
	v_add_f64 v[0:1], v[0:1], v[10:11]
	s_waitcnt vmcnt(8) lgkmcnt(1)
	v_mul_f64 v[10:11], v[168:169], v[74:75]
	v_fmac_f64_e32 v[10:11], v[170:171], v[72:73]
	v_add_f64 v[0:1], v[0:1], v[10:11]
	v_mul_f64 v[10:11], v[214:215], v[178:179]
	v_fma_f64 v[6:7], v[212:213], v[176:177], -v[10:11]
	ds_read_b128 v[176:179], v2 offset:1808
	s_waitcnt vmcnt(7) lgkmcnt(1)
	v_mul_f64 v[10:11], v[172:173], v[78:79]
	v_fmac_f64_e32 v[10:11], v[174:175], v[76:77]
	v_add_f64 v[0:1], v[0:1], v[10:11]
	v_mul_f64 v[10:11], v[186:187], v[182:183]
	v_fma_f64 v[14:15], v[184:185], v[180:181], -v[10:11]
	ds_read_b128 v[180:183], v2 offset:1824
	ds_read_b128 v[184:187], v2 offset:1840
	s_waitcnt vmcnt(6) lgkmcnt(2)
	v_mul_f64 v[10:11], v[176:177], v[82:83]
	v_fmac_f64_e32 v[10:11], v[178:179], v[80:81]
	v_add_f64 v[0:1], v[0:1], v[10:11]
	s_waitcnt vmcnt(5) lgkmcnt(1)
	v_mul_f64 v[10:11], v[180:181], v[86:87]
	v_fmac_f64_e32 v[10:11], v[182:183], v[84:85]
	v_add_f64 v[10:11], v[0:1], v[10:11]
	v_mul_f64 v[0:1], v[198:199], v[190:191]
	v_fma_f64 v[4:5], v[196:197], v[188:189], -v[0:1]
	ds_read_b128 v[188:191], v2 offset:1856
	s_waitcnt vmcnt(4) lgkmcnt(1)
	v_mul_f64 v[196:197], v[184:185], v[90:91]
	v_fmac_f64_e32 v[196:197], v[186:187], v[88:89]
	v_mul_f64 v[194:195], v[210:211], v[194:195]
	v_fma_f64 v[18:19], v[208:209], v[192:193], -v[194:195]
	ds_read_b128 v[192:195], v2 offset:1872
	v_add_f64 v[10:11], v[10:11], v[196:197]
	s_waitcnt vmcnt(3) lgkmcnt(1)
	v_mul_f64 v[196:197], v[188:189], v[98:99]
	v_fmac_f64_e32 v[196:197], v[190:191], v[96:97]
	v_add_f64 v[208:209], v[10:11], v[196:197]
	ds_read_b128 v[196:199], v2 offset:1888
	v_mul_f64 v[10:11], v[206:207], v[202:203]
	v_fma_f64 v[10:11], v[204:205], v[200:201], -v[10:11]
	ds_read_b128 v[200:203], v2 offset:1904
	s_waitcnt vmcnt(2) lgkmcnt(2)
	v_mul_f64 v[204:205], v[192:193], v[94:95]
	v_fmac_f64_e32 v[204:205], v[194:195], v[92:93]
	s_waitcnt vmcnt(1) lgkmcnt(1)
	v_mul_f64 v[206:207], v[196:197], v[102:103]
	v_add_f64 v[204:205], v[208:209], v[204:205]
	v_fmac_f64_e32 v[206:207], v[198:199], v[100:101]
	v_add_f64 v[204:205], v[204:205], v[206:207]
	s_waitcnt vmcnt(0) lgkmcnt(0)
	v_mul_f64 v[206:207], v[200:201], v[106:107]
	v_fmac_f64_e32 v[206:207], v[202:203], v[104:105]
	v_add_f64 v[212:213], v[204:205], v[206:207]
	scratch_load_dwordx4 v[204:207], off, off offset:944
	scratch_load_dwordx4 v[232:235], off, off offset:992
	ds_read_b128 v[208:211], v2 offset:1920
	ds_read_b128 v[216:219], v2 offset:1936
	;; [unrolled: 1-line block ×3, first 2 shown]
	s_waitcnt vmcnt(1) lgkmcnt(2)
	v_mul_f64 v[214:215], v[208:209], v[206:207]
	v_fmac_f64_e32 v[214:215], v[210:211], v[204:205]
	v_add_f64 v[220:221], v[212:213], v[214:215]
	scratch_load_dwordx4 v[212:215], off, off offset:960
	s_waitcnt vmcnt(0) lgkmcnt(1)
	v_mul_f64 v[222:223], v[216:217], v[214:215]
	v_fmac_f64_e32 v[222:223], v[218:219], v[212:213]
	v_add_f64 v[228:229], v[220:221], v[222:223]
	scratch_load_dwordx4 v[220:223], off, off offset:976
	s_waitcnt vmcnt(0) lgkmcnt(0)
	v_mul_f64 v[230:231], v[224:225], v[222:223]
	v_fmac_f64_e32 v[230:231], v[226:227], v[220:221]
	v_add_f64 v[0:1], v[228:229], v[230:231]
	ds_read_b128 v[228:231], v2 offset:1968
	s_waitcnt lgkmcnt(0)
	v_mul_f64 v[2:3], v[228:229], v[234:235]
	v_fmac_f64_e32 v[2:3], v[230:231], v[232:233]
	v_add_f64 v[2:3], v[0:1], v[2:3]
	v_add_f64 v[0:1], v[240:241], 0
	;; [unrolled: 1-line block ×5, first 2 shown]
	scratch_load_dwordx4 v[236:239], off, off offset:256
	v_add_f64 v[0:1], v[0:1], v[248:249]
	v_add_f64 v[0:1], v[0:1], v[250:251]
	;; [unrolled: 1-line block ×9, first 2 shown]
	v_accvgpr_read_b32 v6, a126
	v_add_f64 v[0:1], v[0:1], v[14:15]
	v_accvgpr_read_b32 v8, a128
	v_accvgpr_read_b32 v9, a129
	v_add_f64 v[248:249], v[0:1], v[4:5]
	v_accvgpr_read_b32 v7, a127
	v_mul_f64 v[4:5], v[22:23], v[8:9]
	v_add_f64 v[0:1], v[248:249], v[18:19]
	v_fma_f64 v[4:5], v[20:21], v[6:7], -v[4:5]
	v_accvgpr_read_b32 v6, a130
	v_add_f64 v[0:1], v[0:1], v[10:11]
	v_accvgpr_read_b32 v8, a132
	v_accvgpr_read_b32 v9, a133
	v_add_f64 v[0:1], v[0:1], v[4:5]
	v_accvgpr_read_b32 v7, a131
	v_mul_f64 v[4:5], v[110:111], v[8:9]
	v_fma_f64 v[4:5], v[108:109], v[6:7], -v[4:5]
	v_accvgpr_read_b32 v6, a134
	v_accvgpr_read_b32 v8, a136
	;; [unrolled: 1-line block ×3, first 2 shown]
	v_add_f64 v[0:1], v[0:1], v[4:5]
	v_accvgpr_read_b32 v7, a135
	v_mul_f64 v[4:5], v[114:115], v[8:9]
	v_fma_f64 v[4:5], v[112:113], v[6:7], -v[4:5]
	v_accvgpr_read_b32 v6, a138
	v_accvgpr_read_b32 v8, a140
	;; [unrolled: 1-line block ×3, first 2 shown]
	v_add_f64 v[0:1], v[0:1], v[4:5]
	v_accvgpr_read_b32 v7, a139
	v_mul_f64 v[4:5], v[118:119], v[8:9]
	v_fma_f64 v[4:5], v[116:117], v[6:7], -v[4:5]
	v_add_f64 v[0:1], v[0:1], v[4:5]
	v_mul_f64 v[4:5], v[122:123], v[26:27]
	v_fma_f64 v[4:5], v[120:121], v[24:25], -v[4:5]
	v_add_f64 v[0:1], v[0:1], v[4:5]
	;; [unrolled: 3-line block ×26, first 2 shown]
	s_waitcnt vmcnt(0)
	v_add_f64 v[4:5], v[236:237], -v[0:1]
	v_add_f64 v[6:7], v[238:239], -v[2:3]
	scratch_store_dwordx4 off, v[4:7], off offset:256
	s_and_saveexec_b64 s[0:1], vcc
	s_cbranch_execz .LBB125_369
; %bb.368:
	scratch_load_dwordx4 v[2:5], off, s74
	v_mov_b32_e32 v6, 0
	v_mov_b32_e32 v7, v6
	;; [unrolled: 1-line block ×4, first 2 shown]
	v_accvgpr_read_b32 v0, a1
	scratch_store_dwordx4 off, v[6:9], off offset:240
	s_waitcnt vmcnt(1)
	ds_write_b128 v0, v[2:5]
.LBB125_369:
	s_or_b64 exec, exec, s[0:1]
	s_waitcnt lgkmcnt(0)
	; wave barrier
	scratch_load_dwordx4 v[68:71], off, off offset:256
	scratch_load_dwordx4 v[72:75], off, off offset:272
	;; [unrolled: 1-line block ×28, first 2 shown]
	v_mov_b32_e32 v2, 0
	ds_read_b128 v[124:127], v2 offset:1232
	ds_read_b128 v[128:131], v2 offset:1248
	;; [unrolled: 1-line block ×23, first 2 shown]
	v_cmp_lt_u32_e32 vcc, 13, v254
	s_waitcnt vmcnt(27) lgkmcnt(14)
	v_mul_f64 v[0:1], v[124:125], v[70:71]
	s_waitcnt vmcnt(26)
	v_mul_f64 v[40:41], v[128:129], v[74:75]
	v_fmac_f64_e32 v[0:1], v[126:127], v[68:69]
	s_waitcnt vmcnt(25)
	v_mul_f64 v[42:43], v[132:133], v[78:79]
	v_fmac_f64_e32 v[40:41], v[130:131], v[72:73]
	v_add_f64 v[0:1], v[0:1], 0
	s_waitcnt vmcnt(24)
	v_mul_f64 v[44:45], v[136:137], v[82:83]
	v_fmac_f64_e32 v[42:43], v[134:135], v[76:77]
	v_add_f64 v[0:1], v[0:1], v[40:41]
	;; [unrolled: 4-line block ×7, first 2 shown]
	s_waitcnt vmcnt(18) lgkmcnt(13)
	v_mul_f64 v[56:57], v[200:201], v[146:147]
	v_fmac_f64_e32 v[54:55], v[194:195], v[112:113]
	v_add_f64 v[0:1], v[0:1], v[52:53]
	s_waitcnt vmcnt(17) lgkmcnt(12)
	v_mul_f64 v[58:59], v[204:205], v[150:151]
	v_fmac_f64_e32 v[56:57], v[202:203], v[144:145]
	v_add_f64 v[0:1], v[0:1], v[54:55]
	;; [unrolled: 4-line block ×7, first 2 shown]
	scratch_load_dwordx4 v[40:43], off, off offset:704
	scratch_load_dwordx4 v[44:47], off, off offset:720
	s_waitcnt vmcnt(13) lgkmcnt(6)
	v_mul_f64 v[102:103], v[228:229], v[186:187]
	v_fmac_f64_e32 v[100:101], v[226:227], v[176:177]
	v_add_f64 v[0:1], v[0:1], v[66:67]
	v_add_f64 v[0:1], v[0:1], v[100:101]
	v_fmac_f64_e32 v[102:103], v[230:231], v[184:185]
	v_add_f64 v[0:1], v[0:1], v[102:103]
	ds_read_b128 v[100:103], v2 offset:1536
	s_waitcnt vmcnt(12) lgkmcnt(6)
	v_mul_f64 v[48:49], v[244:245], v[190:191]
	v_fmac_f64_e32 v[48:49], v[246:247], v[188:189]
	v_add_f64 v[0:1], v[0:1], v[48:49]
	s_waitcnt vmcnt(11) lgkmcnt(5)
	v_mul_f64 v[48:49], v[248:249], v[198:199]
	v_fmac_f64_e32 v[48:49], v[250:251], v[196:197]
	v_add_f64 v[0:1], v[0:1], v[48:49]
	scratch_load_dwordx4 v[48:51], off, off offset:736
	scratch_load_dwordx4 v[52:55], off, off offset:752
	s_waitcnt vmcnt(12) lgkmcnt(0)
	v_mul_f64 v[56:57], v[100:101], v[6:7]
	v_accvgpr_write_b32 a129, v7
	v_fmac_f64_e32 v[56:57], v[102:103], v[4:5]
	v_accvgpr_write_b32 a128, v6
	v_accvgpr_write_b32 a127, v5
	;; [unrolled: 1-line block ×3, first 2 shown]
	s_waitcnt vmcnt(11)
	v_mov_b64_e32 v[4:5], v[8:9]
	v_mov_b64_e32 v[6:7], v[10:11]
	v_add_f64 v[0:1], v[0:1], v[56:57]
	v_mul_f64 v[56:57], v[104:105], v[6:7]
	v_fmac_f64_e32 v[56:57], v[106:107], v[4:5]
	v_add_f64 v[0:1], v[0:1], v[56:57]
	scratch_load_dwordx4 v[56:59], off, off offset:768
	s_waitcnt vmcnt(11)
	v_mov_b64_e32 v[4:5], v[12:13]
	v_mov_b64_e32 v[6:7], v[14:15]
	v_mul_f64 v[60:61], v[108:109], v[6:7]
	v_fmac_f64_e32 v[60:61], v[110:111], v[4:5]
	s_waitcnt vmcnt(10)
	v_mov_b64_e32 v[4:5], v[16:17]
	v_mov_b64_e32 v[6:7], v[18:19]
	v_add_f64 v[0:1], v[0:1], v[60:61]
	scratch_load_dwordx4 v[60:63], off, off offset:784
	v_mul_f64 v[64:65], v[116:117], v[6:7]
	v_fmac_f64_e32 v[64:65], v[118:119], v[4:5]
	v_add_f64 v[0:1], v[0:1], v[64:65]
	scratch_load_dwordx4 v[64:67], off, off offset:800
	s_waitcnt vmcnt(11)
	v_mov_b64_e32 v[4:5], v[20:21]
	v_mul_f64 v[70:71], v[126:127], v[70:71]
	v_mov_b64_e32 v[6:7], v[22:23]
	v_fma_f64 v[240:241], v[124:125], v[68:69], -v[70:71]
	v_mul_f64 v[124:125], v[120:121], v[6:7]
	scratch_load_dwordx4 v[68:71], off, off offset:816
	v_fmac_f64_e32 v[124:125], v[122:123], v[4:5]
	v_mul_f64 v[74:75], v[130:131], v[74:75]
	v_mul_f64 v[78:79], v[134:135], v[78:79]
	v_add_f64 v[0:1], v[0:1], v[124:125]
	v_fma_f64 v[242:243], v[128:129], v[72:73], -v[74:75]
	ds_read_b128 v[124:127], v2 offset:1616
	ds_read_b128 v[128:131], v2 offset:1632
	scratch_load_dwordx4 v[72:75], off, off offset:832
	v_fma_f64 v[252:253], v[132:133], v[76:77], -v[78:79]
	v_mul_f64 v[76:77], v[138:139], v[82:83]
	v_fma_f64 v[232:233], v[136:137], v[80:81], -v[76:77]
	scratch_load_dwordx4 v[76:79], off, off offset:848
	s_waitcnt vmcnt(13) lgkmcnt(1)
	v_mul_f64 v[132:133], v[124:125], v[236:237]
	v_fmac_f64_e32 v[132:133], v[126:127], v[234:235]
	v_add_f64 v[0:1], v[0:1], v[132:133]
	s_waitcnt vmcnt(12) lgkmcnt(0)
	v_mul_f64 v[132:133], v[128:129], v[30:31]
	scratch_load_dwordx4 v[80:83], off, off offset:864
	v_fmac_f64_e32 v[132:133], v[130:131], v[28:29]
	v_accvgpr_write_b32 a145, v23
	v_add_f64 v[0:1], v[0:1], v[132:133]
	v_mul_f64 v[86:87], v[142:143], v[86:87]
	ds_read_b128 v[132:135], v2 offset:1648
	v_mul_f64 v[6:7], v[158:159], v[90:91]
	v_accvgpr_write_b32 a144, v22
	v_accvgpr_write_b32 a143, v21
	;; [unrolled: 1-line block ×3, first 2 shown]
	v_fma_f64 v[24:25], v[140:141], v[84:85], -v[86:87]
	v_fma_f64 v[20:21], v[156:157], v[88:89], -v[6:7]
	scratch_load_dwordx4 v[88:91], off, off offset:880
	scratch_load_dwordx4 v[84:87], off, off offset:896
	v_accvgpr_write_b32 a141, v19
	v_mul_f64 v[6:7], v[170:171], v[94:95]
	v_accvgpr_write_b32 a140, v18
	v_accvgpr_write_b32 a139, v17
	;; [unrolled: 1-line block ×3, first 2 shown]
	v_fma_f64 v[16:17], v[168:169], v[92:93], -v[6:7]
	s_waitcnt vmcnt(14) lgkmcnt(0)
	v_mul_f64 v[6:7], v[132:133], v[34:35]
	v_fmac_f64_e32 v[6:7], v[134:135], v[32:33]
	v_accvgpr_write_b32 a137, v15
	v_add_f64 v[0:1], v[0:1], v[6:7]
	v_mul_f64 v[6:7], v[182:183], v[98:99]
	v_accvgpr_write_b32 a136, v14
	v_accvgpr_write_b32 a135, v13
	;; [unrolled: 1-line block ×3, first 2 shown]
	ds_read_b128 v[136:139], v2 offset:1664
	v_fma_f64 v[12:13], v[180:181], v[96:97], -v[6:7]
	scratch_load_dwordx4 v[96:99], off, off offset:912
	scratch_load_dwordx4 v[92:95], off, off offset:928
	v_mul_f64 v[6:7], v[194:195], v[114:115]
	v_fma_f64 v[14:15], v[192:193], v[112:113], -v[6:7]
	scratch_load_dwordx4 v[112:115], off, off offset:944
	ds_read_b128 v[140:143], v2 offset:1680
	s_waitcnt vmcnt(16) lgkmcnt(1)
	v_mul_f64 v[6:7], v[136:137], v[38:39]
	v_fmac_f64_e32 v[6:7], v[138:139], v[36:37]
	v_accvgpr_write_b32 a133, v11
	v_add_f64 v[0:1], v[0:1], v[6:7]
	v_mul_f64 v[6:7], v[202:203], v[146:147]
	v_accvgpr_write_b32 a132, v10
	v_accvgpr_write_b32 a131, v9
	;; [unrolled: 1-line block ×3, first 2 shown]
	v_fma_f64 v[10:11], v[200:201], v[144:145], -v[6:7]
	ds_read_b128 v[144:147], v2 offset:1696
	s_waitcnt vmcnt(15) lgkmcnt(1)
	v_mul_f64 v[6:7], v[140:141], v[42:43]
	v_fmac_f64_e32 v[6:7], v[142:143], v[40:41]
	v_add_f64 v[0:1], v[0:1], v[6:7]
	v_mul_f64 v[6:7], v[206:207], v[150:151]
	v_fma_f64 v[18:19], v[204:205], v[148:149], -v[6:7]
	ds_read_b128 v[148:151], v2 offset:1712
	v_mul_f64 v[154:155], v[210:211], v[154:155]
	v_fma_f64 v[8:9], v[208:209], v[152:153], -v[154:155]
	ds_read_b128 v[152:155], v2 offset:1728
	s_waitcnt vmcnt(14) lgkmcnt(2)
	v_mul_f64 v[6:7], v[144:145], v[46:47]
	v_fmac_f64_e32 v[6:7], v[146:147], v[44:45]
	v_add_f64 v[0:1], v[0:1], v[6:7]
	s_waitcnt vmcnt(13) lgkmcnt(1)
	v_mul_f64 v[6:7], v[148:149], v[50:51]
	ds_read_b128 v[156:159], v2 offset:1744
	v_fmac_f64_e32 v[6:7], v[150:151], v[48:49]
	v_add_f64 v[0:1], v[0:1], v[6:7]
	s_waitcnt vmcnt(12) lgkmcnt(1)
	v_mul_f64 v[6:7], v[152:153], v[54:55]
	v_fmac_f64_e32 v[6:7], v[154:155], v[52:53]
	v_add_f64 v[0:1], v[0:1], v[6:7]
	v_mul_f64 v[6:7], v[214:215], v[162:163]
	v_fma_f64 v[22:23], v[212:213], v[160:161], -v[6:7]
	ds_read_b128 v[160:163], v2 offset:1760
	s_waitcnt vmcnt(11) lgkmcnt(1)
	v_mul_f64 v[6:7], v[156:157], v[58:59]
	v_fmac_f64_e32 v[6:7], v[158:159], v[56:57]
	v_add_f64 v[0:1], v[0:1], v[6:7]
	v_mul_f64 v[6:7], v[218:219], v[166:167]
	v_fma_f64 v[4:5], v[216:217], v[164:165], -v[6:7]
	ds_read_b128 v[164:167], v2 offset:1776
	ds_read_b128 v[168:171], v2 offset:1792
	s_waitcnt vmcnt(10) lgkmcnt(2)
	v_mul_f64 v[6:7], v[160:161], v[62:63]
	v_fmac_f64_e32 v[6:7], v[162:163], v[60:61]
	v_add_f64 v[0:1], v[0:1], v[6:7]
	s_waitcnt vmcnt(9) lgkmcnt(1)
	v_mul_f64 v[6:7], v[164:165], v[66:67]
	v_fmac_f64_e32 v[6:7], v[166:167], v[64:65]
	v_add_f64 v[0:1], v[0:1], v[6:7]
	v_mul_f64 v[6:7], v[222:223], v[174:175]
	v_fma_f64 v[26:27], v[220:221], v[172:173], -v[6:7]
	ds_read_b128 v[172:175], v2 offset:1808
	v_mul_f64 v[6:7], v[226:227], v[178:179]
	v_fma_f64 v[6:7], v[224:225], v[176:177], -v[6:7]
	ds_read_b128 v[176:179], v2 offset:1824
	s_waitcnt vmcnt(8) lgkmcnt(2)
	v_mul_f64 v[180:181], v[168:169], v[70:71]
	v_fmac_f64_e32 v[180:181], v[170:171], v[68:69]
	v_add_f64 v[0:1], v[0:1], v[180:181]
	s_waitcnt vmcnt(7) lgkmcnt(1)
	v_mul_f64 v[180:181], v[172:173], v[74:75]
	v_fmac_f64_e32 v[180:181], v[174:175], v[72:73]
	s_waitcnt vmcnt(6) lgkmcnt(0)
	v_mul_f64 v[192:193], v[176:177], v[78:79]
	v_add_f64 v[0:1], v[0:1], v[180:181]
	v_fmac_f64_e32 v[192:193], v[178:179], v[76:77]
	ds_read_b128 v[180:183], v2 offset:1840
	v_add_f64 v[192:193], v[0:1], v[192:193]
	v_mul_f64 v[0:1], v[230:231], v[186:187]
	v_fma_f64 v[0:1], v[228:229], v[184:185], -v[0:1]
	ds_read_b128 v[184:187], v2 offset:1856
	s_waitcnt vmcnt(5) lgkmcnt(1)
	v_mul_f64 v[194:195], v[180:181], v[82:83]
	v_fmac_f64_e32 v[194:195], v[182:183], v[80:81]
	v_mul_f64 v[190:191], v[246:247], v[190:191]
	v_add_f64 v[192:193], v[192:193], v[194:195]
	v_fma_f64 v[238:239], v[244:245], v[188:189], -v[190:191]
	ds_read_b128 v[188:191], v2 offset:1872
	s_waitcnt vmcnt(4) lgkmcnt(1)
	v_mul_f64 v[194:195], v[184:185], v[90:91]
	v_fmac_f64_e32 v[194:195], v[186:187], v[88:89]
	v_add_f64 v[200:201], v[192:193], v[194:195]
	ds_read_b128 v[192:195], v2 offset:1888
	v_mul_f64 v[198:199], v[250:251], v[198:199]
	v_fma_f64 v[244:245], v[248:249], v[196:197], -v[198:199]
	ds_read_b128 v[196:199], v2 offset:1904
	ds_read_b128 v[208:211], v2 offset:1936
	s_waitcnt vmcnt(3) lgkmcnt(3)
	v_mul_f64 v[202:203], v[188:189], v[86:87]
	v_fmac_f64_e32 v[202:203], v[190:191], v[84:85]
	v_add_f64 v[200:201], v[200:201], v[202:203]
	s_waitcnt vmcnt(2) lgkmcnt(2)
	v_mul_f64 v[202:203], v[192:193], v[98:99]
	v_fmac_f64_e32 v[202:203], v[194:195], v[96:97]
	v_add_f64 v[200:201], v[200:201], v[202:203]
	;; [unrolled: 4-line block ×3, first 2 shown]
	ds_read_b128 v[200:203], v2 offset:1920
	ds_read_b128 v[216:219], v2 offset:1952
	;; [unrolled: 1-line block ×3, first 2 shown]
	s_waitcnt vmcnt(0) lgkmcnt(2)
	v_mul_f64 v[206:207], v[200:201], v[114:115]
	v_fmac_f64_e32 v[206:207], v[202:203], v[112:113]
	v_add_f64 v[212:213], v[204:205], v[206:207]
	scratch_load_dwordx4 v[204:207], off, off offset:960
	s_waitcnt vmcnt(0)
	v_mul_f64 v[214:215], v[208:209], v[206:207]
	v_fmac_f64_e32 v[214:215], v[210:211], v[204:205]
	v_add_f64 v[220:221], v[212:213], v[214:215]
	scratch_load_dwordx4 v[212:215], off, off offset:976
	s_waitcnt vmcnt(0) lgkmcnt(1)
	v_mul_f64 v[222:223], v[216:217], v[214:215]
	v_fmac_f64_e32 v[222:223], v[218:219], v[212:213]
	v_add_f64 v[228:229], v[220:221], v[222:223]
	scratch_load_dwordx4 v[220:223], off, off offset:992
	s_waitcnt vmcnt(0) lgkmcnt(0)
	v_mul_f64 v[230:231], v[224:225], v[222:223]
	v_fmac_f64_e32 v[230:231], v[226:227], v[220:221]
	v_add_f64 v[248:249], v[228:229], v[230:231]
	v_add_f64 v[228:229], v[240:241], 0
	;; [unrolled: 1-line block ×6, first 2 shown]
	scratch_load_dwordx4 v[228:231], off, off offset:240
	v_add_f64 v[20:21], v[24:25], v[20:21]
	v_add_f64 v[16:17], v[20:21], v[16:17]
	v_add_f64 v[12:13], v[16:17], v[12:13]
	v_add_f64 v[12:13], v[12:13], v[14:15]
	v_add_f64 v[10:11], v[12:13], v[10:11]
	v_add_f64 v[10:11], v[10:11], v[18:19]
	v_add_f64 v[8:9], v[10:11], v[8:9]
	v_add_f64 v[8:9], v[8:9], v[22:23]
	v_add_f64 v[4:5], v[8:9], v[4:5]
	v_add_f64 v[246:247], v[4:5], v[26:27]
	v_add_f64 v[4:5], v[246:247], v[6:7]
	v_accvgpr_read_b32 v6, a126
	v_accvgpr_read_b32 v8, a128
	;; [unrolled: 1-line block ×3, first 2 shown]
	v_add_f64 v[0:1], v[4:5], v[0:1]
	v_accvgpr_read_b32 v7, a127
	v_mul_f64 v[4:5], v[102:103], v[8:9]
	v_add_f64 v[0:1], v[0:1], v[238:239]
	v_fma_f64 v[4:5], v[100:101], v[6:7], -v[4:5]
	v_accvgpr_read_b32 v6, a130
	v_add_f64 v[0:1], v[0:1], v[244:245]
	v_accvgpr_read_b32 v8, a132
	v_accvgpr_read_b32 v9, a133
	v_add_f64 v[0:1], v[0:1], v[4:5]
	v_accvgpr_read_b32 v7, a131
	v_mul_f64 v[4:5], v[106:107], v[8:9]
	v_fma_f64 v[4:5], v[104:105], v[6:7], -v[4:5]
	v_accvgpr_read_b32 v6, a134
	v_accvgpr_read_b32 v8, a136
	v_accvgpr_read_b32 v9, a137
	v_add_f64 v[0:1], v[0:1], v[4:5]
	v_accvgpr_read_b32 v7, a135
	v_mul_f64 v[4:5], v[110:111], v[8:9]
	v_fma_f64 v[4:5], v[108:109], v[6:7], -v[4:5]
	v_accvgpr_read_b32 v6, a138
	;; [unrolled: 7-line block ×3, first 2 shown]
	v_accvgpr_read_b32 v8, a144
	v_accvgpr_read_b32 v9, a145
	v_add_f64 v[0:1], v[0:1], v[4:5]
	v_accvgpr_read_b32 v7, a143
	v_mul_f64 v[4:5], v[122:123], v[8:9]
	v_fma_f64 v[4:5], v[120:121], v[6:7], -v[4:5]
	v_add_f64 v[0:1], v[0:1], v[4:5]
	v_mul_f64 v[4:5], v[126:127], v[236:237]
	v_fma_f64 v[4:5], v[124:125], v[234:235], -v[4:5]
	v_add_f64 v[0:1], v[0:1], v[4:5]
	v_mul_f64 v[4:5], v[130:131], v[30:31]
	v_fma_f64 v[4:5], v[128:129], v[28:29], -v[4:5]
	v_add_f64 v[0:1], v[0:1], v[4:5]
	v_mul_f64 v[4:5], v[134:135], v[34:35]
	v_fma_f64 v[4:5], v[132:133], v[32:33], -v[4:5]
	v_add_f64 v[0:1], v[0:1], v[4:5]
	v_mul_f64 v[4:5], v[138:139], v[38:39]
	v_fma_f64 v[4:5], v[136:137], v[36:37], -v[4:5]
	v_add_f64 v[0:1], v[0:1], v[4:5]
	v_mul_f64 v[4:5], v[142:143], v[42:43]
	v_fma_f64 v[4:5], v[140:141], v[40:41], -v[4:5]
	v_add_f64 v[0:1], v[0:1], v[4:5]
	v_mul_f64 v[4:5], v[146:147], v[46:47]
	v_fma_f64 v[4:5], v[144:145], v[44:45], -v[4:5]
	v_add_f64 v[0:1], v[0:1], v[4:5]
	v_mul_f64 v[4:5], v[150:151], v[50:51]
	v_fma_f64 v[4:5], v[148:149], v[48:49], -v[4:5]
	v_add_f64 v[0:1], v[0:1], v[4:5]
	v_mul_f64 v[4:5], v[154:155], v[54:55]
	v_fma_f64 v[4:5], v[152:153], v[52:53], -v[4:5]
	v_add_f64 v[0:1], v[0:1], v[4:5]
	v_mul_f64 v[4:5], v[158:159], v[58:59]
	v_fma_f64 v[4:5], v[156:157], v[56:57], -v[4:5]
	v_add_f64 v[0:1], v[0:1], v[4:5]
	v_mul_f64 v[4:5], v[162:163], v[62:63]
	v_fma_f64 v[4:5], v[160:161], v[60:61], -v[4:5]
	v_add_f64 v[0:1], v[0:1], v[4:5]
	v_mul_f64 v[4:5], v[166:167], v[66:67]
	v_fma_f64 v[4:5], v[164:165], v[64:65], -v[4:5]
	v_add_f64 v[0:1], v[0:1], v[4:5]
	v_mul_f64 v[4:5], v[170:171], v[70:71]
	v_fma_f64 v[4:5], v[168:169], v[68:69], -v[4:5]
	v_add_f64 v[0:1], v[0:1], v[4:5]
	v_mul_f64 v[4:5], v[174:175], v[74:75]
	v_fma_f64 v[4:5], v[172:173], v[72:73], -v[4:5]
	v_add_f64 v[0:1], v[0:1], v[4:5]
	v_mul_f64 v[4:5], v[178:179], v[78:79]
	v_fma_f64 v[4:5], v[176:177], v[76:77], -v[4:5]
	v_add_f64 v[0:1], v[0:1], v[4:5]
	v_mul_f64 v[4:5], v[182:183], v[82:83]
	v_fma_f64 v[4:5], v[180:181], v[80:81], -v[4:5]
	v_add_f64 v[0:1], v[0:1], v[4:5]
	v_mul_f64 v[4:5], v[186:187], v[90:91]
	v_fma_f64 v[4:5], v[184:185], v[88:89], -v[4:5]
	v_add_f64 v[0:1], v[0:1], v[4:5]
	v_mul_f64 v[4:5], v[190:191], v[86:87]
	v_fma_f64 v[4:5], v[188:189], v[84:85], -v[4:5]
	v_add_f64 v[0:1], v[0:1], v[4:5]
	v_mul_f64 v[4:5], v[194:195], v[98:99]
	v_fma_f64 v[4:5], v[192:193], v[96:97], -v[4:5]
	v_add_f64 v[0:1], v[0:1], v[4:5]
	v_mul_f64 v[4:5], v[198:199], v[94:95]
	v_fma_f64 v[4:5], v[196:197], v[92:93], -v[4:5]
	v_add_f64 v[0:1], v[0:1], v[4:5]
	v_mul_f64 v[4:5], v[202:203], v[114:115]
	v_fma_f64 v[4:5], v[200:201], v[112:113], -v[4:5]
	v_add_f64 v[0:1], v[0:1], v[4:5]
	v_mul_f64 v[4:5], v[210:211], v[206:207]
	v_fma_f64 v[4:5], v[208:209], v[204:205], -v[4:5]
	v_add_f64 v[0:1], v[0:1], v[4:5]
	v_mul_f64 v[4:5], v[218:219], v[214:215]
	v_fma_f64 v[4:5], v[216:217], v[212:213], -v[4:5]
	v_add_f64 v[0:1], v[0:1], v[4:5]
	v_mul_f64 v[4:5], v[226:227], v[222:223]
	v_fma_f64 v[4:5], v[224:225], v[220:221], -v[4:5]
	v_add_f64 v[0:1], v[0:1], v[4:5]
	s_waitcnt vmcnt(0)
	v_add_f64 v[4:5], v[228:229], -v[0:1]
	v_add_f64 v[6:7], v[230:231], -v[248:249]
	scratch_store_dwordx4 off, v[4:7], off offset:240
	s_and_saveexec_b64 s[0:1], vcc
	s_cbranch_execz .LBB125_371
; %bb.370:
	scratch_load_dwordx4 v[6:9], off, s75
	v_mov_b32_e32 v3, v2
	v_mov_b32_e32 v4, v2
	;; [unrolled: 1-line block ×3, first 2 shown]
	v_accvgpr_read_b32 v0, a1
	scratch_store_dwordx4 off, v[2:5], off offset:224
	s_waitcnt vmcnt(1)
	ds_write_b128 v0, v[6:9]
.LBB125_371:
	s_or_b64 exec, exec, s[0:1]
	s_waitcnt lgkmcnt(0)
	; wave barrier
	scratch_load_dwordx4 v[40:43], off, off offset:240
	scratch_load_dwordx4 v[44:47], off, off offset:256
	;; [unrolled: 1-line block ×18, first 2 shown]
	ds_read_b128 v[164:167], v2 offset:1216
	ds_read_b128 v[232:235], v2 offset:1232
	;; [unrolled: 1-line block ×6, first 2 shown]
	scratch_load_dwordx4 v[140:143], off, off offset:528
	ds_read_b128 v[224:227], v2 offset:1312
	ds_read_b128 v[212:215], v2 offset:1328
	ds_read_b128 v[180:183], v2 offset:1344
	scratch_load_dwordx4 v[4:7], off, off offset:544
	ds_read_b128 v[228:231], v2 offset:1360
	ds_read_b128 v[216:219], v2 offset:1376
	;; [unrolled: 1-line block ×5, first 2 shown]
	scratch_load_dwordx4 v[8:11], off, off offset:560
	ds_read_b128 v[208:211], v2 offset:1440
	ds_read_b128 v[196:199], v2 offset:1456
	ds_read_b128 v[184:187], v2 offset:1472
	scratch_load_dwordx4 v[12:15], off, off offset:576
	ds_read_b128 v[200:203], v2 offset:1488
	scratch_load_dwordx4 v[16:19], off, off offset:592
	scratch_load_dwordx4 v[20:23], off, off offset:608
	;; [unrolled: 1-line block ×7, first 2 shown]
	ds_read_b128 v[236:239], v2 offset:1504
	ds_read_b128 v[156:159], v2 offset:1568
	;; [unrolled: 1-line block ×3, first 2 shown]
	v_cmp_lt_u32_e32 vcc, 12, v254
	ds_read_b128 v[152:155], v2 offset:1552
	s_waitcnt vmcnt(28) lgkmcnt(14)
	v_mul_f64 v[0:1], v[164:165], v[42:43]
	s_waitcnt vmcnt(27)
	v_mul_f64 v[108:109], v[232:233], v[46:47]
	v_fmac_f64_e32 v[0:1], v[166:167], v[40:41]
	s_waitcnt vmcnt(26)
	v_mul_f64 v[110:111], v[168:169], v[50:51]
	v_fmac_f64_e32 v[108:109], v[234:235], v[44:45]
	v_add_f64 v[0:1], v[0:1], 0
	s_waitcnt vmcnt(25)
	v_mul_f64 v[116:117], v[220:221], v[54:55]
	v_fmac_f64_e32 v[110:111], v[170:171], v[48:49]
	v_add_f64 v[0:1], v[0:1], v[108:109]
	;; [unrolled: 4-line block ×6, first 2 shown]
	s_waitcnt vmcnt(20) lgkmcnt(13)
	v_mul_f64 v[126:127], v[180:181], v[78:79]
	v_fmac_f64_e32 v[124:125], v[214:215], v[68:69]
	v_add_f64 v[0:1], v[0:1], v[122:123]
	s_waitcnt vmcnt(19) lgkmcnt(12)
	v_mul_f64 v[128:129], v[228:229], v[82:83]
	v_fmac_f64_e32 v[126:127], v[182:183], v[76:77]
	v_add_f64 v[0:1], v[0:1], v[124:125]
	;; [unrolled: 4-line block ×9, first 2 shown]
	v_add_f64 v[0:1], v[0:1], v[148:149]
	v_fmac_f64_e32 v[150:151], v[186:187], v[112:113]
	s_waitcnt vmcnt(11) lgkmcnt(4)
	v_mul_f64 v[116:117], v[200:201], v[138:139]
	ds_read_b128 v[144:147], v2 offset:1520
	v_add_f64 v[0:1], v[0:1], v[150:151]
	v_fmac_f64_e32 v[116:117], v[202:203], v[136:137]
	scratch_load_dwordx4 v[108:111], off, off offset:704
	v_add_f64 v[0:1], v[0:1], v[116:117]
	s_waitcnt vmcnt(11) lgkmcnt(4)
	v_mul_f64 v[116:117], v[236:237], v[142:143]
	ds_read_b128 v[148:151], v2 offset:1536
	v_fmac_f64_e32 v[116:117], v[238:239], v[140:141]
	v_add_f64 v[0:1], v[0:1], v[116:117]
	scratch_load_dwordx4 v[116:119], off, off offset:720
	s_waitcnt vmcnt(11) lgkmcnt(1)
	v_mul_f64 v[124:125], v[144:145], v[6:7]
	scratch_load_dwordx4 v[120:123], off, off offset:736
	v_fmac_f64_e32 v[124:125], v[146:147], v[4:5]
	v_add_f64 v[0:1], v[0:1], v[124:125]
	s_waitcnt vmcnt(11) lgkmcnt(0)
	v_mul_f64 v[124:125], v[148:149], v[10:11]
	v_fmac_f64_e32 v[124:125], v[150:151], v[8:9]
	v_add_f64 v[0:1], v[0:1], v[124:125]
	scratch_load_dwordx4 v[124:127], off, off offset:752
	s_waitcnt vmcnt(11)
	v_mul_f64 v[128:129], v[152:153], v[14:15]
	v_fmac_f64_e32 v[128:129], v[154:155], v[12:13]
	v_add_f64 v[0:1], v[0:1], v[128:129]
	scratch_load_dwordx4 v[128:131], off, off offset:768
	s_waitcnt vmcnt(11)
	v_mul_f64 v[132:133], v[156:157], v[18:19]
	v_fmac_f64_e32 v[132:133], v[158:159], v[16:17]
	v_add_f64 v[0:1], v[0:1], v[132:133]
	scratch_load_dwordx4 v[132:135], off, off offset:784
	v_mul_f64 v[42:43], v[166:167], v[42:43]
	v_fma_f64 v[240:241], v[164:165], v[40:41], -v[42:43]
	scratch_load_dwordx4 v[40:43], off, off offset:800
	v_mul_f64 v[46:47], v[234:235], v[46:47]
	v_fma_f64 v[242:243], v[232:233], v[44:45], -v[46:47]
	;; [unrolled: 3-line block ×3, first 2 shown]
	v_mul_f64 v[48:49], v[222:223], v[54:55]
	v_fma_f64 v[250:251], v[220:221], v[52:53], -v[48:49]
	scratch_load_dwordx4 v[48:51], off, off offset:832
	scratch_load_dwordx4 v[52:55], off, off offset:848
	s_waitcnt vmcnt(15)
	v_mul_f64 v[164:165], v[160:161], v[22:23]
	v_fmac_f64_e32 v[164:165], v[162:163], v[20:21]
	v_add_f64 v[0:1], v[0:1], v[164:165]
	ds_read_b128 v[164:167], v2 offset:1600
	ds_read_b128 v[168:171], v2 offset:1616
	v_mul_f64 v[58:59], v[174:175], v[58:59]
	v_fma_f64 v[252:253], v[172:173], v[56:57], -v[58:59]
	ds_read_b128 v[172:175], v2 offset:1632
	v_mul_f64 v[56:57], v[178:179], v[62:63]
	v_fma_f64 v[244:245], v[176:177], v[60:61], -v[56:57]
	scratch_load_dwordx4 v[60:63], off, off offset:864
	scratch_load_dwordx4 v[56:59], off, off offset:880
	s_waitcnt vmcnt(16) lgkmcnt(2)
	v_mul_f64 v[232:233], v[164:165], v[38:39]
	s_waitcnt vmcnt(15) lgkmcnt(1)
	v_mul_f64 v[220:221], v[168:169], v[34:35]
	v_accvgpr_write_b32 a153, v35
	v_accvgpr_write_b32 a133, v7
	v_fmac_f64_e32 v[232:233], v[166:167], v[36:37]
	v_fmac_f64_e32 v[220:221], v[170:171], v[32:33]
	v_accvgpr_write_b32 a152, v34
	v_accvgpr_write_b32 a151, v33
	v_accvgpr_write_b32 a150, v32
	s_waitcnt vmcnt(14)
	v_mov_b64_e32 v[34:35], v[30:31]
	v_accvgpr_write_b32 a132, v6
	v_accvgpr_write_b32 a131, v5
	v_accvgpr_write_b32 a130, v4
	v_add_f64 v[0:1], v[0:1], v[232:233]
	v_mov_b64_e32 v[32:33], v[28:29]
	s_waitcnt lgkmcnt(0)
	v_mul_f64 v[6:7], v[172:173], v[34:35]
	v_add_f64 v[0:1], v[0:1], v[220:221]
	v_fmac_f64_e32 v[6:7], v[174:175], v[32:33]
	v_accvgpr_write_b32 a149, v23
	v_mul_f64 v[66:67], v[226:227], v[66:67]
	v_add_f64 v[0:1], v[0:1], v[6:7]
	v_mul_f64 v[6:7], v[214:215], v[70:71]
	v_accvgpr_write_b32 a148, v22
	v_accvgpr_write_b32 a147, v21
	;; [unrolled: 1-line block ×3, first 2 shown]
	v_fma_f64 v[24:25], v[224:225], v[64:65], -v[66:67]
	ds_read_b128 v[176:179], v2 offset:1648
	v_fma_f64 v[20:21], v[212:213], v[68:69], -v[6:7]
	scratch_load_dwordx4 v[68:71], off, off offset:896
	scratch_load_dwordx4 v[64:67], off, off offset:912
	v_accvgpr_write_b32 a145, v19
	v_mul_f64 v[78:79], v[182:183], v[78:79]
	v_accvgpr_write_b32 a144, v18
	v_accvgpr_write_b32 a143, v17
	;; [unrolled: 1-line block ×3, first 2 shown]
	v_fma_f64 v[16:17], v[180:181], v[76:77], -v[78:79]
	scratch_load_dwordx4 v[76:79], off, off offset:928
	s_waitcnt vmcnt(16)
	v_accvgpr_read_b32 v28, a126
	v_accvgpr_write_b32 a137, v11
	v_accvgpr_read_b32 v30, a128
	v_accvgpr_read_b32 v31, a129
	v_accvgpr_write_b32 a136, v10
	v_accvgpr_write_b32 a135, v9
	;; [unrolled: 1-line block ×3, first 2 shown]
	v_accvgpr_read_b32 v29, a127
	s_waitcnt lgkmcnt(0)
	v_mul_f64 v[10:11], v[176:177], v[30:31]
	v_fmac_f64_e32 v[10:11], v[178:179], v[28:29]
	v_accvgpr_write_b32 a141, v15
	ds_read_b128 v[180:183], v2 offset:1664
	v_add_f64 v[0:1], v[0:1], v[10:11]
	v_mul_f64 v[10:11], v[230:231], v[82:83]
	v_accvgpr_write_b32 a140, v14
	v_accvgpr_write_b32 a139, v13
	v_accvgpr_write_b32 a138, v12
	v_fma_f64 v[12:13], v[228:229], v[80:81], -v[10:11]
	ds_read_b128 v[80:83], v2 offset:1680
	v_mul_f64 v[86:87], v[218:219], v[86:87]
	v_fma_f64 v[10:11], v[216:217], v[84:85], -v[86:87]
	ds_read_b128 v[84:87], v2 offset:1696
	v_mul_f64 v[90:91], v[190:191], v[90:91]
	s_waitcnt vmcnt(15) lgkmcnt(2)
	v_mul_f64 v[212:213], v[180:181], v[74:75]
	v_fma_f64 v[246:247], v[188:189], v[88:89], -v[90:91]
	ds_read_b128 v[88:91], v2 offset:1712
	v_fmac_f64_e32 v[212:213], v[182:183], v[72:73]
	s_waitcnt vmcnt(14) lgkmcnt(2)
	v_mul_f64 v[14:15], v[80:81], v[110:111]
	v_add_f64 v[0:1], v[0:1], v[212:213]
	v_fmac_f64_e32 v[14:15], v[82:83], v[108:109]
	v_add_f64 v[0:1], v[0:1], v[14:15]
	s_waitcnt vmcnt(13) lgkmcnt(1)
	v_mul_f64 v[14:15], v[84:85], v[118:119]
	ds_read_b128 v[188:191], v2 offset:1728
	v_fmac_f64_e32 v[14:15], v[86:87], v[116:117]
	v_add_f64 v[0:1], v[0:1], v[14:15]
	s_waitcnt vmcnt(12) lgkmcnt(1)
	v_mul_f64 v[14:15], v[88:89], v[122:123]
	v_fmac_f64_e32 v[14:15], v[90:91], v[120:121]
	v_add_f64 v[0:1], v[0:1], v[14:15]
	v_mul_f64 v[14:15], v[206:207], v[94:95]
	v_fma_f64 v[8:9], v[204:205], v[92:93], -v[14:15]
	ds_read_b128 v[92:95], v2 offset:1744
	s_waitcnt vmcnt(11) lgkmcnt(1)
	v_mul_f64 v[14:15], v[188:189], v[126:127]
	v_fmac_f64_e32 v[14:15], v[190:191], v[124:125]
	v_add_f64 v[0:1], v[0:1], v[14:15]
	v_mul_f64 v[14:15], v[194:195], v[98:99]
	v_fma_f64 v[18:19], v[192:193], v[96:97], -v[14:15]
	ds_read_b128 v[96:99], v2 offset:1760
	ds_read_b128 v[192:195], v2 offset:1776
	s_waitcnt vmcnt(10) lgkmcnt(2)
	v_mul_f64 v[14:15], v[92:93], v[130:131]
	v_fmac_f64_e32 v[14:15], v[94:95], v[128:129]
	v_add_f64 v[0:1], v[0:1], v[14:15]
	s_waitcnt vmcnt(9) lgkmcnt(1)
	v_mul_f64 v[14:15], v[96:97], v[134:135]
	v_fmac_f64_e32 v[14:15], v[98:99], v[132:133]
	v_add_f64 v[0:1], v[0:1], v[14:15]
	v_mul_f64 v[14:15], v[210:211], v[102:103]
	v_fma_f64 v[6:7], v[208:209], v[100:101], -v[14:15]
	ds_read_b128 v[100:103], v2 offset:1792
	v_mul_f64 v[22:23], v[198:199], v[106:107]
	v_fma_f64 v[22:23], v[196:197], v[104:105], -v[22:23]
	ds_read_b128 v[104:107], v2 offset:1808
	s_waitcnt vmcnt(8) lgkmcnt(2)
	v_mul_f64 v[14:15], v[192:193], v[42:43]
	v_fmac_f64_e32 v[14:15], v[194:195], v[40:41]
	v_add_f64 v[0:1], v[0:1], v[14:15]
	s_waitcnt vmcnt(7) lgkmcnt(1)
	v_mul_f64 v[14:15], v[100:101], v[46:47]
	v_fmac_f64_e32 v[14:15], v[102:103], v[44:45]
	ds_read_b128 v[196:199], v2 offset:1824
	v_add_f64 v[0:1], v[0:1], v[14:15]
	s_waitcnt vmcnt(6) lgkmcnt(1)
	v_mul_f64 v[14:15], v[104:105], v[50:51]
	v_fmac_f64_e32 v[14:15], v[106:107], v[48:49]
	v_add_f64 v[0:1], v[0:1], v[14:15]
	v_mul_f64 v[14:15], v[186:187], v[114:115]
	v_fma_f64 v[4:5], v[184:185], v[112:113], -v[14:15]
	ds_read_b128 v[112:115], v2 offset:1840
	s_waitcnt vmcnt(5) lgkmcnt(1)
	v_mul_f64 v[14:15], v[196:197], v[54:55]
	v_fmac_f64_e32 v[14:15], v[198:199], v[52:53]
	v_add_f64 v[14:15], v[0:1], v[14:15]
	v_mul_f64 v[0:1], v[202:203], v[138:139]
	v_fma_f64 v[0:1], v[200:201], v[136:137], -v[0:1]
	ds_read_b128 v[136:139], v2 offset:1856
	ds_read_b128 v[184:187], v2 offset:1872
	s_waitcnt vmcnt(4) lgkmcnt(2)
	v_mul_f64 v[26:27], v[112:113], v[62:63]
	v_fmac_f64_e32 v[26:27], v[114:115], v[60:61]
	v_add_f64 v[26:27], v[14:15], v[26:27]
	v_mul_f64 v[14:15], v[238:239], v[142:143]
	v_fma_f64 v[14:15], v[236:237], v[140:141], -v[14:15]
	ds_read_b128 v[140:143], v2 offset:1888
	ds_read_b128 v[208:211], v2 offset:1920
	s_waitcnt vmcnt(3) lgkmcnt(3)
	v_mul_f64 v[200:201], v[136:137], v[58:59]
	v_fmac_f64_e32 v[200:201], v[138:139], v[56:57]
	v_add_f64 v[26:27], v[26:27], v[200:201]
	s_waitcnt vmcnt(2) lgkmcnt(2)
	v_mul_f64 v[200:201], v[184:185], v[70:71]
	v_fmac_f64_e32 v[200:201], v[186:187], v[68:69]
	v_add_f64 v[26:27], v[26:27], v[200:201]
	;; [unrolled: 4-line block ×3, first 2 shown]
	ds_read_b128 v[200:203], v2 offset:1904
	ds_read_b128 v[216:219], v2 offset:1936
	scratch_load_dwordx4 v[236:239], off, off offset:224
	scratch_load_dwordx4 v[232:235], off, off offset:992
	ds_read_b128 v[224:227], v2 offset:1952
	s_waitcnt vmcnt(2) lgkmcnt(2)
	v_mul_f64 v[204:205], v[200:201], v[78:79]
	v_fmac_f64_e32 v[204:205], v[202:203], v[76:77]
	v_add_f64 v[26:27], v[26:27], v[204:205]
	scratch_load_dwordx4 v[204:207], off, off offset:944
	s_waitcnt vmcnt(0)
	v_mul_f64 v[212:213], v[208:209], v[206:207]
	v_fmac_f64_e32 v[212:213], v[210:211], v[204:205]
	v_add_f64 v[26:27], v[26:27], v[212:213]
	scratch_load_dwordx4 v[212:215], off, off offset:960
	s_waitcnt vmcnt(0) lgkmcnt(1)
	v_mul_f64 v[220:221], v[216:217], v[214:215]
	v_fmac_f64_e32 v[220:221], v[218:219], v[212:213]
	v_add_f64 v[26:27], v[26:27], v[220:221]
	scratch_load_dwordx4 v[220:223], off, off offset:976
	s_waitcnt vmcnt(0) lgkmcnt(0)
	v_mul_f64 v[228:229], v[224:225], v[222:223]
	v_fmac_f64_e32 v[228:229], v[226:227], v[220:221]
	v_add_f64 v[26:27], v[26:27], v[228:229]
	ds_read_b128 v[228:231], v2 offset:1968
	s_waitcnt lgkmcnt(0)
	v_mul_f64 v[2:3], v[228:229], v[234:235]
	v_fmac_f64_e32 v[2:3], v[230:231], v[232:233]
	v_add_f64 v[2:3], v[26:27], v[2:3]
	v_add_f64 v[26:27], v[240:241], 0
	;; [unrolled: 1-line block ×18, first 2 shown]
	v_accvgpr_read_b32 v6, a130
	v_accvgpr_read_b32 v8, a132
	;; [unrolled: 1-line block ×4, first 2 shown]
	v_mul_f64 v[4:5], v[146:147], v[8:9]
	v_add_f64 v[0:1], v[248:249], v[0:1]
	v_fma_f64 v[4:5], v[144:145], v[6:7], -v[4:5]
	v_accvgpr_read_b32 v6, a134
	v_add_f64 v[0:1], v[0:1], v[14:15]
	v_accvgpr_read_b32 v8, a136
	v_accvgpr_read_b32 v9, a137
	v_add_f64 v[0:1], v[0:1], v[4:5]
	v_accvgpr_read_b32 v7, a135
	v_mul_f64 v[4:5], v[150:151], v[8:9]
	v_fma_f64 v[4:5], v[148:149], v[6:7], -v[4:5]
	v_accvgpr_read_b32 v6, a138
	v_accvgpr_read_b32 v8, a140
	v_accvgpr_read_b32 v9, a141
	v_add_f64 v[0:1], v[0:1], v[4:5]
	v_accvgpr_read_b32 v7, a139
	v_mul_f64 v[4:5], v[154:155], v[8:9]
	v_fma_f64 v[4:5], v[152:153], v[6:7], -v[4:5]
	v_accvgpr_read_b32 v6, a142
	;; [unrolled: 7-line block ×3, first 2 shown]
	v_accvgpr_read_b32 v8, a148
	v_accvgpr_read_b32 v9, a149
	v_add_f64 v[0:1], v[0:1], v[4:5]
	v_accvgpr_read_b32 v7, a147
	v_mul_f64 v[4:5], v[162:163], v[8:9]
	v_fma_f64 v[4:5], v[160:161], v[6:7], -v[4:5]
	v_add_f64 v[0:1], v[0:1], v[4:5]
	v_mul_f64 v[4:5], v[166:167], v[38:39]
	v_accvgpr_read_b32 v6, a150
	v_fma_f64 v[4:5], v[164:165], v[36:37], -v[4:5]
	v_accvgpr_read_b32 v8, a152
	v_accvgpr_read_b32 v9, a153
	v_add_f64 v[0:1], v[0:1], v[4:5]
	v_accvgpr_read_b32 v7, a151
	v_mul_f64 v[4:5], v[170:171], v[8:9]
	v_fma_f64 v[4:5], v[168:169], v[6:7], -v[4:5]
	v_add_f64 v[0:1], v[0:1], v[4:5]
	v_mul_f64 v[4:5], v[174:175], v[34:35]
	v_fma_f64 v[4:5], v[172:173], v[32:33], -v[4:5]
	v_add_f64 v[0:1], v[0:1], v[4:5]
	;; [unrolled: 3-line block ×23, first 2 shown]
	v_add_f64 v[4:5], v[236:237], -v[0:1]
	v_add_f64 v[6:7], v[238:239], -v[2:3]
	scratch_store_dwordx4 off, v[4:7], off offset:224
	s_and_saveexec_b64 s[0:1], vcc
	s_cbranch_execz .LBB125_373
; %bb.372:
	scratch_load_dwordx4 v[2:5], off, s76
	v_mov_b32_e32 v6, 0
	v_mov_b32_e32 v7, v6
	;; [unrolled: 1-line block ×4, first 2 shown]
	v_accvgpr_read_b32 v0, a1
	scratch_store_dwordx4 off, v[6:9], off offset:208
	s_waitcnt vmcnt(1)
	ds_write_b128 v0, v[2:5]
.LBB125_373:
	s_or_b64 exec, exec, s[0:1]
	s_waitcnt lgkmcnt(0)
	; wave barrier
	scratch_load_dwordx4 v[56:59], off, off offset:224
	scratch_load_dwordx4 v[60:63], off, off offset:240
	;; [unrolled: 1-line block ×28, first 2 shown]
	v_mov_b32_e32 v2, 0
	ds_read_b128 v[116:119], v2 offset:1200
	ds_read_b128 v[120:123], v2 offset:1216
	;; [unrolled: 1-line block ×21, first 2 shown]
	v_cmp_lt_u32_e32 vcc, 11, v254
	ds_read_b128 v[108:111], v2 offset:1568
	s_waitcnt vmcnt(27) lgkmcnt(14)
	v_mul_f64 v[0:1], v[116:117], v[58:59]
	s_waitcnt vmcnt(26)
	v_mul_f64 v[32:33], v[120:121], v[62:63]
	v_fmac_f64_e32 v[0:1], v[118:119], v[56:57]
	s_waitcnt vmcnt(25)
	v_mul_f64 v[34:35], v[124:125], v[66:67]
	v_fmac_f64_e32 v[32:33], v[122:123], v[60:61]
	v_add_f64 v[0:1], v[0:1], 0
	v_fmac_f64_e32 v[34:35], v[126:127], v[64:65]
	v_add_f64 v[0:1], v[0:1], v[32:33]
	v_add_f64 v[0:1], v[0:1], v[34:35]
	scratch_load_dwordx4 v[32:35], off, off offset:672
	s_waitcnt vmcnt(25)
	v_mul_f64 v[36:37], v[128:129], v[70:71]
	s_waitcnt vmcnt(24)
	v_mul_f64 v[38:39], v[132:133], v[74:75]
	v_fmac_f64_e32 v[36:37], v[130:131], v[68:69]
	s_waitcnt vmcnt(23)
	v_mul_f64 v[40:41], v[140:141], v[78:79]
	v_fmac_f64_e32 v[38:39], v[134:135], v[72:73]
	v_add_f64 v[0:1], v[0:1], v[36:37]
	s_waitcnt vmcnt(22)
	v_mul_f64 v[42:43], v[152:153], v[82:83]
	v_fmac_f64_e32 v[40:41], v[142:143], v[76:77]
	v_add_f64 v[0:1], v[0:1], v[38:39]
	;; [unrolled: 4-line block ×3, first 2 shown]
	s_waitcnt vmcnt(20) lgkmcnt(13)
	v_mul_f64 v[46:47], v[176:177], v[94:95]
	v_fmac_f64_e32 v[44:45], v[166:167], v[84:85]
	v_add_f64 v[0:1], v[0:1], v[42:43]
	s_waitcnt vmcnt(19) lgkmcnt(12)
	v_mul_f64 v[48:49], v[188:189], v[98:99]
	v_fmac_f64_e32 v[46:47], v[178:179], v[92:93]
	v_add_f64 v[0:1], v[0:1], v[44:45]
	s_waitcnt vmcnt(18) lgkmcnt(11)
	v_mul_f64 v[50:51], v[196:197], v[102:103]
	v_fmac_f64_e32 v[48:49], v[190:191], v[96:97]
	v_add_f64 v[0:1], v[0:1], v[46:47]
	s_waitcnt vmcnt(17) lgkmcnt(10)
	v_mul_f64 v[52:53], v[200:201], v[138:139]
	v_fmac_f64_e32 v[50:51], v[198:199], v[100:101]
	v_add_f64 v[0:1], v[0:1], v[48:49]
	s_waitcnt vmcnt(16) lgkmcnt(9)
	v_mul_f64 v[54:55], v[204:205], v[146:147]
	v_fmac_f64_e32 v[52:53], v[202:203], v[136:137]
	v_add_f64 v[0:1], v[0:1], v[50:51]
	s_waitcnt vmcnt(15) lgkmcnt(8)
	v_mul_f64 v[88:89], v[208:209], v[150:151]
	v_fmac_f64_e32 v[54:55], v[206:207], v[144:145]
	v_add_f64 v[0:1], v[0:1], v[52:53]
	s_waitcnt vmcnt(14) lgkmcnt(7)
	v_mul_f64 v[90:91], v[212:213], v[158:159]
	v_fmac_f64_e32 v[88:89], v[210:211], v[148:149]
	v_add_f64 v[0:1], v[0:1], v[54:55]
	s_waitcnt vmcnt(13) lgkmcnt(6)
	v_mul_f64 v[104:105], v[216:217], v[162:163]
	v_fmac_f64_e32 v[90:91], v[214:215], v[156:157]
	v_add_f64 v[0:1], v[0:1], v[88:89]
	s_waitcnt vmcnt(12) lgkmcnt(5)
	v_mul_f64 v[106:107], v[220:221], v[170:171]
	v_fmac_f64_e32 v[104:105], v[218:219], v[160:161]
	v_add_f64 v[0:1], v[0:1], v[90:91]
	v_add_f64 v[0:1], v[0:1], v[104:105]
	v_fmac_f64_e32 v[106:107], v[222:223], v[168:169]
	s_waitcnt vmcnt(11) lgkmcnt(4)
	v_mul_f64 v[40:41], v[224:225], v[174:175]
	v_add_f64 v[0:1], v[0:1], v[106:107]
	v_fmac_f64_e32 v[40:41], v[226:227], v[172:173]
	scratch_load_dwordx4 v[36:39], off, off offset:688
	v_add_f64 v[0:1], v[0:1], v[40:41]
	s_waitcnt vmcnt(11) lgkmcnt(3)
	v_mul_f64 v[40:41], v[228:229], v[182:183]
	v_fmac_f64_e32 v[40:41], v[230:231], v[180:181]
	s_waitcnt vmcnt(10) lgkmcnt(2)
	v_mul_f64 v[44:45], v[244:245], v[186:187]
	v_add_f64 v[0:1], v[0:1], v[40:41]
	v_fmac_f64_e32 v[44:45], v[246:247], v[184:185]
	scratch_load_dwordx4 v[40:43], off, off offset:704
	ds_read_b128 v[88:91], v2 offset:1536
	v_add_f64 v[0:1], v[0:1], v[44:45]
	s_waitcnt vmcnt(10) lgkmcnt(2)
	v_mul_f64 v[44:45], v[248:249], v[194:195]
	v_fmac_f64_e32 v[44:45], v[250:251], v[192:193]
	v_add_f64 v[0:1], v[0:1], v[44:45]
	scratch_load_dwordx4 v[44:47], off, off offset:720
	ds_read_b128 v[104:107], v2 offset:1552
	s_waitcnt vmcnt(10) lgkmcnt(1)
	v_mul_f64 v[48:49], v[88:89], v[6:7]
	v_accvgpr_write_b32 a133, v7
	v_fmac_f64_e32 v[48:49], v[90:91], v[4:5]
	v_accvgpr_write_b32 a132, v6
	v_accvgpr_write_b32 a131, v5
	;; [unrolled: 1-line block ×3, first 2 shown]
	s_waitcnt vmcnt(9)
	v_mov_b64_e32 v[4:5], v[8:9]
	v_add_f64 v[0:1], v[0:1], v[48:49]
	scratch_load_dwordx4 v[48:51], off, off offset:736
	v_mov_b64_e32 v[6:7], v[10:11]
	s_waitcnt lgkmcnt(0)
	v_mul_f64 v[52:53], v[104:105], v[6:7]
	v_fmac_f64_e32 v[52:53], v[106:107], v[4:5]
	v_add_f64 v[0:1], v[0:1], v[52:53]
	scratch_load_dwordx4 v[52:55], off, off offset:752
	v_mul_f64 v[58:59], v[118:119], v[58:59]
	s_waitcnt vmcnt(10)
	v_mov_b64_e32 v[4:5], v[12:13]
	v_fma_f64 v[240:241], v[116:117], v[56:57], -v[58:59]
	scratch_load_dwordx4 v[56:59], off, off offset:768
	v_mov_b64_e32 v[6:7], v[14:15]
	v_mul_f64 v[112:113], v[108:109], v[6:7]
	v_fmac_f64_e32 v[112:113], v[110:111], v[4:5]
	v_add_f64 v[0:1], v[0:1], v[112:113]
	ds_read_b128 v[112:115], v2 offset:1584
	ds_read_b128 v[116:119], v2 offset:1600
	v_mul_f64 v[62:63], v[122:123], v[62:63]
	v_fma_f64 v[242:243], v[120:121], v[60:61], -v[62:63]
	scratch_load_dwordx4 v[60:63], off, off offset:784
	s_waitcnt vmcnt(11)
	v_mov_b64_e32 v[4:5], v[16:17]
	v_mul_f64 v[66:67], v[126:127], v[66:67]
	v_mov_b64_e32 v[6:7], v[18:19]
	v_fma_f64 v[252:253], v[124:125], v[64:65], -v[66:67]
	scratch_load_dwordx4 v[64:67], off, off offset:800
	s_waitcnt lgkmcnt(1)
	v_mul_f64 v[120:121], v[112:113], v[6:7]
	v_fmac_f64_e32 v[120:121], v[114:115], v[4:5]
	s_waitcnt vmcnt(11)
	v_mov_b64_e32 v[4:5], v[20:21]
	v_mov_b64_e32 v[6:7], v[22:23]
	v_add_f64 v[0:1], v[0:1], v[120:121]
	s_waitcnt lgkmcnt(0)
	v_mul_f64 v[120:121], v[116:117], v[6:7]
	v_fmac_f64_e32 v[120:121], v[118:119], v[4:5]
	v_mul_f64 v[70:71], v[130:131], v[70:71]
	v_add_f64 v[0:1], v[0:1], v[120:121]
	v_fma_f64 v[232:233], v[128:129], v[68:69], -v[70:71]
	scratch_load_dwordx4 v[68:71], off, off offset:816
	ds_read_b128 v[120:123], v2 offset:1616
	ds_read_b128 v[124:127], v2 offset:1632
	v_mul_f64 v[74:75], v[134:135], v[74:75]
	v_accvgpr_write_b32 a137, v11
	v_fma_f64 v[28:29], v[132:133], v[72:73], -v[74:75]
	scratch_load_dwordx4 v[72:75], off, off offset:832
	v_accvgpr_write_b32 a136, v10
	v_accvgpr_write_b32 a135, v9
	;; [unrolled: 1-line block ×3, first 2 shown]
	v_mul_f64 v[6:7], v[142:143], v[78:79]
	s_waitcnt vmcnt(12)
	v_accvgpr_read_b32 v8, a126
	v_fma_f64 v[24:25], v[140:141], v[76:77], -v[6:7]
	v_accvgpr_read_b32 v10, a128
	v_accvgpr_read_b32 v11, a129
	scratch_load_dwordx4 v[76:79], off, off offset:848
	v_accvgpr_read_b32 v9, a127
	s_waitcnt lgkmcnt(1)
	v_mul_f64 v[6:7], v[120:121], v[10:11]
	v_fmac_f64_e32 v[6:7], v[122:123], v[8:9]
	v_accvgpr_write_b32 a149, v23
	v_add_f64 v[0:1], v[0:1], v[6:7]
	v_mul_f64 v[6:7], v[154:155], v[82:83]
	v_accvgpr_write_b32 a148, v22
	v_accvgpr_write_b32 a147, v21
	;; [unrolled: 1-line block ×3, first 2 shown]
	v_fma_f64 v[20:21], v[152:153], v[80:81], -v[6:7]
	s_waitcnt vmcnt(12) lgkmcnt(0)
	v_mul_f64 v[6:7], v[124:125], v[236:237]
	v_fmac_f64_e32 v[6:7], v[126:127], v[234:235]
	scratch_load_dwordx4 v[80:83], off, off offset:864
	v_accvgpr_write_b32 a145, v19
	v_add_f64 v[0:1], v[0:1], v[6:7]
	v_mul_f64 v[6:7], v[166:167], v[86:87]
	v_accvgpr_write_b32 a144, v18
	v_accvgpr_write_b32 a143, v17
	;; [unrolled: 1-line block ×3, first 2 shown]
	v_fma_f64 v[16:17], v[164:165], v[84:85], -v[6:7]
	scratch_load_dwordx4 v[84:87], off, off offset:880
	ds_read_b128 v[132:135], v2 offset:1648
	ds_read_b128 v[128:131], v2 offset:1664
	v_accvgpr_write_b32 a141, v15
	v_mul_f64 v[6:7], v[178:179], v[94:95]
	v_accvgpr_write_b32 a140, v14
	v_accvgpr_write_b32 a139, v13
	;; [unrolled: 1-line block ×3, first 2 shown]
	v_fma_f64 v[14:15], v[176:177], v[92:93], -v[6:7]
	v_mul_f64 v[6:7], v[190:191], v[98:99]
	v_fma_f64 v[12:13], v[188:189], v[96:97], -v[6:7]
	scratch_load_dwordx4 v[96:99], off, off offset:896
	scratch_load_dwordx4 v[92:95], off, off offset:912
	s_waitcnt vmcnt(15) lgkmcnt(1)
	v_mul_f64 v[6:7], v[132:133], v[34:35]
	v_fmac_f64_e32 v[6:7], v[134:135], v[32:33]
	v_add_f64 v[0:1], v[0:1], v[6:7]
	v_mul_f64 v[6:7], v[198:199], v[102:103]
	v_fma_f64 v[18:19], v[196:197], v[100:101], -v[6:7]
	scratch_load_dwordx4 v[100:103], off, off offset:928
	v_mul_f64 v[6:7], v[202:203], v[138:139]
	v_fma_f64 v[10:11], v[200:201], v[136:137], -v[6:7]
	ds_read_b128 v[136:139], v2 offset:1680
	ds_read_b128 v[140:143], v2 offset:1696
	s_waitcnt vmcnt(15) lgkmcnt(2)
	v_mul_f64 v[6:7], v[128:129], v[38:39]
	v_fmac_f64_e32 v[6:7], v[130:131], v[36:37]
	v_add_f64 v[0:1], v[0:1], v[6:7]
	s_waitcnt vmcnt(14) lgkmcnt(1)
	v_mul_f64 v[6:7], v[136:137], v[42:43]
	v_fmac_f64_e32 v[6:7], v[138:139], v[40:41]
	v_add_f64 v[0:1], v[0:1], v[6:7]
	v_mul_f64 v[6:7], v[206:207], v[146:147]
	v_fma_f64 v[22:23], v[204:205], v[144:145], -v[6:7]
	ds_read_b128 v[144:147], v2 offset:1712
	s_waitcnt vmcnt(13) lgkmcnt(1)
	v_mul_f64 v[6:7], v[140:141], v[46:47]
	v_fmac_f64_e32 v[6:7], v[142:143], v[44:45]
	v_add_f64 v[0:1], v[0:1], v[6:7]
	v_mul_f64 v[6:7], v[210:211], v[150:151]
	v_fma_f64 v[8:9], v[208:209], v[148:149], -v[6:7]
	ds_read_b128 v[148:151], v2 offset:1728
	s_waitcnt vmcnt(12) lgkmcnt(1)
	v_mul_f64 v[6:7], v[144:145], v[50:51]
	ds_read_b128 v[152:155], v2 offset:1744
	v_fmac_f64_e32 v[6:7], v[146:147], v[48:49]
	v_add_f64 v[0:1], v[0:1], v[6:7]
	v_mul_f64 v[6:7], v[214:215], v[158:159]
	v_fma_f64 v[26:27], v[212:213], v[156:157], -v[6:7]
	s_waitcnt vmcnt(11) lgkmcnt(1)
	v_mul_f64 v[6:7], v[148:149], v[54:55]
	v_fmac_f64_e32 v[6:7], v[150:151], v[52:53]
	ds_read_b128 v[156:159], v2 offset:1760
	v_add_f64 v[0:1], v[0:1], v[6:7]
	s_waitcnt vmcnt(10) lgkmcnt(1)
	v_mul_f64 v[6:7], v[152:153], v[58:59]
	v_fmac_f64_e32 v[6:7], v[154:155], v[56:57]
	v_add_f64 v[0:1], v[0:1], v[6:7]
	v_mul_f64 v[6:7], v[218:219], v[162:163]
	v_fma_f64 v[4:5], v[216:217], v[160:161], -v[6:7]
	ds_read_b128 v[160:163], v2 offset:1776
	ds_read_b128 v[164:167], v2 offset:1792
	s_waitcnt vmcnt(9) lgkmcnt(2)
	v_mul_f64 v[6:7], v[156:157], v[62:63]
	v_fmac_f64_e32 v[6:7], v[158:159], v[60:61]
	v_add_f64 v[0:1], v[0:1], v[6:7]
	s_waitcnt vmcnt(8) lgkmcnt(1)
	v_mul_f64 v[6:7], v[160:161], v[66:67]
	v_fmac_f64_e32 v[6:7], v[162:163], v[64:65]
	v_add_f64 v[0:1], v[0:1], v[6:7]
	v_mul_f64 v[6:7], v[222:223], v[170:171]
	v_fma_f64 v[30:31], v[220:221], v[168:169], -v[6:7]
	ds_read_b128 v[168:171], v2 offset:1808
	v_mul_f64 v[6:7], v[226:227], v[174:175]
	v_fma_f64 v[6:7], v[224:225], v[172:173], -v[6:7]
	ds_read_b128 v[172:175], v2 offset:1824
	s_waitcnt vmcnt(7) lgkmcnt(2)
	v_mul_f64 v[176:177], v[164:165], v[70:71]
	v_fmac_f64_e32 v[176:177], v[166:167], v[68:69]
	v_add_f64 v[0:1], v[0:1], v[176:177]
	s_waitcnt vmcnt(6) lgkmcnt(1)
	v_mul_f64 v[176:177], v[168:169], v[74:75]
	v_fmac_f64_e32 v[176:177], v[170:171], v[72:73]
	v_add_f64 v[0:1], v[0:1], v[176:177]
	s_waitcnt vmcnt(5) lgkmcnt(0)
	v_mul_f64 v[188:189], v[172:173], v[78:79]
	ds_read_b128 v[176:179], v2 offset:1840
	v_fmac_f64_e32 v[188:189], v[174:175], v[76:77]
	v_add_f64 v[188:189], v[0:1], v[188:189]
	v_mul_f64 v[0:1], v[230:231], v[182:183]
	v_fma_f64 v[0:1], v[228:229], v[180:181], -v[0:1]
	ds_read_b128 v[180:183], v2 offset:1856
	v_mul_f64 v[186:187], v[246:247], v[186:187]
	s_waitcnt vmcnt(4) lgkmcnt(1)
	v_mul_f64 v[190:191], v[176:177], v[82:83]
	v_fma_f64 v[238:239], v[244:245], v[184:185], -v[186:187]
	ds_read_b128 v[184:187], v2 offset:1872
	v_fmac_f64_e32 v[190:191], v[178:179], v[80:81]
	v_add_f64 v[196:197], v[188:189], v[190:191]
	ds_read_b128 v[188:191], v2 offset:1888
	s_waitcnt vmcnt(3) lgkmcnt(2)
	v_mul_f64 v[198:199], v[180:181], v[86:87]
	v_mul_f64 v[194:195], v[250:251], v[194:195]
	v_fmac_f64_e32 v[198:199], v[182:183], v[84:85]
	v_fma_f64 v[244:245], v[248:249], v[192:193], -v[194:195]
	ds_read_b128 v[192:195], v2 offset:1904
	ds_read_b128 v[200:203], v2 offset:1920
	v_add_f64 v[196:197], v[196:197], v[198:199]
	s_waitcnt vmcnt(2) lgkmcnt(3)
	v_mul_f64 v[198:199], v[184:185], v[98:99]
	v_fmac_f64_e32 v[198:199], v[186:187], v[96:97]
	v_add_f64 v[196:197], v[196:197], v[198:199]
	s_waitcnt vmcnt(1) lgkmcnt(2)
	v_mul_f64 v[198:199], v[188:189], v[94:95]
	v_fmac_f64_e32 v[198:199], v[190:191], v[92:93]
	;; [unrolled: 4-line block ×3, first 2 shown]
	v_add_f64 v[204:205], v[196:197], v[198:199]
	scratch_load_dwordx4 v[196:199], off, off offset:944
	ds_read_b128 v[208:211], v2 offset:1936
	ds_read_b128 v[216:219], v2 offset:1952
	;; [unrolled: 1-line block ×3, first 2 shown]
	s_waitcnt vmcnt(0) lgkmcnt(3)
	v_mul_f64 v[206:207], v[200:201], v[198:199]
	v_fmac_f64_e32 v[206:207], v[202:203], v[196:197]
	v_add_f64 v[212:213], v[204:205], v[206:207]
	scratch_load_dwordx4 v[204:207], off, off offset:960
	s_waitcnt vmcnt(0) lgkmcnt(2)
	v_mul_f64 v[214:215], v[208:209], v[206:207]
	v_fmac_f64_e32 v[214:215], v[210:211], v[204:205]
	v_add_f64 v[220:221], v[212:213], v[214:215]
	scratch_load_dwordx4 v[212:215], off, off offset:976
	;; [unrolled: 5-line block ×3, first 2 shown]
	s_waitcnt vmcnt(0) lgkmcnt(0)
	v_mul_f64 v[230:231], v[224:225], v[222:223]
	v_fmac_f64_e32 v[230:231], v[226:227], v[220:221]
	v_add_f64 v[248:249], v[228:229], v[230:231]
	v_add_f64 v[228:229], v[240:241], 0
	;; [unrolled: 1-line block ×6, first 2 shown]
	scratch_load_dwordx4 v[228:231], off, off offset:208
	v_add_f64 v[24:25], v[28:29], v[24:25]
	v_add_f64 v[20:21], v[24:25], v[20:21]
	;; [unrolled: 1-line block ×13, first 2 shown]
	v_accvgpr_read_b32 v6, a130
	v_accvgpr_read_b32 v8, a132
	v_accvgpr_read_b32 v9, a133
	v_add_f64 v[0:1], v[4:5], v[0:1]
	v_accvgpr_read_b32 v7, a131
	v_mul_f64 v[4:5], v[90:91], v[8:9]
	v_add_f64 v[0:1], v[0:1], v[238:239]
	v_fma_f64 v[4:5], v[88:89], v[6:7], -v[4:5]
	v_accvgpr_read_b32 v6, a134
	v_add_f64 v[0:1], v[0:1], v[244:245]
	v_accvgpr_read_b32 v8, a136
	v_accvgpr_read_b32 v9, a137
	v_add_f64 v[0:1], v[0:1], v[4:5]
	v_accvgpr_read_b32 v7, a135
	v_mul_f64 v[4:5], v[106:107], v[8:9]
	v_fma_f64 v[4:5], v[104:105], v[6:7], -v[4:5]
	v_accvgpr_read_b32 v6, a138
	v_accvgpr_read_b32 v8, a140
	v_accvgpr_read_b32 v9, a141
	v_add_f64 v[0:1], v[0:1], v[4:5]
	v_accvgpr_read_b32 v7, a139
	v_mul_f64 v[4:5], v[110:111], v[8:9]
	v_fma_f64 v[4:5], v[108:109], v[6:7], -v[4:5]
	v_accvgpr_read_b32 v6, a142
	;; [unrolled: 7-line block ×4, first 2 shown]
	v_accvgpr_read_b32 v8, a128
	v_accvgpr_read_b32 v9, a129
	v_add_f64 v[0:1], v[0:1], v[4:5]
	v_accvgpr_read_b32 v7, a127
	v_mul_f64 v[4:5], v[122:123], v[8:9]
	v_fma_f64 v[4:5], v[120:121], v[6:7], -v[4:5]
	v_add_f64 v[0:1], v[0:1], v[4:5]
	v_mul_f64 v[4:5], v[126:127], v[236:237]
	v_fma_f64 v[4:5], v[124:125], v[234:235], -v[4:5]
	v_add_f64 v[0:1], v[0:1], v[4:5]
	;; [unrolled: 3-line block ×23, first 2 shown]
	s_waitcnt vmcnt(0)
	v_add_f64 v[4:5], v[228:229], -v[0:1]
	v_add_f64 v[6:7], v[230:231], -v[248:249]
	scratch_store_dwordx4 off, v[4:7], off offset:208
	s_and_saveexec_b64 s[0:1], vcc
	s_cbranch_execz .LBB125_375
; %bb.374:
	scratch_load_dwordx4 v[6:9], off, s77
	v_mov_b32_e32 v3, v2
	v_mov_b32_e32 v4, v2
	v_mov_b32_e32 v5, v2
	v_accvgpr_read_b32 v0, a1
	scratch_store_dwordx4 off, v[2:5], off offset:192
	s_waitcnt vmcnt(1)
	ds_write_b128 v0, v[6:9]
.LBB125_375:
	s_or_b64 exec, exec, s[0:1]
	s_waitcnt lgkmcnt(0)
	; wave barrier
	scratch_load_dwordx4 v[56:59], off, off offset:208
	scratch_load_dwordx4 v[60:63], off, off offset:224
	;; [unrolled: 1-line block ×18, first 2 shown]
	ds_read_b128 v[116:119], v2 offset:1184
	ds_read_b128 v[224:227], v2 offset:1200
	;; [unrolled: 1-line block ×6, first 2 shown]
	scratch_load_dwordx4 v[180:183], off, off offset:496
	ds_read_b128 v[204:207], v2 offset:1280
	ds_read_b128 v[132:135], v2 offset:1296
	scratch_load_dwordx4 v[184:187], off, off offset:512
	ds_read_b128 v[220:223], v2 offset:1312
	ds_read_b128 v[216:219], v2 offset:1328
	;; [unrolled: 1-line block ×5, first 2 shown]
	scratch_load_dwordx4 v[192:195], off, off offset:528
	ds_read_b128 v[200:203], v2 offset:1392
	ds_read_b128 v[164:167], v2 offset:1408
	scratch_load_dwordx4 v[4:7], off, off offset:544
	ds_read_b128 v[212:215], v2 offset:1424
	ds_read_b128 v[188:191], v2 offset:1440
	;; [unrolled: 1-line block ×3, first 2 shown]
	scratch_load_dwordx4 v[8:11], off, off offset:560
	scratch_load_dwordx4 v[12:15], off, off offset:576
	;; [unrolled: 1-line block ×6, first 2 shown]
	ds_read_b128 v[228:231], v2 offset:1472
	ds_read_b128 v[232:235], v2 offset:1488
	;; [unrolled: 1-line block ×3, first 2 shown]
	v_cmp_lt_u32_e32 vcc, 10, v254
	ds_read_b128 v[108:111], v2 offset:1552
	s_waitcnt vmcnt(27) lgkmcnt(14)
	v_mul_f64 v[0:1], v[116:117], v[58:59]
	s_waitcnt vmcnt(26)
	v_mul_f64 v[32:33], v[224:225], v[62:63]
	v_fmac_f64_e32 v[0:1], v[118:119], v[56:57]
	s_waitcnt vmcnt(25)
	v_mul_f64 v[34:35], v[208:209], v[66:67]
	v_fmac_f64_e32 v[32:33], v[226:227], v[60:61]
	v_add_f64 v[0:1], v[0:1], 0
	s_waitcnt vmcnt(24)
	v_mul_f64 v[36:37], v[120:121], v[70:71]
	v_fmac_f64_e32 v[34:35], v[210:211], v[64:65]
	v_add_f64 v[0:1], v[0:1], v[32:33]
	;; [unrolled: 4-line block ×6, first 2 shown]
	s_waitcnt vmcnt(19) lgkmcnt(13)
	v_mul_f64 v[46:47], v[220:221], v[94:95]
	v_fmac_f64_e32 v[44:45], v[134:135], v[84:85]
	v_add_f64 v[0:1], v[0:1], v[42:43]
	s_waitcnt vmcnt(18) lgkmcnt(12)
	v_mul_f64 v[48:49], v[216:217], v[98:99]
	v_fmac_f64_e32 v[46:47], v[222:223], v[92:93]
	v_add_f64 v[0:1], v[0:1], v[44:45]
	;; [unrolled: 4-line block ×9, first 2 shown]
	scratch_load_dwordx4 v[32:35], off, off offset:656
	scratch_load_dwordx4 v[36:39], off, off offset:672
	v_fmac_f64_e32 v[106:107], v[190:191], v[168:169]
	v_add_f64 v[0:1], v[0:1], v[104:105]
	s_waitcnt vmcnt(12) lgkmcnt(4)
	v_mul_f64 v[40:41], v[176:177], v[174:175]
	v_add_f64 v[0:1], v[0:1], v[106:107]
	v_fmac_f64_e32 v[40:41], v[178:179], v[172:173]
	v_add_f64 v[0:1], v[0:1], v[40:41]
	s_waitcnt vmcnt(11) lgkmcnt(3)
	v_mul_f64 v[40:41], v[228:229], v[182:183]
	v_fmac_f64_e32 v[40:41], v[230:231], v[180:181]
	s_waitcnt vmcnt(10) lgkmcnt(2)
	v_mul_f64 v[44:45], v[232:233], v[186:187]
	ds_read_b128 v[88:91], v2 offset:1520
	v_add_f64 v[0:1], v[0:1], v[40:41]
	v_fmac_f64_e32 v[44:45], v[234:235], v[184:185]
	v_add_f64 v[0:1], v[0:1], v[44:45]
	s_waitcnt vmcnt(9) lgkmcnt(2)
	v_mul_f64 v[44:45], v[236:237], v[194:195]
	scratch_load_dwordx4 v[40:43], off, off offset:688
	v_fmac_f64_e32 v[44:45], v[238:239], v[192:193]
	v_add_f64 v[0:1], v[0:1], v[44:45]
	scratch_load_dwordx4 v[44:47], off, off offset:704
	s_waitcnt vmcnt(10) lgkmcnt(0)
	v_mul_f64 v[48:49], v[88:89], v[6:7]
	ds_read_b128 v[104:107], v2 offset:1536
	v_fmac_f64_e32 v[48:49], v[90:91], v[4:5]
	v_accvgpr_write_b32 a133, v7
	v_add_f64 v[0:1], v[0:1], v[48:49]
	scratch_load_dwordx4 v[48:51], off, off offset:720
	v_accvgpr_write_b32 a132, v6
	v_accvgpr_write_b32 a131, v5
	;; [unrolled: 1-line block ×3, first 2 shown]
	s_waitcnt vmcnt(10)
	v_mov_b64_e32 v[4:5], v[8:9]
	v_mov_b64_e32 v[6:7], v[10:11]
	s_waitcnt lgkmcnt(0)
	v_mul_f64 v[52:53], v[104:105], v[6:7]
	v_fmac_f64_e32 v[52:53], v[106:107], v[4:5]
	v_add_f64 v[0:1], v[0:1], v[52:53]
	scratch_load_dwordx4 v[52:55], off, off offset:736
	v_mul_f64 v[58:59], v[118:119], v[58:59]
	v_fma_f64 v[240:241], v[116:117], v[56:57], -v[58:59]
	scratch_load_dwordx4 v[56:59], off, off offset:752
	v_mul_f64 v[62:63], v[226:227], v[62:63]
	s_waitcnt vmcnt(11)
	v_mov_b64_e32 v[4:5], v[12:13]
	v_fma_f64 v[242:243], v[224:225], v[60:61], -v[62:63]
	scratch_load_dwordx4 v[60:63], off, off offset:768
	v_mov_b64_e32 v[6:7], v[14:15]
	v_mul_f64 v[112:113], v[108:109], v[6:7]
	v_fmac_f64_e32 v[112:113], v[110:111], v[4:5]
	v_add_f64 v[0:1], v[0:1], v[112:113]
	ds_read_b128 v[112:115], v2 offset:1568
	ds_read_b128 v[116:119], v2 offset:1584
	v_mul_f64 v[66:67], v[210:211], v[66:67]
	v_fma_f64 v[248:249], v[208:209], v[64:65], -v[66:67]
	scratch_load_dwordx4 v[64:67], off, off offset:784
	v_mul_f64 v[70:71], v[122:123], v[70:71]
	s_waitcnt vmcnt(12)
	v_mov_b64_e32 v[4:5], v[16:17]
	v_fma_f64 v[250:251], v[120:121], v[68:69], -v[70:71]
	scratch_load_dwordx4 v[68:71], off, off offset:800
	v_mov_b64_e32 v[6:7], v[18:19]
	v_mul_f64 v[74:75], v[130:131], v[74:75]
	s_waitcnt lgkmcnt(1)
	v_mul_f64 v[224:225], v[112:113], v[6:7]
	v_fma_f64 v[252:253], v[128:129], v[72:73], -v[74:75]
	scratch_load_dwordx4 v[72:75], off, off offset:816
	v_fmac_f64_e32 v[224:225], v[114:115], v[4:5]
	s_waitcnt vmcnt(13)
	v_mov_b64_e32 v[4:5], v[20:21]
	ds_read_b128 v[120:123], v2 offset:1600
	v_mul_f64 v[78:79], v[126:127], v[78:79]
	v_mov_b64_e32 v[6:7], v[22:23]
	v_fma_f64 v[244:245], v[124:125], v[76:77], -v[78:79]
	ds_read_b128 v[124:127], v2 offset:1616
	scratch_load_dwordx4 v[76:79], off, off offset:832
	s_waitcnt lgkmcnt(2)
	v_mul_f64 v[208:209], v[116:117], v[6:7]
	v_accvgpr_write_b32 a137, v11
	v_fmac_f64_e32 v[208:209], v[118:119], v[4:5]
	s_waitcnt vmcnt(13)
	v_mov_b64_e32 v[4:5], v[24:25]
	v_accvgpr_write_b32 a136, v10
	v_accvgpr_write_b32 a135, v9
	;; [unrolled: 1-line block ×3, first 2 shown]
	v_mov_b64_e32 v[6:7], v[26:27]
	v_mul_f64 v[82:83], v[206:207], v[82:83]
	s_waitcnt vmcnt(12)
	v_accvgpr_read_b32 v8, a126
	v_add_f64 v[0:1], v[0:1], v[224:225]
	s_waitcnt lgkmcnt(1)
	v_mul_f64 v[128:129], v[120:121], v[6:7]
	v_fma_f64 v[28:29], v[204:205], v[80:81], -v[82:83]
	v_accvgpr_read_b32 v10, a128
	v_accvgpr_read_b32 v11, a129
	scratch_load_dwordx4 v[80:83], off, off offset:848
	v_add_f64 v[0:1], v[0:1], v[208:209]
	v_fmac_f64_e32 v[128:129], v[122:123], v[4:5]
	v_accvgpr_read_b32 v9, a127
	s_waitcnt lgkmcnt(0)
	v_mul_f64 v[6:7], v[124:125], v[10:11]
	v_add_f64 v[0:1], v[0:1], v[128:129]
	v_fmac_f64_e32 v[6:7], v[126:127], v[8:9]
	v_accvgpr_write_b32 a153, v27
	v_add_f64 v[0:1], v[0:1], v[6:7]
	v_mul_f64 v[6:7], v[134:135], v[86:87]
	v_accvgpr_write_b32 a152, v26
	v_accvgpr_write_b32 a151, v25
	;; [unrolled: 1-line block ×3, first 2 shown]
	v_fma_f64 v[24:25], v[132:133], v[84:85], -v[6:7]
	scratch_load_dwordx4 v[84:87], off, off offset:864
	v_accvgpr_write_b32 a145, v19
	v_mul_f64 v[10:11], v[218:219], v[98:99]
	v_accvgpr_write_b32 a144, v18
	v_accvgpr_write_b32 a143, v17
	;; [unrolled: 1-line block ×3, first 2 shown]
	ds_read_b128 v[132:135], v2 offset:1632
	ds_read_b128 v[128:131], v2 offset:1648
	v_fma_f64 v[16:17], v[216:217], v[96:97], -v[10:11]
	scratch_load_dwordx4 v[96:99], off, off offset:880
	v_accvgpr_write_b32 a149, v23
	v_mul_f64 v[94:95], v[222:223], v[94:95]
	v_accvgpr_write_b32 a148, v22
	v_accvgpr_write_b32 a147, v21
	;; [unrolled: 1-line block ×3, first 2 shown]
	v_fma_f64 v[20:21], v[220:221], v[92:93], -v[94:95]
	scratch_load_dwordx4 v[92:95], off, off offset:896
	v_accvgpr_write_b32 a141, v15
	v_mul_f64 v[102:103], v[198:199], v[102:103]
	v_accvgpr_write_b32 a140, v14
	v_accvgpr_write_b32 a139, v13
	;; [unrolled: 1-line block ×3, first 2 shown]
	v_fma_f64 v[12:13], v[196:197], v[100:101], -v[102:103]
	scratch_load_dwordx4 v[100:103], off, off offset:912
	s_waitcnt vmcnt(16) lgkmcnt(1)
	v_mul_f64 v[204:205], v[132:133], v[34:35]
	v_mul_f64 v[14:15], v[142:143], v[138:139]
	v_fmac_f64_e32 v[204:205], v[134:135], v[32:33]
	v_fma_f64 v[14:15], v[140:141], v[136:137], -v[14:15]
	s_waitcnt vmcnt(15) lgkmcnt(0)
	v_mul_f64 v[140:141], v[128:129], v[38:39]
	v_add_f64 v[0:1], v[0:1], v[204:205]
	ds_read_b128 v[136:139], v2 offset:1664
	v_fmac_f64_e32 v[140:141], v[130:131], v[36:37]
	v_add_f64 v[0:1], v[0:1], v[140:141]
	ds_read_b128 v[140:143], v2 offset:1680
	v_mul_f64 v[146:147], v[154:155], v[146:147]
	v_fma_f64 v[10:11], v[152:153], v[144:145], -v[146:147]
	ds_read_b128 v[144:147], v2 offset:1696
	s_waitcnt vmcnt(14) lgkmcnt(2)
	v_mul_f64 v[196:197], v[136:137], v[42:43]
	v_fmac_f64_e32 v[196:197], v[138:139], v[40:41]
	s_waitcnt vmcnt(13) lgkmcnt(1)
	v_mul_f64 v[18:19], v[140:141], v[46:47]
	v_add_f64 v[0:1], v[0:1], v[196:197]
	v_fmac_f64_e32 v[18:19], v[142:143], v[44:45]
	v_add_f64 v[0:1], v[0:1], v[18:19]
	v_mul_f64 v[18:19], v[202:203], v[150:151]
	v_fma_f64 v[18:19], v[200:201], v[148:149], -v[18:19]
	ds_read_b128 v[148:151], v2 offset:1712
	s_waitcnt vmcnt(12) lgkmcnt(1)
	v_mul_f64 v[152:153], v[144:145], v[50:51]
	v_fmac_f64_e32 v[152:153], v[146:147], v[48:49]
	v_add_f64 v[0:1], v[0:1], v[152:153]
	ds_read_b128 v[152:155], v2 offset:1728
	v_mul_f64 v[158:159], v[166:167], v[158:159]
	v_fma_f64 v[8:9], v[164:165], v[156:157], -v[158:159]
	ds_read_b128 v[156:159], v2 offset:1744
	s_waitcnt vmcnt(11) lgkmcnt(2)
	v_mul_f64 v[22:23], v[148:149], v[54:55]
	v_fmac_f64_e32 v[22:23], v[150:151], v[52:53]
	v_add_f64 v[0:1], v[0:1], v[22:23]
	s_waitcnt vmcnt(10) lgkmcnt(1)
	v_mul_f64 v[22:23], v[152:153], v[58:59]
	v_fmac_f64_e32 v[22:23], v[154:155], v[56:57]
	v_add_f64 v[0:1], v[0:1], v[22:23]
	v_mul_f64 v[22:23], v[214:215], v[162:163]
	s_waitcnt vmcnt(9) lgkmcnt(0)
	v_mul_f64 v[164:165], v[156:157], v[62:63]
	v_fma_f64 v[22:23], v[212:213], v[160:161], -v[22:23]
	ds_read_b128 v[160:163], v2 offset:1760
	v_fmac_f64_e32 v[164:165], v[158:159], v[60:61]
	v_add_f64 v[0:1], v[0:1], v[164:165]
	ds_read_b128 v[164:167], v2 offset:1776
	v_mul_f64 v[170:171], v[190:191], v[170:171]
	v_fma_f64 v[6:7], v[188:189], v[168:169], -v[170:171]
	ds_read_b128 v[168:171], v2 offset:1792
	v_mul_f64 v[174:175], v[178:179], v[174:175]
	s_waitcnt vmcnt(8) lgkmcnt(2)
	v_mul_f64 v[196:197], v[160:161], v[66:67]
	v_fma_f64 v[246:247], v[176:177], v[172:173], -v[174:175]
	ds_read_b128 v[172:175], v2 offset:1808
	v_fmac_f64_e32 v[196:197], v[162:163], v[64:65]
	s_waitcnt vmcnt(7) lgkmcnt(2)
	v_mul_f64 v[26:27], v[164:165], v[70:71]
	v_add_f64 v[0:1], v[0:1], v[196:197]
	v_fmac_f64_e32 v[26:27], v[166:167], v[68:69]
	v_add_f64 v[0:1], v[0:1], v[26:27]
	s_waitcnt vmcnt(6) lgkmcnt(1)
	v_mul_f64 v[26:27], v[168:169], v[74:75]
	v_fmac_f64_e32 v[26:27], v[170:171], v[72:73]
	ds_read_b128 v[176:179], v2 offset:1824
	v_add_f64 v[0:1], v[0:1], v[26:27]
	s_waitcnt vmcnt(5) lgkmcnt(1)
	v_mul_f64 v[26:27], v[172:173], v[78:79]
	v_fmac_f64_e32 v[26:27], v[174:175], v[76:77]
	v_add_f64 v[0:1], v[0:1], v[26:27]
	v_mul_f64 v[26:27], v[230:231], v[182:183]
	v_fma_f64 v[4:5], v[228:229], v[180:181], -v[26:27]
	ds_read_b128 v[180:183], v2 offset:1840
	s_waitcnt vmcnt(4) lgkmcnt(1)
	v_mul_f64 v[26:27], v[176:177], v[82:83]
	v_fmac_f64_e32 v[26:27], v[178:179], v[80:81]
	v_add_f64 v[26:27], v[0:1], v[26:27]
	v_mul_f64 v[0:1], v[234:235], v[186:187]
	v_fma_f64 v[0:1], v[232:233], v[184:185], -v[0:1]
	ds_read_b128 v[184:187], v2 offset:1856
	ds_read_b128 v[188:191], v2 offset:1872
	s_waitcnt vmcnt(3) lgkmcnt(2)
	v_mul_f64 v[30:31], v[180:181], v[86:87]
	v_fmac_f64_e32 v[30:31], v[182:183], v[84:85]
	v_add_f64 v[30:31], v[26:27], v[30:31]
	v_mul_f64 v[26:27], v[238:239], v[194:195]
	v_fma_f64 v[26:27], v[236:237], v[192:193], -v[26:27]
	ds_read_b128 v[192:195], v2 offset:1888
	ds_read_b128 v[200:203], v2 offset:1904
	scratch_load_dwordx4 v[236:239], off, off offset:192
	s_waitcnt vmcnt(3) lgkmcnt(3)
	v_mul_f64 v[196:197], v[184:185], v[98:99]
	v_fmac_f64_e32 v[196:197], v[186:187], v[96:97]
	v_add_f64 v[30:31], v[30:31], v[196:197]
	s_waitcnt vmcnt(2) lgkmcnt(2)
	v_mul_f64 v[196:197], v[188:189], v[94:95]
	v_fmac_f64_e32 v[196:197], v[190:191], v[92:93]
	v_add_f64 v[30:31], v[30:31], v[196:197]
	;; [unrolled: 4-line block ×3, first 2 shown]
	scratch_load_dwordx4 v[196:199], off, off offset:928
	scratch_load_dwordx4 v[232:235], off, off offset:992
	ds_read_b128 v[208:211], v2 offset:1920
	ds_read_b128 v[216:219], v2 offset:1936
	;; [unrolled: 1-line block ×3, first 2 shown]
	s_waitcnt vmcnt(1) lgkmcnt(3)
	v_mul_f64 v[204:205], v[200:201], v[198:199]
	v_fmac_f64_e32 v[204:205], v[202:203], v[196:197]
	v_add_f64 v[30:31], v[30:31], v[204:205]
	scratch_load_dwordx4 v[204:207], off, off offset:944
	s_waitcnt vmcnt(0) lgkmcnt(2)
	v_mul_f64 v[212:213], v[208:209], v[206:207]
	v_fmac_f64_e32 v[212:213], v[210:211], v[204:205]
	v_add_f64 v[30:31], v[30:31], v[212:213]
	scratch_load_dwordx4 v[212:215], off, off offset:960
	;; [unrolled: 5-line block ×3, first 2 shown]
	s_waitcnt vmcnt(0) lgkmcnt(0)
	v_mul_f64 v[228:229], v[224:225], v[222:223]
	v_fmac_f64_e32 v[228:229], v[226:227], v[220:221]
	v_add_f64 v[30:31], v[30:31], v[228:229]
	ds_read_b128 v[228:231], v2 offset:1968
	s_waitcnt lgkmcnt(0)
	v_mul_f64 v[2:3], v[228:229], v[234:235]
	v_fmac_f64_e32 v[2:3], v[230:231], v[232:233]
	v_add_f64 v[2:3], v[30:31], v[2:3]
	v_add_f64 v[30:31], v[240:241], 0
	;; [unrolled: 1-line block ×20, first 2 shown]
	v_accvgpr_read_b32 v6, a130
	v_accvgpr_read_b32 v8, a132
	;; [unrolled: 1-line block ×4, first 2 shown]
	v_mul_f64 v[4:5], v[90:91], v[8:9]
	v_add_f64 v[0:1], v[248:249], v[0:1]
	v_fma_f64 v[4:5], v[88:89], v[6:7], -v[4:5]
	v_accvgpr_read_b32 v6, a134
	v_add_f64 v[0:1], v[0:1], v[26:27]
	v_accvgpr_read_b32 v8, a136
	v_accvgpr_read_b32 v9, a137
	v_add_f64 v[0:1], v[0:1], v[4:5]
	v_accvgpr_read_b32 v7, a135
	v_mul_f64 v[4:5], v[106:107], v[8:9]
	v_fma_f64 v[4:5], v[104:105], v[6:7], -v[4:5]
	v_accvgpr_read_b32 v6, a138
	v_accvgpr_read_b32 v8, a140
	v_accvgpr_read_b32 v9, a141
	v_add_f64 v[0:1], v[0:1], v[4:5]
	v_accvgpr_read_b32 v7, a139
	v_mul_f64 v[4:5], v[110:111], v[8:9]
	v_fma_f64 v[4:5], v[108:109], v[6:7], -v[4:5]
	v_accvgpr_read_b32 v6, a142
	;; [unrolled: 7-line block ×5, first 2 shown]
	v_accvgpr_read_b32 v8, a128
	v_accvgpr_read_b32 v9, a129
	v_add_f64 v[0:1], v[0:1], v[4:5]
	v_accvgpr_read_b32 v7, a127
	v_mul_f64 v[4:5], v[126:127], v[8:9]
	v_fma_f64 v[4:5], v[124:125], v[6:7], -v[4:5]
	v_add_f64 v[0:1], v[0:1], v[4:5]
	v_mul_f64 v[4:5], v[134:135], v[34:35]
	v_fma_f64 v[4:5], v[132:133], v[32:33], -v[4:5]
	v_add_f64 v[0:1], v[0:1], v[4:5]
	;; [unrolled: 3-line block ×23, first 2 shown]
	v_add_f64 v[4:5], v[236:237], -v[0:1]
	v_add_f64 v[6:7], v[238:239], -v[2:3]
	scratch_store_dwordx4 off, v[4:7], off offset:192
	s_and_saveexec_b64 s[0:1], vcc
	s_cbranch_execz .LBB125_377
; %bb.376:
	scratch_load_dwordx4 v[2:5], off, s78
	v_mov_b32_e32 v6, 0
	v_mov_b32_e32 v7, v6
	;; [unrolled: 1-line block ×4, first 2 shown]
	v_accvgpr_read_b32 v0, a1
	scratch_store_dwordx4 off, v[6:9], off offset:176
	s_waitcnt vmcnt(1)
	ds_write_b128 v0, v[2:5]
.LBB125_377:
	s_or_b64 exec, exec, s[0:1]
	s_waitcnt lgkmcnt(0)
	; wave barrier
	scratch_load_dwordx4 v[48:51], off, off offset:192
	scratch_load_dwordx4 v[52:55], off, off offset:208
	;; [unrolled: 1-line block ×28, first 2 shown]
	v_mov_b32_e32 v2, 0
	ds_read_b128 v[104:107], v2 offset:1168
	ds_read_b128 v[112:115], v2 offset:1184
	;; [unrolled: 1-line block ×18, first 2 shown]
	scratch_load_dwordx4 a[126:129], off, off offset:640
	scratch_load_dwordx4 a[130:133], off, off offset:656
	ds_read_b128 v[220:223], v2 offset:1456
	ds_read_b128 v[224:227], v2 offset:1472
	;; [unrolled: 1-line block ×4, first 2 shown]
	scratch_load_dwordx4 v[234:237], off, off offset:672
	ds_read_b128 v[248:251], v2 offset:1520
	v_cmp_lt_u32_e32 vcc, 9, v254
	s_waitcnt vmcnt(30) lgkmcnt(14)
	v_mul_f64 v[0:1], v[104:105], v[50:51]
	s_waitcnt vmcnt(29)
	v_mul_f64 v[24:25], v[112:113], v[54:55]
	v_fmac_f64_e32 v[0:1], v[106:107], v[48:49]
	s_waitcnt vmcnt(28)
	v_mul_f64 v[26:27], v[116:117], v[58:59]
	v_fmac_f64_e32 v[24:25], v[114:115], v[52:53]
	v_add_f64 v[0:1], v[0:1], 0
	s_waitcnt vmcnt(27)
	v_mul_f64 v[28:29], v[120:121], v[62:63]
	v_fmac_f64_e32 v[26:27], v[118:119], v[56:57]
	v_add_f64 v[0:1], v[0:1], v[24:25]
	;; [unrolled: 4-line block ×7, first 2 shown]
	s_waitcnt vmcnt(21) lgkmcnt(13)
	v_mul_f64 v[40:41], v[172:173], v[86:87]
	v_fmac_f64_e32 v[38:39], v[162:163], v[80:81]
	v_add_f64 v[0:1], v[0:1], v[36:37]
	s_waitcnt vmcnt(20) lgkmcnt(12)
	v_mul_f64 v[42:43], v[184:185], v[94:95]
	v_fmac_f64_e32 v[40:41], v[174:175], v[84:85]
	v_add_f64 v[0:1], v[0:1], v[38:39]
	s_waitcnt vmcnt(19) lgkmcnt(11)
	v_mul_f64 v[44:45], v[192:193], v[102:103]
	v_fmac_f64_e32 v[42:43], v[186:187], v[92:93]
	v_add_f64 v[0:1], v[0:1], v[40:41]
	s_waitcnt vmcnt(18) lgkmcnt(10)
	v_mul_f64 v[46:47], v[196:197], v[110:111]
	v_fmac_f64_e32 v[44:45], v[194:195], v[100:101]
	v_add_f64 v[0:1], v[0:1], v[42:43]
	s_waitcnt vmcnt(17) lgkmcnt(9)
	v_mul_f64 v[88:89], v[200:201], v[138:139]
	v_fmac_f64_e32 v[46:47], v[198:199], v[108:109]
	v_add_f64 v[0:1], v[0:1], v[44:45]
	s_waitcnt vmcnt(16) lgkmcnt(8)
	v_mul_f64 v[90:91], v[204:205], v[142:143]
	v_fmac_f64_e32 v[88:89], v[202:203], v[136:137]
	v_add_f64 v[0:1], v[0:1], v[46:47]
	s_waitcnt vmcnt(15) lgkmcnt(7)
	v_mul_f64 v[96:97], v[208:209], v[146:147]
	v_fmac_f64_e32 v[90:91], v[206:207], v[140:141]
	v_add_f64 v[0:1], v[0:1], v[88:89]
	s_waitcnt vmcnt(14) lgkmcnt(6)
	v_mul_f64 v[98:99], v[212:213], v[154:155]
	v_fmac_f64_e32 v[96:97], v[210:211], v[144:145]
	v_add_f64 v[0:1], v[0:1], v[90:91]
	v_add_f64 v[0:1], v[0:1], v[96:97]
	v_fmac_f64_e32 v[98:99], v[214:215], v[152:153]
	s_waitcnt vmcnt(13) lgkmcnt(5)
	v_mul_f64 v[32:33], v[216:217], v[158:159]
	v_add_f64 v[0:1], v[0:1], v[98:99]
	v_fmac_f64_e32 v[32:33], v[218:219], v[156:157]
	v_add_f64 v[0:1], v[0:1], v[32:33]
	s_waitcnt vmcnt(12) lgkmcnt(4)
	v_mul_f64 v[32:33], v[220:221], v[166:167]
	v_fmac_f64_e32 v[32:33], v[222:223], v[164:165]
	s_waitcnt vmcnt(11) lgkmcnt(3)
	v_mul_f64 v[36:37], v[224:225], v[170:171]
	v_add_f64 v[0:1], v[0:1], v[32:33]
	v_fmac_f64_e32 v[36:37], v[226:227], v[168:169]
	v_add_f64 v[0:1], v[0:1], v[36:37]
	s_waitcnt vmcnt(10) lgkmcnt(2)
	v_mul_f64 v[36:37], v[228:229], v[178:179]
	v_fmac_f64_e32 v[36:37], v[230:231], v[176:177]
	v_add_f64 v[0:1], v[0:1], v[36:37]
	scratch_load_dwordx4 v[36:39], off, off offset:688
	s_waitcnt vmcnt(10) lgkmcnt(1)
	v_mul_f64 v[40:41], v[244:245], v[182:183]
	v_fmac_f64_e32 v[40:41], v[246:247], v[180:181]
	v_add_f64 v[0:1], v[0:1], v[40:41]
	scratch_load_dwordx4 v[40:43], off, off offset:704
	ds_read_b128 v[88:91], v2 offset:1536
	s_waitcnt vmcnt(10) lgkmcnt(1)
	v_mul_f64 v[44:45], v[248:249], v[190:191]
	v_fmac_f64_e32 v[44:45], v[250:251], v[188:189]
	v_add_f64 v[0:1], v[0:1], v[44:45]
	scratch_load_dwordx4 v[44:47], off, off offset:720
	v_mul_f64 v[50:51], v[106:107], v[50:51]
	v_fma_f64 v[240:241], v[104:105], v[48:49], -v[50:51]
	scratch_load_dwordx4 v[48:51], off, off offset:736
	s_waitcnt vmcnt(11) lgkmcnt(0)
	v_mul_f64 v[96:97], v[88:89], v[6:7]
	v_mul_f64 v[54:55], v[114:115], v[54:55]
	v_fmac_f64_e32 v[96:97], v[90:91], v[4:5]
	v_fma_f64 v[242:243], v[112:113], v[52:53], -v[54:55]
	scratch_load_dwordx4 v[52:55], off, off offset:752
	v_add_f64 v[0:1], v[0:1], v[96:97]
	ds_read_b128 v[96:99], v2 offset:1552
	ds_read_b128 v[104:107], v2 offset:1568
	v_accvgpr_write_b32 a137, v7
	v_accvgpr_write_b32 a136, v6
	;; [unrolled: 1-line block ×4, first 2 shown]
	s_waitcnt vmcnt(11)
	v_mov_b64_e32 v[4:5], v[8:9]
	v_mov_b64_e32 v[6:7], v[10:11]
	v_mul_f64 v[58:59], v[118:119], v[58:59]
	s_waitcnt lgkmcnt(1)
	v_mul_f64 v[112:113], v[96:97], v[6:7]
	v_fma_f64 v[252:253], v[116:117], v[56:57], -v[58:59]
	scratch_load_dwordx4 v[56:59], off, off offset:768
	v_fmac_f64_e32 v[112:113], v[98:99], v[4:5]
	s_waitcnt vmcnt(11)
	v_mov_b64_e32 v[4:5], v[12:13]
	v_mul_f64 v[62:63], v[122:123], v[62:63]
	v_mov_b64_e32 v[6:7], v[14:15]
	v_fma_f64 v[232:233], v[120:121], v[60:61], -v[62:63]
	scratch_load_dwordx4 v[60:63], off, off offset:784
	v_add_f64 v[0:1], v[0:1], v[112:113]
	s_waitcnt lgkmcnt(0)
	v_mul_f64 v[112:113], v[104:105], v[6:7]
	v_fmac_f64_e32 v[112:113], v[106:107], v[4:5]
	v_mul_f64 v[66:67], v[126:127], v[66:67]
	v_add_f64 v[0:1], v[0:1], v[112:113]
	ds_read_b128 v[112:115], v2 offset:1584
	ds_read_b128 v[116:119], v2 offset:1600
	v_fma_f64 v[32:33], v[124:125], v[64:65], -v[66:67]
	scratch_load_dwordx4 v[64:67], off, off offset:800
	v_accvgpr_write_b32 a141, v11
	v_accvgpr_write_b32 a140, v10
	;; [unrolled: 1-line block ×4, first 2 shown]
	s_waitcnt vmcnt(12)
	v_mov_b64_e32 v[8:9], v[16:17]
	v_mul_f64 v[6:7], v[130:131], v[70:71]
	v_mov_b64_e32 v[10:11], v[18:19]
	v_fma_f64 v[28:29], v[128:129], v[68:69], -v[6:7]
	s_waitcnt lgkmcnt(1)
	v_mul_f64 v[6:7], v[112:113], v[10:11]
	scratch_load_dwordx4 v[68:71], off, off offset:816
	v_fmac_f64_e32 v[6:7], v[114:115], v[8:9]
	v_add_f64 v[0:1], v[0:1], v[6:7]
	v_mul_f64 v[6:7], v[134:135], v[74:75]
	v_fma_f64 v[24:25], v[132:133], v[72:73], -v[6:7]
	s_waitcnt vmcnt(12)
	v_mov_b64_e32 v[8:9], v[20:21]
	scratch_load_dwordx4 v[72:75], off, off offset:832
	v_mov_b64_e32 v[10:11], v[22:23]
	s_waitcnt lgkmcnt(0)
	v_mul_f64 v[6:7], v[116:117], v[10:11]
	v_fmac_f64_e32 v[6:7], v[118:119], v[8:9]
	v_accvgpr_write_b32 a153, v23
	v_add_f64 v[0:1], v[0:1], v[6:7]
	v_mul_f64 v[6:7], v[150:151], v[78:79]
	v_accvgpr_write_b32 a152, v22
	v_accvgpr_write_b32 a151, v21
	;; [unrolled: 1-line block ×3, first 2 shown]
	v_fma_f64 v[20:21], v[148:149], v[76:77], -v[6:7]
	scratch_load_dwordx4 v[76:79], off, off offset:848
	ds_read_b128 v[124:127], v2 offset:1616
	ds_read_b128 v[120:123], v2 offset:1632
	v_accvgpr_write_b32 a149, v19
	v_mul_f64 v[6:7], v[162:163], v[82:83]
	v_accvgpr_write_b32 a145, v15
	v_accvgpr_write_b32 a148, v18
	v_accvgpr_write_b32 a147, v17
	v_accvgpr_write_b32 a146, v16
	v_fma_f64 v[16:17], v[160:161], v[80:81], -v[6:7]
	v_mul_f64 v[6:7], v[174:175], v[86:87]
	s_waitcnt vmcnt(13)
	v_accvgpr_read_b32 v8, a126
	v_accvgpr_write_b32 a144, v14
	v_accvgpr_write_b32 a143, v13
	;; [unrolled: 1-line block ×3, first 2 shown]
	v_fma_f64 v[14:15], v[172:173], v[84:85], -v[6:7]
	scratch_load_dwordx4 v[84:87], off, off offset:864
	scratch_load_dwordx4 v[80:83], off, off offset:880
	v_accvgpr_read_b32 v10, a128
	v_accvgpr_read_b32 v11, a129
	;; [unrolled: 1-line block ×3, first 2 shown]
	s_waitcnt lgkmcnt(1)
	v_mul_f64 v[6:7], v[124:125], v[10:11]
	v_fmac_f64_e32 v[6:7], v[126:127], v[8:9]
	s_waitcnt vmcnt(14)
	v_accvgpr_read_b32 v8, a130
	v_accvgpr_read_b32 v10, a132
	;; [unrolled: 1-line block ×3, first 2 shown]
	v_add_f64 v[0:1], v[0:1], v[6:7]
	v_accvgpr_read_b32 v9, a131
	s_waitcnt lgkmcnt(0)
	v_mul_f64 v[6:7], v[120:121], v[10:11]
	v_fmac_f64_e32 v[6:7], v[122:123], v[8:9]
	v_add_f64 v[0:1], v[0:1], v[6:7]
	v_mul_f64 v[6:7], v[186:187], v[94:95]
	v_fma_f64 v[18:19], v[184:185], v[92:93], -v[6:7]
	scratch_load_dwordx4 v[92:95], off, off offset:896
	v_mul_f64 v[6:7], v[194:195], v[102:103]
	v_fma_f64 v[12:13], v[192:193], v[100:101], -v[6:7]
	scratch_load_dwordx4 v[100:103], off, off offset:912
	;; [unrolled: 3-line block ×3, first 2 shown]
	ds_read_b128 v[128:131], v2 offset:1648
	ds_read_b128 v[132:135], v2 offset:1664
	ds_read_b128 v[148:151], v2 offset:1728
	ds_read_b128 v[160:163], v2 offset:1776
	v_mul_f64 v[182:183], v[246:247], v[182:183]
	s_waitcnt vmcnt(16) lgkmcnt(3)
	v_mul_f64 v[6:7], v[128:129], v[236:237]
	v_fmac_f64_e32 v[6:7], v[130:131], v[234:235]
	v_add_f64 v[0:1], v[0:1], v[6:7]
	v_mul_f64 v[6:7], v[202:203], v[138:139]
	v_fma_f64 v[10:11], v[200:201], v[136:137], -v[6:7]
	ds_read_b128 v[136:139], v2 offset:1680
	s_waitcnt vmcnt(15) lgkmcnt(3)
	v_mul_f64 v[6:7], v[132:133], v[38:39]
	v_fmac_f64_e32 v[6:7], v[134:135], v[36:37]
	v_add_f64 v[0:1], v[0:1], v[6:7]
	v_mul_f64 v[6:7], v[206:207], v[142:143]
	v_fma_f64 v[26:27], v[204:205], v[140:141], -v[6:7]
	ds_read_b128 v[140:143], v2 offset:1696
	;; [unrolled: 7-line block ×3, first 2 shown]
	s_waitcnt vmcnt(13) lgkmcnt(1)
	v_mul_f64 v[6:7], v[140:141], v[46:47]
	v_fmac_f64_e32 v[6:7], v[142:143], v[44:45]
	v_add_f64 v[0:1], v[0:1], v[6:7]
	v_fma_f64 v[238:239], v[244:245], v[180:181], -v[182:183]
	s_waitcnt vmcnt(12) lgkmcnt(0)
	v_mul_f64 v[6:7], v[144:145], v[50:51]
	v_fmac_f64_e32 v[6:7], v[146:147], v[48:49]
	v_add_f64 v[0:1], v[0:1], v[6:7]
	v_mul_f64 v[6:7], v[214:215], v[154:155]
	v_fma_f64 v[30:31], v[212:213], v[152:153], -v[6:7]
	s_waitcnt vmcnt(11)
	v_mul_f64 v[6:7], v[148:149], v[54:55]
	v_fmac_f64_e32 v[6:7], v[150:151], v[52:53]
	ds_read_b128 v[152:155], v2 offset:1744
	v_add_f64 v[0:1], v[0:1], v[6:7]
	v_mul_f64 v[6:7], v[218:219], v[158:159]
	v_fma_f64 v[4:5], v[216:217], v[156:157], -v[6:7]
	ds_read_b128 v[156:159], v2 offset:1760
	s_waitcnt vmcnt(10) lgkmcnt(1)
	v_mul_f64 v[6:7], v[152:153], v[58:59]
	v_fmac_f64_e32 v[6:7], v[154:155], v[56:57]
	v_add_f64 v[0:1], v[0:1], v[6:7]
	ds_read_b128 v[180:183], v2 offset:1856
	s_waitcnt vmcnt(9) lgkmcnt(1)
	v_mul_f64 v[6:7], v[156:157], v[62:63]
	v_fmac_f64_e32 v[6:7], v[158:159], v[60:61]
	v_add_f64 v[0:1], v[0:1], v[6:7]
	v_mul_f64 v[6:7], v[222:223], v[166:167]
	v_fma_f64 v[34:35], v[220:221], v[164:165], -v[6:7]
	ds_read_b128 v[164:167], v2 offset:1792
	s_waitcnt vmcnt(8)
	v_mul_f64 v[6:7], v[160:161], v[66:67]
	v_fmac_f64_e32 v[6:7], v[162:163], v[64:65]
	v_add_f64 v[0:1], v[0:1], v[6:7]
	v_mul_f64 v[6:7], v[226:227], v[170:171]
	v_fma_f64 v[6:7], v[224:225], v[168:169], -v[6:7]
	ds_read_b128 v[168:171], v2 offset:1808
	s_waitcnt vmcnt(7) lgkmcnt(1)
	v_mul_f64 v[172:173], v[164:165], v[70:71]
	v_fmac_f64_e32 v[172:173], v[166:167], v[68:69]
	v_add_f64 v[0:1], v[0:1], v[172:173]
	ds_read_b128 v[172:175], v2 offset:1824
	s_waitcnt vmcnt(6) lgkmcnt(1)
	v_mul_f64 v[184:185], v[168:169], v[74:75]
	v_fmac_f64_e32 v[184:185], v[170:171], v[72:73]
	v_add_f64 v[184:185], v[0:1], v[184:185]
	v_mul_f64 v[0:1], v[230:231], v[178:179]
	v_fma_f64 v[0:1], v[228:229], v[176:177], -v[0:1]
	ds_read_b128 v[176:179], v2 offset:1840
	s_waitcnt vmcnt(5) lgkmcnt(1)
	v_mul_f64 v[186:187], v[172:173], v[78:79]
	v_fmac_f64_e32 v[186:187], v[174:175], v[76:77]
	v_add_f64 v[184:185], v[184:185], v[186:187]
	v_mul_f64 v[190:191], v[250:251], v[190:191]
	s_waitcnt vmcnt(4) lgkmcnt(0)
	v_mul_f64 v[186:187], v[176:177], v[86:87]
	v_fmac_f64_e32 v[186:187], v[178:179], v[84:85]
	v_add_f64 v[192:193], v[184:185], v[186:187]
	ds_read_b128 v[184:187], v2 offset:1872
	v_fma_f64 v[244:245], v[248:249], v[188:189], -v[190:191]
	ds_read_b128 v[188:191], v2 offset:1888
	s_waitcnt vmcnt(3)
	v_mul_f64 v[194:195], v[180:181], v[82:83]
	v_fmac_f64_e32 v[194:195], v[182:183], v[80:81]
	v_add_f64 v[192:193], v[192:193], v[194:195]
	s_waitcnt vmcnt(2) lgkmcnt(1)
	v_mul_f64 v[194:195], v[184:185], v[94:95]
	v_fmac_f64_e32 v[194:195], v[186:187], v[92:93]
	v_add_f64 v[192:193], v[192:193], v[194:195]
	s_waitcnt vmcnt(1) lgkmcnt(0)
	v_mul_f64 v[194:195], v[188:189], v[102:103]
	v_fmac_f64_e32 v[194:195], v[190:191], v[100:101]
	v_add_f64 v[196:197], v[192:193], v[194:195]
	ds_read_b128 v[192:195], v2 offset:1904
	ds_read_b128 v[200:203], v2 offset:1920
	;; [unrolled: 1-line block ×5, first 2 shown]
	s_waitcnt vmcnt(0) lgkmcnt(4)
	v_mul_f64 v[198:199], v[192:193], v[110:111]
	v_fmac_f64_e32 v[198:199], v[194:195], v[108:109]
	v_add_f64 v[204:205], v[196:197], v[198:199]
	scratch_load_dwordx4 v[196:199], off, off offset:944
	s_waitcnt vmcnt(0) lgkmcnt(3)
	v_mul_f64 v[206:207], v[200:201], v[198:199]
	v_fmac_f64_e32 v[206:207], v[202:203], v[196:197]
	v_add_f64 v[212:213], v[204:205], v[206:207]
	scratch_load_dwordx4 v[204:207], off, off offset:960
	;; [unrolled: 5-line block ×4, first 2 shown]
	s_waitcnt vmcnt(0) lgkmcnt(0)
	v_mul_f64 v[230:231], v[224:225], v[222:223]
	v_fmac_f64_e32 v[230:231], v[226:227], v[220:221]
	v_add_f64 v[248:249], v[228:229], v[230:231]
	v_add_f64 v[228:229], v[240:241], 0
	;; [unrolled: 1-line block ×6, first 2 shown]
	scratch_load_dwordx4 v[228:231], off, off offset:176
	v_add_f64 v[28:29], v[32:33], v[28:29]
	v_add_f64 v[24:25], v[28:29], v[24:25]
	;; [unrolled: 1-line block ×15, first 2 shown]
	v_accvgpr_read_b32 v6, a134
	v_accvgpr_read_b32 v8, a136
	;; [unrolled: 1-line block ×3, first 2 shown]
	v_add_f64 v[0:1], v[4:5], v[0:1]
	v_accvgpr_read_b32 v7, a135
	v_mul_f64 v[4:5], v[90:91], v[8:9]
	v_add_f64 v[0:1], v[0:1], v[238:239]
	v_fma_f64 v[4:5], v[88:89], v[6:7], -v[4:5]
	v_accvgpr_read_b32 v6, a138
	v_add_f64 v[0:1], v[0:1], v[244:245]
	v_accvgpr_read_b32 v8, a140
	v_accvgpr_read_b32 v9, a141
	v_add_f64 v[0:1], v[0:1], v[4:5]
	v_accvgpr_read_b32 v7, a139
	v_mul_f64 v[4:5], v[98:99], v[8:9]
	v_fma_f64 v[4:5], v[96:97], v[6:7], -v[4:5]
	v_accvgpr_read_b32 v6, a142
	v_accvgpr_read_b32 v8, a144
	v_accvgpr_read_b32 v9, a145
	v_add_f64 v[0:1], v[0:1], v[4:5]
	v_accvgpr_read_b32 v7, a143
	v_mul_f64 v[4:5], v[106:107], v[8:9]
	v_fma_f64 v[4:5], v[104:105], v[6:7], -v[4:5]
	v_accvgpr_read_b32 v6, a146
	v_accvgpr_read_b32 v8, a148
	v_accvgpr_read_b32 v9, a149
	v_add_f64 v[0:1], v[0:1], v[4:5]
	v_accvgpr_read_b32 v7, a147
	v_mul_f64 v[4:5], v[114:115], v[8:9]
	v_fma_f64 v[4:5], v[112:113], v[6:7], -v[4:5]
	v_accvgpr_read_b32 v6, a150
	v_accvgpr_read_b32 v8, a152
	v_accvgpr_read_b32 v9, a153
	v_add_f64 v[0:1], v[0:1], v[4:5]
	v_accvgpr_read_b32 v7, a151
	v_mul_f64 v[4:5], v[118:119], v[8:9]
	v_fma_f64 v[4:5], v[116:117], v[6:7], -v[4:5]
	v_accvgpr_read_b32 v6, a126
	v_accvgpr_read_b32 v8, a128
	v_accvgpr_read_b32 v9, a129
	v_add_f64 v[0:1], v[0:1], v[4:5]
	v_accvgpr_read_b32 v7, a127
	v_mul_f64 v[4:5], v[126:127], v[8:9]
	v_fma_f64 v[4:5], v[124:125], v[6:7], -v[4:5]
	v_accvgpr_read_b32 v6, a130
	v_accvgpr_read_b32 v8, a132
	v_accvgpr_read_b32 v9, a133
	v_add_f64 v[0:1], v[0:1], v[4:5]
	v_accvgpr_read_b32 v7, a131
	v_mul_f64 v[4:5], v[122:123], v[8:9]
	v_fma_f64 v[4:5], v[120:121], v[6:7], -v[4:5]
	v_add_f64 v[0:1], v[0:1], v[4:5]
	v_mul_f64 v[4:5], v[130:131], v[236:237]
	v_fma_f64 v[4:5], v[128:129], v[234:235], -v[4:5]
	v_add_f64 v[0:1], v[0:1], v[4:5]
	;; [unrolled: 3-line block ×22, first 2 shown]
	s_waitcnt vmcnt(0)
	v_add_f64 v[4:5], v[228:229], -v[0:1]
	v_add_f64 v[6:7], v[230:231], -v[248:249]
	scratch_store_dwordx4 off, v[4:7], off offset:176
	s_and_saveexec_b64 s[0:1], vcc
	s_cbranch_execz .LBB125_379
; %bb.378:
	scratch_load_dwordx4 v[6:9], off, s79
	v_mov_b32_e32 v3, v2
	v_mov_b32_e32 v4, v2
	;; [unrolled: 1-line block ×3, first 2 shown]
	v_accvgpr_read_b32 v0, a1
	scratch_store_dwordx4 off, v[2:5], off offset:160
	s_waitcnt vmcnt(1)
	ds_write_b128 v0, v[6:9]
.LBB125_379:
	s_or_b64 exec, exec, s[0:1]
	s_waitcnt lgkmcnt(0)
	; wave barrier
	scratch_load_dwordx4 v[48:51], off, off offset:176
	scratch_load_dwordx4 v[52:55], off, off offset:192
	scratch_load_dwordx4 v[56:59], off, off offset:208
	scratch_load_dwordx4 v[60:63], off, off offset:224
	scratch_load_dwordx4 v[64:67], off, off offset:240
	scratch_load_dwordx4 v[68:71], off, off offset:256
	scratch_load_dwordx4 v[72:75], off, off offset:272
	scratch_load_dwordx4 v[76:79], off, off offset:288
	scratch_load_dwordx4 v[80:83], off, off offset:304
	scratch_load_dwordx4 v[84:87], off, off offset:320
	scratch_load_dwordx4 v[92:95], off, off offset:336
	scratch_load_dwordx4 v[100:103], off, off offset:352
	scratch_load_dwordx4 v[108:111], off, off offset:368
	scratch_load_dwordx4 v[136:139], off, off offset:384
	scratch_load_dwordx4 v[140:143], off, off offset:400
	scratch_load_dwordx4 v[144:147], off, off offset:416
	scratch_load_dwordx4 v[152:155], off, off offset:432
	scratch_load_dwordx4 v[156:159], off, off offset:448
	ds_read_b128 v[104:107], v2 offset:1152
	ds_read_b128 v[212:215], v2 offset:1168
	;; [unrolled: 1-line block ×6, first 2 shown]
	scratch_load_dwordx4 v[164:167], off, off offset:464
	ds_read_b128 v[192:195], v2 offset:1248
	ds_read_b128 v[124:127], v2 offset:1264
	scratch_load_dwordx4 v[168:171], off, off offset:480
	ds_read_b128 v[208:211], v2 offset:1280
	ds_read_b128 v[204:207], v2 offset:1296
	;; [unrolled: 1-line block ×5, first 2 shown]
	scratch_load_dwordx4 v[176:179], off, off offset:496
	ds_read_b128 v[200:203], v2 offset:1360
	ds_read_b128 v[172:175], v2 offset:1376
	scratch_load_dwordx4 v[180:183], off, off offset:512
	ds_read_b128 v[216:219], v2 offset:1392
	ds_read_b128 v[184:187], v2 offset:1408
	ds_read_b128 v[160:163], v2 offset:1424
	scratch_load_dwordx4 v[188:191], off, off offset:528
	scratch_load_dwordx4 v[4:7], off, off offset:544
	;; [unrolled: 1-line block ×6, first 2 shown]
	ds_read_b128 v[220:223], v2 offset:1440
	ds_read_b128 v[224:227], v2 offset:1456
	scratch_load_dwordx4 a[126:129], off, off offset:624
	scratch_load_dwordx4 a[130:133], off, off offset:640
	ds_read_b128 v[228:231], v2 offset:1472
	ds_read_b128 v[232:235], v2 offset:1488
	;; [unrolled: 1-line block ×3, first 2 shown]
	v_cmp_lt_u32_e32 vcc, 8, v254
	s_waitcnt vmcnt(29) lgkmcnt(14)
	v_mul_f64 v[0:1], v[104:105], v[50:51]
	s_waitcnt vmcnt(28)
	v_mul_f64 v[24:25], v[212:213], v[54:55]
	v_fmac_f64_e32 v[0:1], v[106:107], v[48:49]
	s_waitcnt vmcnt(27)
	v_mul_f64 v[26:27], v[196:197], v[58:59]
	v_fmac_f64_e32 v[24:25], v[214:215], v[52:53]
	v_add_f64 v[0:1], v[0:1], 0
	s_waitcnt vmcnt(26)
	v_mul_f64 v[28:29], v[112:113], v[62:63]
	v_fmac_f64_e32 v[26:27], v[198:199], v[56:57]
	v_add_f64 v[0:1], v[0:1], v[24:25]
	;; [unrolled: 4-line block ×7, first 2 shown]
	s_waitcnt vmcnt(20) lgkmcnt(13)
	v_mul_f64 v[40:41], v[204:205], v[86:87]
	v_fmac_f64_e32 v[38:39], v[210:211], v[80:81]
	v_add_f64 v[0:1], v[0:1], v[36:37]
	s_waitcnt vmcnt(19) lgkmcnt(12)
	v_mul_f64 v[42:43], v[128:129], v[94:95]
	v_fmac_f64_e32 v[40:41], v[206:207], v[84:85]
	v_add_f64 v[0:1], v[0:1], v[38:39]
	;; [unrolled: 4-line block ×8, first 2 shown]
	v_fmac_f64_e32 v[98:99], v[186:187], v[152:153]
	v_add_f64 v[0:1], v[0:1], v[96:97]
	s_waitcnt vmcnt(12) lgkmcnt(5)
	v_mul_f64 v[32:33], v[160:161], v[158:159]
	v_add_f64 v[0:1], v[0:1], v[98:99]
	v_fmac_f64_e32 v[32:33], v[162:163], v[156:157]
	v_add_f64 v[0:1], v[0:1], v[32:33]
	s_waitcnt vmcnt(11) lgkmcnt(4)
	v_mul_f64 v[32:33], v[220:221], v[166:167]
	v_fmac_f64_e32 v[32:33], v[222:223], v[164:165]
	v_add_f64 v[0:1], v[0:1], v[32:33]
	scratch_load_dwordx4 v[32:35], off, off offset:656
	s_waitcnt vmcnt(11) lgkmcnt(3)
	v_mul_f64 v[36:37], v[224:225], v[170:171]
	v_fmac_f64_e32 v[36:37], v[226:227], v[168:169]
	v_add_f64 v[0:1], v[0:1], v[36:37]
	s_waitcnt vmcnt(10) lgkmcnt(2)
	v_mul_f64 v[36:37], v[228:229], v[178:179]
	v_fmac_f64_e32 v[36:37], v[230:231], v[176:177]
	s_waitcnt vmcnt(9) lgkmcnt(1)
	v_mul_f64 v[40:41], v[232:233], v[182:183]
	v_add_f64 v[0:1], v[0:1], v[36:37]
	scratch_load_dwordx4 v[36:39], off, off offset:672
	v_fmac_f64_e32 v[40:41], v[234:235], v[180:181]
	v_add_f64 v[0:1], v[0:1], v[40:41]
	scratch_load_dwordx4 v[40:43], off, off offset:688
	ds_read_b128 v[88:91], v2 offset:1520
	s_waitcnt vmcnt(10) lgkmcnt(1)
	v_mul_f64 v[44:45], v[236:237], v[190:191]
	v_fmac_f64_e32 v[44:45], v[238:239], v[188:189]
	v_add_f64 v[0:1], v[0:1], v[44:45]
	scratch_load_dwordx4 v[44:47], off, off offset:704
	v_mul_f64 v[50:51], v[106:107], v[50:51]
	v_fma_f64 v[240:241], v[104:105], v[48:49], -v[50:51]
	scratch_load_dwordx4 v[48:51], off, off offset:720
	v_mul_f64 v[54:55], v[214:215], v[54:55]
	v_fma_f64 v[242:243], v[212:213], v[52:53], -v[54:55]
	;; [unrolled: 3-line block ×3, first 2 shown]
	scratch_load_dwordx4 v[56:59], off, off offset:752
	s_waitcnt vmcnt(13) lgkmcnt(0)
	v_mul_f64 v[96:97], v[88:89], v[6:7]
	v_fmac_f64_e32 v[96:97], v[90:91], v[4:5]
	v_mul_f64 v[62:63], v[114:115], v[62:63]
	v_add_f64 v[0:1], v[0:1], v[96:97]
	ds_read_b128 v[96:99], v2 offset:1536
	ds_read_b128 v[104:107], v2 offset:1552
	v_fma_f64 v[250:251], v[112:113], v[60:61], -v[62:63]
	scratch_load_dwordx4 v[60:63], off, off offset:768
	v_mul_f64 v[66:67], v[122:123], v[66:67]
	v_fma_f64 v[252:253], v[120:121], v[64:65], -v[66:67]
	scratch_load_dwordx4 v[64:67], off, off offset:784
	v_accvgpr_write_b32 a137, v7
	v_accvgpr_write_b32 a136, v6
	;; [unrolled: 1-line block ×4, first 2 shown]
	s_waitcnt vmcnt(14)
	v_mov_b64_e32 v[4:5], v[8:9]
	v_mov_b64_e32 v[6:7], v[10:11]
	s_waitcnt lgkmcnt(1)
	v_mul_f64 v[212:213], v[96:97], v[6:7]
	v_fmac_f64_e32 v[212:213], v[98:99], v[4:5]
	s_waitcnt vmcnt(13)
	v_mov_b64_e32 v[4:5], v[12:13]
	ds_read_b128 v[112:115], v2 offset:1568
	v_mul_f64 v[70:71], v[118:119], v[70:71]
	v_mov_b64_e32 v[6:7], v[14:15]
	v_fma_f64 v[244:245], v[116:117], v[68:69], -v[70:71]
	ds_read_b128 v[116:119], v2 offset:1584
	scratch_load_dwordx4 v[68:71], off, off offset:800
	s_waitcnt lgkmcnt(2)
	v_mul_f64 v[196:197], v[104:105], v[6:7]
	v_mul_f64 v[74:75], v[194:195], v[74:75]
	v_accvgpr_write_b32 a141, v11
	v_fmac_f64_e32 v[196:197], v[106:107], v[4:5]
	s_waitcnt vmcnt(13)
	v_mov_b64_e32 v[4:5], v[16:17]
	v_fma_f64 v[28:29], v[192:193], v[72:73], -v[74:75]
	scratch_load_dwordx4 v[72:75], off, off offset:816
	v_accvgpr_write_b32 a140, v10
	v_accvgpr_write_b32 a139, v9
	;; [unrolled: 1-line block ×3, first 2 shown]
	v_mov_b64_e32 v[6:7], v[18:19]
	s_waitcnt vmcnt(13)
	v_mov_b64_e32 v[8:9], v[20:21]
	v_add_f64 v[0:1], v[0:1], v[212:213]
	s_waitcnt lgkmcnt(1)
	v_mul_f64 v[120:121], v[112:113], v[6:7]
	v_mov_b64_e32 v[10:11], v[22:23]
	v_add_f64 v[0:1], v[0:1], v[196:197]
	v_fmac_f64_e32 v[120:121], v[114:115], v[4:5]
	s_waitcnt lgkmcnt(0)
	v_mul_f64 v[6:7], v[116:117], v[10:11]
	v_add_f64 v[0:1], v[0:1], v[120:121]
	v_fmac_f64_e32 v[6:7], v[118:119], v[8:9]
	v_add_f64 v[0:1], v[0:1], v[6:7]
	v_mul_f64 v[6:7], v[126:127], v[78:79]
	v_fma_f64 v[24:25], v[124:125], v[76:77], -v[6:7]
	scratch_load_dwordx4 v[76:79], off, off offset:832
	v_accvgpr_write_b32 a149, v19
	v_mul_f64 v[10:11], v[206:207], v[86:87]
	v_accvgpr_write_b32 a148, v18
	v_accvgpr_write_b32 a147, v17
	;; [unrolled: 1-line block ×3, first 2 shown]
	ds_read_b128 v[124:127], v2 offset:1600
	ds_read_b128 v[120:123], v2 offset:1616
	v_fma_f64 v[16:17], v[204:205], v[84:85], -v[10:11]
	scratch_load_dwordx4 v[84:87], off, off offset:848
	v_accvgpr_write_b32 a153, v23
	v_mul_f64 v[82:83], v[210:211], v[82:83]
	v_accvgpr_write_b32 a152, v22
	v_accvgpr_write_b32 a151, v21
	;; [unrolled: 1-line block ×3, first 2 shown]
	v_fma_f64 v[20:21], v[208:209], v[80:81], -v[82:83]
	scratch_load_dwordx4 v[80:83], off, off offset:864
	v_accvgpr_write_b32 a145, v15
	v_mul_f64 v[94:95], v[130:131], v[94:95]
	v_accvgpr_write_b32 a144, v14
	v_accvgpr_write_b32 a143, v13
	;; [unrolled: 1-line block ×3, first 2 shown]
	v_fma_f64 v[12:13], v[128:129], v[92:93], -v[94:95]
	v_mul_f64 v[14:15], v[134:135], v[102:103]
	scratch_load_dwordx4 v[92:95], off, off offset:880
	v_fma_f64 v[14:15], v[132:133], v[100:101], -v[14:15]
	v_mul_f64 v[100:101], v[150:151], v[110:111]
	v_fma_f64 v[10:11], v[148:149], v[108:109], -v[100:101]
	scratch_load_dwordx4 v[100:103], off, off offset:896
	scratch_load_dwordx4 v[108:111], off, off offset:912
	s_waitcnt vmcnt(18)
	v_accvgpr_read_b32 v4, a126
	v_accvgpr_read_b32 v6, a128
	;; [unrolled: 1-line block ×3, first 2 shown]
	ds_read_b128 v[128:131], v2 offset:1632
	ds_read_b128 v[132:135], v2 offset:1648
	v_accvgpr_read_b32 v5, a127
	s_waitcnt lgkmcnt(3)
	v_mul_f64 v[192:193], v[124:125], v[6:7]
	v_fmac_f64_e32 v[192:193], v[126:127], v[4:5]
	s_waitcnt vmcnt(17)
	v_accvgpr_read_b32 v4, a130
	v_accvgpr_read_b32 v6, a132
	;; [unrolled: 1-line block ×3, first 2 shown]
	v_add_f64 v[0:1], v[0:1], v[192:193]
	v_accvgpr_read_b32 v5, a131
	s_waitcnt lgkmcnt(2)
	v_mul_f64 v[192:193], v[120:121], v[6:7]
	v_fmac_f64_e32 v[192:193], v[122:123], v[4:5]
	s_waitcnt vmcnt(16) lgkmcnt(1)
	v_mul_f64 v[18:19], v[128:129], v[34:35]
	v_add_f64 v[0:1], v[0:1], v[192:193]
	v_fmac_f64_e32 v[18:19], v[130:131], v[32:33]
	v_add_f64 v[0:1], v[0:1], v[18:19]
	v_mul_f64 v[18:19], v[202:203], v[138:139]
	v_fma_f64 v[18:19], v[200:201], v[136:137], -v[18:19]
	ds_read_b128 v[136:139], v2 offset:1664
	s_waitcnt vmcnt(15) lgkmcnt(1)
	v_mul_f64 v[148:149], v[132:133], v[38:39]
	v_mul_f64 v[142:143], v[174:175], v[142:143]
	v_fmac_f64_e32 v[148:149], v[134:135], v[36:37]
	v_fma_f64 v[8:9], v[172:173], v[140:141], -v[142:143]
	ds_read_b128 v[140:143], v2 offset:1680
	s_waitcnt vmcnt(14) lgkmcnt(1)
	v_mul_f64 v[22:23], v[136:137], v[42:43]
	v_add_f64 v[0:1], v[0:1], v[148:149]
	v_fmac_f64_e32 v[22:23], v[138:139], v[40:41]
	v_add_f64 v[0:1], v[0:1], v[22:23]
	v_mul_f64 v[22:23], v[218:219], v[146:147]
	v_fma_f64 v[22:23], v[216:217], v[144:145], -v[22:23]
	ds_read_b128 v[144:147], v2 offset:1696
	ds_read_b128 v[148:151], v2 offset:1712
	s_waitcnt vmcnt(13) lgkmcnt(2)
	v_mul_f64 v[172:173], v[140:141], v[46:47]
	v_mul_f64 v[154:155], v[186:187], v[154:155]
	v_fmac_f64_e32 v[172:173], v[142:143], v[44:45]
	v_fma_f64 v[6:7], v[184:185], v[152:153], -v[154:155]
	ds_read_b128 v[152:155], v2 offset:1728
	v_add_f64 v[0:1], v[0:1], v[172:173]
	s_waitcnt vmcnt(12) lgkmcnt(2)
	v_mul_f64 v[172:173], v[144:145], v[50:51]
	v_fmac_f64_e32 v[172:173], v[146:147], v[48:49]
	s_waitcnt vmcnt(11) lgkmcnt(1)
	v_mul_f64 v[26:27], v[148:149], v[54:55]
	v_add_f64 v[0:1], v[0:1], v[172:173]
	v_fmac_f64_e32 v[26:27], v[150:151], v[52:53]
	v_add_f64 v[0:1], v[0:1], v[26:27]
	v_mul_f64 v[26:27], v[162:163], v[158:159]
	v_fma_f64 v[26:27], v[160:161], v[156:157], -v[26:27]
	ds_read_b128 v[156:159], v2 offset:1744
	s_waitcnt vmcnt(10) lgkmcnt(1)
	v_mul_f64 v[160:161], v[152:153], v[58:59]
	v_fmac_f64_e32 v[160:161], v[154:155], v[56:57]
	v_add_f64 v[0:1], v[0:1], v[160:161]
	ds_read_b128 v[160:163], v2 offset:1760
	s_waitcnt vmcnt(9) lgkmcnt(1)
	v_mul_f64 v[172:173], v[156:157], v[62:63]
	v_mul_f64 v[166:167], v[222:223], v[166:167]
	v_fmac_f64_e32 v[172:173], v[158:159], v[60:61]
	v_fma_f64 v[4:5], v[220:221], v[164:165], -v[166:167]
	ds_read_b128 v[164:167], v2 offset:1776
	s_waitcnt vmcnt(8) lgkmcnt(1)
	v_mul_f64 v[30:31], v[160:161], v[66:67]
	v_add_f64 v[0:1], v[0:1], v[172:173]
	v_fmac_f64_e32 v[30:31], v[162:163], v[64:65]
	v_add_f64 v[0:1], v[0:1], v[30:31]
	v_mul_f64 v[30:31], v[226:227], v[170:171]
	v_fma_f64 v[30:31], v[224:225], v[168:169], -v[30:31]
	ds_read_b128 v[168:171], v2 offset:1792
	s_waitcnt vmcnt(7) lgkmcnt(1)
	v_mul_f64 v[172:173], v[164:165], v[70:71]
	v_fmac_f64_e32 v[172:173], v[166:167], v[68:69]
	v_add_f64 v[0:1], v[0:1], v[172:173]
	ds_read_b128 v[172:175], v2 offset:1808
	s_waitcnt vmcnt(6) lgkmcnt(1)
	v_mul_f64 v[184:185], v[168:169], v[74:75]
	v_fmac_f64_e32 v[184:185], v[170:171], v[72:73]
	v_add_f64 v[184:185], v[0:1], v[184:185]
	v_mul_f64 v[0:1], v[230:231], v[178:179]
	v_fma_f64 v[0:1], v[228:229], v[176:177], -v[0:1]
	ds_read_b128 v[176:179], v2 offset:1824
	v_mul_f64 v[182:183], v[234:235], v[182:183]
	s_waitcnt vmcnt(5) lgkmcnt(1)
	v_mul_f64 v[186:187], v[172:173], v[78:79]
	v_fma_f64 v[180:181], v[232:233], v[180:181], -v[182:183]
	v_fmac_f64_e32 v[186:187], v[174:175], v[76:77]
	v_accvgpr_write_b32 a154, v180
	v_accvgpr_write_b32 a155, v181
	ds_read_b128 v[180:183], v2 offset:1840
	v_add_f64 v[184:185], v[184:185], v[186:187]
	s_waitcnt vmcnt(4) lgkmcnt(1)
	v_mul_f64 v[186:187], v[176:177], v[86:87]
	v_fmac_f64_e32 v[186:187], v[178:179], v[84:85]
	v_add_f64 v[192:193], v[184:185], v[186:187]
	ds_read_b128 v[184:187], v2 offset:1856
	v_mul_f64 v[190:191], v[238:239], v[190:191]
	v_fma_f64 v[246:247], v[236:237], v[188:189], -v[190:191]
	ds_read_b128 v[188:191], v2 offset:1872
	s_waitcnt vmcnt(3) lgkmcnt(2)
	v_mul_f64 v[194:195], v[180:181], v[82:83]
	v_fmac_f64_e32 v[194:195], v[182:183], v[80:81]
	v_add_f64 v[192:193], v[192:193], v[194:195]
	s_waitcnt vmcnt(2) lgkmcnt(1)
	v_mul_f64 v[194:195], v[184:185], v[94:95]
	v_fmac_f64_e32 v[194:195], v[186:187], v[92:93]
	v_add_f64 v[192:193], v[192:193], v[194:195]
	s_waitcnt vmcnt(1) lgkmcnt(0)
	v_mul_f64 v[194:195], v[188:189], v[102:103]
	v_fmac_f64_e32 v[194:195], v[190:191], v[100:101]
	v_add_f64 v[196:197], v[192:193], v[194:195]
	ds_read_b128 v[192:195], v2 offset:1888
	ds_read_b128 v[200:203], v2 offset:1904
	scratch_load_dwordx4 v[232:235], off, off offset:992
	ds_read_b128 v[208:211], v2 offset:1920
	ds_read_b128 v[216:219], v2 offset:1936
	s_waitcnt vmcnt(1) lgkmcnt(3)
	v_mul_f64 v[198:199], v[192:193], v[110:111]
	v_fmac_f64_e32 v[198:199], v[194:195], v[108:109]
	v_add_f64 v[204:205], v[196:197], v[198:199]
	scratch_load_dwordx4 v[196:199], off, off offset:928
	ds_read_b128 v[224:227], v2 offset:1952
	s_waitcnt vmcnt(0) lgkmcnt(3)
	v_mul_f64 v[206:207], v[200:201], v[198:199]
	v_fmac_f64_e32 v[206:207], v[202:203], v[196:197]
	v_add_f64 v[212:213], v[204:205], v[206:207]
	scratch_load_dwordx4 v[204:207], off, off offset:944
	s_waitcnt vmcnt(0) lgkmcnt(2)
	v_mul_f64 v[214:215], v[208:209], v[206:207]
	v_fmac_f64_e32 v[214:215], v[210:211], v[204:205]
	v_add_f64 v[220:221], v[212:213], v[214:215]
	scratch_load_dwordx4 v[212:215], off, off offset:960
	;; [unrolled: 5-line block ×3, first 2 shown]
	s_waitcnt vmcnt(0) lgkmcnt(0)
	v_mul_f64 v[230:231], v[224:225], v[222:223]
	v_fmac_f64_e32 v[230:231], v[226:227], v[220:221]
	v_add_f64 v[236:237], v[228:229], v[230:231]
	ds_read_b128 v[228:231], v2 offset:1968
	s_waitcnt lgkmcnt(0)
	v_mul_f64 v[2:3], v[228:229], v[234:235]
	v_fmac_f64_e32 v[2:3], v[230:231], v[232:233]
	v_add_f64 v[2:3], v[236:237], v[2:3]
	v_add_f64 v[236:237], v[240:241], 0
	;; [unrolled: 1-line block ×8, first 2 shown]
	scratch_load_dwordx4 v[236:239], off, off offset:160
	v_add_f64 v[24:25], v[28:29], v[24:25]
	v_add_f64 v[20:21], v[24:25], v[20:21]
	;; [unrolled: 1-line block ×13, first 2 shown]
	v_accvgpr_read_b32 v6, a134
	v_add_f64 v[248:249], v[4:5], v[0:1]
	v_accvgpr_read_b32 v0, a154
	v_accvgpr_read_b32 v8, a136
	v_accvgpr_read_b32 v9, a137
	v_accvgpr_read_b32 v1, a155
	v_accvgpr_read_b32 v7, a135
	v_mul_f64 v[4:5], v[90:91], v[8:9]
	v_add_f64 v[0:1], v[248:249], v[0:1]
	v_fma_f64 v[4:5], v[88:89], v[6:7], -v[4:5]
	v_accvgpr_read_b32 v6, a138
	v_add_f64 v[0:1], v[0:1], v[246:247]
	v_accvgpr_read_b32 v8, a140
	v_accvgpr_read_b32 v9, a141
	v_add_f64 v[0:1], v[0:1], v[4:5]
	v_accvgpr_read_b32 v7, a139
	v_mul_f64 v[4:5], v[98:99], v[8:9]
	v_fma_f64 v[4:5], v[96:97], v[6:7], -v[4:5]
	v_accvgpr_read_b32 v6, a142
	v_accvgpr_read_b32 v8, a144
	v_accvgpr_read_b32 v9, a145
	v_add_f64 v[0:1], v[0:1], v[4:5]
	v_accvgpr_read_b32 v7, a143
	v_mul_f64 v[4:5], v[106:107], v[8:9]
	v_fma_f64 v[4:5], v[104:105], v[6:7], -v[4:5]
	v_accvgpr_read_b32 v6, a146
	;; [unrolled: 7-line block ×5, first 2 shown]
	v_accvgpr_read_b32 v8, a132
	v_accvgpr_read_b32 v9, a133
	v_add_f64 v[0:1], v[0:1], v[4:5]
	v_accvgpr_read_b32 v7, a131
	v_mul_f64 v[4:5], v[122:123], v[8:9]
	v_fma_f64 v[4:5], v[120:121], v[6:7], -v[4:5]
	v_add_f64 v[0:1], v[0:1], v[4:5]
	v_mul_f64 v[4:5], v[130:131], v[34:35]
	v_fma_f64 v[4:5], v[128:129], v[32:33], -v[4:5]
	v_add_f64 v[0:1], v[0:1], v[4:5]
	;; [unrolled: 3-line block ×23, first 2 shown]
	s_waitcnt vmcnt(0)
	v_add_f64 v[4:5], v[236:237], -v[0:1]
	v_add_f64 v[6:7], v[238:239], -v[2:3]
	scratch_store_dwordx4 off, v[4:7], off offset:160
	s_and_saveexec_b64 s[0:1], vcc
	s_cbranch_execz .LBB125_381
; %bb.380:
	scratch_load_dwordx4 v[2:5], off, s80
	v_mov_b32_e32 v6, 0
	v_mov_b32_e32 v7, v6
	;; [unrolled: 1-line block ×4, first 2 shown]
	v_accvgpr_read_b32 v0, a1
	scratch_store_dwordx4 off, v[6:9], off offset:144
	s_waitcnt vmcnt(1)
	ds_write_b128 v0, v[2:5]
.LBB125_381:
	s_or_b64 exec, exec, s[0:1]
	s_waitcnt lgkmcnt(0)
	; wave barrier
	scratch_load_dwordx4 v[40:43], off, off offset:160
	scratch_load_dwordx4 v[44:47], off, off offset:176
	;; [unrolled: 1-line block ×29, first 2 shown]
	v_mov_b32_e32 v2, 0
	ds_read_b128 v[80:83], v2 offset:1136
	ds_read_b128 v[100:103], v2 offset:1152
	;; [unrolled: 1-line block ×18, first 2 shown]
	scratch_load_dwordx4 a[126:129], off, off offset:624
	scratch_load_dwordx4 a[130:133], off, off offset:640
	;; [unrolled: 1-line block ×4, first 2 shown]
	ds_read_b128 v[228:231], v2 offset:1488
	ds_read_b128 v[244:247], v2 offset:1504
	;; [unrolled: 1-line block ×3, first 2 shown]
	scratch_load_dwordx4 a[138:141], off, off offset:688
	v_cmp_lt_u32_e32 vcc, 7, v254
	ds_read_b128 v[224:227], v2 offset:1472
	s_waitcnt vmcnt(33) lgkmcnt(14)
	v_mul_f64 v[0:1], v[80:81], v[42:43]
	s_waitcnt vmcnt(32)
	v_mul_f64 v[20:21], v[100:101], v[46:47]
	v_fmac_f64_e32 v[0:1], v[82:83], v[40:41]
	s_waitcnt vmcnt(31)
	v_mul_f64 v[22:23], v[104:105], v[50:51]
	v_fmac_f64_e32 v[20:21], v[102:103], v[44:45]
	v_add_f64 v[0:1], v[0:1], 0
	s_waitcnt vmcnt(30)
	v_mul_f64 v[24:25], v[108:109], v[54:55]
	v_fmac_f64_e32 v[22:23], v[106:107], v[48:49]
	v_add_f64 v[0:1], v[0:1], v[20:21]
	;; [unrolled: 4-line block ×6, first 2 shown]
	s_waitcnt vmcnt(25) lgkmcnt(13)
	v_mul_f64 v[34:35], v[144:145], v[74:75]
	v_fmac_f64_e32 v[32:33], v[134:135], v[68:69]
	v_add_f64 v[0:1], v[0:1], v[30:31]
	s_waitcnt vmcnt(24) lgkmcnt(12)
	v_mul_f64 v[36:37], v[156:157], v[78:79]
	v_fmac_f64_e32 v[34:35], v[146:147], v[72:73]
	v_add_f64 v[0:1], v[0:1], v[32:33]
	;; [unrolled: 4-line block ×7, first 2 shown]
	v_fmac_f64_e32 v[218:219], v[198:199], v[124:125]
	v_add_f64 v[0:1], v[0:1], v[216:217]
	ds_read_b128 v[212:215], v2 offset:1424
	s_waitcnt vmcnt(18) lgkmcnt(7)
	v_mul_f64 v[220:221], v[200:201], v[130:131]
	v_add_f64 v[0:1], v[0:1], v[218:219]
	ds_read_b128 v[216:219], v2 offset:1440
	v_fmac_f64_e32 v[220:221], v[202:203], v[128:129]
	s_waitcnt vmcnt(17) lgkmcnt(7)
	v_mul_f64 v[20:21], v[204:205], v[138:139]
	v_add_f64 v[0:1], v[0:1], v[220:221]
	v_fmac_f64_e32 v[20:21], v[206:207], v[136:137]
	s_waitcnt vmcnt(16) lgkmcnt(6)
	v_mul_f64 v[24:25], v[208:209], v[142:143]
	ds_read_b128 v[220:223], v2 offset:1456
	v_add_f64 v[0:1], v[0:1], v[20:21]
	v_fmac_f64_e32 v[24:25], v[210:211], v[140:141]
	v_add_f64 v[0:1], v[0:1], v[24:25]
	s_waitcnt vmcnt(15) lgkmcnt(2)
	v_mul_f64 v[24:25], v[212:213], v[150:151]
	v_fmac_f64_e32 v[24:25], v[214:215], v[148:149]
	s_waitcnt vmcnt(14) lgkmcnt(1)
	v_mul_f64 v[28:29], v[216:217], v[154:155]
	v_add_f64 v[0:1], v[0:1], v[24:25]
	v_fmac_f64_e32 v[28:29], v[218:219], v[152:153]
	v_add_f64 v[0:1], v[0:1], v[28:29]
	s_waitcnt vmcnt(13) lgkmcnt(0)
	v_mul_f64 v[28:29], v[220:221], v[162:163]
	v_fmac_f64_e32 v[28:29], v[222:223], v[160:161]
	s_waitcnt vmcnt(12)
	v_mul_f64 v[32:33], v[224:225], v[166:167]
	v_add_f64 v[0:1], v[0:1], v[28:29]
	v_fmac_f64_e32 v[32:33], v[226:227], v[164:165]
	v_add_f64 v[0:1], v[0:1], v[32:33]
	s_waitcnt vmcnt(11)
	v_mul_f64 v[32:33], v[228:229], v[174:175]
	v_fmac_f64_e32 v[32:33], v[230:231], v[172:173]
	s_waitcnt vmcnt(10)
	v_mul_f64 v[36:37], v[244:245], v[178:179]
	v_mul_f64 v[42:43], v[82:83], v[42:43]
	v_add_f64 v[0:1], v[0:1], v[32:33]
	v_fmac_f64_e32 v[36:37], v[246:247], v[176:177]
	v_fma_f64 v[240:241], v[80:81], v[40:41], -v[42:43]
	ds_read_b128 v[80:83], v2 offset:1536
	s_waitcnt vmcnt(9)
	v_mul_f64 v[40:41], v[248:249], v[186:187]
	v_add_f64 v[0:1], v[0:1], v[36:37]
	v_fmac_f64_e32 v[40:41], v[250:251], v[184:185]
	v_add_f64 v[0:1], v[0:1], v[40:41]
	v_mul_f64 v[40:41], v[102:103], v[46:47]
	v_fma_f64 v[242:243], v[100:101], v[44:45], -v[40:41]
	scratch_load_dwordx4 v[40:43], off, off offset:704
	s_waitcnt vmcnt(9) lgkmcnt(0)
	v_mul_f64 v[44:45], v[80:81], v[6:7]
	v_fmac_f64_e32 v[44:45], v[82:83], v[4:5]
	v_add_f64 v[0:1], v[0:1], v[44:45]
	scratch_load_dwordx4 v[44:47], off, off offset:720
	v_mul_f64 v[50:51], v[106:107], v[50:51]
	v_fma_f64 v[252:253], v[104:105], v[48:49], -v[50:51]
	v_mul_f64 v[48:49], v[110:111], v[54:55]
	ds_read_b128 v[100:103], v2 offset:1552
	v_fma_f64 v[232:233], v[108:109], v[52:53], -v[48:49]
	scratch_load_dwordx4 v[52:55], off, off offset:736
	scratch_load_dwordx4 v[48:51], off, off offset:752
	ds_read_b128 v[104:107], v2 offset:1568
	ds_read_b128 v[108:111], v2 offset:1584
	v_accvgpr_write_b32 a145, v7
	v_accvgpr_write_b32 a144, v6
	;; [unrolled: 1-line block ×4, first 2 shown]
	v_mul_f64 v[58:59], v[114:115], v[58:59]
	s_waitcnt vmcnt(11) lgkmcnt(2)
	v_mul_f64 v[6:7], v[100:101], v[10:11]
	v_accvgpr_write_b32 a149, v11
	v_fma_f64 v[36:37], v[112:113], v[56:57], -v[58:59]
	v_fmac_f64_e32 v[6:7], v[102:103], v[8:9]
	v_accvgpr_write_b32 a148, v10
	v_accvgpr_write_b32 a147, v9
	;; [unrolled: 1-line block ×3, first 2 shown]
	scratch_load_dwordx4 v[56:59], off, off offset:768
	s_waitcnt vmcnt(11)
	v_mov_b64_e32 v[8:9], v[12:13]
	v_add_f64 v[0:1], v[0:1], v[6:7]
	v_mul_f64 v[6:7], v[118:119], v[62:63]
	v_mov_b64_e32 v[10:11], v[14:15]
	v_fma_f64 v[32:33], v[116:117], v[60:61], -v[6:7]
	s_waitcnt lgkmcnt(1)
	v_mul_f64 v[6:7], v[104:105], v[10:11]
	scratch_load_dwordx4 v[60:63], off, off offset:784
	v_fmac_f64_e32 v[6:7], v[106:107], v[8:9]
	v_add_f64 v[0:1], v[0:1], v[6:7]
	v_mul_f64 v[6:7], v[122:123], v[66:67]
	v_fma_f64 v[28:29], v[120:121], v[64:65], -v[6:7]
	scratch_load_dwordx4 v[64:67], off, off offset:800
	v_mul_f64 v[6:7], v[134:135], v[70:71]
	v_fma_f64 v[24:25], v[132:133], v[68:69], -v[6:7]
	scratch_load_dwordx4 v[68:71], off, off offset:816
	v_mul_f64 v[6:7], v[146:147], v[74:75]
	v_fma_f64 v[20:21], v[144:145], v[72:73], -v[6:7]
	scratch_load_dwordx4 v[72:75], off, off offset:832
	ds_read_b128 v[112:115], v2 offset:1600
	ds_read_b128 v[116:119], v2 offset:1616
	s_waitcnt vmcnt(14)
	v_mov_b64_e32 v[8:9], v[16:17]
	v_mov_b64_e32 v[10:11], v[18:19]
	s_waitcnt lgkmcnt(2)
	v_mul_f64 v[6:7], v[108:109], v[10:11]
	v_fmac_f64_e32 v[6:7], v[110:111], v[8:9]
	s_waitcnt vmcnt(13)
	v_accvgpr_read_b32 v8, a126
	v_accvgpr_write_b32 a157, v19
	v_add_f64 v[0:1], v[0:1], v[6:7]
	v_mul_f64 v[6:7], v[158:159], v[78:79]
	v_accvgpr_read_b32 v10, a128
	v_accvgpr_read_b32 v11, a129
	v_accvgpr_write_b32 a156, v18
	v_accvgpr_write_b32 a155, v17
	;; [unrolled: 1-line block ×3, first 2 shown]
	v_fma_f64 v[16:17], v[156:157], v[76:77], -v[6:7]
	v_accvgpr_read_b32 v9, a127
	s_waitcnt lgkmcnt(1)
	v_mul_f64 v[6:7], v[112:113], v[10:11]
	scratch_load_dwordx4 v[76:79], off, off offset:848
	v_fmac_f64_e32 v[6:7], v[114:115], v[8:9]
	v_accvgpr_write_b32 a153, v15
	v_mul_f64 v[18:19], v[170:171], v[86:87]
	v_add_f64 v[0:1], v[0:1], v[6:7]
	v_mul_f64 v[6:7], v[182:183], v[90:91]
	v_accvgpr_write_b32 a152, v14
	v_accvgpr_write_b32 a151, v13
	;; [unrolled: 1-line block ×3, first 2 shown]
	v_fma_f64 v[18:19], v[168:169], v[84:85], -v[18:19]
	v_fma_f64 v[14:15], v[180:181], v[88:89], -v[6:7]
	ds_read_b128 v[120:123], v2 offset:1632
	scratch_load_dwordx4 v[88:91], off, off offset:864
	scratch_load_dwordx4 v[84:87], off, off offset:880
	s_waitcnt vmcnt(15)
	v_accvgpr_read_b32 v8, a130
	v_accvgpr_read_b32 v10, a132
	;; [unrolled: 1-line block ×3, first 2 shown]
	v_mul_f64 v[22:23], v[190:191], v[94:95]
	v_accvgpr_read_b32 v9, a131
	s_waitcnt lgkmcnt(1)
	v_mul_f64 v[6:7], v[116:117], v[10:11]
	v_fma_f64 v[22:23], v[188:189], v[92:93], -v[22:23]
	v_mul_f64 v[92:93], v[194:195], v[98:99]
	v_fmac_f64_e32 v[6:7], v[118:119], v[8:9]
	s_waitcnt vmcnt(14)
	v_accvgpr_read_b32 v8, a134
	v_fma_f64 v[12:13], v[192:193], v[96:97], -v[92:93]
	scratch_load_dwordx4 v[92:95], off, off offset:896
	v_accvgpr_read_b32 v10, a136
	v_accvgpr_read_b32 v11, a137
	v_mul_f64 v[96:97], v[202:203], v[130:131]
	v_add_f64 v[0:1], v[0:1], v[6:7]
	s_waitcnt lgkmcnt(0)
	v_mul_f64 v[6:7], v[120:121], v[10:11]
	v_fma_f64 v[10:11], v[200:201], v[128:129], -v[96:97]
	scratch_load_dwordx4 v[96:99], off, off offset:912
	v_mul_f64 v[26:27], v[198:199], v[126:127]
	v_fma_f64 v[26:27], v[196:197], v[124:125], -v[26:27]
	ds_read_b128 v[124:127], v2 offset:1648
	ds_read_b128 v[128:131], v2 offset:1664
	v_accvgpr_read_b32 v9, a135
	v_fmac_f64_e32 v[6:7], v[122:123], v[8:9]
	v_add_f64 v[0:1], v[0:1], v[6:7]
	s_waitcnt vmcnt(15) lgkmcnt(1)
	v_mul_f64 v[6:7], v[124:125], v[236:237]
	s_waitcnt vmcnt(14)
	v_accvgpr_read_b32 v132, a138
	v_fmac_f64_e32 v[6:7], v[126:127], v[234:235]
	v_accvgpr_read_b32 v134, a140
	v_accvgpr_read_b32 v135, a141
	v_add_f64 v[0:1], v[0:1], v[6:7]
	v_accvgpr_read_b32 v133, a139
	s_waitcnt lgkmcnt(0)
	v_mul_f64 v[6:7], v[128:129], v[134:135]
	v_fmac_f64_e32 v[6:7], v[130:131], v[132:133]
	ds_read_b128 v[132:135], v2 offset:1680
	v_add_f64 v[0:1], v[0:1], v[6:7]
	v_mul_f64 v[6:7], v[206:207], v[138:139]
	v_fma_f64 v[30:31], v[204:205], v[136:137], -v[6:7]
	ds_read_b128 v[136:139], v2 offset:1696
	s_waitcnt vmcnt(13) lgkmcnt(1)
	v_mul_f64 v[6:7], v[132:133], v[42:43]
	v_fmac_f64_e32 v[6:7], v[134:135], v[40:41]
	v_add_f64 v[0:1], v[0:1], v[6:7]
	v_mul_f64 v[6:7], v[210:211], v[142:143]
	v_fma_f64 v[8:9], v[208:209], v[140:141], -v[6:7]
	ds_read_b128 v[140:143], v2 offset:1712
	ds_read_b128 v[144:147], v2 offset:1728
	s_waitcnt vmcnt(12) lgkmcnt(2)
	v_mul_f64 v[6:7], v[136:137], v[46:47]
	v_fmac_f64_e32 v[6:7], v[138:139], v[44:45]
	v_add_f64 v[0:1], v[0:1], v[6:7]
	s_waitcnt vmcnt(11) lgkmcnt(1)
	v_mul_f64 v[6:7], v[140:141], v[54:55]
	v_fmac_f64_e32 v[6:7], v[142:143], v[52:53]
	v_add_f64 v[0:1], v[0:1], v[6:7]
	v_mul_f64 v[6:7], v[214:215], v[150:151]
	v_fma_f64 v[34:35], v[212:213], v[148:149], -v[6:7]
	ds_read_b128 v[148:151], v2 offset:1744
	v_mul_f64 v[154:155], v[218:219], v[154:155]
	v_fma_f64 v[4:5], v[216:217], v[152:153], -v[154:155]
	ds_read_b128 v[152:155], v2 offset:1760
	s_waitcnt vmcnt(10) lgkmcnt(2)
	v_mul_f64 v[6:7], v[144:145], v[50:51]
	v_fmac_f64_e32 v[6:7], v[146:147], v[48:49]
	v_add_f64 v[0:1], v[0:1], v[6:7]
	s_waitcnt vmcnt(9) lgkmcnt(1)
	v_mul_f64 v[6:7], v[148:149], v[58:59]
	ds_read_b128 v[156:159], v2 offset:1776
	v_fmac_f64_e32 v[6:7], v[150:151], v[56:57]
	v_add_f64 v[0:1], v[0:1], v[6:7]
	s_waitcnt vmcnt(8) lgkmcnt(1)
	v_mul_f64 v[6:7], v[152:153], v[62:63]
	v_fmac_f64_e32 v[6:7], v[154:155], v[60:61]
	v_add_f64 v[0:1], v[0:1], v[6:7]
	v_mul_f64 v[6:7], v[222:223], v[162:163]
	v_fma_f64 v[38:39], v[220:221], v[160:161], -v[6:7]
	ds_read_b128 v[160:163], v2 offset:1792
	s_waitcnt vmcnt(7) lgkmcnt(1)
	v_mul_f64 v[6:7], v[156:157], v[66:67]
	v_fmac_f64_e32 v[6:7], v[158:159], v[64:65]
	v_add_f64 v[0:1], v[0:1], v[6:7]
	v_mul_f64 v[6:7], v[226:227], v[166:167]
	v_fma_f64 v[6:7], v[224:225], v[164:165], -v[6:7]
	ds_read_b128 v[164:167], v2 offset:1808
	s_waitcnt vmcnt(6) lgkmcnt(1)
	v_mul_f64 v[168:169], v[160:161], v[70:71]
	v_fmac_f64_e32 v[168:169], v[162:163], v[68:69]
	v_add_f64 v[0:1], v[0:1], v[168:169]
	ds_read_b128 v[168:171], v2 offset:1824
	s_waitcnt vmcnt(5) lgkmcnt(1)
	v_mul_f64 v[180:181], v[164:165], v[74:75]
	v_fmac_f64_e32 v[180:181], v[166:167], v[72:73]
	v_add_f64 v[180:181], v[0:1], v[180:181]
	v_mul_f64 v[0:1], v[230:231], v[174:175]
	v_fma_f64 v[0:1], v[228:229], v[172:173], -v[0:1]
	ds_read_b128 v[172:175], v2 offset:1840
	s_waitcnt vmcnt(4) lgkmcnt(1)
	v_mul_f64 v[182:183], v[168:169], v[78:79]
	v_fmac_f64_e32 v[182:183], v[170:171], v[76:77]
	v_mul_f64 v[178:179], v[246:247], v[178:179]
	v_fma_f64 v[238:239], v[244:245], v[176:177], -v[178:179]
	ds_read_b128 v[176:179], v2 offset:1856
	v_add_f64 v[180:181], v[180:181], v[182:183]
	s_waitcnt vmcnt(3) lgkmcnt(1)
	v_mul_f64 v[182:183], v[172:173], v[90:91]
	v_fmac_f64_e32 v[182:183], v[174:175], v[88:89]
	v_add_f64 v[188:189], v[180:181], v[182:183]
	ds_read_b128 v[180:183], v2 offset:1872
	v_mul_f64 v[186:187], v[250:251], v[186:187]
	v_fma_f64 v[244:245], v[248:249], v[184:185], -v[186:187]
	ds_read_b128 v[184:187], v2 offset:1888
	s_waitcnt vmcnt(2) lgkmcnt(2)
	v_mul_f64 v[190:191], v[176:177], v[86:87]
	v_fmac_f64_e32 v[190:191], v[178:179], v[84:85]
	v_add_f64 v[188:189], v[188:189], v[190:191]
	s_waitcnt vmcnt(1) lgkmcnt(1)
	v_mul_f64 v[190:191], v[180:181], v[94:95]
	v_fmac_f64_e32 v[190:191], v[182:183], v[92:93]
	v_add_f64 v[188:189], v[188:189], v[190:191]
	;; [unrolled: 4-line block ×3, first 2 shown]
	scratch_load_dwordx4 v[188:191], off, off offset:928
	ds_read_b128 v[192:195], v2 offset:1904
	ds_read_b128 v[200:203], v2 offset:1920
	;; [unrolled: 1-line block ×5, first 2 shown]
	s_waitcnt vmcnt(0) lgkmcnt(4)
	v_mul_f64 v[198:199], v[192:193], v[190:191]
	v_fmac_f64_e32 v[198:199], v[194:195], v[188:189]
	v_add_f64 v[204:205], v[196:197], v[198:199]
	scratch_load_dwordx4 v[196:199], off, off offset:944
	s_waitcnt vmcnt(0) lgkmcnt(3)
	v_mul_f64 v[206:207], v[200:201], v[198:199]
	v_fmac_f64_e32 v[206:207], v[202:203], v[196:197]
	v_add_f64 v[212:213], v[204:205], v[206:207]
	scratch_load_dwordx4 v[204:207], off, off offset:960
	;; [unrolled: 5-line block ×4, first 2 shown]
	s_waitcnt vmcnt(0) lgkmcnt(0)
	v_mul_f64 v[230:231], v[224:225], v[222:223]
	v_fmac_f64_e32 v[230:231], v[226:227], v[220:221]
	v_add_f64 v[248:249], v[228:229], v[230:231]
	v_add_f64 v[228:229], v[240:241], 0
	;; [unrolled: 1-line block ×8, first 2 shown]
	scratch_load_dwordx4 v[228:231], off, off offset:144
	v_add_f64 v[24:25], v[28:29], v[24:25]
	v_add_f64 v[20:21], v[24:25], v[20:21]
	;; [unrolled: 1-line block ×15, first 2 shown]
	v_accvgpr_read_b32 v6, a142
	v_accvgpr_read_b32 v8, a144
	;; [unrolled: 1-line block ×3, first 2 shown]
	v_add_f64 v[0:1], v[4:5], v[0:1]
	v_accvgpr_read_b32 v7, a143
	v_mul_f64 v[4:5], v[82:83], v[8:9]
	v_add_f64 v[0:1], v[0:1], v[238:239]
	v_fma_f64 v[4:5], v[80:81], v[6:7], -v[4:5]
	v_accvgpr_read_b32 v6, a146
	v_add_f64 v[0:1], v[0:1], v[244:245]
	v_accvgpr_read_b32 v8, a148
	v_accvgpr_read_b32 v9, a149
	v_add_f64 v[0:1], v[0:1], v[4:5]
	v_accvgpr_read_b32 v7, a147
	v_mul_f64 v[4:5], v[102:103], v[8:9]
	v_fma_f64 v[4:5], v[100:101], v[6:7], -v[4:5]
	v_accvgpr_read_b32 v6, a150
	v_accvgpr_read_b32 v8, a152
	v_accvgpr_read_b32 v9, a153
	v_add_f64 v[0:1], v[0:1], v[4:5]
	v_accvgpr_read_b32 v7, a151
	v_mul_f64 v[4:5], v[106:107], v[8:9]
	v_fma_f64 v[4:5], v[104:105], v[6:7], -v[4:5]
	v_accvgpr_read_b32 v6, a154
	v_accvgpr_read_b32 v8, a156
	v_accvgpr_read_b32 v9, a157
	v_add_f64 v[0:1], v[0:1], v[4:5]
	v_accvgpr_read_b32 v7, a155
	v_mul_f64 v[4:5], v[110:111], v[8:9]
	v_fma_f64 v[4:5], v[108:109], v[6:7], -v[4:5]
	v_accvgpr_read_b32 v6, a126
	v_accvgpr_read_b32 v8, a128
	v_accvgpr_read_b32 v9, a129
	v_add_f64 v[0:1], v[0:1], v[4:5]
	v_accvgpr_read_b32 v7, a127
	v_mul_f64 v[4:5], v[114:115], v[8:9]
	v_fma_f64 v[4:5], v[112:113], v[6:7], -v[4:5]
	v_accvgpr_read_b32 v6, a130
	v_accvgpr_read_b32 v8, a132
	v_accvgpr_read_b32 v9, a133
	v_add_f64 v[0:1], v[0:1], v[4:5]
	v_accvgpr_read_b32 v7, a131
	v_mul_f64 v[4:5], v[118:119], v[8:9]
	v_fma_f64 v[4:5], v[116:117], v[6:7], -v[4:5]
	v_accvgpr_read_b32 v6, a134
	v_accvgpr_read_b32 v8, a136
	v_accvgpr_read_b32 v9, a137
	v_add_f64 v[0:1], v[0:1], v[4:5]
	v_accvgpr_read_b32 v7, a135
	v_mul_f64 v[4:5], v[122:123], v[8:9]
	v_fma_f64 v[4:5], v[120:121], v[6:7], -v[4:5]
	v_add_f64 v[0:1], v[0:1], v[4:5]
	v_mul_f64 v[4:5], v[126:127], v[236:237]
	v_accvgpr_read_b32 v6, a138
	v_fma_f64 v[4:5], v[124:125], v[234:235], -v[4:5]
	v_accvgpr_read_b32 v8, a140
	v_accvgpr_read_b32 v9, a141
	v_add_f64 v[0:1], v[0:1], v[4:5]
	v_accvgpr_read_b32 v7, a139
	v_mul_f64 v[4:5], v[130:131], v[8:9]
	v_fma_f64 v[4:5], v[128:129], v[6:7], -v[4:5]
	v_add_f64 v[0:1], v[0:1], v[4:5]
	v_mul_f64 v[4:5], v[134:135], v[42:43]
	v_fma_f64 v[4:5], v[132:133], v[40:41], -v[4:5]
	v_add_f64 v[0:1], v[0:1], v[4:5]
	;; [unrolled: 3-line block ×20, first 2 shown]
	s_waitcnt vmcnt(0)
	v_add_f64 v[4:5], v[228:229], -v[0:1]
	v_add_f64 v[6:7], v[230:231], -v[248:249]
	scratch_store_dwordx4 off, v[4:7], off offset:144
	s_and_saveexec_b64 s[0:1], vcc
	s_cbranch_execz .LBB125_383
; %bb.382:
	scratch_load_dwordx4 v[6:9], off, s81
	v_mov_b32_e32 v3, v2
	v_mov_b32_e32 v4, v2
	;; [unrolled: 1-line block ×3, first 2 shown]
	v_accvgpr_read_b32 v0, a1
	scratch_store_dwordx4 off, v[2:5], off offset:128
	s_waitcnt vmcnt(1)
	ds_write_b128 v0, v[6:9]
.LBB125_383:
	s_or_b64 exec, exec, s[0:1]
	s_waitcnt lgkmcnt(0)
	; wave barrier
	scratch_load_dwordx4 v[40:43], off, off offset:144
	scratch_load_dwordx4 v[44:47], off, off offset:160
	;; [unrolled: 1-line block ×18, first 2 shown]
	ds_read_b128 v[80:83], v2 offset:1120
	ds_read_b128 v[204:207], v2 offset:1136
	;; [unrolled: 1-line block ×6, first 2 shown]
	scratch_load_dwordx4 v[148:151], off, off offset:432
	ds_read_b128 v[180:183], v2 offset:1216
	ds_read_b128 v[112:115], v2 offset:1232
	scratch_load_dwordx4 v[152:155], off, off offset:448
	ds_read_b128 v[208:211], v2 offset:1248
	ds_read_b128 v[200:203], v2 offset:1264
	;; [unrolled: 1-line block ×5, first 2 shown]
	scratch_load_dwordx4 v[160:163], off, off offset:464
	ds_read_b128 v[196:199], v2 offset:1328
	ds_read_b128 v[192:195], v2 offset:1344
	;; [unrolled: 1-line block ×4, first 2 shown]
	scratch_load_dwordx4 v[164:167], off, off offset:480
	ds_read_b128 v[168:171], v2 offset:1392
	scratch_load_dwordx4 v[172:175], off, off offset:496
	scratch_load_dwordx4 v[176:179], off, off offset:512
	scratch_load_dwordx4 v[184:187], off, off offset:528
	scratch_load_dwordx4 v[4:7], off, off offset:544
	scratch_load_dwordx4 v[8:11], off, off offset:560
	scratch_load_dwordx4 v[12:15], off, off offset:576
	scratch_load_dwordx4 v[16:19], off, off offset:592
	scratch_load_dwordx4 a[126:129], off, off offset:608
	scratch_load_dwordx4 a[130:133], off, off offset:624
	ds_read_b128 v[228:231], v2 offset:1472
	ds_read_b128 v[232:235], v2 offset:1488
	scratch_load_dwordx4 a[134:137], off, off offset:640
	scratch_load_dwordx4 a[138:141], off, off offset:656
	ds_read_b128 v[236:239], v2 offset:1504
	v_cmp_lt_u32_e32 vcc, 6, v254
	ds_read_b128 v[224:227], v2 offset:1456
	s_waitcnt vmcnt(32) lgkmcnt(14)
	v_mul_f64 v[0:1], v[80:81], v[42:43]
	s_waitcnt vmcnt(31)
	v_mul_f64 v[20:21], v[204:205], v[46:47]
	v_fmac_f64_e32 v[0:1], v[82:83], v[40:41]
	s_waitcnt vmcnt(30)
	v_mul_f64 v[22:23], v[100:101], v[50:51]
	v_fmac_f64_e32 v[20:21], v[206:207], v[44:45]
	v_add_f64 v[0:1], v[0:1], 0
	s_waitcnt vmcnt(29)
	v_mul_f64 v[24:25], v[116:117], v[54:55]
	v_fmac_f64_e32 v[22:23], v[102:103], v[48:49]
	v_add_f64 v[0:1], v[0:1], v[20:21]
	;; [unrolled: 4-line block ×6, first 2 shown]
	s_waitcnt vmcnt(24) lgkmcnt(13)
	v_mul_f64 v[34:35], v[208:209], v[74:75]
	v_fmac_f64_e32 v[32:33], v[114:115], v[68:69]
	v_add_f64 v[0:1], v[0:1], v[30:31]
	s_waitcnt vmcnt(23) lgkmcnt(12)
	v_mul_f64 v[36:37], v[200:201], v[78:79]
	v_fmac_f64_e32 v[34:35], v[210:211], v[72:73]
	v_add_f64 v[0:1], v[0:1], v[32:33]
	;; [unrolled: 4-line block ×8, first 2 shown]
	ds_read_b128 v[212:215], v2 offset:1408
	s_waitcnt vmcnt(16) lgkmcnt(6)
	v_mul_f64 v[222:223], v[144:145], v[138:139]
	v_fmac_f64_e32 v[220:221], v[158:159], v[128:129]
	v_add_f64 v[0:1], v[0:1], v[218:219]
	ds_read_b128 v[216:219], v2 offset:1424
	v_add_f64 v[0:1], v[0:1], v[220:221]
	v_fmac_f64_e32 v[222:223], v[146:147], v[136:137]
	v_add_f64 v[0:1], v[0:1], v[222:223]
	s_waitcnt vmcnt(15) lgkmcnt(6)
	v_mul_f64 v[24:25], v[168:169], v[142:143]
	ds_read_b128 v[220:223], v2 offset:1440
	v_fmac_f64_e32 v[24:25], v[170:171], v[140:141]
	v_add_f64 v[0:1], v[0:1], v[24:25]
	s_waitcnt vmcnt(14) lgkmcnt(2)
	v_mul_f64 v[24:25], v[212:213], v[150:151]
	v_fmac_f64_e32 v[24:25], v[214:215], v[148:149]
	s_waitcnt vmcnt(13) lgkmcnt(1)
	v_mul_f64 v[28:29], v[216:217], v[154:155]
	v_add_f64 v[0:1], v[0:1], v[24:25]
	v_fmac_f64_e32 v[28:29], v[218:219], v[152:153]
	v_add_f64 v[0:1], v[0:1], v[28:29]
	s_waitcnt vmcnt(12) lgkmcnt(0)
	v_mul_f64 v[28:29], v[220:221], v[162:163]
	v_fmac_f64_e32 v[28:29], v[222:223], v[160:161]
	s_waitcnt vmcnt(11)
	v_mul_f64 v[32:33], v[224:225], v[166:167]
	v_add_f64 v[0:1], v[0:1], v[28:29]
	v_fmac_f64_e32 v[32:33], v[226:227], v[164:165]
	v_add_f64 v[0:1], v[0:1], v[32:33]
	s_waitcnt vmcnt(10)
	v_mul_f64 v[32:33], v[228:229], v[174:175]
	v_fmac_f64_e32 v[32:33], v[230:231], v[172:173]
	s_waitcnt vmcnt(9)
	v_mul_f64 v[36:37], v[232:233], v[178:179]
	v_add_f64 v[0:1], v[0:1], v[32:33]
	v_fmac_f64_e32 v[36:37], v[234:235], v[176:177]
	v_mul_f64 v[42:43], v[82:83], v[42:43]
	v_add_f64 v[0:1], v[0:1], v[36:37]
	scratch_load_dwordx4 v[36:39], off, off offset:672
	v_fma_f64 v[240:241], v[80:81], v[40:41], -v[42:43]
	ds_read_b128 v[80:83], v2 offset:1520
	s_waitcnt vmcnt(9)
	v_mul_f64 v[40:41], v[236:237], v[186:187]
	v_fmac_f64_e32 v[40:41], v[238:239], v[184:185]
	v_add_f64 v[0:1], v[0:1], v[40:41]
	v_mul_f64 v[40:41], v[206:207], v[46:47]
	v_fma_f64 v[242:243], v[204:205], v[44:45], -v[40:41]
	scratch_load_dwordx4 v[40:43], off, off offset:688
	s_waitcnt vmcnt(9) lgkmcnt(0)
	v_mul_f64 v[44:45], v[80:81], v[6:7]
	v_fmac_f64_e32 v[44:45], v[82:83], v[4:5]
	v_add_f64 v[0:1], v[0:1], v[44:45]
	scratch_load_dwordx4 v[44:47], off, off offset:704
	v_mul_f64 v[50:51], v[102:103], v[50:51]
	v_fma_f64 v[248:249], v[100:101], v[48:49], -v[50:51]
	ds_read_b128 v[100:103], v2 offset:1536
	v_mul_f64 v[48:49], v[118:119], v[54:55]
	v_fma_f64 v[250:251], v[116:117], v[52:53], -v[48:49]
	scratch_load_dwordx4 v[52:55], off, off offset:720
	scratch_load_dwordx4 v[48:51], off, off offset:736
	v_accvgpr_write_b32 a145, v7
	v_accvgpr_write_b32 a144, v6
	;; [unrolled: 1-line block ×4, first 2 shown]
	s_waitcnt vmcnt(11)
	v_mov_b64_e32 v[4:5], v[8:9]
	v_mul_f64 v[58:59], v[106:107], v[58:59]
	v_mov_b64_e32 v[6:7], v[10:11]
	v_fma_f64 v[252:253], v[104:105], v[56:57], -v[58:59]
	s_waitcnt lgkmcnt(0)
	v_mul_f64 v[56:57], v[100:101], v[6:7]
	v_fmac_f64_e32 v[56:57], v[102:103], v[4:5]
	v_add_f64 v[0:1], v[0:1], v[56:57]
	v_mul_f64 v[56:57], v[110:111], v[62:63]
	v_fma_f64 v[244:245], v[108:109], v[60:61], -v[56:57]
	scratch_load_dwordx4 v[56:59], off, off offset:752
	scratch_load_dwordx4 v[60:63], off, off offset:768
	ds_read_b128 v[104:107], v2 offset:1552
	ds_read_b128 v[116:119], v2 offset:1600
	v_mul_f64 v[66:67], v[182:183], v[66:67]
	v_fma_f64 v[32:33], v[180:181], v[64:65], -v[66:67]
	scratch_load_dwordx4 v[64:67], off, off offset:784
	s_waitcnt vmcnt(13)
	v_mov_b64_e32 v[4:5], v[12:13]
	v_mov_b64_e32 v[6:7], v[14:15]
	s_waitcnt lgkmcnt(1)
	v_mul_f64 v[108:109], v[104:105], v[6:7]
	v_fmac_f64_e32 v[108:109], v[106:107], v[4:5]
	v_mul_f64 v[6:7], v[114:115], v[70:71]
	v_add_f64 v[0:1], v[0:1], v[108:109]
	ds_read_b128 v[108:111], v2 offset:1568
	v_fma_f64 v[28:29], v[112:113], v[68:69], -v[6:7]
	v_mul_f64 v[68:69], v[210:211], v[74:75]
	v_fma_f64 v[24:25], v[208:209], v[72:73], -v[68:69]
	scratch_load_dwordx4 v[68:71], off, off offset:800
	s_waitcnt vmcnt(13)
	v_mov_b64_e32 v[4:5], v[16:17]
	scratch_load_dwordx4 v[72:75], off, off offset:816
	v_accvgpr_write_b32 a149, v11
	v_mov_b64_e32 v[6:7], v[18:19]
	v_accvgpr_write_b32 a148, v10
	v_accvgpr_write_b32 a147, v9
	;; [unrolled: 1-line block ×3, first 2 shown]
	ds_read_b128 v[112:115], v2 offset:1584
	s_waitcnt lgkmcnt(1)
	v_mul_f64 v[10:11], v[108:109], v[6:7]
	v_fmac_f64_e32 v[10:11], v[110:111], v[4:5]
	v_add_f64 v[0:1], v[0:1], v[10:11]
	v_mul_f64 v[10:11], v[202:203], v[78:79]
	v_accvgpr_write_b32 a157, v19
	v_fma_f64 v[20:21], v[200:201], v[76:77], -v[10:11]
	v_mul_f64 v[76:77], v[190:191], v[86:87]
	v_accvgpr_write_b32 a156, v18
	v_accvgpr_write_b32 a155, v17
	;; [unrolled: 1-line block ×3, first 2 shown]
	v_fma_f64 v[16:17], v[188:189], v[84:85], -v[76:77]
	scratch_load_dwordx4 v[76:79], off, off offset:832
	v_accvgpr_write_b32 a153, v15
	v_accvgpr_write_b32 a152, v14
	;; [unrolled: 1-line block ×4, first 2 shown]
	v_mul_f64 v[14:15], v[122:123], v[90:91]
	v_mul_f64 v[84:85], v[134:135], v[94:95]
	v_fma_f64 v[14:15], v[120:121], v[88:89], -v[14:15]
	ds_read_b128 v[120:123], v2 offset:1616
	v_fma_f64 v[12:13], v[132:133], v[92:93], -v[84:85]
	scratch_load_dwordx4 v[88:91], off, off offset:848
	scratch_load_dwordx4 v[84:87], off, off offset:864
	v_mul_f64 v[92:93], v[198:199], v[98:99]
	v_fma_f64 v[246:247], v[196:197], v[96:97], -v[92:93]
	scratch_load_dwordx4 v[92:95], off, off offset:880
	v_mul_f64 v[96:97], v[194:195], v[126:127]
	v_fma_f64 v[10:11], v[192:193], v[124:125], -v[96:97]
	scratch_load_dwordx4 v[96:99], off, off offset:896
	s_waitcnt vmcnt(18)
	v_accvgpr_read_b32 v4, a126
	v_accvgpr_read_b32 v6, a128
	;; [unrolled: 1-line block ×4, first 2 shown]
	s_waitcnt lgkmcnt(1)
	v_mul_f64 v[180:181], v[112:113], v[6:7]
	v_fmac_f64_e32 v[180:181], v[114:115], v[4:5]
	s_waitcnt vmcnt(17)
	v_accvgpr_read_b32 v4, a130
	v_accvgpr_read_b32 v6, a132
	;; [unrolled: 1-line block ×3, first 2 shown]
	v_add_f64 v[0:1], v[0:1], v[180:181]
	v_accvgpr_read_b32 v5, a131
	v_mul_f64 v[180:181], v[116:117], v[6:7]
	v_fmac_f64_e32 v[180:181], v[118:119], v[4:5]
	s_waitcnt vmcnt(16)
	v_accvgpr_read_b32 v4, a134
	ds_read_b128 v[124:127], v2 offset:1632
	v_accvgpr_read_b32 v6, a136
	v_accvgpr_read_b32 v7, a137
	v_mul_f64 v[22:23], v[158:159], v[130:131]
	v_accvgpr_read_b32 v5, a135
	s_waitcnt lgkmcnt(1)
	v_mul_f64 v[18:19], v[120:121], v[6:7]
	v_fma_f64 v[22:23], v[156:157], v[128:129], -v[22:23]
	ds_read_b128 v[128:131], v2 offset:1648
	v_fmac_f64_e32 v[18:19], v[122:123], v[4:5]
	s_waitcnt vmcnt(15)
	v_accvgpr_read_b32 v4, a138
	v_add_f64 v[0:1], v[0:1], v[180:181]
	v_accvgpr_read_b32 v6, a140
	v_accvgpr_read_b32 v7, a141
	v_add_f64 v[0:1], v[0:1], v[18:19]
	v_accvgpr_read_b32 v5, a139
	s_waitcnt lgkmcnt(1)
	v_mul_f64 v[18:19], v[124:125], v[6:7]
	ds_read_b128 v[132:135], v2 offset:1664
	v_fmac_f64_e32 v[18:19], v[126:127], v[4:5]
	v_add_f64 v[0:1], v[0:1], v[18:19]
	s_waitcnt vmcnt(14) lgkmcnt(1)
	v_mul_f64 v[18:19], v[128:129], v[38:39]
	v_fmac_f64_e32 v[18:19], v[130:131], v[36:37]
	v_add_f64 v[0:1], v[0:1], v[18:19]
	v_mul_f64 v[18:19], v[146:147], v[138:139]
	v_fma_f64 v[8:9], v[144:145], v[136:137], -v[18:19]
	ds_read_b128 v[136:139], v2 offset:1680
	s_waitcnt vmcnt(13) lgkmcnt(1)
	v_mul_f64 v[18:19], v[132:133], v[42:43]
	v_fmac_f64_e32 v[18:19], v[134:135], v[40:41]
	v_add_f64 v[0:1], v[0:1], v[18:19]
	v_mul_f64 v[18:19], v[170:171], v[142:143]
	v_fma_f64 v[26:27], v[168:169], v[140:141], -v[18:19]
	ds_read_b128 v[140:143], v2 offset:1696
	ds_read_b128 v[144:147], v2 offset:1712
	s_waitcnt vmcnt(12) lgkmcnt(2)
	v_mul_f64 v[18:19], v[136:137], v[46:47]
	v_fmac_f64_e32 v[18:19], v[138:139], v[44:45]
	v_add_f64 v[0:1], v[0:1], v[18:19]
	s_waitcnt vmcnt(11) lgkmcnt(1)
	v_mul_f64 v[18:19], v[140:141], v[54:55]
	v_fmac_f64_e32 v[18:19], v[142:143], v[52:53]
	v_add_f64 v[0:1], v[0:1], v[18:19]
	v_mul_f64 v[18:19], v[214:215], v[150:151]
	v_fma_f64 v[6:7], v[212:213], v[148:149], -v[18:19]
	ds_read_b128 v[148:151], v2 offset:1728
	v_mul_f64 v[30:31], v[218:219], v[154:155]
	v_fma_f64 v[30:31], v[216:217], v[152:153], -v[30:31]
	ds_read_b128 v[152:155], v2 offset:1744
	s_waitcnt vmcnt(10) lgkmcnt(2)
	v_mul_f64 v[18:19], v[144:145], v[50:51]
	v_fmac_f64_e32 v[18:19], v[146:147], v[48:49]
	v_add_f64 v[0:1], v[0:1], v[18:19]
	s_waitcnt vmcnt(9) lgkmcnt(1)
	v_mul_f64 v[18:19], v[148:149], v[58:59]
	ds_read_b128 v[156:159], v2 offset:1760
	v_fmac_f64_e32 v[18:19], v[150:151], v[56:57]
	v_add_f64 v[0:1], v[0:1], v[18:19]
	s_waitcnt vmcnt(8) lgkmcnt(1)
	v_mul_f64 v[18:19], v[152:153], v[62:63]
	v_fmac_f64_e32 v[18:19], v[154:155], v[60:61]
	v_add_f64 v[0:1], v[0:1], v[18:19]
	v_mul_f64 v[18:19], v[222:223], v[162:163]
	v_fma_f64 v[4:5], v[220:221], v[160:161], -v[18:19]
	ds_read_b128 v[160:163], v2 offset:1776
	s_waitcnt vmcnt(7) lgkmcnt(1)
	v_mul_f64 v[18:19], v[156:157], v[66:67]
	v_fmac_f64_e32 v[18:19], v[158:159], v[64:65]
	v_add_f64 v[0:1], v[0:1], v[18:19]
	v_mul_f64 v[18:19], v[226:227], v[166:167]
	v_fma_f64 v[34:35], v[224:225], v[164:165], -v[18:19]
	ds_read_b128 v[164:167], v2 offset:1792
	ds_read_b128 v[168:171], v2 offset:1808
	s_waitcnt vmcnt(6) lgkmcnt(2)
	v_mul_f64 v[18:19], v[160:161], v[70:71]
	v_fmac_f64_e32 v[18:19], v[162:163], v[68:69]
	v_add_f64 v[0:1], v[0:1], v[18:19]
	s_waitcnt vmcnt(5) lgkmcnt(1)
	v_mul_f64 v[18:19], v[164:165], v[74:75]
	v_fmac_f64_e32 v[18:19], v[166:167], v[72:73]
	v_add_f64 v[18:19], v[0:1], v[18:19]
	v_mul_f64 v[0:1], v[230:231], v[174:175]
	v_fma_f64 v[0:1], v[228:229], v[172:173], -v[0:1]
	ds_read_b128 v[172:175], v2 offset:1824
	v_mul_f64 v[178:179], v[234:235], v[178:179]
	s_waitcnt vmcnt(4) lgkmcnt(1)
	v_mul_f64 v[180:181], v[168:169], v[78:79]
	v_fma_f64 v[176:177], v[232:233], v[176:177], -v[178:179]
	v_fmac_f64_e32 v[180:181], v[170:171], v[76:77]
	v_accvgpr_write_b32 a158, v176
	v_accvgpr_write_b32 a159, v177
	ds_read_b128 v[176:179], v2 offset:1840
	v_add_f64 v[18:19], v[18:19], v[180:181]
	s_waitcnt vmcnt(3) lgkmcnt(1)
	v_mul_f64 v[180:181], v[172:173], v[90:91]
	v_fmac_f64_e32 v[180:181], v[174:175], v[88:89]
	v_add_f64 v[188:189], v[18:19], v[180:181]
	ds_read_b128 v[180:183], v2 offset:1856
	v_mul_f64 v[18:19], v[238:239], v[186:187]
	v_fma_f64 v[18:19], v[236:237], v[184:185], -v[18:19]
	ds_read_b128 v[184:187], v2 offset:1872
	s_waitcnt vmcnt(2) lgkmcnt(2)
	v_mul_f64 v[190:191], v[176:177], v[86:87]
	v_fmac_f64_e32 v[190:191], v[178:179], v[84:85]
	v_add_f64 v[188:189], v[188:189], v[190:191]
	s_waitcnt vmcnt(1) lgkmcnt(1)
	v_mul_f64 v[190:191], v[180:181], v[94:95]
	v_fmac_f64_e32 v[190:191], v[182:183], v[92:93]
	v_add_f64 v[188:189], v[188:189], v[190:191]
	;; [unrolled: 4-line block ×3, first 2 shown]
	scratch_load_dwordx4 v[188:191], off, off offset:912
	scratch_load_dwordx4 v[232:235], off, off offset:992
	ds_read_b128 v[192:195], v2 offset:1888
	ds_read_b128 v[200:203], v2 offset:1904
	;; [unrolled: 1-line block ×5, first 2 shown]
	s_waitcnt vmcnt(1) lgkmcnt(4)
	v_mul_f64 v[198:199], v[192:193], v[190:191]
	v_fmac_f64_e32 v[198:199], v[194:195], v[188:189]
	v_add_f64 v[204:205], v[196:197], v[198:199]
	scratch_load_dwordx4 v[196:199], off, off offset:928
	s_waitcnt vmcnt(0) lgkmcnt(3)
	v_mul_f64 v[206:207], v[200:201], v[198:199]
	v_fmac_f64_e32 v[206:207], v[202:203], v[196:197]
	v_add_f64 v[212:213], v[204:205], v[206:207]
	scratch_load_dwordx4 v[204:207], off, off offset:944
	;; [unrolled: 5-line block ×4, first 2 shown]
	s_waitcnt vmcnt(0) lgkmcnt(0)
	v_mul_f64 v[230:231], v[224:225], v[222:223]
	v_fmac_f64_e32 v[230:231], v[226:227], v[220:221]
	v_add_f64 v[236:237], v[228:229], v[230:231]
	ds_read_b128 v[228:231], v2 offset:1968
	s_waitcnt lgkmcnt(0)
	v_mul_f64 v[2:3], v[228:229], v[234:235]
	v_fmac_f64_e32 v[2:3], v[230:231], v[232:233]
	v_add_f64 v[2:3], v[236:237], v[2:3]
	v_add_f64 v[236:237], v[240:241], 0
	;; [unrolled: 1-line block ×11, first 2 shown]
	scratch_load_dwordx4 v[236:239], off, off offset:128
	v_add_f64 v[16:17], v[20:21], v[16:17]
	v_add_f64 v[14:15], v[16:17], v[14:15]
	;; [unrolled: 1-line block ×12, first 2 shown]
	v_accvgpr_read_b32 v6, a142
	v_add_f64 v[248:249], v[4:5], v[0:1]
	v_accvgpr_read_b32 v0, a158
	v_accvgpr_read_b32 v8, a144
	;; [unrolled: 1-line block ×5, first 2 shown]
	v_mul_f64 v[4:5], v[82:83], v[8:9]
	v_add_f64 v[0:1], v[248:249], v[0:1]
	v_fma_f64 v[4:5], v[80:81], v[6:7], -v[4:5]
	v_accvgpr_read_b32 v6, a146
	v_add_f64 v[0:1], v[0:1], v[18:19]
	v_accvgpr_read_b32 v8, a148
	v_accvgpr_read_b32 v9, a149
	v_add_f64 v[0:1], v[0:1], v[4:5]
	v_accvgpr_read_b32 v7, a147
	v_mul_f64 v[4:5], v[102:103], v[8:9]
	v_fma_f64 v[4:5], v[100:101], v[6:7], -v[4:5]
	v_accvgpr_read_b32 v6, a150
	v_accvgpr_read_b32 v8, a152
	v_accvgpr_read_b32 v9, a153
	v_add_f64 v[0:1], v[0:1], v[4:5]
	v_accvgpr_read_b32 v7, a151
	v_mul_f64 v[4:5], v[106:107], v[8:9]
	v_fma_f64 v[4:5], v[104:105], v[6:7], -v[4:5]
	v_accvgpr_read_b32 v6, a154
	;; [unrolled: 7-line block ×6, first 2 shown]
	v_accvgpr_read_b32 v8, a140
	v_accvgpr_read_b32 v9, a141
	v_add_f64 v[0:1], v[0:1], v[4:5]
	v_accvgpr_read_b32 v7, a139
	v_mul_f64 v[4:5], v[126:127], v[8:9]
	v_fma_f64 v[4:5], v[124:125], v[6:7], -v[4:5]
	v_add_f64 v[0:1], v[0:1], v[4:5]
	v_mul_f64 v[4:5], v[130:131], v[38:39]
	v_fma_f64 v[4:5], v[128:129], v[36:37], -v[4:5]
	v_add_f64 v[0:1], v[0:1], v[4:5]
	;; [unrolled: 3-line block ×22, first 2 shown]
	s_waitcnt vmcnt(0)
	v_add_f64 v[4:5], v[236:237], -v[0:1]
	v_add_f64 v[6:7], v[238:239], -v[2:3]
	scratch_store_dwordx4 off, v[4:7], off offset:128
	s_and_saveexec_b64 s[0:1], vcc
	s_cbranch_execz .LBB125_385
; %bb.384:
	scratch_load_dwordx4 v[2:5], off, s82
	v_mov_b32_e32 v6, 0
	v_mov_b32_e32 v7, v6
	;; [unrolled: 1-line block ×4, first 2 shown]
	v_accvgpr_read_b32 v0, a1
	scratch_store_dwordx4 off, v[6:9], off offset:112
	s_waitcnt vmcnt(1)
	ds_write_b128 v0, v[2:5]
.LBB125_385:
	s_or_b64 exec, exec, s[0:1]
	s_waitcnt lgkmcnt(0)
	; wave barrier
	scratch_load_dwordx4 v[16:19], off, off offset:128
	scratch_load_dwordx4 v[20:23], off, off offset:144
	;; [unrolled: 1-line block ×30, first 2 shown]
	v_mov_b32_e32 v2, 0
	ds_read_b128 v[84:87], v2 offset:1104
	ds_read_b128 v[96:99], v2 offset:1120
	;; [unrolled: 1-line block ×17, first 2 shown]
	scratch_load_dwordx4 a[134:137], off, off offset:608
	scratch_load_dwordx4 a[138:141], off, off offset:624
	;; [unrolled: 1-line block ×6, first 2 shown]
	ds_read_b128 v[228:231], v2 offset:1472
	ds_read_b128 v[236:239], v2 offset:1488
	;; [unrolled: 1-line block ×4, first 2 shown]
	v_cmp_lt_u32_e32 vcc, 5, v254
	ds_read_b128 v[224:227], v2 offset:1456
	s_waitcnt vmcnt(35) lgkmcnt(14)
	v_mul_f64 v[0:1], v[84:85], v[18:19]
	s_waitcnt vmcnt(34)
	v_mul_f64 v[40:41], v[96:97], v[22:23]
	v_fmac_f64_e32 v[0:1], v[86:87], v[16:17]
	s_waitcnt vmcnt(33)
	v_mul_f64 v[42:43], v[104:105], v[26:27]
	v_fmac_f64_e32 v[40:41], v[98:99], v[20:21]
	v_add_f64 v[0:1], v[0:1], 0
	s_waitcnt vmcnt(32)
	v_mul_f64 v[48:49], v[108:109], v[30:31]
	v_fmac_f64_e32 v[42:43], v[106:107], v[24:25]
	v_add_f64 v[0:1], v[0:1], v[40:41]
	;; [unrolled: 4-line block ×6, first 2 shown]
	s_waitcnt vmcnt(27) lgkmcnt(13)
	v_mul_f64 v[206:207], v[140:141], v[62:63]
	v_fmac_f64_e32 v[204:205], v[126:127], v[52:53]
	v_add_f64 v[0:1], v[0:1], v[58:59]
	s_waitcnt vmcnt(26) lgkmcnt(12)
	v_mul_f64 v[208:209], v[152:153], v[66:67]
	v_fmac_f64_e32 v[206:207], v[142:143], v[60:61]
	v_add_f64 v[0:1], v[0:1], v[204:205]
	;; [unrolled: 4-line block ×6, first 2 shown]
	ds_read_b128 v[204:207], v2 offset:1376
	ds_read_b128 v[208:211], v2 offset:1392
	s_waitcnt vmcnt(21) lgkmcnt(9)
	v_mul_f64 v[218:219], v[192:193], v[90:91]
	v_fmac_f64_e32 v[216:217], v[190:191], v[80:81]
	v_add_f64 v[0:1], v[0:1], v[214:215]
	s_waitcnt vmcnt(20) lgkmcnt(8)
	v_mul_f64 v[220:221], v[196:197], v[94:95]
	v_fmac_f64_e32 v[218:219], v[194:195], v[88:89]
	v_add_f64 v[0:1], v[0:1], v[216:217]
	v_fmac_f64_e32 v[220:221], v[198:199], v[92:93]
	v_add_f64 v[0:1], v[0:1], v[218:219]
	s_waitcnt vmcnt(19) lgkmcnt(7)
	v_mul_f64 v[40:41], v[200:201], v[102:103]
	ds_read_b128 v[212:215], v2 offset:1408
	ds_read_b128 v[216:219], v2 offset:1424
	v_add_f64 v[0:1], v[0:1], v[220:221]
	v_fmac_f64_e32 v[40:41], v[202:203], v[100:101]
	v_add_f64 v[0:1], v[0:1], v[40:41]
	s_waitcnt vmcnt(18) lgkmcnt(3)
	v_mul_f64 v[40:41], v[204:205], v[130:131]
	v_fmac_f64_e32 v[40:41], v[206:207], v[128:129]
	ds_read_b128 v[220:223], v2 offset:1440
	v_add_f64 v[0:1], v[0:1], v[40:41]
	s_waitcnt vmcnt(17) lgkmcnt(3)
	v_mul_f64 v[40:41], v[208:209], v[134:135]
	v_fmac_f64_e32 v[40:41], v[210:211], v[132:133]
	s_waitcnt vmcnt(16) lgkmcnt(2)
	v_mul_f64 v[48:49], v[212:213], v[138:139]
	v_add_f64 v[0:1], v[0:1], v[40:41]
	v_fmac_f64_e32 v[48:49], v[214:215], v[136:137]
	s_waitcnt vmcnt(15) lgkmcnt(1)
	v_mul_f64 v[56:57], v[216:217], v[146:147]
	v_add_f64 v[0:1], v[0:1], v[48:49]
	v_fmac_f64_e32 v[56:57], v[218:219], v[144:145]
	v_add_f64 v[0:1], v[0:1], v[56:57]
	s_waitcnt vmcnt(14) lgkmcnt(0)
	v_mul_f64 v[56:57], v[220:221], v[150:151]
	v_fmac_f64_e32 v[56:57], v[222:223], v[148:149]
	v_add_f64 v[0:1], v[0:1], v[56:57]
	s_waitcnt vmcnt(13)
	v_mul_f64 v[56:57], v[224:225], v[158:159]
	v_fmac_f64_e32 v[56:57], v[226:227], v[156:157]
	v_add_f64 v[0:1], v[0:1], v[56:57]
	scratch_load_dwordx4 v[56:59], off, off offset:704
	scratch_load_dwordx4 v[48:51], off, off offset:720
	;; [unrolled: 1-line block ×3, first 2 shown]
	s_waitcnt vmcnt(15)
	v_mul_f64 v[232:233], v[228:229], v[162:163]
	v_fmac_f64_e32 v[232:233], v[230:231], v[160:161]
	v_add_f64 v[0:1], v[0:1], v[232:233]
	s_waitcnt vmcnt(14)
	v_mul_f64 v[232:233], v[236:237], v[170:171]
	v_mul_f64 v[18:19], v[86:87], v[18:19]
	v_fmac_f64_e32 v[232:233], v[238:239], v[168:169]
	v_fma_f64 v[240:241], v[84:85], v[16:17], -v[18:19]
	s_waitcnt vmcnt(13)
	v_mul_f64 v[84:85], v[244:245], v[174:175]
	v_add_f64 v[0:1], v[0:1], v[232:233]
	v_fmac_f64_e32 v[84:85], v[246:247], v[172:173]
	v_add_f64 v[0:1], v[0:1], v[84:85]
	ds_read_b128 v[84:87], v2 offset:1536
	v_mul_f64 v[30:31], v[110:111], v[30:31]
	v_mul_f64 v[22:23], v[98:99], v[22:23]
	v_fma_f64 v[232:233], v[108:109], v[28:29], -v[30:31]
	s_waitcnt vmcnt(12)
	v_mul_f64 v[28:29], v[248:249], v[182:183]
	v_fma_f64 v[242:243], v[96:97], v[20:21], -v[22:23]
	v_fmac_f64_e32 v[28:29], v[250:251], v[180:181]
	ds_read_b128 v[96:99], v2 offset:1552
	s_waitcnt vmcnt(11) lgkmcnt(1)
	v_mul_f64 v[6:7], v[84:85], v[14:15]
	v_add_f64 v[0:1], v[0:1], v[28:29]
	v_fmac_f64_e32 v[6:7], v[86:87], v[12:13]
	v_mul_f64 v[26:27], v[106:107], v[26:27]
	v_mul_f64 v[34:35], v[114:115], v[34:35]
	v_add_f64 v[0:1], v[0:1], v[6:7]
	v_mul_f64 v[6:7], v[118:119], v[10:11]
	v_mul_f64 v[46:47], v[122:123], v[46:47]
	v_fma_f64 v[252:253], v[104:105], v[24:25], -v[26:27]
	v_fma_f64 v[36:37], v[112:113], v[32:33], -v[34:35]
	;; [unrolled: 1-line block ×4, first 2 shown]
	ds_read_b128 v[104:107], v2 offset:1568
	ds_read_b128 v[108:111], v2 offset:1584
	s_waitcnt vmcnt(10)
	v_accvgpr_read_b32 v4, a126
	v_mul_f64 v[44:45], v[126:127], v[54:55]
	v_accvgpr_read_b32 v6, a128
	v_accvgpr_read_b32 v7, a129
	v_fma_f64 v[234:235], v[124:125], v[52:53], -v[44:45]
	scratch_load_dwordx4 v[52:55], off, off offset:752
	v_accvgpr_read_b32 v5, a127
	s_waitcnt lgkmcnt(2)
	v_mul_f64 v[10:11], v[96:97], v[6:7]
	v_fmac_f64_e32 v[10:11], v[98:99], v[4:5]
	scratch_load_dwordx4 v[44:47], off, off offset:768
	s_waitcnt vmcnt(11)
	v_accvgpr_read_b32 v4, a130
	v_add_f64 v[0:1], v[0:1], v[10:11]
	v_mul_f64 v[10:11], v[142:143], v[62:63]
	v_accvgpr_read_b32 v6, a132
	v_accvgpr_read_b32 v7, a133
	v_fma_f64 v[24:25], v[140:141], v[60:61], -v[10:11]
	v_accvgpr_read_b32 v5, a131
	s_waitcnt lgkmcnt(1)
	v_mul_f64 v[10:11], v[104:105], v[6:7]
	v_fmac_f64_e32 v[10:11], v[106:107], v[4:5]
	v_add_f64 v[0:1], v[0:1], v[10:11]
	v_mul_f64 v[10:11], v[154:155], v[66:67]
	ds_read_b128 v[112:115], v2 offset:1600
	ds_read_b128 v[116:119], v2 offset:1616
	s_waitcnt vmcnt(10)
	v_accvgpr_read_b32 v4, a134
	v_fma_f64 v[20:21], v[152:153], v[64:65], -v[10:11]
	v_mul_f64 v[10:11], v[166:167], v[70:71]
	v_accvgpr_read_b32 v6, a136
	v_accvgpr_read_b32 v7, a137
	scratch_load_dwordx4 v[60:63], off, off offset:784
	v_fma_f64 v[16:17], v[164:165], v[68:69], -v[10:11]
	v_accvgpr_read_b32 v5, a135
	s_waitcnt lgkmcnt(2)
	v_mul_f64 v[10:11], v[108:109], v[6:7]
	v_fmac_f64_e32 v[10:11], v[110:111], v[4:5]
	s_waitcnt vmcnt(10)
	v_accvgpr_read_b32 v4, a138
	scratch_load_dwordx4 v[64:67], off, off offset:800
	scratch_load_dwordx4 v[68:71], off, off offset:816
	v_accvgpr_read_b32 v6, a140
	v_accvgpr_read_b32 v7, a141
	v_add_f64 v[0:1], v[0:1], v[10:11]
	v_accvgpr_read_b32 v5, a139
	s_waitcnt lgkmcnt(1)
	v_mul_f64 v[10:11], v[112:113], v[6:7]
	v_fmac_f64_e32 v[10:11], v[114:115], v[4:5]
	v_add_f64 v[0:1], v[0:1], v[10:11]
	v_mul_f64 v[10:11], v[186:187], v[78:79]
	v_fma_f64 v[184:185], v[184:185], v[76:77], -v[10:11]
	v_mul_f64 v[10:11], v[190:191], v[82:83]
	s_waitcnt vmcnt(11)
	v_accvgpr_read_b32 v4, a142
	v_accvgpr_write_b32 a161, v15
	v_mul_f64 v[18:19], v[178:179], v[74:75]
	v_fma_f64 v[186:187], v[188:189], v[80:81], -v[10:11]
	v_mul_f64 v[10:11], v[194:195], v[90:91]
	v_accvgpr_read_b32 v6, a144
	v_accvgpr_read_b32 v7, a145
	v_accvgpr_write_b32 a160, v14
	v_accvgpr_write_b32 a159, v13
	;; [unrolled: 1-line block ×3, first 2 shown]
	v_fma_f64 v[18:19], v[176:177], v[72:73], -v[18:19]
	scratch_load_dwordx4 v[72:75], off, off offset:832
	scratch_load_dwordx4 v[80:83], off, off offset:848
	;; [unrolled: 1-line block ×3, first 2 shown]
	v_fma_f64 v[14:15], v[192:193], v[88:89], -v[10:11]
	ds_read_b128 v[120:123], v2 offset:1632
	v_accvgpr_read_b32 v5, a143
	s_waitcnt lgkmcnt(1)
	v_mul_f64 v[10:11], v[116:117], v[6:7]
	v_fmac_f64_e32 v[10:11], v[118:119], v[4:5]
	v_add_f64 v[0:1], v[0:1], v[10:11]
	v_mul_f64 v[10:11], v[198:199], v[94:95]
	v_fma_f64 v[22:23], v[196:197], v[92:93], -v[10:11]
	scratch_load_dwordx4 v[92:95], off, off offset:880
	scratch_load_dwordx4 v[88:91], off, off offset:896
	ds_read_b128 v[124:127], v2 offset:1648
	s_waitcnt vmcnt(15)
	v_accvgpr_read_b32 v4, a146
	v_mul_f64 v[10:11], v[202:203], v[102:103]
	v_accvgpr_read_b32 v6, a148
	v_accvgpr_read_b32 v7, a149
	v_fma_f64 v[12:13], v[200:201], v[100:101], -v[10:11]
	v_accvgpr_read_b32 v5, a147
	s_waitcnt lgkmcnt(1)
	v_mul_f64 v[10:11], v[120:121], v[6:7]
	v_fmac_f64_e32 v[10:11], v[122:123], v[4:5]
	s_waitcnt vmcnt(14)
	v_accvgpr_read_b32 v4, a150
	v_add_f64 v[0:1], v[0:1], v[10:11]
	v_mul_f64 v[10:11], v[206:207], v[130:131]
	v_accvgpr_read_b32 v6, a152
	v_accvgpr_read_b32 v7, a153
	v_fma_f64 v[26:27], v[204:205], v[128:129], -v[10:11]
	ds_read_b128 v[128:131], v2 offset:1664
	v_accvgpr_read_b32 v5, a151
	s_waitcnt lgkmcnt(1)
	v_mul_f64 v[10:11], v[124:125], v[6:7]
	v_fmac_f64_e32 v[10:11], v[126:127], v[4:5]
	v_add_f64 v[0:1], v[0:1], v[10:11]
	v_mul_f64 v[10:11], v[210:211], v[134:135]
	v_fma_f64 v[8:9], v[208:209], v[132:133], -v[10:11]
	ds_read_b128 v[132:135], v2 offset:1680
	s_waitcnt vmcnt(13)
	v_accvgpr_read_b32 v4, a154
	v_mul_f64 v[30:31], v[214:215], v[138:139]
	v_accvgpr_read_b32 v6, a156
	v_accvgpr_read_b32 v7, a157
	v_fma_f64 v[30:31], v[212:213], v[136:137], -v[30:31]
	ds_read_b128 v[136:139], v2 offset:1696
	scratch_load_dwordx4 v[100:103], off, off offset:912
	v_accvgpr_read_b32 v5, a155
	s_waitcnt lgkmcnt(2)
	v_mul_f64 v[10:11], v[128:129], v[6:7]
	v_fmac_f64_e32 v[10:11], v[130:131], v[4:5]
	v_add_f64 v[0:1], v[0:1], v[10:11]
	s_waitcnt vmcnt(13) lgkmcnt(1)
	v_mul_f64 v[10:11], v[132:133], v[58:59]
	ds_read_b128 v[140:143], v2 offset:1712
	scratch_load_dwordx4 v[188:191], off, off offset:928
	scratch_load_dwordx4 v[196:199], off, off offset:944
	v_fmac_f64_e32 v[10:11], v[134:135], v[56:57]
	v_add_f64 v[0:1], v[0:1], v[10:11]
	s_waitcnt vmcnt(14) lgkmcnt(1)
	v_mul_f64 v[10:11], v[136:137], v[50:51]
	v_fmac_f64_e32 v[10:11], v[138:139], v[48:49]
	v_add_f64 v[0:1], v[0:1], v[10:11]
	v_mul_f64 v[10:11], v[218:219], v[146:147]
	scratch_load_dwordx4 v[204:207], off, off offset:960
	scratch_load_dwordx4 v[212:215], off, off offset:976
	v_fma_f64 v[6:7], v[216:217], v[144:145], -v[10:11]
	ds_read_b128 v[144:147], v2 offset:1728
	s_waitcnt vmcnt(15) lgkmcnt(1)
	v_mul_f64 v[10:11], v[140:141], v[40:41]
	v_fmac_f64_e32 v[10:11], v[142:143], v[38:39]
	v_add_f64 v[0:1], v[0:1], v[10:11]
	v_mul_f64 v[10:11], v[222:223], v[150:151]
	v_fma_f64 v[34:35], v[220:221], v[148:149], -v[10:11]
	scratch_load_dwordx4 v[220:223], off, off offset:992
	ds_read_b128 v[148:151], v2 offset:1744
	ds_read_b128 v[152:155], v2 offset:1760
	s_waitcnt vmcnt(15) lgkmcnt(2)
	v_mul_f64 v[10:11], v[144:145], v[54:55]
	v_fmac_f64_e32 v[10:11], v[146:147], v[52:53]
	v_add_f64 v[0:1], v[0:1], v[10:11]
	s_waitcnt vmcnt(14) lgkmcnt(1)
	v_mul_f64 v[10:11], v[148:149], v[46:47]
	v_fmac_f64_e32 v[10:11], v[150:151], v[44:45]
	v_add_f64 v[0:1], v[0:1], v[10:11]
	v_mul_f64 v[10:11], v[226:227], v[158:159]
	v_fma_f64 v[4:5], v[224:225], v[156:157], -v[10:11]
	ds_read_b128 v[156:159], v2 offset:1776
	v_mul_f64 v[10:11], v[230:231], v[162:163]
	v_fma_f64 v[10:11], v[228:229], v[160:161], -v[10:11]
	ds_read_b128 v[160:163], v2 offset:1792
	s_waitcnt vmcnt(13) lgkmcnt(2)
	v_mul_f64 v[42:43], v[152:153], v[62:63]
	v_fmac_f64_e32 v[42:43], v[154:155], v[60:61]
	v_add_f64 v[0:1], v[0:1], v[42:43]
	s_waitcnt vmcnt(12) lgkmcnt(1)
	v_mul_f64 v[42:43], v[156:157], v[66:67]
	v_fmac_f64_e32 v[42:43], v[158:159], v[64:65]
	ds_read_b128 v[164:167], v2 offset:1808
	v_add_f64 v[0:1], v[0:1], v[42:43]
	s_waitcnt vmcnt(11) lgkmcnt(1)
	v_mul_f64 v[42:43], v[160:161], v[70:71]
	v_fmac_f64_e32 v[42:43], v[162:163], v[68:69]
	v_add_f64 v[0:1], v[0:1], v[42:43]
	v_mul_f64 v[42:43], v[238:239], v[170:171]
	v_fma_f64 v[236:237], v[236:237], v[168:169], -v[42:43]
	ds_read_b128 v[168:171], v2 offset:1824
	s_waitcnt vmcnt(10) lgkmcnt(1)
	v_mul_f64 v[42:43], v[164:165], v[74:75]
	v_fmac_f64_e32 v[42:43], v[166:167], v[72:73]
	v_add_f64 v[0:1], v[0:1], v[42:43]
	v_mul_f64 v[42:43], v[246:247], v[174:175]
	v_fma_f64 v[238:239], v[244:245], v[172:173], -v[42:43]
	ds_read_b128 v[172:175], v2 offset:1840
	ds_read_b128 v[176:179], v2 offset:1856
	s_waitcnt vmcnt(9) lgkmcnt(2)
	v_mul_f64 v[42:43], v[168:169], v[82:83]
	v_fmac_f64_e32 v[42:43], v[170:171], v[80:81]
	v_add_f64 v[0:1], v[0:1], v[42:43]
	v_mul_f64 v[42:43], v[250:251], v[182:183]
	v_fma_f64 v[244:245], v[248:249], v[180:181], -v[42:43]
	ds_read_b128 v[180:183], v2 offset:1872
	ds_read_b128 v[248:251], v2 offset:1888
	s_waitcnt vmcnt(8) lgkmcnt(3)
	v_mul_f64 v[42:43], v[172:173], v[78:79]
	v_fmac_f64_e32 v[42:43], v[174:175], v[76:77]
	v_add_f64 v[0:1], v[0:1], v[42:43]
	s_waitcnt vmcnt(7) lgkmcnt(2)
	v_mul_f64 v[42:43], v[176:177], v[94:95]
	v_fmac_f64_e32 v[42:43], v[178:179], v[92:93]
	ds_read_b128 v[192:195], v2 offset:1904
	ds_read_b128 v[200:203], v2 offset:1920
	v_add_f64 v[0:1], v[0:1], v[42:43]
	s_waitcnt vmcnt(6) lgkmcnt(3)
	v_mul_f64 v[42:43], v[180:181], v[90:91]
	v_fmac_f64_e32 v[42:43], v[182:183], v[88:89]
	v_add_f64 v[0:1], v[0:1], v[42:43]
	scratch_load_dwordx4 v[228:231], off, off offset:112
	ds_read_b128 v[208:211], v2 offset:1936
	ds_read_b128 v[216:219], v2 offset:1952
	s_waitcnt vmcnt(6) lgkmcnt(4)
	v_mul_f64 v[42:43], v[248:249], v[102:103]
	v_fmac_f64_e32 v[42:43], v[250:251], v[100:101]
	v_add_f64 v[0:1], v[0:1], v[42:43]
	ds_read_b128 v[224:227], v2 offset:1968
	s_waitcnt vmcnt(5) lgkmcnt(4)
	v_mul_f64 v[42:43], v[192:193], v[190:191]
	v_fmac_f64_e32 v[42:43], v[194:195], v[188:189]
	v_add_f64 v[0:1], v[0:1], v[42:43]
	s_waitcnt vmcnt(4) lgkmcnt(3)
	v_mul_f64 v[42:43], v[200:201], v[198:199]
	v_fmac_f64_e32 v[42:43], v[202:203], v[196:197]
	v_add_f64 v[0:1], v[0:1], v[42:43]
	;; [unrolled: 4-line block ×5, first 2 shown]
	v_add_f64 v[42:43], v[240:241], 0
	v_add_f64 v[42:43], v[42:43], v[242:243]
	v_add_f64 v[42:43], v[42:43], v[252:253]
	v_add_f64 v[42:43], v[42:43], v[232:233]
	v_add_f64 v[36:37], v[42:43], v[36:37]
	v_add_f64 v[32:33], v[36:37], v[32:33]
	v_add_f64 v[28:29], v[32:33], v[28:29]
	v_add_f64 v[28:29], v[28:29], v[234:235]
	v_add_f64 v[24:25], v[28:29], v[24:25]
	v_add_f64 v[20:21], v[24:25], v[20:21]
	v_add_f64 v[16:17], v[20:21], v[16:17]
	v_add_f64 v[16:17], v[16:17], v[18:19]
	v_add_f64 v[16:17], v[16:17], v[184:185]
	v_add_f64 v[16:17], v[16:17], v[186:187]
	v_add_f64 v[14:15], v[16:17], v[14:15]
	v_add_f64 v[14:15], v[14:15], v[22:23]
	v_add_f64 v[12:13], v[14:15], v[12:13]
	v_add_f64 v[12:13], v[12:13], v[26:27]
	v_add_f64 v[8:9], v[12:13], v[8:9]
	v_add_f64 v[8:9], v[8:9], v[30:31]
	v_add_f64 v[6:7], v[8:9], v[6:7]
	v_add_f64 v[6:7], v[6:7], v[34:35]
	v_add_f64 v[246:247], v[6:7], v[4:5]
	v_add_f64 v[4:5], v[246:247], v[10:11]
	v_accvgpr_read_b32 v8, a158
	v_accvgpr_read_b32 v10, a160
	;; [unrolled: 1-line block ×3, first 2 shown]
	v_add_f64 v[4:5], v[4:5], v[236:237]
	v_accvgpr_read_b32 v9, a159
	v_mul_f64 v[6:7], v[86:87], v[10:11]
	v_add_f64 v[4:5], v[4:5], v[238:239]
	v_fma_f64 v[6:7], v[84:85], v[8:9], -v[6:7]
	v_accvgpr_read_b32 v8, a126
	v_add_f64 v[4:5], v[4:5], v[244:245]
	v_accvgpr_read_b32 v10, a128
	v_accvgpr_read_b32 v11, a129
	v_add_f64 v[4:5], v[4:5], v[6:7]
	v_accvgpr_read_b32 v9, a127
	v_mul_f64 v[6:7], v[98:99], v[10:11]
	v_fma_f64 v[6:7], v[96:97], v[8:9], -v[6:7]
	v_accvgpr_read_b32 v8, a130
	v_accvgpr_read_b32 v10, a132
	v_accvgpr_read_b32 v11, a133
	v_add_f64 v[4:5], v[4:5], v[6:7]
	v_accvgpr_read_b32 v9, a131
	v_mul_f64 v[6:7], v[106:107], v[10:11]
	v_fma_f64 v[6:7], v[104:105], v[8:9], -v[6:7]
	v_accvgpr_read_b32 v8, a134
	;; [unrolled: 7-line block ×7, first 2 shown]
	v_accvgpr_read_b32 v10, a156
	v_accvgpr_read_b32 v11, a157
	v_add_f64 v[4:5], v[4:5], v[6:7]
	v_accvgpr_read_b32 v9, a155
	v_mul_f64 v[6:7], v[130:131], v[10:11]
	v_fma_f64 v[6:7], v[128:129], v[8:9], -v[6:7]
	v_add_f64 v[4:5], v[4:5], v[6:7]
	v_mul_f64 v[6:7], v[134:135], v[58:59]
	v_fma_f64 v[6:7], v[132:133], v[56:57], -v[6:7]
	v_add_f64 v[4:5], v[4:5], v[6:7]
	;; [unrolled: 3-line block ×20, first 2 shown]
	s_waitcnt vmcnt(0)
	v_add_f64 v[4:5], v[228:229], -v[4:5]
	v_add_f64 v[6:7], v[230:231], -v[0:1]
	scratch_store_dwordx4 off, v[4:7], off offset:112
	s_and_saveexec_b64 s[0:1], vcc
	s_cbranch_execz .LBB125_387
; %bb.386:
	scratch_load_dwordx4 v[6:9], off, s83
	v_mov_b32_e32 v3, v2
	v_mov_b32_e32 v4, v2
	;; [unrolled: 1-line block ×3, first 2 shown]
	v_accvgpr_read_b32 v0, a1
	scratch_store_dwordx4 off, v[2:5], off offset:96
	s_waitcnt vmcnt(1)
	ds_write_b128 v0, v[6:9]
.LBB125_387:
	s_or_b64 exec, exec, s[0:1]
	s_waitcnt lgkmcnt(0)
	; wave barrier
	scratch_load_dwordx4 v[16:19], off, off offset:112
	scratch_load_dwordx4 v[20:23], off, off offset:128
	;; [unrolled: 1-line block ×17, first 2 shown]
	ds_read_b128 v[112:115], v2 offset:1088
	ds_read_b128 v[96:99], v2 offset:1104
	ds_read_b128 v[84:87], v2 offset:1120
	scratch_load_dwordx4 v[120:123], off, off offset:384
	ds_read_b128 v[184:187], v2 offset:1136
	ds_read_b128 v[140:143], v2 offset:1152
	ds_read_b128 v[104:107], v2 offset:1168
	scratch_load_dwordx4 v[132:135], off, off offset:400
	;; [unrolled: 4-line block ×3, first 2 shown]
	ds_read_b128 v[200:203], v2 offset:1232
	ds_read_b128 v[192:195], v2 offset:1248
	;; [unrolled: 1-line block ×5, first 2 shown]
	scratch_load_dwordx4 v[144:147], off, off offset:432
	ds_read_b128 v[180:183], v2 offset:1312
	ds_read_b128 v[152:155], v2 offset:1328
	;; [unrolled: 1-line block ×3, first 2 shown]
	scratch_load_dwordx4 v[148:151], off, off offset:448
	scratch_load_dwordx4 v[156:159], off, off offset:464
	;; [unrolled: 1-line block ×13, first 2 shown]
	ds_read_b128 v[204:207], v2 offset:1360
	scratch_load_dwordx4 a[146:149], off, off offset:656
	scratch_load_dwordx4 a[150:153], off, off offset:672
	ds_read_b128 v[228:231], v2 offset:1456
	ds_read_b128 v[232:235], v2 offset:1472
	;; [unrolled: 1-line block ×4, first 2 shown]
	v_cmp_lt_u32_e32 vcc, 4, v254
	s_waitcnt vmcnt(35) lgkmcnt(14)
	v_mul_f64 v[0:1], v[112:113], v[18:19]
	s_waitcnt vmcnt(34)
	v_mul_f64 v[48:49], v[96:97], v[22:23]
	v_fmac_f64_e32 v[0:1], v[114:115], v[16:17]
	s_waitcnt vmcnt(33)
	v_mul_f64 v[50:51], v[84:85], v[26:27]
	v_fmac_f64_e32 v[48:49], v[98:99], v[20:21]
	v_add_f64 v[0:1], v[0:1], 0
	s_waitcnt vmcnt(32)
	v_mul_f64 v[56:57], v[184:185], v[30:31]
	v_fmac_f64_e32 v[50:51], v[86:87], v[24:25]
	v_add_f64 v[0:1], v[0:1], v[48:49]
	;; [unrolled: 4-line block ×6, first 2 shown]
	s_waitcnt vmcnt(27) lgkmcnt(13)
	v_mul_f64 v[210:211], v[108:109], v[54:55]
	v_fmac_f64_e32 v[208:209], v[166:167], v[8:9]
	v_add_f64 v[0:1], v[0:1], v[66:67]
	s_waitcnt vmcnt(26) lgkmcnt(12)
	v_mul_f64 v[212:213], v[200:201], v[62:63]
	v_fmac_f64_e32 v[210:211], v[110:111], v[52:53]
	v_add_f64 v[0:1], v[0:1], v[208:209]
	;; [unrolled: 4-line block ×8, first 2 shown]
	ds_read_b128 v[208:211], v2 offset:1376
	v_fmac_f64_e32 v[224:225], v[154:155], v[92:93]
	v_add_f64 v[0:1], v[0:1], v[222:223]
	s_waitcnt vmcnt(19) lgkmcnt(6)
	v_mul_f64 v[48:49], v[128:129], v[102:103]
	ds_read_b128 v[212:215], v2 offset:1392
	ds_read_b128 v[216:219], v2 offset:1408
	v_add_f64 v[0:1], v[0:1], v[224:225]
	v_fmac_f64_e32 v[48:49], v[130:131], v[100:101]
	v_add_f64 v[0:1], v[0:1], v[48:49]
	s_waitcnt vmcnt(18) lgkmcnt(7)
	v_mul_f64 v[48:49], v[204:205], v[122:123]
	v_fmac_f64_e32 v[48:49], v[206:207], v[120:121]
	ds_read_b128 v[220:223], v2 offset:1424
	ds_read_b128 v[224:227], v2 offset:1440
	v_add_f64 v[0:1], v[0:1], v[48:49]
	s_waitcnt vmcnt(17) lgkmcnt(4)
	v_mul_f64 v[48:49], v[208:209], v[134:135]
	v_fmac_f64_e32 v[48:49], v[210:211], v[132:133]
	s_waitcnt vmcnt(16) lgkmcnt(3)
	v_mul_f64 v[56:57], v[212:213], v[138:139]
	v_add_f64 v[0:1], v[0:1], v[48:49]
	v_fmac_f64_e32 v[56:57], v[214:215], v[136:137]
	s_waitcnt vmcnt(15) lgkmcnt(2)
	v_mul_f64 v[64:65], v[216:217], v[146:147]
	v_add_f64 v[0:1], v[0:1], v[56:57]
	v_fmac_f64_e32 v[64:65], v[218:219], v[144:145]
	v_add_f64 v[0:1], v[0:1], v[64:65]
	s_waitcnt vmcnt(14) lgkmcnt(1)
	v_mul_f64 v[64:65], v[220:221], v[150:151]
	v_fmac_f64_e32 v[64:65], v[222:223], v[148:149]
	v_add_f64 v[0:1], v[0:1], v[64:65]
	s_waitcnt vmcnt(13) lgkmcnt(0)
	v_mul_f64 v[64:65], v[224:225], v[158:159]
	v_fmac_f64_e32 v[64:65], v[226:227], v[156:157]
	s_waitcnt vmcnt(12)
	v_mul_f64 v[240:241], v[228:229], v[162:163]
	v_mul_f64 v[26:27], v[86:87], v[26:27]
	v_add_f64 v[0:1], v[0:1], v[64:65]
	v_fmac_f64_e32 v[240:241], v[230:231], v[160:161]
	v_fma_f64 v[250:251], v[84:85], v[24:25], -v[26:27]
	ds_read_b128 v[84:87], v2 offset:1520
	v_add_f64 v[0:1], v[0:1], v[240:241]
	s_waitcnt vmcnt(11)
	v_mul_f64 v[240:241], v[232:233], v[170:171]
	v_mul_f64 v[30:31], v[186:187], v[30:31]
	v_fmac_f64_e32 v[240:241], v[234:235], v[168:169]
	v_mul_f64 v[18:19], v[114:115], v[18:19]
	v_fma_f64 v[252:253], v[184:185], v[28:29], -v[30:31]
	scratch_load_dwordx4 v[64:67], off, off offset:688
	scratch_load_dwordx4 v[184:187], off, off offset:704
	v_add_f64 v[0:1], v[0:1], v[240:241]
	v_fma_f64 v[240:241], v[112:113], v[16:17], -v[18:19]
	s_waitcnt vmcnt(12)
	v_mul_f64 v[112:113], v[236:237], v[174:175]
	v_fmac_f64_e32 v[112:113], v[238:239], v[172:173]
	v_mul_f64 v[22:23], v[98:99], v[22:23]
	s_waitcnt vmcnt(11)
	v_mul_f64 v[28:29], v[246:247], v[198:199]
	v_mul_f64 v[38:39], v[106:107], v[38:39]
	v_add_f64 v[0:1], v[0:1], v[112:113]
	v_fma_f64 v[242:243], v[96:97], v[20:21], -v[22:23]
	v_fmac_f64_e32 v[28:29], v[248:249], v[196:197]
	v_fma_f64 v[44:45], v[104:105], v[36:37], -v[38:39]
	ds_read_b128 v[104:107], v2 offset:1552
	s_waitcnt vmcnt(10) lgkmcnt(1)
	v_mul_f64 v[96:97], v[84:85], v[6:7]
	v_add_f64 v[0:1], v[0:1], v[28:29]
	v_fmac_f64_e32 v[96:97], v[86:87], v[4:5]
	v_add_f64 v[0:1], v[0:1], v[96:97]
	ds_read_b128 v[96:99], v2 offset:1536
	ds_read_b128 v[112:115], v2 offset:1584
	v_accvgpr_write_b32 a157, v7
	v_accvgpr_write_b32 a156, v6
	;; [unrolled: 1-line block ×4, first 2 shown]
	scratch_load_dwordx4 v[56:59], off, off offset:720
	scratch_load_dwordx4 v[46:49], off, off offset:736
	v_mul_f64 v[6:7], v[190:191], v[42:43]
	v_fma_f64 v[36:37], v[188:189], v[40:41], -v[6:7]
	s_waitcnt vmcnt(11) lgkmcnt(1)
	v_mul_f64 v[40:41], v[96:97], v[14:15]
	v_mul_f64 v[34:35], v[142:143], v[34:35]
	v_fmac_f64_e32 v[40:41], v[98:99], v[12:13]
	v_mul_f64 v[42:43], v[166:167], v[10:11]
	v_fma_f64 v[244:245], v[140:141], v[32:33], -v[34:35]
	v_fma_f64 v[32:33], v[164:165], v[8:9], -v[42:43]
	v_add_f64 v[0:1], v[0:1], v[40:41]
	scratch_load_dwordx4 v[40:43], off, off offset:752
	s_waitcnt vmcnt(11)
	v_accvgpr_read_b32 v4, a126
	v_mul_f64 v[10:11], v[110:111], v[54:55]
	v_accvgpr_read_b32 v6, a128
	v_accvgpr_read_b32 v7, a129
	v_fma_f64 v[28:29], v[108:109], v[52:53], -v[10:11]
	v_accvgpr_read_b32 v5, a127
	v_mul_f64 v[108:109], v[104:105], v[6:7]
	v_fmac_f64_e32 v[108:109], v[106:107], v[4:5]
	v_accvgpr_write_b32 a161, v15
	scratch_load_dwordx4 v[52:55], off, off offset:768
	v_add_f64 v[0:1], v[0:1], v[108:109]
	v_mul_f64 v[62:63], v[202:203], v[62:63]
	ds_read_b128 v[108:111], v2 offset:1568
	v_accvgpr_write_b32 a160, v14
	v_accvgpr_write_b32 a159, v13
	;; [unrolled: 1-line block ×3, first 2 shown]
	v_fma_f64 v[24:25], v[200:201], v[60:61], -v[62:63]
	scratch_load_dwordx4 v[60:63], off, off offset:784
	v_mul_f64 v[14:15], v[194:195], v[70:71]
	v_fma_f64 v[20:21], v[192:193], v[68:69], -v[14:15]
	v_mul_f64 v[68:69], v[178:179], v[74:75]
	s_waitcnt vmcnt(12)
	v_accvgpr_read_b32 v4, a130
	v_fma_f64 v[16:17], v[176:177], v[72:73], -v[68:69]
	scratch_load_dwordx4 v[68:71], off, off offset:800
	v_accvgpr_read_b32 v6, a132
	v_accvgpr_read_b32 v7, a133
	;; [unrolled: 1-line block ×3, first 2 shown]
	s_waitcnt lgkmcnt(0)
	v_mul_f64 v[140:141], v[108:109], v[6:7]
	v_fmac_f64_e32 v[140:141], v[110:111], v[4:5]
	s_waitcnt vmcnt(12)
	v_accvgpr_read_b32 v4, a134
	v_accvgpr_read_b32 v6, a136
	;; [unrolled: 1-line block ×4, first 2 shown]
	v_mul_f64 v[18:19], v[112:113], v[6:7]
	scratch_load_dwordx4 v[72:75], off, off offset:816
	v_add_f64 v[0:1], v[0:1], v[140:141]
	v_fmac_f64_e32 v[18:19], v[114:115], v[4:5]
	v_add_f64 v[0:1], v[0:1], v[18:19]
	v_mul_f64 v[18:19], v[118:119], v[78:79]
	v_fma_f64 v[18:19], v[116:117], v[76:77], -v[18:19]
	ds_read_b128 v[116:119], v2 offset:1600
	v_mul_f64 v[76:77], v[126:127], v[82:83]
	v_fma_f64 v[14:15], v[124:125], v[80:81], -v[76:77]
	scratch_load_dwordx4 v[80:83], off, off offset:832
	scratch_load_dwordx4 v[76:79], off, off offset:848
	s_waitcnt vmcnt(14)
	v_accvgpr_read_b32 v4, a138
	v_mul_f64 v[22:23], v[182:183], v[90:91]
	v_accvgpr_read_b32 v6, a140
	v_accvgpr_read_b32 v7, a141
	v_fma_f64 v[22:23], v[180:181], v[88:89], -v[22:23]
	v_accvgpr_read_b32 v5, a139
	s_waitcnt lgkmcnt(0)
	v_mul_f64 v[88:89], v[116:117], v[6:7]
	v_fmac_f64_e32 v[88:89], v[118:119], v[4:5]
	v_add_f64 v[0:1], v[0:1], v[88:89]
	v_mul_f64 v[88:89], v[154:155], v[94:95]
	ds_read_b128 v[124:127], v2 offset:1616
	v_fma_f64 v[12:13], v[152:153], v[92:93], -v[88:89]
	scratch_load_dwordx4 v[92:95], off, off offset:864
	scratch_load_dwordx4 v[88:91], off, off offset:880
	s_waitcnt vmcnt(15)
	v_accvgpr_read_b32 v4, a142
	v_mul_f64 v[26:27], v[130:131], v[102:103]
	v_accvgpr_read_b32 v6, a144
	v_accvgpr_read_b32 v7, a145
	v_fma_f64 v[26:27], v[128:129], v[100:101], -v[26:27]
	v_accvgpr_read_b32 v5, a143
	s_waitcnt lgkmcnt(0)
	v_mul_f64 v[100:101], v[124:125], v[6:7]
	v_fmac_f64_e32 v[100:101], v[126:127], v[4:5]
	v_add_f64 v[0:1], v[0:1], v[100:101]
	v_mul_f64 v[100:101], v[206:207], v[122:123]
	v_fma_f64 v[10:11], v[204:205], v[120:121], -v[100:101]
	scratch_load_dwordx4 v[100:103], off, off offset:896
	ds_read_b128 v[128:131], v2 offset:1632
	ds_read_b128 v[120:123], v2 offset:1648
	s_waitcnt vmcnt(15)
	v_accvgpr_read_b32 v4, a146
	v_accvgpr_read_b32 v6, a148
	;; [unrolled: 1-line block ×4, first 2 shown]
	s_waitcnt lgkmcnt(1)
	v_mul_f64 v[30:31], v[128:129], v[6:7]
	v_fmac_f64_e32 v[30:31], v[130:131], v[4:5]
	v_add_f64 v[0:1], v[0:1], v[30:31]
	v_mul_f64 v[30:31], v[210:211], v[134:135]
	v_fma_f64 v[30:31], v[208:209], v[132:133], -v[30:31]
	ds_read_b128 v[132:135], v2 offset:1664
	v_mul_f64 v[138:139], v[214:215], v[138:139]
	s_waitcnt vmcnt(14)
	v_accvgpr_read_b32 v4, a150
	v_fma_f64 v[8:9], v[212:213], v[136:137], -v[138:139]
	ds_read_b128 v[136:139], v2 offset:1680
	v_accvgpr_read_b32 v6, a152
	v_accvgpr_read_b32 v7, a153
	;; [unrolled: 1-line block ×3, first 2 shown]
	s_waitcnt lgkmcnt(2)
	v_mul_f64 v[140:141], v[120:121], v[6:7]
	v_fmac_f64_e32 v[140:141], v[122:123], v[4:5]
	s_waitcnt vmcnt(13) lgkmcnt(1)
	v_mul_f64 v[34:35], v[132:133], v[66:67]
	s_waitcnt vmcnt(12)
	v_mov_b64_e32 v[4:5], v[184:185]
	v_add_f64 v[0:1], v[0:1], v[140:141]
	v_fmac_f64_e32 v[34:35], v[134:135], v[64:65]
	v_mov_b64_e32 v[6:7], v[186:187]
	v_add_f64 v[0:1], v[0:1], v[34:35]
	s_waitcnt lgkmcnt(0)
	v_mul_f64 v[34:35], v[136:137], v[6:7]
	v_fmac_f64_e32 v[34:35], v[138:139], v[4:5]
	ds_read_b128 v[140:143], v2 offset:1696
	v_add_f64 v[0:1], v[0:1], v[34:35]
	v_mul_f64 v[34:35], v[218:219], v[146:147]
	v_fma_f64 v[34:35], v[216:217], v[144:145], -v[34:35]
	ds_read_b128 v[144:147], v2 offset:1712
	v_mul_f64 v[150:151], v[222:223], v[150:151]
	v_fma_f64 v[6:7], v[220:221], v[148:149], -v[150:151]
	ds_read_b128 v[148:151], v2 offset:1728
	s_waitcnt vmcnt(11) lgkmcnt(2)
	v_mul_f64 v[152:153], v[140:141], v[58:59]
	v_fmac_f64_e32 v[152:153], v[142:143], v[56:57]
	s_waitcnt vmcnt(10) lgkmcnt(1)
	v_mul_f64 v[38:39], v[144:145], v[48:49]
	v_add_f64 v[0:1], v[0:1], v[152:153]
	v_fmac_f64_e32 v[38:39], v[146:147], v[46:47]
	v_add_f64 v[0:1], v[0:1], v[38:39]
	ds_read_b128 v[152:155], v2 offset:1744
	s_waitcnt vmcnt(9) lgkmcnt(1)
	v_mul_f64 v[38:39], v[148:149], v[42:43]
	v_fmac_f64_e32 v[38:39], v[150:151], v[40:41]
	v_add_f64 v[0:1], v[0:1], v[38:39]
	v_mul_f64 v[38:39], v[226:227], v[158:159]
	v_fma_f64 v[38:39], v[224:225], v[156:157], -v[38:39]
	ds_read_b128 v[156:159], v2 offset:1760
	v_mul_f64 v[162:163], v[230:231], v[162:163]
	v_fma_f64 v[4:5], v[228:229], v[160:161], -v[162:163]
	ds_read_b128 v[160:163], v2 offset:1776
	s_waitcnt vmcnt(8) lgkmcnt(2)
	v_mul_f64 v[164:165], v[152:153], v[54:55]
	v_fmac_f64_e32 v[164:165], v[154:155], v[52:53]
	s_waitcnt vmcnt(7) lgkmcnt(1)
	v_mul_f64 v[50:51], v[156:157], v[62:63]
	v_add_f64 v[0:1], v[0:1], v[164:165]
	v_fmac_f64_e32 v[50:51], v[158:159], v[60:61]
	v_add_f64 v[0:1], v[0:1], v[50:51]
	s_waitcnt vmcnt(6) lgkmcnt(0)
	v_mul_f64 v[50:51], v[160:161], v[70:71]
	ds_read_b128 v[164:167], v2 offset:1792
	v_fmac_f64_e32 v[50:51], v[162:163], v[68:69]
	v_add_f64 v[0:1], v[0:1], v[50:51]
	v_mul_f64 v[50:51], v[234:235], v[170:171]
	v_fma_f64 v[50:51], v[232:233], v[168:169], -v[50:51]
	ds_read_b128 v[168:171], v2 offset:1808
	s_waitcnt vmcnt(5) lgkmcnt(1)
	v_mul_f64 v[176:177], v[164:165], v[74:75]
	v_fmac_f64_e32 v[176:177], v[166:167], v[72:73]
	v_add_f64 v[176:177], v[0:1], v[176:177]
	v_mul_f64 v[0:1], v[238:239], v[174:175]
	v_fma_f64 v[0:1], v[236:237], v[172:173], -v[0:1]
	ds_read_b128 v[172:175], v2 offset:1824
	s_waitcnt vmcnt(4) lgkmcnt(1)
	v_mul_f64 v[178:179], v[168:169], v[82:83]
	v_accvgpr_write_b32 a162, v184
	v_fmac_f64_e32 v[178:179], v[170:171], v[80:81]
	v_accvgpr_write_b32 a163, v185
	v_accvgpr_write_b32 a164, v186
	;; [unrolled: 1-line block ×3, first 2 shown]
	v_add_f64 v[184:185], v[176:177], v[178:179]
	ds_read_b128 v[176:179], v2 offset:1840
	v_mul_f64 v[180:181], v[248:249], v[198:199]
	v_fma_f64 v[246:247], v[246:247], v[196:197], -v[180:181]
	ds_read_b128 v[180:183], v2 offset:1856
	ds_read_b128 v[192:195], v2 offset:1888
	s_waitcnt vmcnt(3) lgkmcnt(3)
	v_mul_f64 v[186:187], v[172:173], v[78:79]
	v_fmac_f64_e32 v[186:187], v[174:175], v[76:77]
	v_add_f64 v[184:185], v[184:185], v[186:187]
	s_waitcnt vmcnt(2) lgkmcnt(2)
	v_mul_f64 v[186:187], v[176:177], v[94:95]
	v_fmac_f64_e32 v[186:187], v[178:179], v[92:93]
	v_add_f64 v[184:185], v[184:185], v[186:187]
	s_waitcnt vmcnt(1) lgkmcnt(1)
	v_mul_f64 v[186:187], v[180:181], v[90:91]
	v_fmac_f64_e32 v[186:187], v[182:183], v[88:89]
	v_add_f64 v[188:189], v[184:185], v[186:187]
	ds_read_b128 v[184:187], v2 offset:1872
	ds_read_b128 v[200:203], v2 offset:1904
	scratch_load_dwordx4 v[232:235], off, off offset:992
	ds_read_b128 v[208:211], v2 offset:1920
	ds_read_b128 v[216:219], v2 offset:1936
	s_waitcnt vmcnt(1) lgkmcnt(3)
	v_mul_f64 v[190:191], v[184:185], v[102:103]
	v_fmac_f64_e32 v[190:191], v[186:187], v[100:101]
	v_add_f64 v[196:197], v[188:189], v[190:191]
	scratch_load_dwordx4 v[188:191], off, off offset:912
	ds_read_b128 v[224:227], v2 offset:1952
	s_waitcnt vmcnt(0)
	v_mul_f64 v[198:199], v[192:193], v[190:191]
	v_fmac_f64_e32 v[198:199], v[194:195], v[188:189]
	v_add_f64 v[204:205], v[196:197], v[198:199]
	scratch_load_dwordx4 v[196:199], off, off offset:928
	s_waitcnt vmcnt(0) lgkmcnt(3)
	v_mul_f64 v[206:207], v[200:201], v[198:199]
	v_fmac_f64_e32 v[206:207], v[202:203], v[196:197]
	v_add_f64 v[212:213], v[204:205], v[206:207]
	scratch_load_dwordx4 v[204:207], off, off offset:944
	s_waitcnt vmcnt(0) lgkmcnt(2)
	;; [unrolled: 5-line block ×4, first 2 shown]
	v_mul_f64 v[230:231], v[224:225], v[222:223]
	v_fmac_f64_e32 v[230:231], v[226:227], v[220:221]
	v_add_f64 v[236:237], v[228:229], v[230:231]
	ds_read_b128 v[228:231], v2 offset:1968
	s_waitcnt lgkmcnt(0)
	v_mul_f64 v[2:3], v[228:229], v[234:235]
	v_fmac_f64_e32 v[2:3], v[230:231], v[232:233]
	v_add_f64 v[2:3], v[236:237], v[2:3]
	v_add_f64 v[236:237], v[240:241], 0
	;; [unrolled: 1-line block ×14, first 2 shown]
	scratch_load_dwordx4 v[236:239], off, off offset:96
	v_add_f64 v[14:15], v[16:17], v[14:15]
	v_add_f64 v[14:15], v[14:15], v[22:23]
	;; [unrolled: 1-line block ×11, first 2 shown]
	v_accvgpr_read_b32 v6, a154
	v_accvgpr_read_b32 v8, a156
	;; [unrolled: 1-line block ×3, first 2 shown]
	v_add_f64 v[248:249], v[4:5], v[50:51]
	v_accvgpr_read_b32 v7, a155
	v_mul_f64 v[4:5], v[86:87], v[8:9]
	v_add_f64 v[0:1], v[248:249], v[0:1]
	v_fma_f64 v[4:5], v[84:85], v[6:7], -v[4:5]
	v_accvgpr_read_b32 v6, a158
	v_add_f64 v[0:1], v[0:1], v[246:247]
	v_accvgpr_read_b32 v8, a160
	v_accvgpr_read_b32 v9, a161
	v_add_f64 v[0:1], v[0:1], v[4:5]
	v_accvgpr_read_b32 v7, a159
	v_mul_f64 v[4:5], v[98:99], v[8:9]
	v_fma_f64 v[4:5], v[96:97], v[6:7], -v[4:5]
	v_accvgpr_read_b32 v6, a126
	v_accvgpr_read_b32 v8, a128
	v_accvgpr_read_b32 v9, a129
	v_add_f64 v[0:1], v[0:1], v[4:5]
	v_accvgpr_read_b32 v7, a127
	v_mul_f64 v[4:5], v[106:107], v[8:9]
	v_fma_f64 v[4:5], v[104:105], v[6:7], -v[4:5]
	v_accvgpr_read_b32 v6, a130
	;; [unrolled: 7-line block ×7, first 2 shown]
	v_accvgpr_read_b32 v8, a152
	v_accvgpr_read_b32 v9, a153
	v_add_f64 v[0:1], v[0:1], v[4:5]
	v_accvgpr_read_b32 v7, a151
	v_mul_f64 v[4:5], v[122:123], v[8:9]
	v_fma_f64 v[4:5], v[120:121], v[6:7], -v[4:5]
	v_add_f64 v[0:1], v[0:1], v[4:5]
	v_mul_f64 v[4:5], v[134:135], v[66:67]
	v_accvgpr_read_b32 v6, a162
	v_fma_f64 v[4:5], v[132:133], v[64:65], -v[4:5]
	v_accvgpr_read_b32 v8, a164
	v_accvgpr_read_b32 v9, a165
	v_add_f64 v[0:1], v[0:1], v[4:5]
	v_accvgpr_read_b32 v7, a163
	v_mul_f64 v[4:5], v[138:139], v[8:9]
	v_fma_f64 v[4:5], v[136:137], v[6:7], -v[4:5]
	v_add_f64 v[0:1], v[0:1], v[4:5]
	v_mul_f64 v[4:5], v[142:143], v[58:59]
	v_fma_f64 v[4:5], v[140:141], v[56:57], -v[4:5]
	v_add_f64 v[0:1], v[0:1], v[4:5]
	;; [unrolled: 3-line block ×19, first 2 shown]
	s_waitcnt vmcnt(0)
	v_add_f64 v[4:5], v[236:237], -v[0:1]
	v_add_f64 v[6:7], v[238:239], -v[2:3]
	scratch_store_dwordx4 off, v[4:7], off offset:96
	s_and_saveexec_b64 s[0:1], vcc
	s_cbranch_execz .LBB125_389
; %bb.388:
	scratch_load_dwordx4 v[2:5], off, s84
	v_mov_b32_e32 v6, 0
	v_mov_b32_e32 v7, v6
	v_mov_b32_e32 v8, v6
	v_mov_b32_e32 v9, v6
	v_accvgpr_read_b32 v0, a1
	scratch_store_dwordx4 off, v[6:9], off offset:80
	s_waitcnt vmcnt(1)
	ds_write_b128 v0, v[2:5]
.LBB125_389:
	s_or_b64 exec, exec, s[0:1]
	s_waitcnt lgkmcnt(0)
	; wave barrier
	scratch_load_dwordx4 v[24:27], off, off offset:96
	scratch_load_dwordx4 v[28:31], off, off offset:112
	;; [unrolled: 1-line block ×30, first 2 shown]
	v_mov_b32_e32 v2, 0
	ds_read_b128 v[80:83], v2 offset:1072
	ds_read_b128 v[96:99], v2 offset:1088
	;; [unrolled: 1-line block ×17, first 2 shown]
	scratch_load_dwordx4 a[134:137], off, off offset:608
	scratch_load_dwordx4 a[138:141], off, off offset:624
	ds_read_b128 v[224:227], v2 offset:1408
	ds_read_b128 v[228:231], v2 offset:1424
	ds_read_b128 v[232:235], v2 offset:1440
	ds_read_b128 v[236:239], v2 offset:1456
	ds_read_b128 v[244:247], v2 offset:1472
	ds_read_b128 v[248:251], v2 offset:1488
	scratch_load_dwordx4 a[142:145], off, off offset:640
	scratch_load_dwordx4 a[146:149], off, off offset:656
	ds_read_b128 v[240:243], v2 offset:1504
	scratch_load_dwordx4 a[150:153], off, off offset:672
	scratch_load_dwordx4 a[154:157], off, off offset:688
	v_cmp_lt_u32_e32 vcc, 3, v254
	scratch_load_dwordx4 a[130:133], off, off offset:592
	ds_read_b128 v[220:223], v2 offset:1392
	s_waitcnt vmcnt(36) lgkmcnt(14)
	v_mul_f64 v[0:1], v[80:81], v[26:27]
	s_waitcnt vmcnt(35)
	v_mul_f64 v[4:5], v[96:97], v[30:31]
	v_fmac_f64_e32 v[0:1], v[82:83], v[24:25]
	s_waitcnt vmcnt(34)
	v_mul_f64 v[6:7], v[100:101], v[34:35]
	v_fmac_f64_e32 v[4:5], v[98:99], v[28:29]
	v_add_f64 v[0:1], v[0:1], 0
	s_waitcnt vmcnt(33)
	v_mul_f64 v[8:9], v[104:105], v[38:39]
	v_fmac_f64_e32 v[6:7], v[102:103], v[32:33]
	v_add_f64 v[0:1], v[0:1], v[4:5]
	;; [unrolled: 4-line block ×5, first 2 shown]
	v_fmac_f64_e32 v[14:15], v[118:119], v[48:49]
	v_add_f64 v[0:1], v[0:1], v[12:13]
	v_add_f64 v[0:1], v[0:1], v[14:15]
	scratch_load_dwordx4 v[12:15], off, off offset:576
	s_waitcnt vmcnt(30)
	v_mul_f64 v[16:17], v[148:149], v[54:55]
	s_waitcnt vmcnt(29)
	v_mul_f64 v[18:19], v[160:161], v[58:59]
	v_fmac_f64_e32 v[16:17], v[150:151], v[52:53]
	s_waitcnt vmcnt(28)
	v_mul_f64 v[20:21], v[172:173], v[62:63]
	v_fmac_f64_e32 v[18:19], v[162:163], v[56:57]
	v_add_f64 v[0:1], v[0:1], v[16:17]
	s_waitcnt vmcnt(27)
	v_mul_f64 v[22:23], v[180:181], v[66:67]
	v_fmac_f64_e32 v[20:21], v[174:175], v[60:61]
	v_add_f64 v[0:1], v[0:1], v[18:19]
	s_waitcnt vmcnt(26) lgkmcnt(13)
	v_mul_f64 v[208:209], v[184:185], v[70:71]
	v_fmac_f64_e32 v[22:23], v[182:183], v[64:65]
	v_add_f64 v[0:1], v[0:1], v[20:21]
	s_waitcnt vmcnt(25) lgkmcnt(12)
	;; [unrolled: 4-line block ×4, first 2 shown]
	v_mul_f64 v[214:215], v[196:197], v[86:87]
	v_fmac_f64_e32 v[212:213], v[194:195], v[76:77]
	v_add_f64 v[0:1], v[0:1], v[210:211]
	ds_read_b128 v[208:211], v2 offset:1344
	v_fmac_f64_e32 v[214:215], v[198:199], v[84:85]
	v_add_f64 v[0:1], v[0:1], v[212:213]
	s_waitcnt vmcnt(22) lgkmcnt(10)
	v_mul_f64 v[216:217], v[200:201], v[90:91]
	v_add_f64 v[0:1], v[0:1], v[214:215]
	ds_read_b128 v[212:215], v2 offset:1360
	v_fmac_f64_e32 v[216:217], v[202:203], v[88:89]
	s_waitcnt vmcnt(21) lgkmcnt(10)
	v_mul_f64 v[4:5], v[204:205], v[94:95]
	v_add_f64 v[0:1], v[0:1], v[216:217]
	v_fmac_f64_e32 v[4:5], v[206:207], v[92:93]
	ds_read_b128 v[216:219], v2 offset:1376
	v_add_f64 v[0:1], v[0:1], v[4:5]
	s_waitcnt vmcnt(20) lgkmcnt(2)
	v_mul_f64 v[4:5], v[208:209], v[122:123]
	v_fmac_f64_e32 v[4:5], v[210:211], v[120:121]
	v_add_f64 v[0:1], v[0:1], v[4:5]
	s_waitcnt vmcnt(19) lgkmcnt(1)
	v_mul_f64 v[4:5], v[212:213], v[126:127]
	v_fmac_f64_e32 v[4:5], v[214:215], v[124:125]
	;; [unrolled: 4-line block ×3, first 2 shown]
	v_add_f64 v[0:1], v[0:1], v[4:5]
	s_waitcnt vmcnt(17)
	v_mul_f64 v[4:5], v[220:221], v[134:135]
	v_fmac_f64_e32 v[4:5], v[222:223], v[132:133]
	v_add_f64 v[0:1], v[0:1], v[4:5]
	s_waitcnt vmcnt(16)
	v_mul_f64 v[4:5], v[224:225], v[138:139]
	v_fmac_f64_e32 v[4:5], v[226:227], v[136:137]
	;; [unrolled: 4-line block ×3, first 2 shown]
	v_add_f64 v[0:1], v[0:1], v[4:5]
	v_mul_f64 v[4:5], v[82:83], v[26:27]
	v_fma_f64 v[252:253], v[80:81], v[24:25], -v[4:5]
	s_waitcnt vmcnt(14)
	v_mul_f64 v[4:5], v[232:233], v[146:147]
	v_fmac_f64_e32 v[4:5], v[234:235], v[144:145]
	v_add_f64 v[0:1], v[0:1], v[4:5]
	s_waitcnt vmcnt(13)
	v_mul_f64 v[4:5], v[236:237], v[154:155]
	v_fmac_f64_e32 v[4:5], v[238:239], v[152:153]
	v_add_f64 v[0:1], v[0:1], v[4:5]
	;; [unrolled: 4-line block ×3, first 2 shown]
	v_mul_f64 v[4:5], v[98:99], v[30:31]
	v_fma_f64 v[80:81], v[96:97], v[28:29], -v[4:5]
	v_mul_f64 v[4:5], v[102:103], v[34:35]
	v_fma_f64 v[32:33], v[100:101], v[32:33], -v[4:5]
	;; [unrolled: 2-line block ×3, first 2 shown]
	s_waitcnt vmcnt(11)
	v_mul_f64 v[4:5], v[248:249], v[166:167]
	v_fmac_f64_e32 v[4:5], v[250:251], v[164:165]
	v_mul_f64 v[36:37], v[114:115], v[46:47]
	v_add_f64 v[0:1], v[0:1], v[4:5]
	v_fma_f64 v[20:21], v[112:113], v[44:45], -v[36:37]
	ds_read_b128 v[34:37], v2 offset:1536
	s_waitcnt vmcnt(10)
	v_mul_f64 v[4:5], v[240:241], v[170:171]
	v_fmac_f64_e32 v[4:5], v[242:243], v[168:169]
	v_add_f64 v[0:1], v[0:1], v[4:5]
	v_mul_f64 v[4:5], v[110:111], v[42:43]
	v_fma_f64 v[24:25], v[108:109], v[40:41], -v[4:5]
	ds_read_b128 v[4:7], v2 offset:1520
	ds_read_b128 v[96:99], v2 offset:1552
	scratch_load_dwordx4 v[40:43], off, off offset:704
	s_waitcnt vmcnt(9)
	v_accvgpr_read_b32 v8, a126
	v_mul_f64 v[18:19], v[118:119], v[50:51]
	s_waitcnt lgkmcnt(1)
	v_mul_f64 v[44:45], v[4:5], v[178:179]
	v_fmac_f64_e32 v[44:45], v[6:7], v[176:177]
	v_add_f64 v[0:1], v[0:1], v[44:45]
	v_accvgpr_read_b32 v10, a128
	v_accvgpr_read_b32 v11, a129
	v_mul_f64 v[44:45], v[150:151], v[54:55]
	v_fma_f64 v[18:19], v[116:117], v[48:49], -v[18:19]
	v_accvgpr_read_b32 v9, a127
	v_mul_f64 v[48:49], v[34:35], v[10:11]
	v_fma_f64 v[16:17], v[148:149], v[52:53], -v[44:45]
	scratch_load_dwordx4 v[44:47], off, off offset:720
	v_fmac_f64_e32 v[48:49], v[36:37], v[8:9]
	v_add_f64 v[0:1], v[0:1], v[48:49]
	scratch_load_dwordx4 v[48:51], off, off offset:736
	v_mul_f64 v[52:53], v[174:175], v[62:63]
	ds_read_b128 v[100:103], v2 offset:1568
	ds_read_b128 v[104:107], v2 offset:1584
	s_waitcnt vmcnt(3)
	v_mov_b64_e32 v[8:9], v[12:13]
	v_mul_f64 v[22:23], v[162:163], v[58:59]
	v_fma_f64 v[172:173], v[172:173], v[60:61], -v[52:53]
	scratch_load_dwordx4 v[52:55], off, off offset:752
	v_mov_b64_e32 v[10:11], v[14:15]
	v_fma_f64 v[22:23], v[160:161], v[56:57], -v[22:23]
	s_waitcnt lgkmcnt(2)
	v_mul_f64 v[56:57], v[96:97], v[10:11]
	v_fmac_f64_e32 v[56:57], v[98:99], v[8:9]
	v_accvgpr_read_b32 v8, a130
	v_accvgpr_read_b32 v10, a132
	;; [unrolled: 1-line block ×3, first 2 shown]
	v_add_f64 v[0:1], v[0:1], v[56:57]
	v_mul_f64 v[56:57], v[182:183], v[66:67]
	v_accvgpr_read_b32 v9, a131
	s_waitcnt lgkmcnt(1)
	v_mul_f64 v[60:61], v[100:101], v[10:11]
	v_fma_f64 v[174:175], v[180:181], v[64:65], -v[56:57]
	scratch_load_dwordx4 v[56:59], off, off offset:768
	v_fmac_f64_e32 v[60:61], v[102:103], v[8:9]
	v_add_f64 v[0:1], v[0:1], v[60:61]
	v_mul_f64 v[60:61], v[186:187], v[70:71]
	v_fma_f64 v[180:181], v[184:185], v[68:69], -v[60:61]
	scratch_load_dwordx4 v[60:63], off, off offset:784
	v_mul_f64 v[64:65], v[190:191], v[74:75]
	v_fma_f64 v[182:183], v[188:189], v[72:73], -v[64:65]
	scratch_load_dwordx4 v[64:67], off, off offset:800
	ds_read_b128 v[108:111], v2 offset:1600
	v_accvgpr_read_b32 v8, a134
	v_accvgpr_read_b32 v10, a136
	;; [unrolled: 1-line block ×4, first 2 shown]
	s_waitcnt lgkmcnt(1)
	v_mul_f64 v[72:73], v[104:105], v[10:11]
	v_mul_f64 v[68:69], v[194:195], v[78:79]
	v_fmac_f64_e32 v[72:73], v[106:107], v[8:9]
	v_accvgpr_read_b32 v8, a138
	v_fma_f64 v[184:185], v[192:193], v[76:77], -v[68:69]
	scratch_load_dwordx4 v[68:71], off, off offset:816
	v_accvgpr_read_b32 v10, a140
	v_accvgpr_read_b32 v11, a141
	v_add_f64 v[0:1], v[0:1], v[72:73]
	v_mul_f64 v[72:73], v[198:199], v[86:87]
	v_accvgpr_read_b32 v9, a139
	s_waitcnt lgkmcnt(0)
	v_mul_f64 v[76:77], v[108:109], v[10:11]
	v_fma_f64 v[186:187], v[196:197], v[84:85], -v[72:73]
	v_fmac_f64_e32 v[76:77], v[110:111], v[8:9]
	scratch_load_dwordx4 v[72:75], off, off offset:832
	v_accvgpr_write_b32 a161, v15
	v_add_f64 v[0:1], v[0:1], v[76:77]
	v_mul_f64 v[76:77], v[202:203], v[90:91]
	v_accvgpr_write_b32 a160, v14
	v_accvgpr_write_b32 a159, v13
	;; [unrolled: 1-line block ×3, first 2 shown]
	v_fma_f64 v[14:15], v[200:201], v[88:89], -v[76:77]
	scratch_load_dwordx4 v[76:79], off, off offset:848
	ds_read_b128 v[116:119], v2 offset:1616
	ds_read_b128 v[112:115], v2 offset:1632
	scratch_load_dwordx4 v[88:91], off, off offset:864
	v_mul_f64 v[84:85], v[210:211], v[122:123]
	v_fma_f64 v[12:13], v[208:209], v[120:121], -v[84:85]
	scratch_load_dwordx4 v[84:87], off, off offset:880
	v_mul_f64 v[26:27], v[206:207], v[94:95]
	v_fma_f64 v[26:27], v[204:205], v[92:93], -v[26:27]
	scratch_load_dwordx4 v[92:95], off, off offset:896
	v_accvgpr_read_b32 v8, a142
	v_accvgpr_read_b32 v10, a144
	;; [unrolled: 1-line block ×4, first 2 shown]
	s_waitcnt lgkmcnt(1)
	v_mul_f64 v[30:31], v[116:117], v[10:11]
	v_fmac_f64_e32 v[30:31], v[118:119], v[8:9]
	v_add_f64 v[0:1], v[0:1], v[30:31]
	v_mul_f64 v[30:31], v[214:215], v[126:127]
	v_mul_f64 v[120:121], v[218:219], v[130:131]
	v_fma_f64 v[30:31], v[212:213], v[124:125], -v[30:31]
	v_fma_f64 v[10:11], v[216:217], v[128:129], -v[120:121]
	ds_read_b128 v[120:123], v2 offset:1648
	v_accvgpr_read_b32 v124, a146
	v_accvgpr_read_b32 v126, a148
	;; [unrolled: 1-line block ×4, first 2 shown]
	s_waitcnt lgkmcnt(1)
	v_mul_f64 v[82:83], v[112:113], v[126:127]
	v_fmac_f64_e32 v[82:83], v[114:115], v[124:125]
	ds_read_b128 v[124:127], v2 offset:1664
	v_accvgpr_read_b32 v128, a150
	v_accvgpr_read_b32 v130, a152
	;; [unrolled: 1-line block ×3, first 2 shown]
	v_add_f64 v[0:1], v[0:1], v[82:83]
	v_accvgpr_read_b32 v129, a151
	s_waitcnt lgkmcnt(1)
	v_mul_f64 v[82:83], v[120:121], v[130:131]
	v_fmac_f64_e32 v[82:83], v[122:123], v[128:129]
	v_accvgpr_read_b32 v148, a154
	v_add_f64 v[0:1], v[0:1], v[82:83]
	v_mul_f64 v[82:83], v[222:223], v[134:135]
	ds_read_b128 v[128:131], v2 offset:1680
	v_accvgpr_read_b32 v150, a156
	v_accvgpr_read_b32 v151, a157
	v_fma_f64 v[82:83], v[220:221], v[132:133], -v[82:83]
	v_accvgpr_read_b32 v149, a155
	s_waitcnt lgkmcnt(1)
	v_mul_f64 v[132:133], v[124:125], v[150:151]
	v_fmac_f64_e32 v[132:133], v[126:127], v[148:149]
	v_add_f64 v[0:1], v[0:1], v[132:133]
	v_mul_f64 v[132:133], v[226:227], v[138:139]
	v_fma_f64 v[8:9], v[224:225], v[136:137], -v[132:133]
	ds_read_b128 v[132:135], v2 offset:1696
	s_waitcnt vmcnt(12) lgkmcnt(1)
	v_mul_f64 v[38:39], v[128:129], v[42:43]
	v_fmac_f64_e32 v[38:39], v[130:131], v[40:41]
	ds_read_b128 v[136:139], v2 offset:1712
	v_add_f64 v[0:1], v[0:1], v[38:39]
	v_mul_f64 v[38:39], v[230:231], v[142:143]
	v_fma_f64 v[38:39], v[228:229], v[140:141], -v[38:39]
	ds_read_b128 v[140:143], v2 offset:1728
	s_waitcnt vmcnt(11) lgkmcnt(2)
	v_mul_f64 v[148:149], v[132:133], v[46:47]
	v_fmac_f64_e32 v[148:149], v[134:135], v[44:45]
	v_add_f64 v[0:1], v[0:1], v[148:149]
	s_waitcnt vmcnt(10) lgkmcnt(1)
	v_mul_f64 v[148:149], v[136:137], v[50:51]
	v_fmac_f64_e32 v[148:149], v[138:139], v[48:49]
	v_mul_f64 v[146:147], v[234:235], v[146:147]
	v_add_f64 v[0:1], v[0:1], v[148:149]
	v_fma_f64 v[228:229], v[232:233], v[144:145], -v[146:147]
	ds_read_b128 v[144:147], v2 offset:1744
	s_waitcnt vmcnt(9) lgkmcnt(1)
	v_mul_f64 v[148:149], v[140:141], v[54:55]
	v_fmac_f64_e32 v[148:149], v[142:143], v[52:53]
	v_add_f64 v[0:1], v[0:1], v[148:149]
	ds_read_b128 v[148:151], v2 offset:1760
	v_mul_f64 v[154:155], v[238:239], v[154:155]
	v_fma_f64 v[230:231], v[236:237], v[152:153], -v[154:155]
	ds_read_b128 v[152:155], v2 offset:1776
	s_waitcnt vmcnt(8) lgkmcnt(2)
	v_mul_f64 v[160:161], v[144:145], v[58:59]
	v_fmac_f64_e32 v[160:161], v[146:147], v[56:57]
	v_add_f64 v[0:1], v[0:1], v[160:161]
	s_waitcnt vmcnt(7) lgkmcnt(1)
	v_mul_f64 v[160:161], v[148:149], v[62:63]
	v_fmac_f64_e32 v[160:161], v[150:151], v[60:61]
	v_mul_f64 v[158:159], v[246:247], v[158:159]
	v_fma_f64 v[234:235], v[244:245], v[156:157], -v[158:159]
	ds_read_b128 v[156:159], v2 offset:1792
	v_add_f64 v[0:1], v[0:1], v[160:161]
	s_waitcnt vmcnt(6) lgkmcnt(1)
	v_mul_f64 v[160:161], v[152:153], v[66:67]
	v_fmac_f64_e32 v[160:161], v[154:155], v[64:65]
	v_add_f64 v[0:1], v[0:1], v[160:161]
	ds_read_b128 v[160:163], v2 offset:1808
	v_mul_f64 v[166:167], v[250:251], v[166:167]
	v_fma_f64 v[236:237], v[248:249], v[164:165], -v[166:167]
	ds_read_b128 v[164:167], v2 offset:1824
	v_mul_f64 v[170:171], v[242:243], v[170:171]
	s_waitcnt vmcnt(5) lgkmcnt(2)
	v_mul_f64 v[188:189], v[156:157], v[70:71]
	v_fma_f64 v[238:239], v[240:241], v[168:169], -v[170:171]
	ds_read_b128 v[168:171], v2 offset:1840
	ds_read_b128 v[240:243], v2 offset:1856
	v_fmac_f64_e32 v[188:189], v[158:159], v[68:69]
	v_add_f64 v[0:1], v[0:1], v[188:189]
	s_waitcnt vmcnt(4) lgkmcnt(3)
	v_mul_f64 v[188:189], v[160:161], v[74:75]
	v_fmac_f64_e32 v[188:189], v[162:163], v[72:73]
	v_mul_f64 v[6:7], v[6:7], v[178:179]
	v_add_f64 v[0:1], v[0:1], v[188:189]
	s_waitcnt vmcnt(3) lgkmcnt(2)
	v_mul_f64 v[188:189], v[164:165], v[78:79]
	v_fma_f64 v[244:245], v[4:5], v[176:177], -v[6:7]
	ds_read_b128 v[176:179], v2 offset:1872
	ds_read_b128 v[248:251], v2 offset:1888
	v_fmac_f64_e32 v[188:189], v[166:167], v[76:77]
	s_waitcnt vmcnt(2) lgkmcnt(3)
	v_mul_f64 v[4:5], v[168:169], v[90:91]
	v_add_f64 v[0:1], v[0:1], v[188:189]
	v_fmac_f64_e32 v[4:5], v[170:171], v[88:89]
	v_add_f64 v[0:1], v[0:1], v[4:5]
	s_waitcnt vmcnt(1) lgkmcnt(2)
	v_mul_f64 v[4:5], v[240:241], v[86:87]
	v_fmac_f64_e32 v[4:5], v[242:243], v[84:85]
	v_add_f64 v[0:1], v[0:1], v[4:5]
	s_waitcnt vmcnt(0) lgkmcnt(1)
	v_mul_f64 v[4:5], v[176:177], v[94:95]
	v_fmac_f64_e32 v[4:5], v[178:179], v[92:93]
	v_add_f64 v[0:1], v[0:1], v[4:5]
	scratch_load_dwordx4 v[4:7], off, off offset:912
	ds_read_b128 v[192:195], v2 offset:1904
	ds_read_b128 v[200:203], v2 offset:1920
	;; [unrolled: 1-line block ×5, first 2 shown]
	s_waitcnt vmcnt(0) lgkmcnt(5)
	v_mul_f64 v[188:189], v[248:249], v[6:7]
	v_fmac_f64_e32 v[188:189], v[250:251], v[4:5]
	v_add_f64 v[0:1], v[0:1], v[188:189]
	scratch_load_dwordx4 v[188:191], off, off offset:928
	v_mul_f64 v[6:7], v[250:251], v[6:7]
	v_fma_f64 v[4:5], v[248:249], v[4:5], -v[6:7]
	s_waitcnt vmcnt(0) lgkmcnt(4)
	v_mul_f64 v[196:197], v[192:193], v[190:191]
	v_fmac_f64_e32 v[196:197], v[194:195], v[188:189]
	v_add_f64 v[0:1], v[0:1], v[196:197]
	scratch_load_dwordx4 v[196:199], off, off offset:944
	s_waitcnt vmcnt(0) lgkmcnt(3)
	v_mul_f64 v[204:205], v[200:201], v[198:199]
	v_fmac_f64_e32 v[204:205], v[202:203], v[196:197]
	v_add_f64 v[0:1], v[0:1], v[204:205]
	scratch_load_dwordx4 v[204:207], off, off offset:960
	;; [unrolled: 5-line block ×4, first 2 shown]
	s_waitcnt vmcnt(0) lgkmcnt(0)
	v_mul_f64 v[232:233], v[224:225], v[222:223]
	v_fmac_f64_e32 v[232:233], v[226:227], v[220:221]
	v_add_f64 v[232:233], v[0:1], v[232:233]
	v_add_f64 v[0:1], v[252:253], 0
	;; [unrolled: 1-line block ×26, first 2 shown]
	scratch_load_dwordx4 v[228:231], off, off offset:80
	v_accvgpr_read_b32 v10, a126
	v_add_f64 v[0:1], v[246:247], v[234:235]
	v_accvgpr_read_b32 v12, a128
	v_accvgpr_read_b32 v13, a129
	v_add_f64 v[0:1], v[0:1], v[236:237]
	v_accvgpr_read_b32 v11, a127
	v_mul_f64 v[8:9], v[36:37], v[12:13]
	v_add_f64 v[0:1], v[0:1], v[238:239]
	v_fma_f64 v[8:9], v[34:35], v[10:11], -v[8:9]
	v_accvgpr_read_b32 v10, a158
	v_add_f64 v[0:1], v[0:1], v[244:245]
	v_accvgpr_read_b32 v12, a160
	v_accvgpr_read_b32 v13, a161
	v_add_f64 v[0:1], v[0:1], v[8:9]
	v_accvgpr_read_b32 v11, a159
	v_mul_f64 v[8:9], v[98:99], v[12:13]
	v_fma_f64 v[8:9], v[96:97], v[10:11], -v[8:9]
	v_accvgpr_read_b32 v10, a130
	v_accvgpr_read_b32 v12, a132
	v_accvgpr_read_b32 v13, a133
	v_add_f64 v[0:1], v[0:1], v[8:9]
	v_accvgpr_read_b32 v11, a131
	v_mul_f64 v[8:9], v[102:103], v[12:13]
	v_fma_f64 v[8:9], v[100:101], v[10:11], -v[8:9]
	v_accvgpr_read_b32 v10, a134
	;; [unrolled: 7-line block ×7, first 2 shown]
	v_accvgpr_read_b32 v12, a156
	v_accvgpr_read_b32 v13, a157
	v_add_f64 v[0:1], v[0:1], v[8:9]
	v_accvgpr_read_b32 v11, a155
	v_mul_f64 v[8:9], v[126:127], v[12:13]
	v_fma_f64 v[8:9], v[124:125], v[10:11], -v[8:9]
	v_add_f64 v[0:1], v[0:1], v[8:9]
	v_mul_f64 v[8:9], v[130:131], v[42:43]
	v_fma_f64 v[8:9], v[128:129], v[40:41], -v[8:9]
	v_add_f64 v[0:1], v[0:1], v[8:9]
	v_mul_f64 v[8:9], v[134:135], v[46:47]
	v_fma_f64 v[8:9], v[132:133], v[44:45], -v[8:9]
	v_add_f64 v[0:1], v[0:1], v[8:9]
	v_mul_f64 v[8:9], v[138:139], v[50:51]
	v_fma_f64 v[8:9], v[136:137], v[48:49], -v[8:9]
	v_add_f64 v[0:1], v[0:1], v[8:9]
	v_mul_f64 v[8:9], v[142:143], v[54:55]
	v_fma_f64 v[8:9], v[140:141], v[52:53], -v[8:9]
	v_add_f64 v[0:1], v[0:1], v[8:9]
	v_mul_f64 v[8:9], v[146:147], v[58:59]
	v_fma_f64 v[8:9], v[144:145], v[56:57], -v[8:9]
	v_add_f64 v[0:1], v[0:1], v[8:9]
	v_mul_f64 v[8:9], v[150:151], v[62:63]
	v_fma_f64 v[8:9], v[148:149], v[60:61], -v[8:9]
	v_add_f64 v[0:1], v[0:1], v[8:9]
	v_mul_f64 v[8:9], v[154:155], v[66:67]
	v_fma_f64 v[8:9], v[152:153], v[64:65], -v[8:9]
	v_add_f64 v[0:1], v[0:1], v[8:9]
	v_mul_f64 v[8:9], v[158:159], v[70:71]
	v_fma_f64 v[8:9], v[156:157], v[68:69], -v[8:9]
	v_add_f64 v[0:1], v[0:1], v[8:9]
	v_mul_f64 v[8:9], v[162:163], v[74:75]
	v_fma_f64 v[8:9], v[160:161], v[72:73], -v[8:9]
	v_add_f64 v[0:1], v[0:1], v[8:9]
	v_mul_f64 v[8:9], v[166:167], v[78:79]
	v_fma_f64 v[8:9], v[164:165], v[76:77], -v[8:9]
	v_add_f64 v[0:1], v[0:1], v[8:9]
	v_mul_f64 v[8:9], v[170:171], v[90:91]
	v_fma_f64 v[8:9], v[168:169], v[88:89], -v[8:9]
	v_add_f64 v[0:1], v[0:1], v[8:9]
	v_mul_f64 v[8:9], v[242:243], v[86:87]
	v_fma_f64 v[8:9], v[240:241], v[84:85], -v[8:9]
	v_add_f64 v[0:1], v[0:1], v[8:9]
	v_mul_f64 v[8:9], v[178:179], v[94:95]
	v_fma_f64 v[8:9], v[176:177], v[92:93], -v[8:9]
	v_add_f64 v[0:1], v[0:1], v[8:9]
	v_add_f64 v[0:1], v[0:1], v[4:5]
	v_mul_f64 v[4:5], v[194:195], v[190:191]
	v_fma_f64 v[4:5], v[192:193], v[188:189], -v[4:5]
	v_add_f64 v[0:1], v[0:1], v[4:5]
	v_mul_f64 v[4:5], v[202:203], v[198:199]
	v_fma_f64 v[4:5], v[200:201], v[196:197], -v[4:5]
	;; [unrolled: 3-line block ×5, first 2 shown]
	v_add_f64 v[0:1], v[0:1], v[4:5]
	s_waitcnt vmcnt(0)
	v_add_f64 v[4:5], v[228:229], -v[0:1]
	v_add_f64 v[6:7], v[230:231], -v[232:233]
	scratch_store_dwordx4 off, v[4:7], off offset:80
	s_and_saveexec_b64 s[0:1], vcc
	s_cbranch_execz .LBB125_391
; %bb.390:
	scratch_load_dwordx4 v[6:9], off, s85
	v_mov_b32_e32 v3, v2
	v_mov_b32_e32 v4, v2
	;; [unrolled: 1-line block ×3, first 2 shown]
	v_accvgpr_read_b32 v0, a1
	scratch_store_dwordx4 off, v[2:5], off offset:64
	s_waitcnt vmcnt(1)
	ds_write_b128 v0, v[6:9]
.LBB125_391:
	s_or_b64 exec, exec, s[0:1]
	s_waitcnt lgkmcnt(0)
	; wave barrier
	scratch_load_dwordx4 v[8:11], off, off offset:80
	scratch_load_dwordx4 v[4:7], off, off offset:96
	;; [unrolled: 1-line block ×17, first 2 shown]
	ds_read_b128 v[180:183], v2 offset:1056
	ds_read_b128 v[108:111], v2 offset:1072
	scratch_load_dwordx4 v[92:95], off, off offset:352
	ds_read_b128 v[184:187], v2 offset:1088
	ds_read_b128 v[172:175], v2 offset:1104
	;; [unrolled: 1-line block ×5, first 2 shown]
	scratch_load_dwordx4 v[100:103], off, off offset:368
	ds_read_b128 v[160:163], v2 offset:1168
	ds_read_b128 v[128:131], v2 offset:1184
	scratch_load_dwordx4 v[116:119], off, off offset:384
	ds_read_b128 v[196:199], v2 offset:1200
	ds_read_b128 v[176:179], v2 offset:1216
	;; [unrolled: 1-line block ×5, first 2 shown]
	scratch_load_dwordx4 v[124:127], off, off offset:400
	ds_read_b128 v[168:171], v2 offset:1280
	ds_read_b128 v[156:159], v2 offset:1296
	ds_read_b128 v[132:135], v2 offset:1312
	scratch_load_dwordx4 v[136:139], off, off offset:416
	scratch_load_dwordx4 v[140:143], off, off offset:432
	;; [unrolled: 1-line block ×9, first 2 shown]
	ds_read_b128 v[208:211], v2 offset:1328
	scratch_load_dwordx4 a[134:137], off, off offset:592
	scratch_load_dwordx4 a[138:141], off, off offset:608
	;; [unrolled: 1-line block ×4, first 2 shown]
	ds_read_b128 v[232:235], v2 offset:1424
	ds_read_b128 v[236:239], v2 offset:1440
	scratch_load_dwordx4 a[150:153], off, off offset:656
	scratch_load_dwordx4 a[154:157], off, off offset:672
	;; [unrolled: 1-line block ×3, first 2 shown]
	v_cmp_lt_u32_e32 vcc, 2, v254
	ds_read_b128 v[240:243], v2 offset:1472
	ds_read_b128 v[228:231], v2 offset:1408
	scratch_load_dwordx4 a[130:133], off, off offset:576
	s_waitcnt vmcnt(37) lgkmcnt(14)
	v_mul_f64 v[0:1], v[180:181], v[10:11]
	s_waitcnt vmcnt(36)
	v_mul_f64 v[56:57], v[108:109], v[6:7]
	v_fmac_f64_e32 v[0:1], v[182:183], v[8:9]
	s_waitcnt vmcnt(35)
	v_mul_f64 v[58:59], v[184:185], v[40:41]
	v_fmac_f64_e32 v[56:57], v[110:111], v[4:5]
	v_add_f64 v[0:1], v[0:1], 0
	s_waitcnt vmcnt(34)
	v_mul_f64 v[60:61], v[172:173], v[22:23]
	v_fmac_f64_e32 v[58:59], v[186:187], v[38:39]
	v_add_f64 v[0:1], v[0:1], v[56:57]
	s_waitcnt vmcnt(33)
	v_mul_f64 v[62:63], v[112:113], v[248:249]
	v_fmac_f64_e32 v[60:61], v[174:175], v[20:21]
	v_add_f64 v[0:1], v[0:1], v[58:59]
	s_waitcnt vmcnt(32)
	v_mul_f64 v[68:69], v[96:97], v[32:33]
	v_fmac_f64_e32 v[62:63], v[114:115], v[246:247]
	v_add_f64 v[0:1], v[0:1], v[60:61]
	s_waitcnt vmcnt(31)
	v_mul_f64 v[70:71], v[104:105], v[28:29]
	v_fmac_f64_e32 v[68:69], v[98:99], v[30:31]
	v_add_f64 v[0:1], v[0:1], v[62:63]
	s_waitcnt vmcnt(30)
	v_mul_f64 v[72:73], v[160:161], v[36:37]
	v_fmac_f64_e32 v[70:71], v[106:107], v[26:27]
	v_add_f64 v[0:1], v[0:1], v[68:69]
	s_waitcnt vmcnt(29) lgkmcnt(13)
	v_mul_f64 v[74:75], v[128:129], v[16:17]
	v_fmac_f64_e32 v[72:73], v[162:163], v[34:35]
	v_add_f64 v[0:1], v[0:1], v[70:71]
	s_waitcnt vmcnt(28) lgkmcnt(12)
	v_mul_f64 v[212:213], v[196:197], v[46:47]
	v_fmac_f64_e32 v[74:75], v[130:131], v[14:15]
	v_add_f64 v[0:1], v[0:1], v[72:73]
	;; [unrolled: 4-line block ×8, first 2 shown]
	v_fmac_f64_e32 v[224:225], v[158:159], v[84:85]
	v_add_f64 v[0:1], v[0:1], v[222:223]
	s_waitcnt vmcnt(21) lgkmcnt(5)
	v_mul_f64 v[56:57], v[132:133], v[90:91]
	v_add_f64 v[0:1], v[0:1], v[224:225]
	v_fmac_f64_e32 v[56:57], v[134:135], v[88:89]
	v_add_f64 v[0:1], v[0:1], v[56:57]
	ds_read_b128 v[212:215], v2 offset:1344
	s_waitcnt vmcnt(20) lgkmcnt(5)
	v_mul_f64 v[56:57], v[208:209], v[94:95]
	v_fmac_f64_e32 v[56:57], v[210:211], v[92:93]
	v_add_f64 v[0:1], v[0:1], v[56:57]
	scratch_load_dwordx4 v[56:59], off, off offset:560
	ds_read_b128 v[216:219], v2 offset:1360
	ds_read_b128 v[220:223], v2 offset:1376
	s_waitcnt vmcnt(20) lgkmcnt(2)
	v_mul_f64 v[60:61], v[212:213], v[102:103]
	ds_read_b128 v[224:227], v2 offset:1392
	v_fmac_f64_e32 v[60:61], v[214:215], v[100:101]
	s_waitcnt vmcnt(19) lgkmcnt(2)
	v_mul_f64 v[68:69], v[216:217], v[118:119]
	v_add_f64 v[0:1], v[0:1], v[60:61]
	v_fmac_f64_e32 v[68:69], v[218:219], v[116:117]
	v_add_f64 v[0:1], v[0:1], v[68:69]
	s_waitcnt vmcnt(18) lgkmcnt(1)
	v_mul_f64 v[68:69], v[220:221], v[126:127]
	v_fmac_f64_e32 v[68:69], v[222:223], v[124:125]
	v_add_f64 v[0:1], v[0:1], v[68:69]
	s_waitcnt vmcnt(17) lgkmcnt(0)
	v_mul_f64 v[68:69], v[224:225], v[138:139]
	v_mul_f64 v[10:11], v[182:183], v[10:11]
	v_fmac_f64_e32 v[68:69], v[226:227], v[136:137]
	s_waitcnt vmcnt(16)
	v_mul_f64 v[72:73], v[228:229], v[142:143]
	v_fma_f64 v[250:251], v[180:181], v[8:9], -v[10:11]
	ds_read_b128 v[180:183], v2 offset:1456
	v_add_f64 v[0:1], v[0:1], v[68:69]
	v_fmac_f64_e32 v[72:73], v[230:231], v[140:141]
	s_waitcnt vmcnt(15)
	v_mul_f64 v[8:9], v[232:233], v[146:147]
	v_add_f64 v[0:1], v[0:1], v[72:73]
	v_fmac_f64_e32 v[8:9], v[234:235], v[144:145]
	v_add_f64 v[0:1], v[0:1], v[8:9]
	s_waitcnt vmcnt(14)
	v_mul_f64 v[8:9], v[236:237], v[154:155]
	v_mul_f64 v[12:13], v[186:187], v[40:41]
	v_fmac_f64_e32 v[8:9], v[238:239], v[152:153]
	v_fma_f64 v[244:245], v[184:185], v[38:39], -v[12:13]
	ds_read_b128 v[184:187], v2 offset:1488
	v_add_f64 v[0:1], v[0:1], v[8:9]
	s_waitcnt vmcnt(13) lgkmcnt(1)
	v_mul_f64 v[8:9], v[180:181], v[190:191]
	v_fmac_f64_e32 v[8:9], v[182:183], v[188:189]
	v_add_f64 v[0:1], v[0:1], v[8:9]
	v_mul_f64 v[8:9], v[110:111], v[6:7]
	v_mul_f64 v[12:13], v[174:175], v[22:23]
	s_waitcnt vmcnt(12)
	v_mul_f64 v[6:7], v[240:241], v[194:195]
	v_fma_f64 v[40:41], v[172:173], v[20:21], -v[12:13]
	v_fmac_f64_e32 v[6:7], v[242:243], v[192:193]
	v_mul_f64 v[20:21], v[98:99], v[32:33]
	v_add_f64 v[0:1], v[0:1], v[6:7]
	v_fma_f64 v[172:173], v[96:97], v[30:31], -v[20:21]
	ds_read_b128 v[96:99], v2 offset:1520
	s_waitcnt vmcnt(11) lgkmcnt(1)
	v_mul_f64 v[6:7], v[184:185], v[202:203]
	v_fmac_f64_e32 v[6:7], v[186:187], v[200:201]
	v_add_f64 v[0:1], v[0:1], v[6:7]
	v_mul_f64 v[6:7], v[114:115], v[248:249]
	v_mul_f64 v[24:25], v[106:107], v[28:29]
	v_fma_f64 v[252:253], v[108:109], v[4:5], -v[8:9]
	v_fma_f64 v[38:39], v[112:113], v[246:247], -v[6:7]
	ds_read_b128 v[246:249], v2 offset:1504
	v_fma_f64 v[174:175], v[104:105], v[26:27], -v[24:25]
	s_waitcnt vmcnt(9)
	v_accvgpr_read_b32 v4, a126
	scratch_load_dwordx4 v[72:75], off, off offset:704
	ds_read_b128 v[104:107], v2 offset:1536
	v_accvgpr_read_b32 v6, a128
	v_accvgpr_read_b32 v7, a129
	v_accvgpr_read_b32 v5, a127
	s_waitcnt lgkmcnt(2)
	v_mul_f64 v[32:33], v[96:97], v[6:7]
	scratch_load_dwordx4 v[68:71], off, off offset:720
	scratch_load_dwordx4 v[60:63], off, off offset:736
	v_fmac_f64_e32 v[32:33], v[98:99], v[4:5]
	ds_read_b128 v[108:111], v2 offset:1552
	ds_read_b128 v[112:115], v2 offset:1568
	v_mul_f64 v[10:11], v[130:131], v[16:17]
	s_waitcnt lgkmcnt(3)
	v_mul_f64 v[28:29], v[246:247], v[206:207]
	v_fma_f64 v[30:31], v[128:129], v[14:15], -v[10:11]
	v_fmac_f64_e32 v[28:29], v[248:249], v[204:205]
	v_add_f64 v[0:1], v[0:1], v[28:29]
	v_mul_f64 v[28:29], v[162:163], v[36:37]
	v_mul_f64 v[36:37], v[198:199], v[46:47]
	v_add_f64 v[0:1], v[0:1], v[32:33]
	v_fma_f64 v[26:27], v[196:197], v[44:45], -v[36:37]
	v_mul_f64 v[18:19], v[150:151], v[66:67]
	v_fma_f64 v[18:19], v[148:149], v[64:65], -v[18:19]
	scratch_load_dwordx4 v[64:67], off, off offset:816
	v_mul_f64 v[24:25], v[134:135], v[90:91]
	v_fma_f64 v[24:25], v[132:133], v[88:89], -v[24:25]
	v_fma_f64 v[34:35], v[160:161], v[34:35], -v[28:29]
	v_mul_f64 v[146:147], v[234:235], v[146:147]
	s_waitcnt vmcnt(4)
	v_mov_b64_e32 v[4:5], v[56:57]
	v_mov_b64_e32 v[6:7], v[58:59]
	v_accvgpr_write_b32 a165, v59
	s_waitcnt lgkmcnt(2)
	v_mul_f64 v[14:15], v[104:105], v[6:7]
	v_accvgpr_write_b32 a164, v58
	v_accvgpr_write_b32 a163, v57
	;; [unrolled: 1-line block ×3, first 2 shown]
	scratch_load_dwordx4 v[56:59], off, off offset:752
	v_fmac_f64_e32 v[14:15], v[106:107], v[4:5]
	v_accvgpr_read_b32 v4, a130
	v_accvgpr_read_b32 v6, a132
	v_accvgpr_read_b32 v7, a133
	v_accvgpr_read_b32 v5, a131
	s_waitcnt lgkmcnt(1)
	v_mul_f64 v[44:45], v[108:109], v[6:7]
	v_add_f64 v[0:1], v[0:1], v[14:15]
	v_fmac_f64_e32 v[44:45], v[110:111], v[4:5]
	v_add_f64 v[0:1], v[0:1], v[44:45]
	v_mul_f64 v[44:45], v[166:167], v[54:55]
	v_fma_f64 v[16:17], v[164:165], v[52:53], -v[44:45]
	scratch_load_dwordx4 v[44:47], off, off offset:768
	v_mul_f64 v[14:15], v[178:179], v[50:51]
	v_fma_f64 v[22:23], v[176:177], v[48:49], -v[14:15]
	scratch_load_dwordx4 v[48:51], off, off offset:784
	v_mul_f64 v[52:53], v[122:123], v[78:79]
	v_fma_f64 v[14:15], v[120:121], v[76:77], -v[52:53]
	ds_read_b128 v[120:123], v2 offset:1584
	v_accvgpr_read_b32 v4, a134
	scratch_load_dwordx4 v[52:55], off, off offset:800
	v_accvgpr_read_b32 v6, a136
	v_accvgpr_read_b32 v7, a137
	v_accvgpr_read_b32 v5, a135
	s_waitcnt lgkmcnt(1)
	v_mul_f64 v[20:21], v[112:113], v[6:7]
	v_fmac_f64_e32 v[20:21], v[114:115], v[4:5]
	v_accvgpr_read_b32 v4, a138
	v_accvgpr_read_b32 v6, a140
	;; [unrolled: 1-line block ×4, first 2 shown]
	s_waitcnt lgkmcnt(0)
	v_mul_f64 v[76:77], v[120:121], v[6:7]
	v_add_f64 v[0:1], v[0:1], v[20:21]
	v_fmac_f64_e32 v[76:77], v[122:123], v[4:5]
	v_add_f64 v[0:1], v[0:1], v[76:77]
	v_mul_f64 v[76:77], v[158:159], v[86:87]
	v_fma_f64 v[12:13], v[156:157], v[84:85], -v[76:77]
	scratch_load_dwordx4 v[76:79], off, off offset:832
	v_mul_f64 v[20:21], v[170:171], v[82:83]
	ds_read_b128 v[132:135], v2 offset:1600
	ds_read_b128 v[128:131], v2 offset:1616
	scratch_load_dwordx4 v[84:87], off, off offset:848
	v_fma_f64 v[20:21], v[168:169], v[80:81], -v[20:21]
	v_mul_f64 v[80:81], v[210:211], v[94:95]
	v_fma_f64 v[10:11], v[208:209], v[92:93], -v[80:81]
	scratch_load_dwordx4 v[80:83], off, off offset:864
	scratch_load_dwordx4 v[88:91], off, off offset:880
	v_accvgpr_read_b32 v4, a142
	v_accvgpr_read_b32 v6, a144
	;; [unrolled: 1-line block ×4, first 2 shown]
	s_waitcnt lgkmcnt(1)
	v_mul_f64 v[28:29], v[132:133], v[6:7]
	v_mul_f64 v[92:93], v[218:219], v[118:119]
	v_fmac_f64_e32 v[28:29], v[134:135], v[4:5]
	v_fma_f64 v[8:9], v[216:217], v[116:117], -v[92:93]
	ds_read_b128 v[92:95], v2 offset:1632
	v_accvgpr_read_b32 v4, a146
	v_accvgpr_read_b32 v6, a148
	;; [unrolled: 1-line block ×3, first 2 shown]
	v_add_f64 v[0:1], v[0:1], v[28:29]
	v_mul_f64 v[28:29], v[214:215], v[102:103]
	v_accvgpr_read_b32 v5, a147
	s_waitcnt lgkmcnt(1)
	v_mul_f64 v[32:33], v[128:129], v[6:7]
	v_fma_f64 v[28:29], v[212:213], v[100:101], -v[28:29]
	v_fmac_f64_e32 v[32:33], v[130:131], v[4:5]
	ds_read_b128 v[100:103], v2 offset:1648
	v_accvgpr_read_b32 v4, a150
	v_accvgpr_read_b32 v6, a152
	;; [unrolled: 1-line block ×3, first 2 shown]
	v_add_f64 v[0:1], v[0:1], v[32:33]
	v_accvgpr_read_b32 v5, a151
	s_waitcnt lgkmcnt(1)
	v_mul_f64 v[32:33], v[92:93], v[6:7]
	v_fmac_f64_e32 v[32:33], v[94:95], v[4:5]
	v_accvgpr_read_b32 v4, a154
	v_add_f64 v[0:1], v[0:1], v[32:33]
	v_mul_f64 v[32:33], v[222:223], v[126:127]
	v_accvgpr_read_b32 v6, a156
	v_accvgpr_read_b32 v7, a157
	v_fma_f64 v[32:33], v[220:221], v[124:125], -v[32:33]
	ds_read_b128 v[116:119], v2 offset:1664
	v_accvgpr_read_b32 v5, a155
	s_waitcnt lgkmcnt(1)
	v_mul_f64 v[124:125], v[100:101], v[6:7]
	v_fmac_f64_e32 v[124:125], v[102:103], v[4:5]
	v_add_f64 v[0:1], v[0:1], v[124:125]
	v_mul_f64 v[124:125], v[226:227], v[138:139]
	v_fma_f64 v[6:7], v[224:225], v[136:137], -v[124:125]
	v_accvgpr_read_b32 v136, a158
	v_accvgpr_read_b32 v138, a160
	;; [unrolled: 1-line block ×3, first 2 shown]
	ds_read_b128 v[124:127], v2 offset:1680
	v_accvgpr_read_b32 v137, a159
	s_waitcnt lgkmcnt(1)
	v_mul_f64 v[36:37], v[116:117], v[138:139]
	v_fmac_f64_e32 v[36:37], v[118:119], v[136:137]
	v_add_f64 v[0:1], v[0:1], v[36:37]
	ds_read_b128 v[136:139], v2 offset:1696
	v_mul_f64 v[36:37], v[230:231], v[142:143]
	v_fma_f64 v[36:37], v[228:229], v[140:141], -v[36:37]
	ds_read_b128 v[140:143], v2 offset:1712
	s_waitcnt vmcnt(11) lgkmcnt(2)
	v_mul_f64 v[148:149], v[124:125], v[74:75]
	v_fma_f64 v[4:5], v[232:233], v[144:145], -v[146:147]
	ds_read_b128 v[144:147], v2 offset:1728
	v_fmac_f64_e32 v[148:149], v[126:127], v[72:73]
	v_add_f64 v[0:1], v[0:1], v[148:149]
	s_waitcnt vmcnt(10) lgkmcnt(2)
	v_mul_f64 v[148:149], v[136:137], v[70:71]
	v_fmac_f64_e32 v[148:149], v[138:139], v[68:69]
	s_waitcnt vmcnt(9) lgkmcnt(1)
	v_mul_f64 v[42:43], v[140:141], v[62:63]
	v_add_f64 v[0:1], v[0:1], v[148:149]
	v_fmac_f64_e32 v[42:43], v[142:143], v[60:61]
	v_add_f64 v[0:1], v[0:1], v[42:43]
	ds_read_b128 v[148:151], v2 offset:1744
	s_waitcnt vmcnt(7) lgkmcnt(1)
	v_mul_f64 v[42:43], v[144:145], v[58:59]
	v_fmac_f64_e32 v[42:43], v[146:147], v[56:57]
	v_add_f64 v[0:1], v[0:1], v[42:43]
	v_mul_f64 v[42:43], v[238:239], v[154:155]
	v_fma_f64 v[42:43], v[236:237], v[152:153], -v[42:43]
	ds_read_b128 v[152:155], v2 offset:1760
	v_mul_f64 v[156:157], v[182:183], v[190:191]
	v_fma_f64 v[236:237], v[180:181], v[188:189], -v[156:157]
	ds_read_b128 v[156:159], v2 offset:1776
	s_waitcnt vmcnt(6) lgkmcnt(2)
	v_mul_f64 v[160:161], v[148:149], v[46:47]
	v_fmac_f64_e32 v[160:161], v[150:151], v[44:45]
	v_add_f64 v[0:1], v[0:1], v[160:161]
	s_waitcnt vmcnt(5) lgkmcnt(1)
	v_mul_f64 v[160:161], v[152:153], v[50:51]
	v_fmac_f64_e32 v[160:161], v[154:155], v[48:49]
	v_add_f64 v[0:1], v[0:1], v[160:161]
	s_waitcnt vmcnt(4) lgkmcnt(0)
	v_mul_f64 v[164:165], v[156:157], v[54:55]
	ds_read_b128 v[160:163], v2 offset:1792
	v_fmac_f64_e32 v[164:165], v[158:159], v[52:53]
	v_add_f64 v[0:1], v[0:1], v[164:165]
	v_mul_f64 v[164:165], v[242:243], v[194:195]
	v_fma_f64 v[238:239], v[240:241], v[192:193], -v[164:165]
	ds_read_b128 v[164:167], v2 offset:1808
	s_waitcnt lgkmcnt(1)
	v_mul_f64 v[168:169], v[160:161], v[66:67]
	v_fmac_f64_e32 v[168:169], v[162:163], v[64:65]
	v_add_f64 v[176:177], v[0:1], v[168:169]
	ds_read_b128 v[168:171], v2 offset:1824
	ds_read_b128 v[240:243], v2 offset:1840
	s_waitcnt vmcnt(3) lgkmcnt(2)
	v_mul_f64 v[178:179], v[164:165], v[78:79]
	v_fmac_f64_e32 v[178:179], v[166:167], v[76:77]
	v_add_f64 v[180:181], v[176:177], v[178:179]
	v_mul_f64 v[176:177], v[248:249], v[206:207]
	v_fma_f64 v[246:247], v[246:247], v[204:205], -v[176:177]
	ds_read_b128 v[176:179], v2 offset:1856
	s_waitcnt vmcnt(2) lgkmcnt(2)
	v_mul_f64 v[182:183], v[168:169], v[86:87]
	v_fmac_f64_e32 v[182:183], v[170:171], v[84:85]
	v_add_f64 v[180:181], v[180:181], v[182:183]
	s_waitcnt vmcnt(1) lgkmcnt(1)
	v_mul_f64 v[182:183], v[240:241], v[82:83]
	v_mul_f64 v[0:1], v[186:187], v[202:203]
	v_fmac_f64_e32 v[182:183], v[242:243], v[80:81]
	v_fma_f64 v[0:1], v[184:185], v[200:201], -v[0:1]
	v_add_f64 v[180:181], v[180:181], v[182:183]
	ds_read_b128 v[184:187], v2 offset:1872
	scratch_load_dwordx4 v[232:235], off, off offset:992
	s_waitcnt vmcnt(1) lgkmcnt(1)
	v_mul_f64 v[182:183], v[176:177], v[90:91]
	v_fmac_f64_e32 v[182:183], v[178:179], v[88:89]
	v_add_f64 v[188:189], v[180:181], v[182:183]
	scratch_load_dwordx4 v[180:183], off, off offset:896
	ds_read_b128 v[192:195], v2 offset:1888
	ds_read_b128 v[200:203], v2 offset:1904
	;; [unrolled: 1-line block ×5, first 2 shown]
	s_waitcnt vmcnt(0) lgkmcnt(5)
	v_mul_f64 v[190:191], v[184:185], v[182:183]
	v_fmac_f64_e32 v[190:191], v[186:187], v[180:181]
	v_add_f64 v[196:197], v[188:189], v[190:191]
	scratch_load_dwordx4 v[188:191], off, off offset:912
	s_waitcnt vmcnt(0) lgkmcnt(4)
	v_mul_f64 v[198:199], v[192:193], v[190:191]
	v_fmac_f64_e32 v[198:199], v[194:195], v[188:189]
	v_add_f64 v[204:205], v[196:197], v[198:199]
	scratch_load_dwordx4 v[196:199], off, off offset:928
	;; [unrolled: 5-line block ×5, first 2 shown]
	s_waitcnt vmcnt(0) lgkmcnt(0)
	v_mul_f64 v[230:231], v[224:225], v[222:223]
	v_fmac_f64_e32 v[230:231], v[226:227], v[220:221]
	v_add_f64 v[248:249], v[228:229], v[230:231]
	ds_read_b128 v[228:231], v2 offset:1968
	s_waitcnt lgkmcnt(0)
	v_mul_f64 v[2:3], v[228:229], v[234:235]
	v_fmac_f64_e32 v[2:3], v[230:231], v[232:233]
	v_add_f64 v[2:3], v[248:249], v[2:3]
	v_add_f64 v[248:249], v[250:251], 0
	;; [unrolled: 1-line block ×28, first 2 shown]
	scratch_load_dwordx4 v[236:239], off, off offset:64
	v_accvgpr_read_b32 v6, a126
	v_accvgpr_read_b32 v8, a128
	v_accvgpr_read_b32 v9, a129
	v_accvgpr_read_b32 v7, a127
	v_mul_f64 v[4:5], v[98:99], v[8:9]
	v_add_f64 v[0:1], v[248:249], v[0:1]
	v_fma_f64 v[4:5], v[96:97], v[6:7], -v[4:5]
	v_accvgpr_read_b32 v6, a162
	v_add_f64 v[0:1], v[0:1], v[246:247]
	v_accvgpr_read_b32 v8, a164
	v_accvgpr_read_b32 v9, a165
	v_add_f64 v[0:1], v[0:1], v[4:5]
	v_accvgpr_read_b32 v7, a163
	v_mul_f64 v[4:5], v[106:107], v[8:9]
	v_fma_f64 v[4:5], v[104:105], v[6:7], -v[4:5]
	v_accvgpr_read_b32 v6, a130
	v_accvgpr_read_b32 v8, a132
	v_accvgpr_read_b32 v9, a133
	v_add_f64 v[0:1], v[0:1], v[4:5]
	v_accvgpr_read_b32 v7, a131
	v_mul_f64 v[4:5], v[110:111], v[8:9]
	v_fma_f64 v[4:5], v[108:109], v[6:7], -v[4:5]
	v_accvgpr_read_b32 v6, a134
	;; [unrolled: 7-line block ×8, first 2 shown]
	v_accvgpr_read_b32 v8, a160
	v_accvgpr_read_b32 v9, a161
	v_add_f64 v[0:1], v[0:1], v[4:5]
	v_accvgpr_read_b32 v7, a159
	v_mul_f64 v[4:5], v[118:119], v[8:9]
	v_fma_f64 v[4:5], v[116:117], v[6:7], -v[4:5]
	v_add_f64 v[0:1], v[0:1], v[4:5]
	v_mul_f64 v[4:5], v[126:127], v[74:75]
	v_fma_f64 v[4:5], v[124:125], v[72:73], -v[4:5]
	v_add_f64 v[0:1], v[0:1], v[4:5]
	;; [unrolled: 3-line block ×20, first 2 shown]
	s_waitcnt vmcnt(0)
	v_add_f64 v[4:5], v[236:237], -v[0:1]
	v_add_f64 v[6:7], v[238:239], -v[2:3]
	scratch_store_dwordx4 off, v[4:7], off offset:64
	s_and_saveexec_b64 s[0:1], vcc
	s_cbranch_execz .LBB125_393
; %bb.392:
	scratch_load_dwordx4 v[2:5], off, s86
	v_mov_b32_e32 v6, 0
	v_mov_b32_e32 v7, v6
	;; [unrolled: 1-line block ×4, first 2 shown]
	v_accvgpr_read_b32 v0, a1
	scratch_store_dwordx4 off, v[6:9], off offset:48
	s_waitcnt vmcnt(1)
	ds_write_b128 v0, v[2:5]
.LBB125_393:
	s_or_b64 exec, exec, s[0:1]
	s_waitcnt lgkmcnt(0)
	; wave barrier
	scratch_load_dwordx4 v[16:19], off, off offset:64
	scratch_load_dwordx4 v[20:23], off, off offset:80
	;; [unrolled: 1-line block ×30, first 2 shown]
	v_mov_b32_e32 v2, 0
	ds_read_b128 v[88:91], v2 offset:1040
	ds_read_b128 v[96:99], v2 offset:1056
	ds_read_b128 v[100:103], v2 offset:1072
	ds_read_b128 v[104:107], v2 offset:1088
	ds_read_b128 v[108:111], v2 offset:1104
	ds_read_b128 v[112:115], v2 offset:1120
	ds_read_b128 v[144:147], v2 offset:1136
	ds_read_b128 v[156:159], v2 offset:1152
	ds_read_b128 v[168:171], v2 offset:1168
	ds_read_b128 v[172:175], v2 offset:1184
	ds_read_b128 v[176:179], v2 offset:1200
	ds_read_b128 v[180:183], v2 offset:1216
	ds_read_b128 v[184:187], v2 offset:1232
	ds_read_b128 v[188:191], v2 offset:1248
	ds_read_b128 v[192:195], v2 offset:1264
	ds_read_b128 v[196:199], v2 offset:1280
	ds_read_b128 v[200:203], v2 offset:1296
	scratch_load_dwordx4 a[126:129], off, off offset:576
	scratch_load_dwordx4 a[130:133], off, off offset:592
	;; [unrolled: 1-line block ×6, first 2 shown]
	ds_read_b128 v[224:227], v2 offset:1376
	ds_read_b128 v[228:231], v2 offset:1392
	;; [unrolled: 1-line block ×7, first 2 shown]
	scratch_load_dwordx4 a[150:153], off, off offset:672
	scratch_load_dwordx4 a[154:157], off, off offset:688
	v_cmp_lt_u32_e32 vcc, 1, v254
	s_waitcnt vmcnt(37) lgkmcnt(14)
	v_mul_f64 v[0:1], v[88:89], v[18:19]
	s_waitcnt vmcnt(36)
	v_mul_f64 v[4:5], v[96:97], v[22:23]
	v_fmac_f64_e32 v[0:1], v[90:91], v[16:17]
	s_waitcnt vmcnt(35)
	v_mul_f64 v[6:7], v[100:101], v[26:27]
	v_fmac_f64_e32 v[4:5], v[98:99], v[20:21]
	v_add_f64 v[0:1], v[0:1], 0
	s_waitcnt vmcnt(34)
	v_mul_f64 v[8:9], v[104:105], v[30:31]
	v_fmac_f64_e32 v[6:7], v[102:103], v[24:25]
	v_add_f64 v[0:1], v[0:1], v[4:5]
	;; [unrolled: 4-line block ×8, first 2 shown]
	s_waitcnt vmcnt(27) lgkmcnt(13)
	v_mul_f64 v[210:211], v[176:177], v[58:59]
	v_fmac_f64_e32 v[208:209], v[174:175], v[52:53]
	v_add_f64 v[0:1], v[0:1], v[206:207]
	s_waitcnt vmcnt(26) lgkmcnt(12)
	v_mul_f64 v[212:213], v[180:181], v[62:63]
	v_fmac_f64_e32 v[210:211], v[178:179], v[56:57]
	v_add_f64 v[0:1], v[0:1], v[208:209]
	;; [unrolled: 4-line block ×5, first 2 shown]
	v_fmac_f64_e32 v[218:219], v[194:195], v[72:73]
	v_add_f64 v[0:1], v[0:1], v[216:217]
	v_add_f64 v[0:1], v[0:1], v[218:219]
	scratch_load_dwordx4 v[216:219], off, off offset:544
	scratch_load_dwordx4 v[12:15], off, off offset:560
	ds_read_b128 v[204:207], v2 offset:1312
	ds_read_b128 v[208:211], v2 offset:1328
	s_waitcnt vmcnt(24) lgkmcnt(10)
	v_mul_f64 v[220:221], v[196:197], v[78:79]
	v_fmac_f64_e32 v[220:221], v[198:199], v[76:77]
	s_waitcnt vmcnt(23) lgkmcnt(9)
	v_mul_f64 v[4:5], v[200:201], v[82:83]
	v_add_f64 v[0:1], v[0:1], v[220:221]
	v_fmac_f64_e32 v[4:5], v[202:203], v[80:81]
	ds_read_b128 v[212:215], v2 offset:1344
	ds_read_b128 v[220:223], v2 offset:1360
	v_add_f64 v[0:1], v[0:1], v[4:5]
	s_waitcnt vmcnt(22) lgkmcnt(3)
	v_mul_f64 v[4:5], v[204:205], v[86:87]
	v_fmac_f64_e32 v[4:5], v[206:207], v[84:85]
	v_add_f64 v[0:1], v[0:1], v[4:5]
	s_waitcnt vmcnt(21) lgkmcnt(2)
	v_mul_f64 v[4:5], v[208:209], v[94:95]
	v_fmac_f64_e32 v[4:5], v[210:211], v[92:93]
	;; [unrolled: 4-line block ×4, first 2 shown]
	v_add_f64 v[0:1], v[0:1], v[4:5]
	s_waitcnt vmcnt(18)
	v_mul_f64 v[4:5], v[224:225], v[126:127]
	v_fmac_f64_e32 v[4:5], v[226:227], v[124:125]
	v_add_f64 v[0:1], v[0:1], v[4:5]
	s_waitcnt vmcnt(17)
	v_mul_f64 v[4:5], v[228:229], v[130:131]
	v_fmac_f64_e32 v[4:5], v[230:231], v[128:129]
	v_add_f64 v[0:1], v[0:1], v[4:5]
	v_mul_f64 v[4:5], v[90:91], v[18:19]
	v_fma_f64 v[252:253], v[88:89], v[16:17], -v[4:5]
	s_waitcnt vmcnt(16)
	v_mul_f64 v[4:5], v[232:233], v[134:135]
	v_fmac_f64_e32 v[4:5], v[234:235], v[132:133]
	v_add_f64 v[0:1], v[0:1], v[4:5]
	s_waitcnt vmcnt(15)
	v_mul_f64 v[4:5], v[236:237], v[138:139]
	v_fmac_f64_e32 v[4:5], v[238:239], v[136:137]
	v_add_f64 v[0:1], v[0:1], v[4:5]
	;; [unrolled: 4-line block ×3, first 2 shown]
	s_waitcnt vmcnt(13)
	v_mul_f64 v[4:5], v[244:245], v[150:151]
	v_mul_f64 v[6:7], v[98:99], v[22:23]
	v_fmac_f64_e32 v[4:5], v[246:247], v[148:149]
	v_mul_f64 v[8:9], v[114:115], v[38:39]
	v_fma_f64 v[96:97], v[96:97], v[20:21], -v[6:7]
	v_add_f64 v[0:1], v[0:1], v[4:5]
	v_fma_f64 v[20:21], v[112:113], v[36:37], -v[8:9]
	ds_read_b128 v[8:11], v2 offset:1504
	s_waitcnt vmcnt(12)
	v_mul_f64 v[4:5], v[248:249], v[154:155]
	v_mul_f64 v[6:7], v[102:103], v[26:27]
	v_fmac_f64_e32 v[4:5], v[250:251], v[152:153]
	v_fma_f64 v[88:89], v[100:101], v[24:25], -v[6:7]
	v_mul_f64 v[6:7], v[106:107], v[30:31]
	v_add_f64 v[0:1], v[0:1], v[4:5]
	v_mul_f64 v[4:5], v[110:111], v[34:35]
	v_fma_f64 v[26:27], v[104:105], v[28:29], -v[6:7]
	v_fma_f64 v[24:25], v[108:109], v[32:33], -v[4:5]
	ds_read_b128 v[4:7], v2 offset:1488
	v_mul_f64 v[22:23], v[146:147], v[42:43]
	v_fma_f64 v[22:23], v[144:145], v[40:41], -v[22:23]
	ds_read_b128 v[144:147], v2 offset:1520
	s_waitcnt vmcnt(10) lgkmcnt(2)
	v_mul_f64 v[40:41], v[8:9], v[166:167]
	s_waitcnt lgkmcnt(1)
	v_mul_f64 v[36:37], v[4:5], v[162:163]
	v_fmac_f64_e32 v[36:37], v[6:7], v[160:161]
	v_add_f64 v[0:1], v[0:1], v[36:37]
	v_mul_f64 v[36:37], v[158:159], v[46:47]
	v_fmac_f64_e32 v[40:41], v[10:11], v[164:165]
	v_fma_f64 v[156:157], v[156:157], v[44:45], -v[36:37]
	ds_read_b128 v[36:39], v2 offset:1536
	ds_read_b128 v[32:35], v2 offset:1552
	v_add_f64 v[0:1], v[0:1], v[40:41]
	v_mul_f64 v[40:41], v[170:171], v[50:51]
	v_fma_f64 v[158:159], v[168:169], v[48:49], -v[40:41]
	scratch_load_dwordx4 v[40:43], off, off offset:704
	v_mul_f64 v[44:45], v[174:175], v[54:55]
	v_fma_f64 v[168:169], v[172:173], v[52:53], -v[44:45]
	scratch_load_dwordx4 v[44:47], off, off offset:720
	ds_read_b128 v[100:103], v2 offset:1568
	v_mul_f64 v[28:29], v[222:223], v[122:123]
	s_waitcnt vmcnt(3) lgkmcnt(3)
	v_mul_f64 v[48:49], v[144:145], v[218:219]
	v_fmac_f64_e32 v[48:49], v[146:147], v[216:217]
	v_add_f64 v[0:1], v[0:1], v[48:49]
	v_mul_f64 v[48:49], v[178:179], v[58:59]
	s_waitcnt vmcnt(2) lgkmcnt(2)
	v_mul_f64 v[52:53], v[36:37], v[14:15]
	v_fma_f64 v[170:171], v[176:177], v[56:57], -v[48:49]
	scratch_load_dwordx4 v[48:51], off, off offset:736
	v_fmac_f64_e32 v[52:53], v[38:39], v[12:13]
	v_accvgpr_write_b32 a161, v15
	v_accvgpr_write_b32 a160, v14
	;; [unrolled: 1-line block ×4, first 2 shown]
	v_add_f64 v[0:1], v[0:1], v[52:53]
	v_mul_f64 v[52:53], v[182:183], v[62:63]
	v_accvgpr_read_b32 v12, a126
	v_fma_f64 v[172:173], v[180:181], v[60:61], -v[52:53]
	scratch_load_dwordx4 v[52:55], off, off offset:752
	v_mul_f64 v[56:57], v[186:187], v[66:67]
	v_accvgpr_read_b32 v14, a128
	v_accvgpr_read_b32 v15, a129
	v_fma_f64 v[174:175], v[184:185], v[64:65], -v[56:57]
	v_accvgpr_read_b32 v13, a127
	s_waitcnt lgkmcnt(1)
	v_mul_f64 v[64:65], v[32:33], v[14:15]
	scratch_load_dwordx4 v[56:59], off, off offset:768
	v_fmac_f64_e32 v[64:65], v[34:35], v[12:13]
	v_accvgpr_read_b32 v12, a130
	v_mul_f64 v[60:61], v[190:191], v[70:71]
	v_accvgpr_read_b32 v14, a132
	v_accvgpr_read_b32 v15, a133
	v_fma_f64 v[176:177], v[188:189], v[68:69], -v[60:61]
	scratch_load_dwordx4 v[60:63], off, off offset:784
	v_accvgpr_read_b32 v13, a131
	s_waitcnt lgkmcnt(0)
	v_mul_f64 v[68:69], v[100:101], v[14:15]
	v_add_f64 v[0:1], v[0:1], v[64:65]
	v_mul_f64 v[64:65], v[194:195], v[74:75]
	v_fmac_f64_e32 v[68:69], v[102:103], v[12:13]
	v_fma_f64 v[178:179], v[192:193], v[72:73], -v[64:65]
	scratch_load_dwordx4 v[64:67], off, off offset:800
	v_add_f64 v[0:1], v[0:1], v[68:69]
	v_mul_f64 v[68:69], v[198:199], v[78:79]
	v_fma_f64 v[18:19], v[196:197], v[76:77], -v[68:69]
	scratch_load_dwordx4 v[68:71], off, off offset:816
	ds_read_b128 v[108:111], v2 offset:1584
	ds_read_b128 v[104:107], v2 offset:1600
	scratch_load_dwordx4 v[76:79], off, off offset:832
	v_accvgpr_read_b32 v12, a134
	v_mul_f64 v[72:73], v[202:203], v[82:83]
	v_accvgpr_read_b32 v14, a136
	v_accvgpr_read_b32 v15, a137
	v_fma_f64 v[90:91], v[200:201], v[80:81], -v[72:73]
	v_mul_f64 v[72:73], v[206:207], v[86:87]
	v_accvgpr_read_b32 v13, a135
	s_waitcnt lgkmcnt(1)
	v_mul_f64 v[30:31], v[108:109], v[14:15]
	v_fma_f64 v[16:17], v[204:205], v[84:85], -v[72:73]
	scratch_load_dwordx4 v[72:75], off, off offset:848
	v_fmac_f64_e32 v[30:31], v[110:111], v[12:13]
	v_accvgpr_read_b32 v12, a138
	ds_read_b128 v[112:115], v2 offset:1616
	v_accvgpr_read_b32 v14, a140
	v_accvgpr_read_b32 v15, a141
	v_mul_f64 v[80:81], v[214:215], v[118:119]
	v_add_f64 v[0:1], v[0:1], v[30:31]
	v_accvgpr_read_b32 v13, a139
	s_waitcnt lgkmcnt(1)
	v_mul_f64 v[30:31], v[104:105], v[14:15]
	v_fma_f64 v[14:15], v[212:213], v[116:117], -v[80:81]
	scratch_load_dwordx4 v[80:83], off, off offset:864
	scratch_load_dwordx4 v[84:87], off, off offset:880
	v_fmac_f64_e32 v[30:31], v[106:107], v[12:13]
	v_fma_f64 v[28:29], v[220:221], v[120:121], -v[28:29]
	v_accvgpr_read_b32 v120, a142
	v_add_f64 v[0:1], v[0:1], v[30:31]
	v_mul_f64 v[30:31], v[210:211], v[94:95]
	v_accvgpr_read_b32 v122, a144
	v_accvgpr_read_b32 v123, a145
	v_fma_f64 v[30:31], v[208:209], v[92:93], -v[30:31]
	ds_read_b128 v[116:119], v2 offset:1632
	v_accvgpr_read_b32 v121, a143
	s_waitcnt lgkmcnt(1)
	v_mul_f64 v[92:93], v[112:113], v[122:123]
	v_fmac_f64_e32 v[92:93], v[114:115], v[120:121]
	v_add_f64 v[0:1], v[0:1], v[92:93]
	v_mul_f64 v[92:93], v[226:227], v[126:127]
	v_fma_f64 v[12:13], v[224:225], v[124:125], -v[92:93]
	v_accvgpr_read_b32 v92, a146
	v_accvgpr_read_b32 v94, a148
	;; [unrolled: 1-line block ×4, first 2 shown]
	s_waitcnt lgkmcnt(0)
	v_mul_f64 v[98:99], v[116:117], v[94:95]
	v_fmac_f64_e32 v[98:99], v[118:119], v[92:93]
	scratch_load_dwordx4 v[92:95], off, off offset:896
	ds_read_b128 v[120:123], v2 offset:1648
	ds_read_b128 v[124:127], v2 offset:1664
	v_accvgpr_read_b32 v183, a153
	v_add_f64 v[0:1], v[0:1], v[98:99]
	v_mul_f64 v[98:99], v[230:231], v[130:131]
	v_accvgpr_read_b32 v182, a152
	v_fma_f64 v[98:99], v[228:229], v[128:129], -v[98:99]
	v_accvgpr_read_b32 v181, a151
	v_accvgpr_read_b32 v180, a150
	s_waitcnt lgkmcnt(1)
	v_mul_f64 v[128:129], v[120:121], v[182:183]
	v_fmac_f64_e32 v[128:129], v[122:123], v[180:181]
	v_add_f64 v[0:1], v[0:1], v[128:129]
	v_mul_f64 v[128:129], v[234:235], v[134:135]
	v_fma_f64 v[228:229], v[232:233], v[132:133], -v[128:129]
	v_accvgpr_read_b32 v132, a154
	ds_read_b128 v[128:131], v2 offset:1680
	v_accvgpr_read_b32 v134, a156
	v_accvgpr_read_b32 v135, a157
	;; [unrolled: 1-line block ×3, first 2 shown]
	s_waitcnt lgkmcnt(1)
	v_mul_f64 v[180:181], v[124:125], v[134:135]
	v_fmac_f64_e32 v[180:181], v[126:127], v[132:133]
	ds_read_b128 v[132:135], v2 offset:1696
	v_mul_f64 v[138:139], v[238:239], v[138:139]
	v_fma_f64 v[230:231], v[236:237], v[136:137], -v[138:139]
	ds_read_b128 v[136:139], v2 offset:1712
	v_add_f64 v[0:1], v[0:1], v[180:181]
	s_waitcnt vmcnt(12) lgkmcnt(2)
	v_mul_f64 v[180:181], v[128:129], v[42:43]
	v_mul_f64 v[142:143], v[242:243], v[142:143]
	v_fmac_f64_e32 v[180:181], v[130:131], v[40:41]
	v_fma_f64 v[232:233], v[240:241], v[140:141], -v[142:143]
	ds_read_b128 v[140:143], v2 offset:1728
	v_add_f64 v[0:1], v[0:1], v[180:181]
	s_waitcnt vmcnt(11) lgkmcnt(2)
	v_mul_f64 v[180:181], v[132:133], v[46:47]
	v_fmac_f64_e32 v[180:181], v[134:135], v[44:45]
	ds_read_b128 v[240:243], v2 offset:1744
	v_add_f64 v[0:1], v[0:1], v[180:181]
	s_waitcnt vmcnt(10) lgkmcnt(2)
	v_mul_f64 v[180:181], v[136:137], v[50:51]
	v_mul_f64 v[150:151], v[246:247], v[150:151]
	;; [unrolled: 1-line block ×3, first 2 shown]
	v_fmac_f64_e32 v[180:181], v[138:139], v[48:49]
	v_fma_f64 v[246:247], v[244:245], v[148:149], -v[150:151]
	ds_read_b128 v[148:151], v2 offset:1760
	v_fma_f64 v[152:153], v[248:249], v[152:153], -v[154:155]
	v_add_f64 v[0:1], v[0:1], v[180:181]
	s_waitcnt vmcnt(9) lgkmcnt(2)
	v_mul_f64 v[180:181], v[140:141], v[54:55]
	v_accvgpr_write_b32 a163, v153
	v_fmac_f64_e32 v[180:181], v[142:143], v[52:53]
	v_accvgpr_write_b32 a162, v152
	ds_read_b128 v[152:155], v2 offset:1776
	ds_read_b128 v[248:251], v2 offset:1792
	v_add_f64 v[0:1], v[0:1], v[180:181]
	s_waitcnt vmcnt(8) lgkmcnt(3)
	v_mul_f64 v[180:181], v[240:241], v[58:59]
	v_fmac_f64_e32 v[180:181], v[242:243], v[56:57]
	v_mul_f64 v[6:7], v[6:7], v[162:163]
	v_add_f64 v[0:1], v[0:1], v[180:181]
	s_waitcnt vmcnt(7) lgkmcnt(2)
	v_mul_f64 v[180:181], v[148:149], v[62:63]
	v_fma_f64 v[236:237], v[4:5], v[160:161], -v[6:7]
	ds_read_b128 v[160:163], v2 offset:1808
	v_fmac_f64_e32 v[180:181], v[150:151], v[60:61]
	v_add_f64 v[0:1], v[0:1], v[180:181]
	s_waitcnt vmcnt(6) lgkmcnt(2)
	v_mul_f64 v[180:181], v[152:153], v[66:67]
	v_fmac_f64_e32 v[180:181], v[154:155], v[64:65]
	s_waitcnt vmcnt(5) lgkmcnt(1)
	v_mul_f64 v[4:5], v[248:249], v[70:71]
	v_add_f64 v[0:1], v[0:1], v[180:181]
	v_fmac_f64_e32 v[4:5], v[250:251], v[68:69]
	v_mul_f64 v[6:7], v[10:11], v[166:167]
	v_fma_f64 v[238:239], v[8:9], v[164:165], -v[6:7]
	ds_read_b128 v[164:167], v2 offset:1824
	v_add_f64 v[0:1], v[0:1], v[4:5]
	s_waitcnt vmcnt(4) lgkmcnt(1)
	v_mul_f64 v[4:5], v[160:161], v[78:79]
	v_fmac_f64_e32 v[4:5], v[162:163], v[76:77]
	v_add_f64 v[0:1], v[0:1], v[4:5]
	ds_read_b128 v[4:7], v2 offset:1840
	v_mul_f64 v[8:9], v[146:147], v[218:219]
	v_fma_f64 v[244:245], v[144:145], v[216:217], -v[8:9]
	ds_read_b128 v[8:11], v2 offset:1856
	s_waitcnt vmcnt(3) lgkmcnt(2)
	v_mul_f64 v[144:145], v[164:165], v[74:75]
	v_fmac_f64_e32 v[144:145], v[166:167], v[72:73]
	v_add_f64 v[0:1], v[0:1], v[144:145]
	s_waitcnt vmcnt(2) lgkmcnt(1)
	v_mul_f64 v[144:145], v[4:5], v[82:83]
	v_fmac_f64_e32 v[144:145], v[6:7], v[80:81]
	v_add_f64 v[0:1], v[0:1], v[144:145]
	;; [unrolled: 4-line block ×3, first 2 shown]
	ds_read_b128 v[144:147], v2 offset:1872
	ds_read_b128 v[184:187], v2 offset:1888
	;; [unrolled: 1-line block ×6, first 2 shown]
	s_waitcnt vmcnt(0) lgkmcnt(5)
	v_mul_f64 v[180:181], v[144:145], v[94:95]
	v_fmac_f64_e32 v[180:181], v[146:147], v[92:93]
	v_add_f64 v[0:1], v[0:1], v[180:181]
	scratch_load_dwordx4 v[180:183], off, off offset:912
	ds_read_b128 v[224:227], v2 offset:1968
	v_mul_f64 v[6:7], v[6:7], v[82:83]
	v_fma_f64 v[4:5], v[4:5], v[80:81], -v[6:7]
	v_mul_f64 v[6:7], v[10:11], v[86:87]
	v_fma_f64 v[6:7], v[8:9], v[84:85], -v[6:7]
	s_waitcnt vmcnt(0) lgkmcnt(5)
	v_mul_f64 v[188:189], v[184:185], v[182:183]
	v_fmac_f64_e32 v[188:189], v[186:187], v[180:181]
	v_add_f64 v[0:1], v[0:1], v[188:189]
	scratch_load_dwordx4 v[188:191], off, off offset:928
	s_waitcnt vmcnt(0) lgkmcnt(4)
	v_mul_f64 v[196:197], v[192:193], v[190:191]
	v_fmac_f64_e32 v[196:197], v[194:195], v[188:189]
	v_add_f64 v[0:1], v[0:1], v[196:197]
	scratch_load_dwordx4 v[196:199], off, off offset:944
	;; [unrolled: 5-line block ×5, first 2 shown]
	s_waitcnt vmcnt(0) lgkmcnt(0)
	v_mul_f64 v[234:235], v[224:225], v[222:223]
	v_fmac_f64_e32 v[234:235], v[226:227], v[220:221]
	v_add_f64 v[0:1], v[0:1], v[234:235]
	v_add_f64 v[234:235], v[252:253], 0
	;; [unrolled: 1-line block ×26, first 2 shown]
	scratch_load_dwordx4 v[228:231], off, off offset:48
	v_add_f64 v[12:13], v[12:13], v[232:233]
	v_add_f64 v[246:247], v[12:13], v[246:247]
	v_accvgpr_read_b32 v12, a162
	v_accvgpr_read_b32 v13, a163
	v_accvgpr_read_b32 v16, a158
	v_add_f64 v[12:13], v[246:247], v[12:13]
	v_accvgpr_read_b32 v18, a160
	v_accvgpr_read_b32 v19, a161
	v_add_f64 v[12:13], v[12:13], v[236:237]
	v_accvgpr_read_b32 v17, a159
	v_mul_f64 v[14:15], v[38:39], v[18:19]
	v_add_f64 v[12:13], v[12:13], v[238:239]
	v_fma_f64 v[14:15], v[36:37], v[16:17], -v[14:15]
	v_accvgpr_read_b32 v16, a126
	v_add_f64 v[12:13], v[12:13], v[244:245]
	v_accvgpr_read_b32 v18, a128
	v_accvgpr_read_b32 v19, a129
	v_add_f64 v[12:13], v[12:13], v[14:15]
	v_accvgpr_read_b32 v17, a127
	v_mul_f64 v[14:15], v[34:35], v[18:19]
	v_fma_f64 v[14:15], v[32:33], v[16:17], -v[14:15]
	v_accvgpr_read_b32 v16, a130
	v_accvgpr_read_b32 v18, a132
	v_accvgpr_read_b32 v19, a133
	v_add_f64 v[12:13], v[12:13], v[14:15]
	v_accvgpr_read_b32 v17, a131
	v_mul_f64 v[14:15], v[102:103], v[18:19]
	v_fma_f64 v[14:15], v[100:101], v[16:17], -v[14:15]
	v_accvgpr_read_b32 v16, a134
	;; [unrolled: 7-line block ×7, first 2 shown]
	v_accvgpr_read_b32 v18, a156
	v_accvgpr_read_b32 v19, a157
	v_add_f64 v[12:13], v[12:13], v[14:15]
	v_accvgpr_read_b32 v17, a155
	v_mul_f64 v[14:15], v[126:127], v[18:19]
	v_fma_f64 v[14:15], v[124:125], v[16:17], -v[14:15]
	v_add_f64 v[12:13], v[12:13], v[14:15]
	v_mul_f64 v[14:15], v[130:131], v[42:43]
	v_fma_f64 v[14:15], v[128:129], v[40:41], -v[14:15]
	v_add_f64 v[12:13], v[12:13], v[14:15]
	;; [unrolled: 3-line block ×11, first 2 shown]
	v_add_f64 v[4:5], v[12:13], v[4:5]
	v_add_f64 v[4:5], v[4:5], v[6:7]
	v_mul_f64 v[6:7], v[146:147], v[94:95]
	v_fma_f64 v[6:7], v[144:145], v[92:93], -v[6:7]
	v_add_f64 v[4:5], v[4:5], v[6:7]
	v_mul_f64 v[6:7], v[186:187], v[182:183]
	v_fma_f64 v[6:7], v[184:185], v[180:181], -v[6:7]
	;; [unrolled: 3-line block ×7, first 2 shown]
	v_add_f64 v[4:5], v[4:5], v[6:7]
	s_waitcnt vmcnt(0)
	v_add_f64 v[4:5], v[228:229], -v[4:5]
	v_add_f64 v[6:7], v[230:231], -v[0:1]
	scratch_store_dwordx4 off, v[4:7], off offset:48
	s_and_saveexec_b64 s[0:1], vcc
	s_cbranch_execz .LBB125_395
; %bb.394:
	scratch_load_dwordx4 v[6:9], off, s87
	v_mov_b32_e32 v3, v2
	v_mov_b32_e32 v4, v2
	v_mov_b32_e32 v5, v2
	v_accvgpr_read_b32 v0, a1
	scratch_store_dwordx4 off, v[2:5], off offset:32
	s_waitcnt vmcnt(1)
	ds_write_b128 v0, v[6:9]
.LBB125_395:
	s_or_b64 exec, exec, s[0:1]
	s_waitcnt lgkmcnt(0)
	; wave barrier
	scratch_load_dwordx4 v[4:7], off, off offset:48
	scratch_load_dwordx4 v[40:43], off, off offset:64
	;; [unrolled: 1-line block ×17, first 2 shown]
	ds_read_b128 v[172:175], v2 offset:1024
	ds_read_b128 v[108:111], v2 offset:1040
	scratch_load_dwordx4 v[84:87], off, off offset:320
	ds_read_b128 v[176:179], v2 offset:1056
	ds_read_b128 v[164:167], v2 offset:1072
	;; [unrolled: 1-line block ×5, first 2 shown]
	scratch_load_dwordx4 v[92:95], off, off offset:336
	ds_read_b128 v[148:151], v2 offset:1136
	ds_read_b128 v[112:115], v2 offset:1152
	scratch_load_dwordx4 v[116:119], off, off offset:352
	ds_read_b128 v[180:183], v2 offset:1168
	ds_read_b128 v[168:171], v2 offset:1184
	;; [unrolled: 1-line block ×5, first 2 shown]
	scratch_load_dwordx4 v[120:123], off, off offset:368
	ds_read_b128 v[156:159], v2 offset:1248
	ds_read_b128 v[140:143], v2 offset:1264
	;; [unrolled: 1-line block ×3, first 2 shown]
	scratch_load_dwordx4 v[124:127], off, off offset:384
	scratch_load_dwordx4 v[128:131], off, off offset:400
	;; [unrolled: 1-line block ×9, first 2 shown]
	ds_read_b128 v[204:207], v2 offset:1296
	ds_read_b128 v[232:235], v2 offset:1392
	;; [unrolled: 1-line block ×3, first 2 shown]
	scratch_load_dwordx4 a[134:137], off, off offset:592
	scratch_load_dwordx4 a[142:145], off, off offset:608
	;; [unrolled: 1-line block ×6, first 2 shown]
	v_cmp_ne_u32_e32 vcc, 0, v254
	scratch_load_dwordx4 a[126:129], off, off offset:544
	ds_read_b128 v[228:231], v2 offset:1376
	scratch_load_dwordx4 a[130:133], off, off offset:576
	s_waitcnt vmcnt(37) lgkmcnt(14)
	v_mul_f64 v[0:1], v[172:173], v[6:7]
	s_waitcnt vmcnt(36)
	v_mul_f64 v[24:25], v[108:109], v[42:43]
	v_fmac_f64_e32 v[0:1], v[174:175], v[4:5]
	s_waitcnt vmcnt(35)
	v_mul_f64 v[26:27], v[176:177], v[38:39]
	v_fmac_f64_e32 v[24:25], v[110:111], v[40:41]
	v_add_f64 v[0:1], v[0:1], 0
	s_waitcnt vmcnt(34)
	v_mul_f64 v[28:29], v[164:165], v[10:11]
	v_fmac_f64_e32 v[26:27], v[178:179], v[36:37]
	v_add_f64 v[0:1], v[0:1], v[24:25]
	;; [unrolled: 4-line block ×5, first 2 shown]
	s_waitcnt vmcnt(30) lgkmcnt(13)
	v_mul_f64 v[208:209], v[148:149], v[250:251]
	v_fmac_f64_e32 v[34:35], v[90:91], v[44:45]
	v_add_f64 v[0:1], v[0:1], v[32:33]
	s_waitcnt vmcnt(29) lgkmcnt(12)
	v_mul_f64 v[210:211], v[112:113], v[20:21]
	v_fmac_f64_e32 v[208:209], v[150:151], v[248:249]
	v_add_f64 v[0:1], v[0:1], v[34:35]
	;; [unrolled: 4-line block ×6, first 2 shown]
	v_fmac_f64_e32 v[218:219], v[138:139], v[64:65]
	v_add_f64 v[0:1], v[0:1], v[216:217]
	v_add_f64 v[0:1], v[0:1], v[218:219]
	scratch_load_dwordx4 v[216:219], off, off offset:528
	s_waitcnt vmcnt(25) lgkmcnt(7)
	v_mul_f64 v[220:221], v[104:105], v[70:71]
	s_waitcnt vmcnt(24) lgkmcnt(6)
	v_mul_f64 v[222:223], v[156:157], v[74:75]
	v_fmac_f64_e32 v[220:221], v[106:107], v[68:69]
	s_waitcnt vmcnt(23) lgkmcnt(5)
	v_mul_f64 v[224:225], v[140:141], v[78:79]
	v_fmac_f64_e32 v[222:223], v[158:159], v[72:73]
	v_add_f64 v[0:1], v[0:1], v[220:221]
	ds_read_b128 v[208:211], v2 offset:1312
	v_fmac_f64_e32 v[224:225], v[142:143], v[76:77]
	v_add_f64 v[0:1], v[0:1], v[222:223]
	s_waitcnt vmcnt(22) lgkmcnt(5)
	v_mul_f64 v[24:25], v[132:133], v[82:83]
	ds_read_b128 v[212:215], v2 offset:1328
	ds_read_b128 v[220:223], v2 offset:1344
	v_add_f64 v[0:1], v[0:1], v[224:225]
	v_fmac_f64_e32 v[24:25], v[134:135], v[80:81]
	v_add_f64 v[0:1], v[0:1], v[24:25]
	s_waitcnt vmcnt(21) lgkmcnt(6)
	v_mul_f64 v[24:25], v[204:205], v[86:87]
	v_fmac_f64_e32 v[24:25], v[206:207], v[84:85]
	v_add_f64 v[0:1], v[0:1], v[24:25]
	s_waitcnt vmcnt(20) lgkmcnt(2)
	v_mul_f64 v[24:25], v[208:209], v[94:95]
	ds_read_b128 v[224:227], v2 offset:1360
	v_fmac_f64_e32 v[24:25], v[210:211], v[92:93]
	s_waitcnt vmcnt(19) lgkmcnt(2)
	v_mul_f64 v[28:29], v[212:213], v[118:119]
	v_add_f64 v[0:1], v[0:1], v[24:25]
	v_fmac_f64_e32 v[28:29], v[214:215], v[116:117]
	v_add_f64 v[0:1], v[0:1], v[28:29]
	s_waitcnt vmcnt(18) lgkmcnt(1)
	v_mul_f64 v[28:29], v[220:221], v[122:123]
	v_fmac_f64_e32 v[28:29], v[222:223], v[120:121]
	v_add_f64 v[0:1], v[0:1], v[28:29]
	s_waitcnt vmcnt(17) lgkmcnt(0)
	v_mul_f64 v[28:29], v[224:225], v[126:127]
	v_fmac_f64_e32 v[28:29], v[226:227], v[124:125]
	v_add_f64 v[0:1], v[0:1], v[28:29]
	scratch_load_dwordx4 v[28:31], off, off offset:560
	v_mul_f64 v[6:7], v[174:175], v[6:7]
	v_fma_f64 v[252:253], v[172:173], v[4:5], -v[6:7]
	ds_read_b128 v[172:175], v2 offset:1424
	s_waitcnt vmcnt(17)
	v_mul_f64 v[32:33], v[228:229], v[130:131]
	v_fmac_f64_e32 v[32:33], v[230:231], v[128:129]
	s_waitcnt vmcnt(16)
	v_mul_f64 v[4:5], v[232:233], v[146:147]
	v_accvgpr_write_b32 a141, v47
	v_add_f64 v[0:1], v[0:1], v[32:33]
	v_fmac_f64_e32 v[4:5], v[234:235], v[144:145]
	v_mul_f64 v[6:7], v[178:179], v[38:39]
	v_accvgpr_write_b32 a140, v46
	v_accvgpr_write_b32 a139, v45
	;; [unrolled: 1-line block ×3, first 2 shown]
	v_add_f64 v[0:1], v[0:1], v[4:5]
	s_waitcnt vmcnt(15)
	v_mul_f64 v[4:5], v[236:237], v[162:163]
	v_fma_f64 v[46:47], v[176:177], v[36:37], -v[6:7]
	ds_read_b128 v[176:179], v2 offset:1440
	v_fmac_f64_e32 v[4:5], v[238:239], v[160:161]
	s_waitcnt vmcnt(14) lgkmcnt(1)
	v_mul_f64 v[240:241], v[172:173], v[186:187]
	v_mul_f64 v[12:13], v[166:167], v[10:11]
	v_add_f64 v[0:1], v[0:1], v[4:5]
	v_fmac_f64_e32 v[240:241], v[174:175], v[184:185]
	v_mul_f64 v[4:5], v[110:111], v[42:43]
	v_fma_f64 v[42:43], v[164:165], v[8:9], -v[12:13]
	ds_read_b128 v[164:167], v2 offset:1456
	v_add_f64 v[0:1], v[0:1], v[240:241]
	ds_read_b128 v[240:243], v2 offset:1472
	v_fma_f64 v[50:51], v[108:109], v[40:41], -v[4:5]
	s_waitcnt vmcnt(13) lgkmcnt(2)
	v_mul_f64 v[10:11], v[176:177], v[190:191]
	v_accvgpr_read_b32 v4, a138
	v_fmac_f64_e32 v[10:11], v[178:179], v[188:189]
	v_accvgpr_read_b32 v5, a139
	v_accvgpr_read_b32 v6, a140
	;; [unrolled: 1-line block ×3, first 2 shown]
	scratch_load_dwordx4 a[138:141], off, off offset:656
	v_add_f64 v[0:1], v[0:1], v[10:11]
	s_waitcnt vmcnt(13) lgkmcnt(1)
	v_mul_f64 v[10:11], v[164:165], v[194:195]
	v_fmac_f64_e32 v[10:11], v[166:167], v[192:193]
	s_waitcnt vmcnt(12) lgkmcnt(0)
	v_mul_f64 v[36:37], v[240:241], v[198:199]
	v_add_f64 v[0:1], v[0:1], v[10:11]
	v_fmac_f64_e32 v[36:37], v[242:243], v[196:197]
	v_add_f64 v[0:1], v[0:1], v[36:37]
	v_mul_f64 v[36:37], v[150:151], v[250:251]
	v_fma_f64 v[22:23], v[148:149], v[248:249], -v[36:37]
	scratch_load_dwordx4 v[148:151], off, off offset:672
	v_mul_f64 v[10:11], v[102:103], v[16:17]
	v_mul_f64 v[16:17], v[98:99], v[246:247]
	v_fma_f64 v[26:27], v[96:97], v[244:245], -v[16:17]
	ds_read_b128 v[244:247], v2 offset:1488
	ds_read_b128 v[248:251], v2 offset:1504
	v_mul_f64 v[12:13], v[90:91], v[6:7]
	v_fma_f64 v[24:25], v[88:89], v[4:5], -v[12:13]
	ds_read_b128 v[88:91], v2 offset:1520
	ds_read_b128 v[96:99], v2 offset:1536
	s_waitcnt vmcnt(12) lgkmcnt(3)
	v_mul_f64 v[40:41], v[244:245], v[202:203]
	v_fmac_f64_e32 v[40:41], v[246:247], v[200:201]
	s_waitcnt vmcnt(3) lgkmcnt(2)
	v_mul_f64 v[48:49], v[248:249], v[218:219]
	v_add_f64 v[0:1], v[0:1], v[40:41]
	v_fmac_f64_e32 v[48:49], v[250:251], v[216:217]
	v_add_f64 v[0:1], v[0:1], v[48:49]
	v_mul_f64 v[48:49], v[170:171], v[58:59]
	v_mul_f64 v[44:45], v[182:183], v[54:55]
	v_fma_f64 v[182:183], v[168:169], v[56:57], -v[48:49]
	scratch_load_dwordx4 v[168:171], off, off offset:720
	v_accvgpr_read_b32 v4, a126
	v_accvgpr_read_b32 v6, a128
	v_accvgpr_read_b32 v7, a129
	v_fma_f64 v[180:181], v[180:181], v[52:53], -v[44:45]
	v_accvgpr_read_b32 v5, a127
	s_waitcnt lgkmcnt(1)
	v_mul_f64 v[52:53], v[88:89], v[6:7]
	v_fmac_f64_e32 v[52:53], v[90:91], v[4:5]
	v_mul_f64 v[16:17], v[114:115], v[20:21]
	v_add_f64 v[0:1], v[0:1], v[52:53]
	v_mul_f64 v[52:53], v[154:155], v[62:63]
	v_fma_f64 v[20:21], v[112:113], v[18:19], -v[16:17]
	v_fma_f64 v[18:19], v[152:153], v[60:61], -v[52:53]
	scratch_load_dwordx4 v[52:55], off, off offset:736
	scratch_load_dwordx4 v[56:59], off, off offset:752
	v_mul_f64 v[60:61], v[106:107], v[70:71]
	v_fma_f64 v[16:17], v[104:105], v[68:69], -v[60:61]
	scratch_load_dwordx4 v[60:63], off, off offset:768
	v_mul_f64 v[34:35], v[138:139], v[66:67]
	v_fma_f64 v[34:35], v[136:137], v[64:65], -v[34:35]
	scratch_load_dwordx4 v[64:67], off, off offset:784
	v_fma_f64 v[38:39], v[100:101], v[14:15], -v[10:11]
	ds_read_b128 v[100:103], v2 offset:1552
	s_waitcnt vmcnt(7)
	v_mov_b64_e32 v[4:5], v[28:29]
	v_mov_b64_e32 v[6:7], v[30:31]
	s_waitcnt lgkmcnt(1)
	v_mul_f64 v[32:33], v[96:97], v[6:7]
	v_fmac_f64_e32 v[32:33], v[98:99], v[4:5]
	v_accvgpr_read_b32 v4, a130
	v_accvgpr_read_b32 v6, a132
	;; [unrolled: 1-line block ×4, first 2 shown]
	s_waitcnt lgkmcnt(0)
	v_mul_f64 v[68:69], v[100:101], v[6:7]
	v_add_f64 v[0:1], v[0:1], v[32:33]
	v_fmac_f64_e32 v[68:69], v[102:103], v[4:5]
	v_add_f64 v[0:1], v[0:1], v[68:69]
	v_mul_f64 v[68:69], v[142:143], v[78:79]
	v_fma_f64 v[14:15], v[140:141], v[76:77], -v[68:69]
	scratch_load_dwordx4 v[68:71], off, off offset:800
	ds_read_b128 v[108:111], v2 offset:1568
	ds_read_b128 v[104:107], v2 offset:1584
	v_accvgpr_read_b32 v4, a134
	v_accvgpr_write_b32 a165, v31
	v_accvgpr_read_b32 v6, a136
	v_accvgpr_read_b32 v7, a137
	v_accvgpr_write_b32 a164, v30
	v_accvgpr_write_b32 a163, v29
	;; [unrolled: 1-line block ×3, first 2 shown]
	v_accvgpr_read_b32 v5, a135
	s_waitcnt lgkmcnt(1)
	v_mul_f64 v[28:29], v[108:109], v[6:7]
	v_fmac_f64_e32 v[28:29], v[110:111], v[4:5]
	v_accvgpr_read_b32 v4, a142
	ds_read_b128 v[112:115], v2 offset:1600
	v_mul_f64 v[30:31], v[134:135], v[82:83]
	v_accvgpr_read_b32 v6, a144
	v_accvgpr_read_b32 v7, a145
	v_fma_f64 v[30:31], v[132:133], v[80:81], -v[30:31]
	v_add_f64 v[0:1], v[0:1], v[28:29]
	v_accvgpr_read_b32 v5, a143
	s_waitcnt lgkmcnt(1)
	v_mul_f64 v[28:29], v[104:105], v[6:7]
	v_mul_f64 v[80:81], v[214:215], v[118:119]
	v_fmac_f64_e32 v[28:29], v[106:107], v[4:5]
	v_fma_f64 v[10:11], v[212:213], v[116:117], -v[80:81]
	ds_read_b128 v[116:119], v2 offset:1616
	v_accvgpr_read_b32 v4, a146
	v_add_f64 v[0:1], v[0:1], v[28:29]
	v_mul_f64 v[28:29], v[210:211], v[94:95]
	v_accvgpr_read_b32 v6, a148
	v_accvgpr_read_b32 v7, a149
	v_fma_f64 v[28:29], v[208:209], v[92:93], -v[28:29]
	v_mul_f64 v[36:37], v[222:223], v[122:123]
	v_accvgpr_read_b32 v5, a147
	s_waitcnt lgkmcnt(1)
	v_mul_f64 v[92:93], v[112:113], v[6:7]
	v_fma_f64 v[36:37], v[220:221], v[120:121], -v[36:37]
	v_fmac_f64_e32 v[92:93], v[114:115], v[4:5]
	ds_read_b128 v[120:123], v2 offset:1632
	v_accvgpr_read_b32 v4, a150
	v_accvgpr_read_b32 v6, a152
	;; [unrolled: 1-line block ×4, first 2 shown]
	s_waitcnt lgkmcnt(1)
	v_mul_f64 v[40:41], v[116:117], v[6:7]
	v_add_f64 v[0:1], v[0:1], v[92:93]
	v_fmac_f64_e32 v[40:41], v[118:119], v[4:5]
	s_waitcnt vmcnt(7)
	v_accvgpr_read_b32 v4, a138
	v_mul_f64 v[92:93], v[226:227], v[126:127]
	v_add_f64 v[0:1], v[0:1], v[40:41]
	v_mul_f64 v[40:41], v[230:231], v[130:131]
	v_accvgpr_read_b32 v6, a140
	v_accvgpr_read_b32 v7, a141
	v_fma_f64 v[8:9], v[224:225], v[124:125], -v[92:93]
	v_fma_f64 v[40:41], v[228:229], v[128:129], -v[40:41]
	ds_read_b128 v[124:127], v2 offset:1648
	v_accvgpr_read_b32 v5, a139
	s_waitcnt lgkmcnt(1)
	v_mul_f64 v[128:129], v[120:121], v[6:7]
	v_fmac_f64_e32 v[128:129], v[122:123], v[4:5]
	v_add_f64 v[0:1], v[0:1], v[128:129]
	v_mul_f64 v[128:129], v[234:235], v[146:147]
	v_fma_f64 v[6:7], v[232:233], v[144:145], -v[128:129]
	ds_read_b128 v[128:131], v2 offset:1664
	s_waitcnt vmcnt(6)
	v_mov_b64_e32 v[132:133], v[148:149]
	v_mov_b64_e32 v[134:135], v[150:151]
	s_waitcnt lgkmcnt(1)
	v_mul_f64 v[44:45], v[124:125], v[134:135]
	v_fmac_f64_e32 v[44:45], v[126:127], v[132:133]
	ds_read_b128 v[132:135], v2 offset:1680
	v_accvgpr_read_b32 v136, a154
	v_accvgpr_read_b32 v138, a156
	;; [unrolled: 1-line block ×3, first 2 shown]
	v_add_f64 v[0:1], v[0:1], v[44:45]
	v_accvgpr_read_b32 v137, a155
	s_waitcnt lgkmcnt(1)
	v_mul_f64 v[44:45], v[128:129], v[138:139]
	v_fmac_f64_e32 v[44:45], v[130:131], v[136:137]
	v_accvgpr_read_b32 v136, a158
	v_accvgpr_read_b32 v138, a160
	;; [unrolled: 1-line block ×4, first 2 shown]
	s_waitcnt lgkmcnt(0)
	v_mul_f64 v[140:141], v[132:133], v[138:139]
	scratch_load_dwordx4 v[76:79], off, off offset:816
	v_fmac_f64_e32 v[140:141], v[134:135], v[136:137]
	ds_read_b128 v[136:139], v2 offset:1696
	v_accvgpr_write_b32 a169, v151
	v_add_f64 v[0:1], v[0:1], v[44:45]
	v_mul_f64 v[32:33], v[158:159], v[74:75]
	v_accvgpr_write_b32 a168, v150
	v_accvgpr_write_b32 a167, v149
	;; [unrolled: 1-line block ×3, first 2 shown]
	v_mul_f64 v[44:45], v[238:239], v[162:163]
	v_add_f64 v[0:1], v[0:1], v[140:141]
	v_mul_f64 v[140:141], v[174:175], v[186:187]
	s_waitcnt vmcnt(6)
	v_mov_b64_e32 v[146:147], v[168:169]
	v_fma_f64 v[32:33], v[156:157], v[72:73], -v[32:33]
	v_mul_f64 v[72:73], v[206:207], v[86:87]
	v_fma_f64 v[44:45], v[236:237], v[160:161], -v[44:45]
	v_fma_f64 v[236:237], v[172:173], v[184:185], -v[140:141]
	ds_read_b128 v[140:143], v2 offset:1712
	v_mov_b64_e32 v[148:149], v[170:171]
	v_fma_f64 v[12:13], v[204:205], v[84:85], -v[72:73]
	scratch_load_dwordx4 v[72:75], off, off offset:832
	s_waitcnt lgkmcnt(1)
	v_mul_f64 v[144:145], v[136:137], v[148:149]
	v_fmac_f64_e32 v[144:145], v[138:139], v[146:147]
	scratch_load_dwordx4 v[80:83], off, off offset:848
	scratch_load_dwordx4 v[84:87], off, off offset:864
	v_add_f64 v[0:1], v[0:1], v[144:145]
	ds_read_b128 v[144:147], v2 offset:1728
	s_waitcnt vmcnt(8) lgkmcnt(1)
	v_mul_f64 v[148:149], v[140:141], v[54:55]
	v_fmac_f64_e32 v[148:149], v[142:143], v[52:53]
	v_add_f64 v[0:1], v[0:1], v[148:149]
	v_mul_f64 v[148:149], v[178:179], v[190:191]
	v_fma_f64 v[238:239], v[176:177], v[188:189], -v[148:149]
	ds_read_b128 v[148:151], v2 offset:1744
	s_waitcnt vmcnt(7) lgkmcnt(1)
	v_mul_f64 v[152:153], v[144:145], v[58:59]
	v_fmac_f64_e32 v[152:153], v[146:147], v[56:57]
	v_add_f64 v[0:1], v[0:1], v[152:153]
	v_mul_f64 v[152:153], v[166:167], v[194:195]
	v_fma_f64 v[4:5], v[164:165], v[192:193], -v[152:153]
	ds_read_b128 v[152:155], v2 offset:1760
	ds_read_b128 v[156:159], v2 offset:1776
	scratch_load_dwordx4 v[92:95], off, off offset:880
	s_waitcnt vmcnt(7) lgkmcnt(2)
	v_mul_f64 v[48:49], v[148:149], v[62:63]
	v_fmac_f64_e32 v[48:49], v[150:151], v[60:61]
	v_add_f64 v[0:1], v[0:1], v[48:49]
	s_waitcnt vmcnt(6) lgkmcnt(1)
	v_mul_f64 v[48:49], v[152:153], v[66:67]
	v_fmac_f64_e32 v[48:49], v[154:155], v[64:65]
	v_add_f64 v[0:1], v[0:1], v[48:49]
	v_mul_f64 v[48:49], v[242:243], v[198:199]
	v_fma_f64 v[48:49], v[240:241], v[196:197], -v[48:49]
	scratch_load_dwordx4 v[240:243], off, off offset:896
	ds_read_b128 v[160:163], v2 offset:1792
	v_accvgpr_write_b32 a173, v171
	v_accvgpr_write_b32 a172, v170
	;; [unrolled: 1-line block ×4, first 2 shown]
	s_waitcnt vmcnt(6) lgkmcnt(1)
	v_mul_f64 v[168:169], v[156:157], v[70:71]
	v_fmac_f64_e32 v[168:169], v[158:159], v[68:69]
	v_mul_f64 v[164:165], v[246:247], v[202:203]
	v_fma_f64 v[244:245], v[244:245], v[200:201], -v[164:165]
	ds_read_b128 v[164:167], v2 offset:1808
	v_add_f64 v[0:1], v[0:1], v[168:169]
	v_mul_f64 v[172:173], v[250:251], v[218:219]
	v_fma_f64 v[246:247], v[248:249], v[216:217], -v[172:173]
	ds_read_b128 v[172:175], v2 offset:1840
	ds_read_b128 v[192:195], v2 offset:1888
	;; [unrolled: 1-line block ×3, first 2 shown]
	scratch_load_dwordx4 v[232:235], off, off offset:992
	ds_read_b128 v[208:211], v2 offset:1920
	ds_read_b128 v[216:219], v2 offset:1936
	;; [unrolled: 1-line block ×3, first 2 shown]
	s_waitcnt vmcnt(6) lgkmcnt(7)
	v_mul_f64 v[168:169], v[160:161], v[78:79]
	v_fmac_f64_e32 v[168:169], v[162:163], v[76:77]
	v_add_f64 v[0:1], v[0:1], v[168:169]
	ds_read_b128 v[168:171], v2 offset:1824
	s_waitcnt vmcnt(5) lgkmcnt(7)
	v_mul_f64 v[176:177], v[164:165], v[74:75]
	v_fmac_f64_e32 v[176:177], v[166:167], v[72:73]
	v_add_f64 v[0:1], v[0:1], v[176:177]
	s_waitcnt vmcnt(4) lgkmcnt(0)
	v_mul_f64 v[176:177], v[168:169], v[82:83]
	v_fmac_f64_e32 v[176:177], v[170:171], v[80:81]
	v_add_f64 v[0:1], v[0:1], v[176:177]
	s_waitcnt vmcnt(3)
	v_mul_f64 v[176:177], v[172:173], v[86:87]
	v_fmac_f64_e32 v[176:177], v[174:175], v[84:85]
	v_add_f64 v[0:1], v[0:1], v[176:177]
	ds_read_b128 v[176:179], v2 offset:1856
	s_waitcnt vmcnt(2) lgkmcnt(0)
	v_mul_f64 v[184:185], v[176:177], v[94:95]
	v_fmac_f64_e32 v[184:185], v[178:179], v[92:93]
	v_add_f64 v[0:1], v[0:1], v[184:185]
	ds_read_b128 v[184:187], v2 offset:1872
	s_waitcnt vmcnt(1) lgkmcnt(0)
	v_mul_f64 v[188:189], v[184:185], v[242:243]
	v_fmac_f64_e32 v[188:189], v[186:187], v[240:241]
	v_add_f64 v[0:1], v[0:1], v[188:189]
	scratch_load_dwordx4 v[188:191], off, off offset:912
	s_waitcnt vmcnt(0)
	v_mul_f64 v[196:197], v[192:193], v[190:191]
	v_fmac_f64_e32 v[196:197], v[194:195], v[188:189]
	v_add_f64 v[0:1], v[0:1], v[196:197]
	scratch_load_dwordx4 v[196:199], off, off offset:928
	s_waitcnt vmcnt(0)
	;; [unrolled: 5-line block ×5, first 2 shown]
	v_mul_f64 v[228:229], v[224:225], v[222:223]
	v_fmac_f64_e32 v[228:229], v[226:227], v[220:221]
	v_add_f64 v[0:1], v[0:1], v[228:229]
	ds_read_b128 v[228:231], v2 offset:1968
	s_waitcnt lgkmcnt(0)
	v_mul_f64 v[2:3], v[228:229], v[234:235]
	v_fmac_f64_e32 v[2:3], v[230:231], v[232:233]
	v_add_f64 v[2:3], v[0:1], v[2:3]
	v_add_f64 v[0:1], v[252:253], 0
	;; [unrolled: 1-line block ×28, first 2 shown]
	scratch_load_dwordx4 v[236:239], off, off offset:32
	v_accvgpr_read_b32 v6, a126
	v_add_f64 v[0:1], v[0:1], v[4:5]
	v_accvgpr_read_b32 v8, a128
	v_accvgpr_read_b32 v9, a129
	v_add_f64 v[248:249], v[0:1], v[48:49]
	v_accvgpr_read_b32 v7, a127
	v_mul_f64 v[4:5], v[90:91], v[8:9]
	v_add_f64 v[0:1], v[248:249], v[244:245]
	v_fma_f64 v[4:5], v[88:89], v[6:7], -v[4:5]
	v_accvgpr_read_b32 v6, a162
	v_add_f64 v[0:1], v[0:1], v[246:247]
	v_accvgpr_read_b32 v8, a164
	v_accvgpr_read_b32 v9, a165
	v_add_f64 v[0:1], v[0:1], v[4:5]
	v_accvgpr_read_b32 v7, a163
	v_mul_f64 v[4:5], v[98:99], v[8:9]
	v_fma_f64 v[4:5], v[96:97], v[6:7], -v[4:5]
	v_accvgpr_read_b32 v6, a130
	v_accvgpr_read_b32 v8, a132
	v_accvgpr_read_b32 v9, a133
	v_add_f64 v[0:1], v[0:1], v[4:5]
	v_accvgpr_read_b32 v7, a131
	v_mul_f64 v[4:5], v[102:103], v[8:9]
	v_fma_f64 v[4:5], v[100:101], v[6:7], -v[4:5]
	v_accvgpr_read_b32 v6, a134
	;; [unrolled: 7-line block ×10, first 2 shown]
	v_accvgpr_read_b32 v8, a172
	v_accvgpr_read_b32 v9, a173
	v_add_f64 v[0:1], v[0:1], v[4:5]
	v_accvgpr_read_b32 v7, a171
	v_mul_f64 v[4:5], v[138:139], v[8:9]
	v_fma_f64 v[4:5], v[136:137], v[6:7], -v[4:5]
	v_add_f64 v[0:1], v[0:1], v[4:5]
	v_mul_f64 v[4:5], v[142:143], v[54:55]
	v_fma_f64 v[4:5], v[140:141], v[52:53], -v[4:5]
	v_add_f64 v[0:1], v[0:1], v[4:5]
	;; [unrolled: 3-line block ×18, first 2 shown]
	s_waitcnt vmcnt(0)
	v_add_f64 v[4:5], v[236:237], -v[0:1]
	v_add_f64 v[6:7], v[238:239], -v[2:3]
	scratch_store_dwordx4 off, v[4:7], off offset:32
	s_and_saveexec_b64 s[0:1], vcc
	s_cbranch_execz .LBB125_397
; %bb.396:
	scratch_load_dwordx4 v[2:5], off, off offset:16
	v_mov_b32_e32 v6, 0
	v_mov_b32_e32 v7, v6
	v_mov_b32_e32 v8, v6
	v_mov_b32_e32 v9, v6
	v_accvgpr_read_b32 v0, a1
	scratch_store_dwordx4 off, v[6:9], off offset:16
	s_waitcnt vmcnt(1)
	ds_write_b128 v0, v[2:5]
.LBB125_397:
	s_or_b64 exec, exec, s[0:1]
	s_waitcnt lgkmcnt(0)
	; wave barrier
	scratch_load_dwordx4 v[8:11], off, off offset:32
	scratch_load_dwordx4 v[12:15], off, off offset:48
	;; [unrolled: 1-line block ×30, first 2 shown]
	v_mov_b32_e32 v248, 0
	ds_read_b128 v[88:91], v248 offset:1008
	ds_read_b128 v[92:95], v248 offset:1024
	;; [unrolled: 1-line block ×17, first 2 shown]
	scratch_load_dwordx4 a[126:129], off, off offset:544
	scratch_load_dwordx4 a[130:133], off, off offset:560
	ds_read_b128 v[220:223], v248 offset:1344
	ds_read_b128 v[224:227], v248 offset:1360
	;; [unrolled: 1-line block ×6, first 2 shown]
	scratch_load_dwordx4 a[134:137], off, off offset:576
	scratch_load_dwordx4 a[138:141], off, off offset:592
	ds_read_b128 v[244:247], v248 offset:1440
	ds_read_b128 v[250:253], v248 offset:1456
	scratch_load_dwordx4 a[146:149], off, off offset:640
	scratch_load_dwordx4 a[150:153], off, off offset:672
	;; [unrolled: 1-line block ×3, first 2 shown]
	v_readlane_b32 s0, v255, 0
	v_readlane_b32 s1, v255, 1
	s_and_b64 vcc, exec, s[0:1]
	scratch_load_dwordx4 a[142:145], off, off offset:624
	s_waitcnt vmcnt(37) lgkmcnt(14)
	v_mul_f64 v[0:1], v[88:89], v[10:11]
	s_waitcnt vmcnt(36)
	v_mul_f64 v[2:3], v[92:93], v[14:15]
	v_fmac_f64_e32 v[0:1], v[90:91], v[8:9]
	s_waitcnt vmcnt(35)
	v_mul_f64 v[4:5], v[96:97], v[18:19]
	v_fmac_f64_e32 v[2:3], v[94:95], v[12:13]
	v_add_f64 v[0:1], v[0:1], 0
	s_waitcnt vmcnt(34)
	v_mul_f64 v[6:7], v[100:101], v[22:23]
	v_fmac_f64_e32 v[4:5], v[98:99], v[16:17]
	v_add_f64 v[0:1], v[0:1], v[2:3]
	;; [unrolled: 4-line block ×9, first 2 shown]
	s_waitcnt vmcnt(26) lgkmcnt(13)
	v_mul_f64 v[210:211], v[172:173], v[54:55]
	v_fmac_f64_e32 v[208:209], v[170:171], v[48:49]
	v_add_f64 v[0:1], v[0:1], v[206:207]
	scratch_load_dwordx4 v[200:203], off, off offset:512
	v_fmac_f64_e32 v[210:211], v[174:175], v[52:53]
	v_add_f64 v[0:1], v[0:1], v[208:209]
	v_add_f64 v[0:1], v[0:1], v[210:211]
	scratch_load_dwordx4 v[208:211], off, off offset:528
	s_waitcnt vmcnt(27) lgkmcnt(12)
	v_mul_f64 v[212:213], v[176:177], v[58:59]
	s_waitcnt vmcnt(26) lgkmcnt(11)
	v_mul_f64 v[214:215], v[180:181], v[62:63]
	v_fmac_f64_e32 v[212:213], v[178:179], v[56:57]
	ds_read_b128 v[196:199], v248 offset:1280
	ds_read_b128 v[204:207], v248 offset:1296
	s_waitcnt vmcnt(25) lgkmcnt(12)
	v_mul_f64 v[216:217], v[184:185], v[66:67]
	v_fmac_f64_e32 v[214:215], v[182:183], v[60:61]
	v_add_f64 v[0:1], v[0:1], v[212:213]
	s_waitcnt vmcnt(24) lgkmcnt(11)
	v_mul_f64 v[218:219], v[188:189], v[70:71]
	v_fmac_f64_e32 v[216:217], v[186:187], v[64:65]
	v_add_f64 v[0:1], v[0:1], v[214:215]
	v_fmac_f64_e32 v[218:219], v[190:191], v[68:69]
	v_add_f64 v[0:1], v[0:1], v[216:217]
	s_waitcnt vmcnt(23) lgkmcnt(10)
	v_mul_f64 v[2:3], v[192:193], v[74:75]
	v_add_f64 v[0:1], v[0:1], v[218:219]
	v_fmac_f64_e32 v[2:3], v[194:195], v[72:73]
	ds_read_b128 v[212:215], v248 offset:1312
	ds_read_b128 v[216:219], v248 offset:1328
	v_add_f64 v[0:1], v[0:1], v[2:3]
	s_waitcnt vmcnt(22) lgkmcnt(3)
	v_mul_f64 v[2:3], v[196:197], v[78:79]
	v_fmac_f64_e32 v[2:3], v[198:199], v[76:77]
	v_add_f64 v[0:1], v[0:1], v[2:3]
	s_waitcnt vmcnt(21) lgkmcnt(2)
	v_mul_f64 v[2:3], v[204:205], v[82:83]
	v_fmac_f64_e32 v[2:3], v[206:207], v[80:81]
	v_add_f64 v[0:1], v[0:1], v[2:3]
	s_waitcnt vmcnt(20) lgkmcnt(1)
	v_mul_f64 v[2:3], v[212:213], v[86:87]
	v_fmac_f64_e32 v[2:3], v[214:215], v[84:85]
	v_add_f64 v[0:1], v[0:1], v[2:3]
	s_waitcnt vmcnt(19) lgkmcnt(0)
	v_mul_f64 v[2:3], v[216:217], v[114:115]
	v_fmac_f64_e32 v[2:3], v[218:219], v[112:113]
	v_add_f64 v[0:1], v[0:1], v[2:3]
	s_waitcnt vmcnt(18)
	v_mul_f64 v[2:3], v[220:221], v[118:119]
	v_fmac_f64_e32 v[2:3], v[222:223], v[116:117]
	v_add_f64 v[0:1], v[0:1], v[2:3]
	s_waitcnt vmcnt(17)
	v_mul_f64 v[2:3], v[224:225], v[122:123]
	v_fmac_f64_e32 v[2:3], v[226:227], v[120:121]
	;; [unrolled: 4-line block ×4, first 2 shown]
	v_add_f64 v[0:1], v[0:1], v[2:3]
	v_mul_f64 v[2:3], v[90:91], v[10:11]
	v_fma_f64 v[2:3], v[88:89], v[8:9], -v[2:3]
	v_accvgpr_write_b32 a0, v2
	v_accvgpr_write_b32 a1, v3
	v_mul_f64 v[2:3], v[94:95], v[14:15]
	v_fma_f64 v[2:3], v[92:93], v[12:13], -v[2:3]
	v_accvgpr_write_b32 a171, v3
	v_accvgpr_write_b32 a170, v2
	v_mul_f64 v[2:3], v[98:99], v[18:19]
	v_fma_f64 v[92:93], v[96:97], v[16:17], -v[2:3]
	s_waitcnt vmcnt(14)
	v_mul_f64 v[2:3], v[236:237], v[134:135]
	v_fmac_f64_e32 v[2:3], v[238:239], v[132:133]
	v_add_f64 v[0:1], v[0:1], v[2:3]
	s_waitcnt vmcnt(13)
	v_mul_f64 v[2:3], v[240:241], v[142:143]
	scratch_load_dwordx4 v[16:19], off, off offset:608
	v_fmac_f64_e32 v[2:3], v[242:243], v[140:141]
	v_add_f64 v[4:5], v[0:1], v[2:3]
	v_mul_f64 v[0:1], v[102:103], v[22:23]
	v_fma_f64 v[90:91], v[100:101], v[20:21], -v[0:1]
	v_mul_f64 v[0:1], v[106:107], v[26:27]
	v_fma_f64 v[88:89], v[104:105], v[24:25], -v[0:1]
	;; [unrolled: 2-line block ×3, first 2 shown]
	ds_read_b128 v[0:3], v248 offset:1472
	s_waitcnt vmcnt(13)
	v_mul_f64 v[6:7], v[244:245], v[146:147]
	v_fmac_f64_e32 v[6:7], v[246:247], v[144:145]
	v_add_f64 v[4:5], v[4:5], v[6:7]
	s_waitcnt vmcnt(12)
	v_mul_f64 v[6:7], v[250:251], v[154:155]
	v_fmac_f64_e32 v[6:7], v[252:253], v[152:153]
	v_mul_f64 v[8:9], v[150:151], v[38:39]
	v_add_f64 v[4:5], v[4:5], v[6:7]
	v_fma_f64 v[148:149], v[148:149], v[36:37], -v[8:9]
	ds_read_b128 v[8:11], v248 offset:1504
	s_waitcnt vmcnt(11) lgkmcnt(1)
	v_mul_f64 v[6:7], v[0:1], v[158:159]
	v_fmac_f64_e32 v[6:7], v[2:3], v[156:157]
	v_add_f64 v[20:21], v[4:5], v[6:7]
	v_mul_f64 v[4:5], v[138:139], v[34:35]
	v_fma_f64 v[24:25], v[136:137], v[32:33], -v[4:5]
	scratch_load_dwordx4 v[136:139], off, off offset:656
	ds_read_b128 v[4:7], v248 offset:1488
	v_mul_f64 v[22:23], v[162:163], v[42:43]
	v_mul_f64 v[36:37], v[166:167], v[46:47]
	v_fma_f64 v[150:151], v[160:161], v[40:41], -v[22:23]
	v_fma_f64 v[160:161], v[164:165], v[44:45], -v[36:37]
	ds_read_b128 v[36:39], v248 offset:1536
	s_waitcnt vmcnt(3) lgkmcnt(1)
	v_mul_f64 v[22:23], v[4:5], v[202:203]
	v_fmac_f64_e32 v[22:23], v[6:7], v[200:201]
	v_add_f64 v[20:21], v[20:21], v[22:23]
	s_waitcnt vmcnt(2)
	v_mul_f64 v[22:23], v[8:9], v[210:211]
	v_fmac_f64_e32 v[22:23], v[10:11], v[208:209]
	v_add_f64 v[96:97], v[20:21], v[22:23]
	ds_read_b128 v[20:23], v248 offset:1520
	ds_read_b128 v[100:103], v248 offset:1568
	v_mul_f64 v[40:41], v[170:171], v[50:51]
	v_fma_f64 v[162:163], v[168:169], v[48:49], -v[40:41]
	scratch_load_dwordx4 v[40:43], off, off offset:704
	v_accvgpr_read_b32 v12, a126
	v_accvgpr_read_b32 v14, a128
	;; [unrolled: 1-line block ×4, first 2 shown]
	s_waitcnt lgkmcnt(1)
	v_mul_f64 v[48:49], v[20:21], v[14:15]
	v_accvgpr_write_b32 a161, v15
	v_mul_f64 v[44:45], v[174:175], v[54:55]
	v_fmac_f64_e32 v[48:49], v[22:23], v[12:13]
	v_accvgpr_write_b32 a160, v14
	v_accvgpr_write_b32 a159, v13
	;; [unrolled: 1-line block ×3, first 2 shown]
	v_accvgpr_read_b32 v12, a130
	v_fma_f64 v[164:165], v[172:173], v[52:53], -v[44:45]
	scratch_load_dwordx4 v[44:47], off, off offset:720
	v_accvgpr_read_b32 v14, a132
	v_accvgpr_read_b32 v15, a133
	v_add_f64 v[52:53], v[96:97], v[48:49]
	v_mul_f64 v[48:49], v[178:179], v[58:59]
	v_accvgpr_read_b32 v13, a131
	v_mul_f64 v[54:55], v[36:37], v[14:15]
	v_fma_f64 v[166:167], v[176:177], v[56:57], -v[48:49]
	scratch_load_dwordx4 v[48:51], off, off offset:736
	v_fmac_f64_e32 v[54:55], v[38:39], v[12:13]
	v_add_f64 v[104:105], v[52:53], v[54:55]
	v_mul_f64 v[52:53], v[182:183], v[62:63]
	v_fma_f64 v[168:169], v[180:181], v[60:61], -v[52:53]
	scratch_load_dwordx4 v[52:55], off, off offset:752
	v_mul_f64 v[56:57], v[186:187], v[66:67]
	v_fma_f64 v[170:171], v[184:185], v[64:65], -v[56:57]
	scratch_load_dwordx4 v[56:59], off, off offset:768
	;; [unrolled: 3-line block ×3, first 2 shown]
	ds_read_b128 v[96:99], v248 offset:1552
	v_accvgpr_read_b32 v12, a134
	v_accvgpr_read_b32 v14, a136
	;; [unrolled: 1-line block ×3, first 2 shown]
	v_mul_f64 v[146:147], v[246:247], v[146:147]
	v_accvgpr_read_b32 v13, a135
	v_fma_f64 v[246:247], v[244:245], v[144:145], -v[146:147]
	ds_read_b128 v[144:147], v248 offset:1744
	s_waitcnt lgkmcnt(1)
	v_mul_f64 v[64:65], v[96:97], v[14:15]
	v_fmac_f64_e32 v[64:65], v[98:99], v[12:13]
	v_add_f64 v[108:109], v[104:105], v[64:65]
	v_accvgpr_read_b32 v12, a138
	ds_read_b128 v[104:107], v248 offset:1584
	v_mul_f64 v[64:65], v[194:195], v[74:75]
	v_accvgpr_read_b32 v14, a140
	v_accvgpr_read_b32 v15, a141
	v_fma_f64 v[174:175], v[192:193], v[72:73], -v[64:65]
	v_accvgpr_read_b32 v13, a139
	v_mul_f64 v[72:73], v[100:101], v[14:15]
	v_fmac_f64_e32 v[72:73], v[102:103], v[12:13]
	s_waitcnt vmcnt(7)
	v_mov_b64_e32 v[12:13], v[16:17]
	v_accvgpr_write_b32 a129, v23
	v_mul_f64 v[68:69], v[198:199], v[78:79]
	v_mov_b64_e32 v[14:15], v[18:19]
	v_accvgpr_write_b32 a128, v22
	v_accvgpr_write_b32 a127, v21
	;; [unrolled: 1-line block ×3, first 2 shown]
	v_fma_f64 v[20:21], v[196:197], v[76:77], -v[68:69]
	v_add_f64 v[76:77], v[108:109], v[72:73]
	ds_read_b128 v[108:111], v248 offset:1600
	s_waitcnt lgkmcnt(1)
	v_mul_f64 v[78:79], v[104:105], v[14:15]
	v_fmac_f64_e32 v[78:79], v[106:107], v[12:13]
	v_add_f64 v[30:31], v[76:77], v[78:79]
	v_mul_f64 v[76:77], v[218:219], v[114:115]
	v_fma_f64 v[16:17], v[216:217], v[112:113], -v[76:77]
	ds_read_b128 v[112:115], v248 offset:1616
	v_accvgpr_write_b32 a165, v15
	v_mul_f64 v[72:73], v[206:207], v[82:83]
	v_accvgpr_write_b32 a164, v14
	v_accvgpr_write_b32 a163, v13
	;; [unrolled: 1-line block ×3, first 2 shown]
	v_accvgpr_read_b32 v12, a142
	v_fma_f64 v[94:95], v[204:205], v[80:81], -v[72:73]
	v_mul_f64 v[72:73], v[214:215], v[86:87]
	v_accvgpr_read_b32 v14, a144
	v_accvgpr_read_b32 v15, a145
	v_mul_f64 v[28:29], v[222:223], v[118:119]
	v_accvgpr_read_b32 v32, a146
	v_fma_f64 v[18:19], v[212:213], v[84:85], -v[72:73]
	v_accvgpr_read_b32 v13, a143
	s_waitcnt lgkmcnt(1)
	v_mul_f64 v[84:85], v[108:109], v[14:15]
	v_fma_f64 v[28:29], v[220:221], v[116:117], -v[28:29]
	v_mul_f64 v[116:117], v[226:227], v[122:123]
	v_accvgpr_read_b32 v34, a148
	v_accvgpr_read_b32 v35, a149
	v_fmac_f64_e32 v[84:85], v[110:111], v[12:13]
	v_fma_f64 v[14:15], v[224:225], v[120:121], -v[116:117]
	ds_read_b128 v[116:119], v248 offset:1632
	v_accvgpr_read_b32 v33, a147
	s_waitcnt lgkmcnt(1)
	v_mul_f64 v[120:121], v[112:113], v[34:35]
	v_add_f64 v[30:31], v[30:31], v[84:85]
	v_fmac_f64_e32 v[120:121], v[114:115], v[32:33]
	v_add_f64 v[30:31], v[30:31], v[120:121]
	v_mul_f64 v[120:121], v[230:231], v[126:127]
	v_fma_f64 v[12:13], v[228:229], v[124:125], -v[120:121]
	ds_read_b128 v[120:123], v248 offset:1648
	ds_read_b128 v[124:127], v248 offset:1664
	s_waitcnt vmcnt(6)
	v_mov_b64_e32 v[32:33], v[136:137]
	v_mov_b64_e32 v[34:35], v[138:139]
	s_waitcnt lgkmcnt(2)
	v_mul_f64 v[22:23], v[116:117], v[34:35]
	v_fmac_f64_e32 v[22:23], v[118:119], v[32:33]
	v_accvgpr_read_b32 v32, a150
	v_accvgpr_read_b32 v34, a152
	;; [unrolled: 1-line block ×3, first 2 shown]
	v_add_f64 v[22:23], v[30:31], v[22:23]
	v_accvgpr_read_b32 v33, a151
	s_waitcnt lgkmcnt(1)
	v_mul_f64 v[30:31], v[120:121], v[34:35]
	v_fmac_f64_e32 v[30:31], v[122:123], v[32:33]
	v_add_f64 v[22:23], v[22:23], v[30:31]
	v_mul_f64 v[30:31], v[234:235], v[130:131]
	v_fma_f64 v[30:31], v[232:233], v[128:129], -v[30:31]
	ds_read_b128 v[128:131], v248 offset:1680
	v_accvgpr_read_b32 v32, a154
	v_accvgpr_write_b32 a169, v139
	v_accvgpr_read_b32 v34, a156
	v_accvgpr_read_b32 v35, a157
	v_accvgpr_write_b32 a168, v138
	v_accvgpr_write_b32 a167, v137
	;; [unrolled: 1-line block ×3, first 2 shown]
	v_accvgpr_read_b32 v33, a155
	s_waitcnt lgkmcnt(1)
	v_mul_f64 v[136:137], v[124:125], v[34:35]
	v_fmac_f64_e32 v[136:137], v[126:127], v[32:33]
	v_mul_f64 v[134:135], v[238:239], v[134:135]
	v_fma_f64 v[232:233], v[236:237], v[132:133], -v[134:135]
	ds_read_b128 v[132:135], v248 offset:1696
	v_add_f64 v[22:23], v[22:23], v[136:137]
	s_waitcnt vmcnt(5) lgkmcnt(1)
	v_mul_f64 v[136:137], v[128:129], v[42:43]
	v_fmac_f64_e32 v[136:137], v[130:131], v[40:41]
	v_add_f64 v[22:23], v[22:23], v[136:137]
	ds_read_b128 v[136:139], v248 offset:1712
	scratch_load_dwordx4 v[64:67], off, off offset:800
	scratch_load_dwordx4 v[68:71], off, off offset:816
	v_mul_f64 v[142:143], v[242:243], v[142:143]
	v_fma_f64 v[234:235], v[240:241], v[140:141], -v[142:143]
	ds_read_b128 v[140:143], v248 offset:1728
	s_waitcnt vmcnt(6) lgkmcnt(2)
	v_mul_f64 v[176:177], v[132:133], v[46:47]
	v_fmac_f64_e32 v[176:177], v[134:135], v[44:45]
	scratch_load_dwordx4 v[72:75], off, off offset:832
	scratch_load_dwordx4 v[80:83], off, off offset:848
	v_add_f64 v[22:23], v[22:23], v[176:177]
	s_waitcnt vmcnt(7) lgkmcnt(1)
	v_mul_f64 v[176:177], v[136:137], v[50:51]
	v_fmac_f64_e32 v[176:177], v[138:139], v[48:49]
	ds_read_b128 v[240:243], v248 offset:1760
	v_add_f64 v[22:23], v[22:23], v[176:177]
	s_waitcnt vmcnt(6) lgkmcnt(1)
	v_mul_f64 v[176:177], v[140:141], v[54:55]
	v_fmac_f64_e32 v[176:177], v[142:143], v[52:53]
	scratch_load_dwordx4 v[76:79], off, off offset:864
	scratch_load_dwordx4 v[84:87], off, off offset:880
	v_add_f64 v[22:23], v[22:23], v[176:177]
	s_waitcnt vmcnt(7)
	v_mul_f64 v[176:177], v[144:145], v[58:59]
	v_fmac_f64_e32 v[176:177], v[146:147], v[56:57]
	v_mul_f64 v[154:155], v[252:253], v[154:155]
	v_add_f64 v[22:23], v[22:23], v[176:177]
	v_fma_f64 v[236:237], v[250:251], v[152:153], -v[154:155]
	ds_read_b128 v[152:155], v248 offset:1776
	s_waitcnt vmcnt(6) lgkmcnt(1)
	v_mul_f64 v[176:177], v[240:241], v[62:63]
	v_fmac_f64_e32 v[176:177], v[242:243], v[60:61]
	v_mul_f64 v[2:3], v[2:3], v[158:159]
	v_fma_f64 v[0:1], v[0:1], v[156:157], -v[2:3]
	v_add_f64 v[2:3], v[22:23], v[176:177]
	scratch_load_dwordx4 v[176:179], off, off offset:896
	scratch_load_dwordx4 v[184:187], off, off offset:912
	scratch_load_dwordx4 v[192:195], off, off offset:928
	v_mul_f64 v[6:7], v[6:7], v[202:203]
	v_fma_f64 v[238:239], v[4:5], v[200:201], -v[6:7]
	scratch_load_dwordx4 v[200:203], off, off offset:944
	v_mul_f64 v[10:11], v[10:11], v[210:211]
	v_fma_f64 v[244:245], v[8:9], v[208:209], -v[10:11]
	scratch_load_dwordx4 v[208:211], off, off offset:960
	scratch_load_dwordx4 v[216:219], off, off offset:976
	;; [unrolled: 1-line block ×3, first 2 shown]
	ds_read_b128 v[156:159], v248 offset:1792
	ds_read_b128 v[32:35], v248 offset:1808
	ds_read_b128 v[4:7], v248 offset:1824
	ds_read_b128 v[8:11], v248 offset:1840
	ds_read_b128 v[250:253], v248 offset:1856
	ds_read_b128 v[180:183], v248 offset:1872
	ds_read_b128 v[188:191], v248 offset:1888
	ds_read_b128 v[196:199], v248 offset:1904
	ds_read_b128 v[204:207], v248 offset:1920
	ds_read_b128 v[212:215], v248 offset:1936
	ds_read_b128 v[220:223], v248 offset:1952
	ds_read_b128 v[228:231], v248 offset:1968
	s_waitcnt vmcnt(12) lgkmcnt(12)
	v_mul_f64 v[22:23], v[152:153], v[66:67]
	v_fmac_f64_e32 v[22:23], v[154:155], v[64:65]
	v_add_f64 v[2:3], v[2:3], v[22:23]
	s_waitcnt vmcnt(11) lgkmcnt(11)
	v_mul_f64 v[22:23], v[156:157], v[70:71]
	v_fmac_f64_e32 v[22:23], v[158:159], v[68:69]
	v_add_f64 v[2:3], v[2:3], v[22:23]
	;; [unrolled: 4-line block ×13, first 2 shown]
	v_accvgpr_write_b32 a173, v3
	v_accvgpr_write_b32 a172, v2
	v_accvgpr_read_b32 v3, a1
	v_accvgpr_read_b32 v2, a0
	;; [unrolled: 1-line block ×3, first 2 shown]
	v_add_f64 v[2:3], v[2:3], 0
	v_accvgpr_read_b32 v23, a171
	v_add_f64 v[2:3], v[2:3], v[22:23]
	v_add_f64 v[2:3], v[2:3], v[92:93]
	v_add_f64 v[2:3], v[2:3], v[90:91]
	v_add_f64 v[2:3], v[2:3], v[88:89]
	v_add_f64 v[2:3], v[2:3], v[26:27]
	v_add_f64 v[2:3], v[2:3], v[24:25]
	v_add_f64 v[2:3], v[2:3], v[148:149]
	v_add_f64 v[2:3], v[2:3], v[150:151]
	v_add_f64 v[2:3], v[2:3], v[160:161]
	v_add_f64 v[2:3], v[2:3], v[162:163]
	v_add_f64 v[2:3], v[2:3], v[164:165]
	v_add_f64 v[2:3], v[2:3], v[166:167]
	v_add_f64 v[2:3], v[2:3], v[168:169]
	v_add_f64 v[2:3], v[2:3], v[170:171]
	v_add_f64 v[2:3], v[2:3], v[172:173]
	v_add_f64 v[2:3], v[2:3], v[174:175]
	v_add_f64 v[2:3], v[2:3], v[20:21]
	v_add_f64 v[2:3], v[2:3], v[94:95]
	v_add_f64 v[2:3], v[2:3], v[18:19]
	v_add_f64 v[2:3], v[2:3], v[16:17]
	v_add_f64 v[2:3], v[2:3], v[28:29]
	v_add_f64 v[2:3], v[2:3], v[14:15]
	v_add_f64 v[2:3], v[2:3], v[12:13]
	v_add_f64 v[2:3], v[2:3], v[30:31]
	v_add_f64 v[2:3], v[2:3], v[232:233]
	v_add_f64 v[2:3], v[2:3], v[234:235]
	scratch_load_dwordx4 v[232:235], off, off offset:16
	v_add_f64 v[2:3], v[2:3], v[246:247]
	v_accvgpr_read_b32 v12, a126
	v_accvgpr_read_b32 v16, a158
	v_add_f64 v[2:3], v[2:3], v[236:237]
	v_accvgpr_read_b32 v14, a128
	v_accvgpr_read_b32 v15, a129
	;; [unrolled: 1-line block ×4, first 2 shown]
	v_add_f64 v[246:247], v[2:3], v[0:1]
	v_accvgpr_read_b32 v13, a127
	v_accvgpr_read_b32 v17, a159
	v_mul_f64 v[2:3], v[14:15], v[18:19]
	v_add_f64 v[0:1], v[246:247], v[238:239]
	v_fma_f64 v[2:3], v[12:13], v[16:17], -v[2:3]
	v_accvgpr_read_b32 v12, a130
	v_add_f64 v[0:1], v[0:1], v[244:245]
	v_accvgpr_read_b32 v14, a132
	v_accvgpr_read_b32 v15, a133
	v_add_f64 v[0:1], v[0:1], v[2:3]
	v_accvgpr_read_b32 v13, a131
	v_mul_f64 v[2:3], v[38:39], v[14:15]
	v_fma_f64 v[2:3], v[36:37], v[12:13], -v[2:3]
	v_accvgpr_read_b32 v12, a134
	v_accvgpr_read_b32 v14, a136
	v_accvgpr_read_b32 v15, a137
	v_add_f64 v[0:1], v[0:1], v[2:3]
	v_accvgpr_read_b32 v13, a135
	v_mul_f64 v[2:3], v[98:99], v[14:15]
	v_fma_f64 v[2:3], v[96:97], v[12:13], -v[2:3]
	v_accvgpr_read_b32 v12, a138
	;; [unrolled: 7-line block ×8, first 2 shown]
	v_accvgpr_read_b32 v14, a156
	v_accvgpr_read_b32 v15, a157
	v_add_f64 v[0:1], v[0:1], v[2:3]
	v_accvgpr_read_b32 v13, a155
	v_mul_f64 v[2:3], v[126:127], v[14:15]
	v_fma_f64 v[2:3], v[124:125], v[12:13], -v[2:3]
	v_add_f64 v[0:1], v[0:1], v[2:3]
	v_mul_f64 v[2:3], v[130:131], v[42:43]
	v_fma_f64 v[2:3], v[128:129], v[40:41], -v[2:3]
	v_add_f64 v[0:1], v[0:1], v[2:3]
	;; [unrolled: 3-line block ×20, first 2 shown]
	v_accvgpr_read_b32 v2, a172
	v_accvgpr_read_b32 v3, a173
	s_waitcnt vmcnt(0)
	v_add_f64 v[0:1], v[232:233], -v[0:1]
	v_add_f64 v[2:3], v[234:235], -v[2:3]
	scratch_store_dwordx4 off, v[0:3], off offset:16
	s_cbranch_vccz .LBB125_520
; %bb.398:
	global_load_dword v0, v248, s[12:13] offset:240
	s_waitcnt vmcnt(0)
	v_readfirstlane_b32 s0, v0
	s_add_i32 s0, s0, -1
	s_cmp_lg_u32 s0, 60
	s_cbranch_scc0 .LBB125_400
; %bb.399:
	s_lshl_b32 s0, s0, 4
	s_add_i32 s0, s0, 16
	scratch_load_dwordx4 v[0:3], off, s0
	scratch_load_dwordx4 v[4:7], off, s15
	s_waitcnt vmcnt(1)
	scratch_store_dwordx4 off, v[0:3], s15
	s_waitcnt vmcnt(1)
	scratch_store_dwordx4 off, v[4:7], s0
.LBB125_400:
	v_mov_b32_e32 v0, 0
	global_load_dword v1, v0, s[12:13] offset:236
	s_waitcnt vmcnt(0)
	v_readfirstlane_b32 s0, v1
	s_add_i32 s0, s0, -1
	s_cmp_eq_u32 s0, 59
	s_cbranch_scc1 .LBB125_402
; %bb.401:
	s_lshl_b32 s0, s0, 4
	s_add_i32 s0, s0, 16
	scratch_load_dwordx4 v[2:5], off, s0
	scratch_load_dwordx4 v[6:9], off, s49
	s_waitcnt vmcnt(1)
	scratch_store_dwordx4 off, v[2:5], s49
	s_waitcnt vmcnt(1)
	scratch_store_dwordx4 off, v[6:9], s0
.LBB125_402:
	global_load_dword v0, v0, s[12:13] offset:232
	s_waitcnt vmcnt(0)
	v_readfirstlane_b32 s0, v0
	s_add_i32 s0, s0, -1
	s_cmp_eq_u32 s0, 58
	s_cbranch_scc1 .LBB125_404
; %bb.403:
	s_lshl_b32 s0, s0, 4
	s_add_i32 s0, s0, 16
	scratch_load_dwordx4 v[0:3], off, s0
	scratch_load_dwordx4 v[4:7], off, s88
	s_waitcnt vmcnt(1)
	scratch_store_dwordx4 off, v[0:3], s88
	s_waitcnt vmcnt(1)
	scratch_store_dwordx4 off, v[4:7], s0
.LBB125_404:
	v_mov_b32_e32 v0, 0
	global_load_dword v1, v0, s[12:13] offset:228
	s_waitcnt vmcnt(0)
	v_readfirstlane_b32 s0, v1
	s_add_i32 s0, s0, -1
	s_cmp_eq_u32 s0, 57
	s_cbranch_scc1 .LBB125_406
; %bb.405:
	s_lshl_b32 s0, s0, 4
	s_add_i32 s0, s0, 16
	scratch_load_dwordx4 v[2:5], off, s0
	scratch_load_dwordx4 v[6:9], off, s30
	s_waitcnt vmcnt(1)
	scratch_store_dwordx4 off, v[2:5], s30
	s_waitcnt vmcnt(1)
	scratch_store_dwordx4 off, v[6:9], s0
.LBB125_406:
	global_load_dword v0, v0, s[12:13] offset:224
	s_waitcnt vmcnt(0)
	v_readfirstlane_b32 s0, v0
	s_add_i32 s0, s0, -1
	s_cmp_eq_u32 s0, 56
	s_cbranch_scc1 .LBB125_408
; %bb.407:
	s_lshl_b32 s0, s0, 4
	s_add_i32 s0, s0, 16
	scratch_load_dwordx4 v[0:3], off, s0
	scratch_load_dwordx4 v[4:7], off, s31
	s_waitcnt vmcnt(1)
	scratch_store_dwordx4 off, v[0:3], s31
	s_waitcnt vmcnt(1)
	scratch_store_dwordx4 off, v[4:7], s0
.LBB125_408:
	;; [unrolled: 33-line block ×29, first 2 shown]
	v_mov_b32_e32 v0, 0
	global_load_dword v1, v0, s[12:13] offset:4
	s_waitcnt vmcnt(0)
	v_readfirstlane_b32 s0, v1
	s_add_i32 s0, s0, -1
	s_cmp_eq_u32 s0, 1
	s_cbranch_scc1 .LBB125_518
; %bb.517:
	s_lshl_b32 s0, s0, 4
	s_add_i32 s0, s0, 16
	scratch_load_dwordx4 v[2:5], off, s0
	scratch_load_dwordx4 v[6:9], off, s87
	s_waitcnt vmcnt(1)
	scratch_store_dwordx4 off, v[2:5], s87
	s_waitcnt vmcnt(1)
	scratch_store_dwordx4 off, v[6:9], s0
.LBB125_518:
	global_load_dword v0, v0, s[12:13]
	s_waitcnt vmcnt(0)
	v_readfirstlane_b32 s0, v0
	s_add_i32 s0, s0, -1
	s_cmp_eq_u32 s0, 0
	s_cbranch_scc1 .LBB125_520
; %bb.519:
	s_lshl_b32 s0, s0, 4
	s_add_i32 s0, s0, 16
	scratch_load_dwordx4 v[0:3], off, s0
	scratch_load_dwordx4 v[4:7], off, off offset:16
	s_waitcnt vmcnt(1)
	scratch_store_dwordx4 off, v[0:3], off offset:16
	s_waitcnt vmcnt(1)
	scratch_store_dwordx4 off, v[4:7], s0
.LBB125_520:
	scratch_load_dwordx4 v[0:3], off, off offset:16
	s_nop 0
	v_accvgpr_read_b32 v5, a3
	v_accvgpr_read_b32 v4, a2
	s_waitcnt vmcnt(0)
	flat_store_dwordx4 v[4:5], v[0:3]
	scratch_load_dwordx4 v[0:3], off, s87
	v_accvgpr_read_b32 v4, a4
	v_accvgpr_read_b32 v5, a5
	s_waitcnt vmcnt(0)
	flat_store_dwordx4 v[4:5], v[0:3]
	scratch_load_dwordx4 v[0:3], off, s86
	;; [unrolled: 5-line block ×61, first 2 shown]
	v_accvgpr_read_b32 v4, a124
	v_accvgpr_read_b32 v5, a125
	s_waitcnt vmcnt(0)
	flat_store_dwordx4 v[4:5], v[0:3]
	s_endpgm
	.section	.rodata,"a",@progbits
	.p2align	6, 0x0
	.amdhsa_kernel _ZN9rocsolver6v33100L18getri_kernel_smallILi62E19rocblas_complex_numIdEPKPS3_EEvT1_iilPiilS8_bb
		.amdhsa_group_segment_fixed_size 1992
		.amdhsa_private_segment_fixed_size 1024
		.amdhsa_kernarg_size 60
		.amdhsa_user_sgpr_count 2
		.amdhsa_user_sgpr_dispatch_ptr 0
		.amdhsa_user_sgpr_queue_ptr 0
		.amdhsa_user_sgpr_kernarg_segment_ptr 1
		.amdhsa_user_sgpr_dispatch_id 0
		.amdhsa_user_sgpr_kernarg_preload_length 0
		.amdhsa_user_sgpr_kernarg_preload_offset 0
		.amdhsa_user_sgpr_private_segment_size 0
		.amdhsa_uses_dynamic_stack 0
		.amdhsa_enable_private_segment 1
		.amdhsa_system_sgpr_workgroup_id_x 1
		.amdhsa_system_sgpr_workgroup_id_y 0
		.amdhsa_system_sgpr_workgroup_id_z 0
		.amdhsa_system_sgpr_workgroup_info 0
		.amdhsa_system_vgpr_workitem_id 0
		.amdhsa_next_free_vgpr 430
		.amdhsa_next_free_sgpr 98
		.amdhsa_accum_offset 256
		.amdhsa_reserve_vcc 1
		.amdhsa_float_round_mode_32 0
		.amdhsa_float_round_mode_16_64 0
		.amdhsa_float_denorm_mode_32 3
		.amdhsa_float_denorm_mode_16_64 3
		.amdhsa_dx10_clamp 1
		.amdhsa_ieee_mode 1
		.amdhsa_fp16_overflow 0
		.amdhsa_tg_split 0
		.amdhsa_exception_fp_ieee_invalid_op 0
		.amdhsa_exception_fp_denorm_src 0
		.amdhsa_exception_fp_ieee_div_zero 0
		.amdhsa_exception_fp_ieee_overflow 0
		.amdhsa_exception_fp_ieee_underflow 0
		.amdhsa_exception_fp_ieee_inexact 0
		.amdhsa_exception_int_div_zero 0
	.end_amdhsa_kernel
	.section	.text._ZN9rocsolver6v33100L18getri_kernel_smallILi62E19rocblas_complex_numIdEPKPS3_EEvT1_iilPiilS8_bb,"axG",@progbits,_ZN9rocsolver6v33100L18getri_kernel_smallILi62E19rocblas_complex_numIdEPKPS3_EEvT1_iilPiilS8_bb,comdat
.Lfunc_end125:
	.size	_ZN9rocsolver6v33100L18getri_kernel_smallILi62E19rocblas_complex_numIdEPKPS3_EEvT1_iilPiilS8_bb, .Lfunc_end125-_ZN9rocsolver6v33100L18getri_kernel_smallILi62E19rocblas_complex_numIdEPKPS3_EEvT1_iilPiilS8_bb
                                        ; -- End function
	.set _ZN9rocsolver6v33100L18getri_kernel_smallILi62E19rocblas_complex_numIdEPKPS3_EEvT1_iilPiilS8_bb.num_vgpr, 256
	.set _ZN9rocsolver6v33100L18getri_kernel_smallILi62E19rocblas_complex_numIdEPKPS3_EEvT1_iilPiilS8_bb.num_agpr, 174
	.set _ZN9rocsolver6v33100L18getri_kernel_smallILi62E19rocblas_complex_numIdEPKPS3_EEvT1_iilPiilS8_bb.numbered_sgpr, 98
	.set _ZN9rocsolver6v33100L18getri_kernel_smallILi62E19rocblas_complex_numIdEPKPS3_EEvT1_iilPiilS8_bb.num_named_barrier, 0
	.set _ZN9rocsolver6v33100L18getri_kernel_smallILi62E19rocblas_complex_numIdEPKPS3_EEvT1_iilPiilS8_bb.private_seg_size, 1024
	.set _ZN9rocsolver6v33100L18getri_kernel_smallILi62E19rocblas_complex_numIdEPKPS3_EEvT1_iilPiilS8_bb.uses_vcc, 1
	.set _ZN9rocsolver6v33100L18getri_kernel_smallILi62E19rocblas_complex_numIdEPKPS3_EEvT1_iilPiilS8_bb.uses_flat_scratch, 0
	.set _ZN9rocsolver6v33100L18getri_kernel_smallILi62E19rocblas_complex_numIdEPKPS3_EEvT1_iilPiilS8_bb.has_dyn_sized_stack, 0
	.set _ZN9rocsolver6v33100L18getri_kernel_smallILi62E19rocblas_complex_numIdEPKPS3_EEvT1_iilPiilS8_bb.has_recursion, 0
	.set _ZN9rocsolver6v33100L18getri_kernel_smallILi62E19rocblas_complex_numIdEPKPS3_EEvT1_iilPiilS8_bb.has_indirect_call, 0
	.section	.AMDGPU.csdata,"",@progbits
; Kernel info:
; codeLenInByte = 163232
; TotalNumSgprs: 104
; NumVgprs: 256
; NumAgprs: 174
; TotalNumVgprs: 430
; ScratchSize: 1024
; MemoryBound: 0
; FloatMode: 240
; IeeeMode: 1
; LDSByteSize: 1992 bytes/workgroup (compile time only)
; SGPRBlocks: 12
; VGPRBlocks: 53
; NumSGPRsForWavesPerEU: 104
; NumVGPRsForWavesPerEU: 430
; AccumOffset: 256
; Occupancy: 1
; WaveLimiterHint : 1
; COMPUTE_PGM_RSRC2:SCRATCH_EN: 1
; COMPUTE_PGM_RSRC2:USER_SGPR: 2
; COMPUTE_PGM_RSRC2:TRAP_HANDLER: 0
; COMPUTE_PGM_RSRC2:TGID_X_EN: 1
; COMPUTE_PGM_RSRC2:TGID_Y_EN: 0
; COMPUTE_PGM_RSRC2:TGID_Z_EN: 0
; COMPUTE_PGM_RSRC2:TIDIG_COMP_CNT: 0
; COMPUTE_PGM_RSRC3_GFX90A:ACCUM_OFFSET: 63
; COMPUTE_PGM_RSRC3_GFX90A:TG_SPLIT: 0
	.section	.text._ZN9rocsolver6v33100L18getri_kernel_smallILi63E19rocblas_complex_numIdEPKPS3_EEvT1_iilPiilS8_bb,"axG",@progbits,_ZN9rocsolver6v33100L18getri_kernel_smallILi63E19rocblas_complex_numIdEPKPS3_EEvT1_iilPiilS8_bb,comdat
	.globl	_ZN9rocsolver6v33100L18getri_kernel_smallILi63E19rocblas_complex_numIdEPKPS3_EEvT1_iilPiilS8_bb ; -- Begin function _ZN9rocsolver6v33100L18getri_kernel_smallILi63E19rocblas_complex_numIdEPKPS3_EEvT1_iilPiilS8_bb
	.p2align	8
	.type	_ZN9rocsolver6v33100L18getri_kernel_smallILi63E19rocblas_complex_numIdEPKPS3_EEvT1_iilPiilS8_bb,@function
_ZN9rocsolver6v33100L18getri_kernel_smallILi63E19rocblas_complex_numIdEPKPS3_EEvT1_iilPiilS8_bb: ; @_ZN9rocsolver6v33100L18getri_kernel_smallILi63E19rocblas_complex_numIdEPKPS3_EEvT1_iilPiilS8_bb
; %bb.0:
	v_cmp_gt_u32_e32 vcc, 63, v0
	s_and_saveexec_b64 s[4:5], vcc
	s_cbranch_execz .LBB126_278
; %bb.1:
	s_load_dword s12, s[0:1], 0x38
	s_load_dwordx2 s[4:5], s[0:1], 0x0
	s_load_dwordx4 s[8:11], s[0:1], 0x28
                                        ; implicit-def: $vgpr255 : SGPR spill to VGPR lane
	s_waitcnt lgkmcnt(0)
	s_bitcmp1_b32 s12, 8
	s_cselect_b64 s[6:7], -1, 0
	v_writelane_b32 v255, s6, 0
	s_ashr_i32 s3, s2, 31
	s_nop 0
	v_writelane_b32 v255, s7, 1
	s_lshl_b64 s[6:7], s[2:3], 3
	s_add_u32 s4, s4, s6
	s_addc_u32 s5, s5, s7
	s_load_dwordx2 s[6:7], s[4:5], 0x0
	s_bfe_u32 s4, s12, 0x10008
	s_cmp_eq_u32 s4, 0
                                        ; implicit-def: $sgpr12_sgpr13
	s_cbranch_scc1 .LBB126_3
; %bb.2:
	s_load_dword s4, s[0:1], 0x20
	s_load_dwordx2 s[12:13], s[0:1], 0x18
	s_mul_i32 s5, s8, s3
	s_mul_hi_u32 s16, s8, s2
	s_add_i32 s16, s16, s5
	s_mul_i32 s9, s9, s2
	s_add_i32 s9, s16, s9
	s_mul_i32 s8, s8, s2
	s_waitcnt lgkmcnt(0)
	s_ashr_i32 s5, s4, 31
	s_lshl_b64 s[8:9], s[8:9], 2
	s_add_u32 s8, s12, s8
	s_addc_u32 s9, s13, s9
	s_lshl_b64 s[4:5], s[4:5], 2
	s_add_u32 s12, s8, s4
	s_addc_u32 s13, s9, s5
.LBB126_3:
	s_load_dwordx2 s[4:5], s[0:1], 0x8
	s_load_dword s8, s[0:1], 0x38
	v_lshlrev_b32_e32 v14, 4, v0
	v_mov_b32_e32 v15, 0
	s_movk_i32 s9, 0x80
	s_waitcnt lgkmcnt(0)
	s_ashr_i32 s1, s4, 31
	s_mov_b32 s0, s4
	s_lshl_b64 s[0:1], s[0:1], 4
	s_add_u32 s0, s6, s0
	s_addc_u32 s1, s7, s1
	v_lshl_add_u64 v[6:7], s[0:1], 0, v[14:15]
	flat_load_dwordx4 v[2:5], v[6:7]
	s_mov_b32 s6, s5
	s_ashr_i32 s7, s5, 31
	v_accvgpr_write_b32 a2, v6
	v_accvgpr_write_b32 a3, v7
	v_lshl_add_u64 v[6:7], s[6:7], 4, v[6:7]
	v_accvgpr_write_b32 a4, v6
	s_add_i32 s4, s5, s5
	v_accvgpr_write_b32 a5, v7
	s_movk_i32 s6, 0x60
	s_movk_i32 s7, 0x70
	;; [unrolled: 1-line block ×43, first 2 shown]
	s_movk_i32 vcc_lo, 0x350
	s_movk_i32 vcc_hi, 0x360
	s_movk_i32 s14, 0x370
	s_movk_i32 s15, 0x380
	;; [unrolled: 1-line block ×8, first 2 shown]
	s_add_i32 s83, s6, 16
	s_add_i32 s82, s7, 16
	;; [unrolled: 1-line block ×18, first 2 shown]
	s_waitcnt vmcnt(0) lgkmcnt(0)
	scratch_store_dwordx4 off, v[2:5], off offset:16
	flat_load_dwordx4 v[2:5], v[6:7]
	v_add_u32_e32 v6, s4, v0
	v_ashrrev_i32_e32 v7, 31, v6
	v_lshl_add_u64 v[8:9], v[6:7], 4, s[0:1]
	v_add_u32_e32 v6, s5, v6
	v_accvgpr_write_b32 a6, v8
	v_ashrrev_i32_e32 v7, 31, v6
	v_accvgpr_write_b32 a7, v9
	s_movk_i32 s4, 0x50
	s_add_i32 s84, s4, 16
	s_add_i32 s65, s31, 16
	;; [unrolled: 1-line block ×27, first 2 shown]
	s_add_i32 s36, vcc_lo, 16
	s_add_i32 s35, vcc_hi, 16
	s_add_i32 s34, s14, 16
	s_add_i32 s33, s15, 16
	s_add_i32 s90, s49, 16
	s_add_i32 s89, s50, 16
	s_add_i32 s50, s51, 16
	s_add_i32 s49, s52, 16
	s_add_i32 s15, s53, 16
	s_add_i32 s14, s54, 16
	s_mov_b32 s88, 32
	s_mov_b32 s87, 48
	;; [unrolled: 1-line block ×3, first 2 shown]
	s_movk_i32 s85, 0x50
	s_waitcnt vmcnt(0) lgkmcnt(0)
	scratch_store_dwordx4 off, v[2:5], off offset:32
	flat_load_dwordx4 v[2:5], v[8:9]
	v_lshl_add_u64 v[8:9], v[6:7], 4, s[0:1]
	v_add_u32_e32 v6, s5, v6
	v_accvgpr_write_b32 a8, v8
	v_ashrrev_i32_e32 v7, 31, v6
	v_accvgpr_write_b32 a9, v9
	s_waitcnt vmcnt(0) lgkmcnt(0)
	scratch_store_dwordx4 off, v[2:5], off offset:48
	flat_load_dwordx4 v[2:5], v[8:9]
	v_lshl_add_u64 v[8:9], v[6:7], 4, s[0:1]
	v_add_u32_e32 v6, s5, v6
	v_accvgpr_write_b32 a11, v9
	v_ashrrev_i32_e32 v7, 31, v6
	v_accvgpr_write_b32 a10, v8
	;; [unrolled: 8-line block ×58, first 2 shown]
	s_waitcnt vmcnt(0) lgkmcnt(0)
	scratch_store_dwordx4 off, v[2:5], off offset:960
	flat_load_dwordx4 v[2:5], v[8:9]
	v_lshl_add_u64 v[8:9], v[6:7], 4, s[0:1]
	v_add_u32_e32 v6, s5, v6
	v_ashrrev_i32_e32 v7, 31, v6
	v_lshl_add_u64 v[6:7], v[6:7], 4, s[0:1]
	s_movk_i32 s0, 0x2f0
	s_movk_i32 s1, 0x300
	;; [unrolled: 1-line block ×3, first 2 shown]
	v_accvgpr_write_b32 a125, v9
	v_accvgpr_write_b32 a127, v7
	s_add_i32 s42, s0, 16
	s_add_i32 s41, s1, 16
	;; [unrolled: 1-line block ×3, first 2 shown]
	v_accvgpr_write_b32 a124, v8
	v_accvgpr_write_b32 a126, v6
	s_bitcmp0_b32 s8, 0
	s_mov_b64 s[4:5], -1
	s_waitcnt vmcnt(0) lgkmcnt(0)
	scratch_store_dwordx4 off, v[2:5], off offset:976
	flat_load_dwordx4 v[2:5], v[8:9]
	s_waitcnt vmcnt(0) lgkmcnt(0)
	scratch_store_dwordx4 off, v[2:5], off offset:992
	flat_load_dwordx4 v[2:5], v[6:7]
	s_waitcnt vmcnt(0) lgkmcnt(0)
	scratch_store_dwordx4 off, v[2:5], off offset:1008
	s_cbranch_scc1 .LBB126_276
; %bb.4:
	v_cmp_eq_u32_e64 s[0:1], 0, v0
	s_and_saveexec_b64 s[4:5], s[0:1]
; %bb.5:
	v_mov_b32_e32 v1, 0
	ds_write_b32 v1, v1 offset:2016
; %bb.6:
	s_or_b64 exec, exec, s[4:5]
	s_waitcnt lgkmcnt(0)
	; wave barrier
	scratch_load_dwordx4 v[2:5], v14, off offset:16
	s_waitcnt vmcnt(0)
	v_cmp_eq_f64_e32 vcc, 0, v[2:3]
	v_cmp_eq_f64_e64 s[4:5], 0, v[4:5]
	s_and_b64 s[4:5], vcc, s[4:5]
	s_and_saveexec_b64 s[6:7], s[4:5]
	s_cbranch_execz .LBB126_10
; %bb.7:
	v_mov_b32_e32 v1, 0
	ds_read_b32 v3, v1 offset:2016
	v_add_u32_e32 v2, 1, v0
	s_waitcnt lgkmcnt(0)
	v_readfirstlane_b32 s4, v3
	s_cmp_eq_u32 s4, 0
	s_cselect_b64 s[8:9], -1, 0
	v_cmp_gt_i32_e32 vcc, s4, v2
	s_or_b64 s[8:9], s[8:9], vcc
	s_and_b64 exec, exec, s[8:9]
	s_cbranch_execz .LBB126_10
; %bb.8:
	s_mov_b64 s[8:9], 0
	v_mov_b32_e32 v3, s4
.LBB126_9:                              ; =>This Inner Loop Header: Depth=1
	ds_cmpst_rtn_b32 v3, v1, v3, v2 offset:2016
	s_waitcnt lgkmcnt(0)
	v_cmp_ne_u32_e32 vcc, 0, v3
	v_cmp_le_i32_e64 s[4:5], v3, v2
	s_and_b64 s[4:5], vcc, s[4:5]
	s_and_b64 s[4:5], exec, s[4:5]
	s_or_b64 s[8:9], s[4:5], s[8:9]
	s_andn2_b64 exec, exec, s[8:9]
	s_cbranch_execnz .LBB126_9
.LBB126_10:
	s_or_b64 exec, exec, s[6:7]
	v_mov_b32_e32 v2, 0
	; wave barrier
	ds_read_b32 v1, v2 offset:2016
	s_and_saveexec_b64 s[4:5], s[0:1]
	s_cbranch_execz .LBB126_12
; %bb.11:
	s_lshl_b64 s[6:7], s[2:3], 2
	s_add_u32 s6, s10, s6
	s_addc_u32 s7, s11, s7
	s_waitcnt lgkmcnt(0)
	global_store_dword v2, v1, s[6:7]
.LBB126_12:
	s_or_b64 exec, exec, s[4:5]
	s_waitcnt lgkmcnt(0)
	v_cmp_ne_u32_e32 vcc, 0, v1
	s_mov_b64 s[4:5], 0
	s_cbranch_vccnz .LBB126_276
; %bb.13:
	v_add_u32_e32 v15, 16, v14
	scratch_load_dwordx4 v[2:5], v15, off
                                        ; implicit-def: $vgpr6_vgpr7
                                        ; implicit-def: $vgpr10_vgpr11
	s_waitcnt vmcnt(0)
	v_cmp_ngt_f64_e64 s[4:5], |v[2:3]|, |v[4:5]|
	s_and_saveexec_b64 s[6:7], s[4:5]
	s_xor_b64 s[4:5], exec, s[6:7]
	s_cbranch_execz .LBB126_15
; %bb.14:
	v_div_scale_f64 v[6:7], s[6:7], v[4:5], v[4:5], v[2:3]
	v_rcp_f64_e32 v[8:9], v[6:7]
	v_div_scale_f64 v[10:11], vcc, v[2:3], v[4:5], v[2:3]
	v_fma_f64 v[12:13], -v[6:7], v[8:9], 1.0
	v_fmac_f64_e32 v[8:9], v[8:9], v[12:13]
	v_fma_f64 v[12:13], -v[6:7], v[8:9], 1.0
	v_fmac_f64_e32 v[8:9], v[8:9], v[12:13]
	v_mul_f64 v[12:13], v[10:11], v[8:9]
	v_fma_f64 v[6:7], -v[6:7], v[12:13], v[10:11]
	v_div_fmas_f64 v[6:7], v[6:7], v[8:9], v[12:13]
	v_div_fixup_f64 v[6:7], v[6:7], v[4:5], v[2:3]
	v_fmac_f64_e32 v[4:5], v[2:3], v[6:7]
	v_div_scale_f64 v[2:3], s[6:7], v[4:5], v[4:5], 1.0
	v_rcp_f64_e32 v[8:9], v[2:3]
	s_nop 0
	v_fma_f64 v[10:11], -v[2:3], v[8:9], 1.0
	v_fmac_f64_e32 v[8:9], v[8:9], v[10:11]
	v_fma_f64 v[10:11], -v[2:3], v[8:9], 1.0
	v_fmac_f64_e32 v[8:9], v[8:9], v[10:11]
	v_div_scale_f64 v[10:11], vcc, 1.0, v[4:5], 1.0
	v_mul_f64 v[12:13], v[10:11], v[8:9]
	v_fma_f64 v[2:3], -v[2:3], v[12:13], v[10:11]
	s_nop 1
	v_div_fmas_f64 v[2:3], v[2:3], v[8:9], v[12:13]
	v_div_fixup_f64 v[8:9], v[2:3], v[4:5], 1.0
	v_mul_f64 v[6:7], v[6:7], v[8:9]
	v_xor_b32_e32 v9, 0x80000000, v9
	v_xor_b32_e32 v11, 0x80000000, v7
	v_mov_b32_e32 v10, v6
                                        ; implicit-def: $vgpr2_vgpr3
.LBB126_15:
	s_andn2_saveexec_b64 s[4:5], s[4:5]
	s_cbranch_execz .LBB126_17
; %bb.16:
	v_div_scale_f64 v[6:7], s[6:7], v[2:3], v[2:3], v[4:5]
	v_rcp_f64_e32 v[8:9], v[6:7]
	v_div_scale_f64 v[10:11], vcc, v[4:5], v[2:3], v[4:5]
	v_fma_f64 v[12:13], -v[6:7], v[8:9], 1.0
	v_fmac_f64_e32 v[8:9], v[8:9], v[12:13]
	v_fma_f64 v[12:13], -v[6:7], v[8:9], 1.0
	v_fmac_f64_e32 v[8:9], v[8:9], v[12:13]
	v_mul_f64 v[12:13], v[10:11], v[8:9]
	v_fma_f64 v[6:7], -v[6:7], v[12:13], v[10:11]
	v_div_fmas_f64 v[6:7], v[6:7], v[8:9], v[12:13]
	v_div_fixup_f64 v[8:9], v[6:7], v[2:3], v[4:5]
	v_fmac_f64_e32 v[2:3], v[4:5], v[8:9]
	v_div_scale_f64 v[4:5], s[6:7], v[2:3], v[2:3], 1.0
	v_rcp_f64_e32 v[6:7], v[4:5]
	s_nop 0
	v_fma_f64 v[10:11], -v[4:5], v[6:7], 1.0
	v_fmac_f64_e32 v[6:7], v[6:7], v[10:11]
	v_fma_f64 v[10:11], -v[4:5], v[6:7], 1.0
	v_fmac_f64_e32 v[6:7], v[6:7], v[10:11]
	v_div_scale_f64 v[10:11], vcc, 1.0, v[2:3], 1.0
	v_mul_f64 v[12:13], v[10:11], v[6:7]
	v_fma_f64 v[4:5], -v[4:5], v[12:13], v[10:11]
	s_nop 1
	v_div_fmas_f64 v[4:5], v[4:5], v[6:7], v[12:13]
	v_div_fixup_f64 v[6:7], v[4:5], v[2:3], 1.0
	v_xor_b32_e32 v11, 0x80000000, v7
	v_mov_b32_e32 v10, v6
	v_mul_f64 v[8:9], v[8:9], -v[6:7]
.LBB126_17:
	s_or_b64 exec, exec, s[4:5]
	scratch_store_dwordx4 v15, v[6:9], off
	scratch_load_dwordx4 v[2:5], off, s88
	v_xor_b32_e32 v13, 0x80000000, v9
	v_mov_b32_e32 v12, v8
	v_add_u32_e32 v1, 0x3f0, v14
	ds_write_b128 v14, v[10:13]
	s_waitcnt vmcnt(0)
	ds_write_b128 v14, v[2:5] offset:1008
	s_waitcnt lgkmcnt(0)
	; wave barrier
	s_and_saveexec_b64 s[4:5], s[0:1]
	s_cbranch_execz .LBB126_19
; %bb.18:
	scratch_load_dwordx4 v[2:5], v15, off
	ds_read_b128 v[6:9], v1
	v_mov_b32_e32 v10, 0
	ds_read_b128 v[10:13], v10 offset:16
	s_waitcnt vmcnt(0) lgkmcnt(1)
	v_mul_f64 v[16:17], v[8:9], v[4:5]
	v_mul_f64 v[4:5], v[6:7], v[4:5]
	v_fma_f64 v[6:7], v[6:7], v[2:3], -v[16:17]
	v_fmac_f64_e32 v[4:5], v[8:9], v[2:3]
	v_add_f64 v[2:3], v[6:7], 0
	v_add_f64 v[6:7], v[4:5], 0
	s_waitcnt lgkmcnt(0)
	v_mul_f64 v[8:9], v[6:7], v[12:13]
	v_mul_f64 v[4:5], v[2:3], v[12:13]
	v_fma_f64 v[2:3], v[2:3], v[10:11], -v[8:9]
	v_fmac_f64_e32 v[4:5], v[6:7], v[10:11]
	scratch_store_dwordx4 off, v[2:5], off offset:32
.LBB126_19:
	s_or_b64 exec, exec, s[4:5]
	; wave barrier
	scratch_load_dwordx4 v[2:5], off, s87
	v_cmp_gt_u32_e32 vcc, 2, v0
	s_waitcnt vmcnt(0)
	ds_write_b128 v1, v[2:5]
	s_waitcnt lgkmcnt(0)
	; wave barrier
	s_and_saveexec_b64 s[4:5], vcc
	s_cbranch_execz .LBB126_23
; %bb.20:
	scratch_load_dwordx4 v[2:5], v15, off
	ds_read_b128 v[6:9], v1
	s_waitcnt vmcnt(0) lgkmcnt(0)
	v_mul_f64 v[10:11], v[8:9], v[4:5]
	v_mul_f64 v[12:13], v[6:7], v[4:5]
	v_fma_f64 v[4:5], v[6:7], v[2:3], -v[10:11]
	v_fmac_f64_e32 v[12:13], v[8:9], v[2:3]
	v_add_f64 v[4:5], v[4:5], 0
	v_add_f64 v[2:3], v[12:13], 0
	s_and_saveexec_b64 s[6:7], s[0:1]
	s_cbranch_execz .LBB126_22
; %bb.21:
	scratch_load_dwordx4 v[6:9], off, off offset:32
	v_mov_b32_e32 v10, 0
	ds_read_b128 v[10:13], v10 offset:1024
	s_waitcnt vmcnt(0) lgkmcnt(0)
	v_mul_f64 v[16:17], v[10:11], v[8:9]
	v_mul_f64 v[8:9], v[12:13], v[8:9]
	v_fmac_f64_e32 v[16:17], v[12:13], v[6:7]
	v_fma_f64 v[6:7], v[10:11], v[6:7], -v[8:9]
	v_add_f64 v[2:3], v[2:3], v[16:17]
	v_add_f64 v[4:5], v[4:5], v[6:7]
.LBB126_22:
	s_or_b64 exec, exec, s[6:7]
	v_mov_b32_e32 v6, 0
	ds_read_b128 v[6:9], v6 offset:32
	s_waitcnt lgkmcnt(0)
	v_mul_f64 v[12:13], v[2:3], v[8:9]
	v_mul_f64 v[10:11], v[4:5], v[8:9]
	v_fma_f64 v[8:9], v[4:5], v[6:7], -v[12:13]
	v_fmac_f64_e32 v[10:11], v[2:3], v[6:7]
	scratch_store_dwordx4 off, v[8:11], off offset:48
.LBB126_23:
	s_or_b64 exec, exec, s[4:5]
	; wave barrier
	scratch_load_dwordx4 v[2:5], off, s86
	v_cmp_gt_u32_e64 s[4:5], 3, v0
	v_add_u32_e32 v6, -1, v0
	s_waitcnt vmcnt(0)
	ds_write_b128 v1, v[2:5]
	s_waitcnt lgkmcnt(0)
	; wave barrier
	s_and_saveexec_b64 s[6:7], s[4:5]
	s_cbranch_execz .LBB126_27
; %bb.24:
	v_add_u32_e32 v7, -1, v0
	v_add_u32_e32 v8, 0x3f0, v14
	v_add_u32_e32 v9, 16, v14
	v_mov_b64_e32 v[2:3], 0
	s_mov_b64 s[8:9], 0
	v_mov_b64_e32 v[4:5], 0
.LBB126_25:                             ; =>This Inner Loop Header: Depth=1
	scratch_load_dwordx4 v[10:13], v9, off
	ds_read_b128 v[16:19], v8
	v_add_u32_e32 v7, 1, v7
	v_cmp_lt_u32_e64 s[4:5], 1, v7
	v_add_u32_e32 v8, 16, v8
	v_add_u32_e32 v9, 16, v9
	s_or_b64 s[8:9], s[4:5], s[8:9]
	s_waitcnt vmcnt(0) lgkmcnt(0)
	v_mul_f64 v[20:21], v[18:19], v[12:13]
	v_mul_f64 v[12:13], v[16:17], v[12:13]
	v_fma_f64 v[16:17], v[16:17], v[10:11], -v[20:21]
	v_fmac_f64_e32 v[12:13], v[18:19], v[10:11]
	v_add_f64 v[4:5], v[4:5], v[16:17]
	v_add_f64 v[2:3], v[2:3], v[12:13]
	s_andn2_b64 exec, exec, s[8:9]
	s_cbranch_execnz .LBB126_25
; %bb.26:
	s_or_b64 exec, exec, s[8:9]
	v_mov_b32_e32 v7, 0
	ds_read_b128 v[8:11], v7 offset:48
	s_waitcnt lgkmcnt(0)
	v_mul_f64 v[16:17], v[2:3], v[10:11]
	v_mul_f64 v[12:13], v[4:5], v[10:11]
	v_fma_f64 v[10:11], v[4:5], v[8:9], -v[16:17]
	v_fmac_f64_e32 v[12:13], v[2:3], v[8:9]
	scratch_store_dwordx4 off, v[10:13], off offset:64
.LBB126_27:
	s_or_b64 exec, exec, s[6:7]
	; wave barrier
	scratch_load_dwordx4 v[2:5], off, s85
	v_cmp_gt_u32_e64 s[4:5], 4, v0
	s_waitcnt vmcnt(0)
	ds_write_b128 v1, v[2:5]
	s_waitcnt lgkmcnt(0)
	; wave barrier
	s_and_saveexec_b64 s[8:9], s[4:5]
	s_cbranch_execz .LBB126_31
; %bb.28:
	v_add_u32_e32 v7, -1, v0
	v_add_u32_e32 v8, 0x3f0, v14
	v_add_u32_e32 v9, 16, v14
	v_mov_b64_e32 v[2:3], 0
	s_mov_b64 s[16:17], 0
	v_mov_b64_e32 v[4:5], 0
.LBB126_29:                             ; =>This Inner Loop Header: Depth=1
	scratch_load_dwordx4 v[10:13], v9, off
	ds_read_b128 v[16:19], v8
	v_add_u32_e32 v7, 1, v7
	v_cmp_lt_u32_e64 s[6:7], 2, v7
	v_add_u32_e32 v8, 16, v8
	v_add_u32_e32 v9, 16, v9
	s_or_b64 s[16:17], s[6:7], s[16:17]
	s_waitcnt vmcnt(0) lgkmcnt(0)
	v_mul_f64 v[20:21], v[18:19], v[12:13]
	v_mul_f64 v[12:13], v[16:17], v[12:13]
	v_fma_f64 v[16:17], v[16:17], v[10:11], -v[20:21]
	v_fmac_f64_e32 v[12:13], v[18:19], v[10:11]
	v_add_f64 v[4:5], v[4:5], v[16:17]
	v_add_f64 v[2:3], v[2:3], v[12:13]
	s_andn2_b64 exec, exec, s[16:17]
	s_cbranch_execnz .LBB126_29
; %bb.30:
	s_or_b64 exec, exec, s[16:17]
	v_mov_b32_e32 v7, 0
	ds_read_b128 v[8:11], v7 offset:64
	s_waitcnt lgkmcnt(0)
	v_mul_f64 v[16:17], v[2:3], v[10:11]
	v_mul_f64 v[12:13], v[4:5], v[10:11]
	v_fma_f64 v[10:11], v[4:5], v[8:9], -v[16:17]
	v_fmac_f64_e32 v[12:13], v[2:3], v[8:9]
	scratch_store_dwordx4 off, v[10:13], off offset:80
.LBB126_31:
	s_or_b64 exec, exec, s[8:9]
	; wave barrier
	scratch_load_dwordx4 v[2:5], off, s84
	v_cmp_gt_u32_e64 s[6:7], 5, v0
	;; [unrolled: 45-line block ×5, first 2 shown]
	s_waitcnt vmcnt(0)
	ds_write_b128 v1, v[2:5]
	s_waitcnt lgkmcnt(0)
	; wave barrier
	s_and_saveexec_b64 s[16:17], s[8:9]
	s_cbranch_execz .LBB126_59
; %bb.44:
	scratch_load_dwordx4 v[2:5], v15, off
	ds_read_b128 v[8:11], v1
	v_cmp_ne_u32_e64 s[8:9], 7, v0
	s_waitcnt vmcnt(0) lgkmcnt(0)
	v_mul_f64 v[12:13], v[10:11], v[4:5]
	v_mul_f64 v[16:17], v[8:9], v[4:5]
	v_fma_f64 v[4:5], v[8:9], v[2:3], -v[12:13]
	v_fmac_f64_e32 v[16:17], v[10:11], v[2:3]
	v_add_f64 v[4:5], v[4:5], 0
	v_add_f64 v[2:3], v[16:17], 0
	s_and_saveexec_b64 s[18:19], s[8:9]
	s_cbranch_execz .LBB126_58
; %bb.45:
	scratch_load_dwordx4 v[8:11], v15, off offset:16
	ds_read_b128 v[16:19], v1 offset:16
	s_waitcnt vmcnt(0) lgkmcnt(0)
	v_mul_f64 v[12:13], v[18:19], v[10:11]
	v_mul_f64 v[10:11], v[16:17], v[10:11]
	v_fma_f64 v[12:13], v[16:17], v[8:9], -v[12:13]
	v_fmac_f64_e32 v[10:11], v[18:19], v[8:9]
	v_add_f64 v[4:5], v[4:5], v[12:13]
	v_add_f64 v[2:3], v[2:3], v[10:11]
	s_and_saveexec_b64 s[8:9], s[6:7]
	s_cbranch_execz .LBB126_57
; %bb.46:
	scratch_load_dwordx4 v[8:11], v15, off offset:32
	ds_read_b128 v[16:19], v1 offset:32
	v_cmp_ne_u32_e64 s[6:7], 5, v0
	s_waitcnt vmcnt(0) lgkmcnt(0)
	v_mul_f64 v[12:13], v[18:19], v[10:11]
	v_mul_f64 v[10:11], v[16:17], v[10:11]
	v_fma_f64 v[12:13], v[16:17], v[8:9], -v[12:13]
	v_fmac_f64_e32 v[10:11], v[18:19], v[8:9]
	v_add_f64 v[4:5], v[4:5], v[12:13]
	v_add_f64 v[2:3], v[2:3], v[10:11]
	s_and_saveexec_b64 s[20:21], s[6:7]
	s_cbranch_execz .LBB126_56
; %bb.47:
	scratch_load_dwordx4 v[8:11], v15, off offset:48
	ds_read_b128 v[16:19], v1 offset:48
	s_waitcnt vmcnt(0) lgkmcnt(0)
	v_mul_f64 v[12:13], v[18:19], v[10:11]
	v_mul_f64 v[10:11], v[16:17], v[10:11]
	v_fma_f64 v[12:13], v[16:17], v[8:9], -v[12:13]
	v_fmac_f64_e32 v[10:11], v[18:19], v[8:9]
	v_add_f64 v[4:5], v[4:5], v[12:13]
	v_add_f64 v[2:3], v[2:3], v[10:11]
	s_and_saveexec_b64 s[6:7], s[4:5]
	s_cbranch_execz .LBB126_55
; %bb.48:
	scratch_load_dwordx4 v[8:11], v15, off offset:64
	ds_read_b128 v[16:19], v1 offset:64
	v_cmp_ne_u32_e64 s[4:5], 3, v0
	s_waitcnt vmcnt(0) lgkmcnt(0)
	v_mul_f64 v[12:13], v[18:19], v[10:11]
	v_mul_f64 v[10:11], v[16:17], v[10:11]
	v_fma_f64 v[12:13], v[16:17], v[8:9], -v[12:13]
	v_fmac_f64_e32 v[10:11], v[18:19], v[8:9]
	v_add_f64 v[4:5], v[4:5], v[12:13]
	v_add_f64 v[2:3], v[2:3], v[10:11]
	s_and_saveexec_b64 s[22:23], s[4:5]
	s_cbranch_execz .LBB126_54
; %bb.49:
	scratch_load_dwordx4 v[8:11], v15, off offset:80
	ds_read_b128 v[16:19], v1 offset:80
	s_waitcnt vmcnt(0) lgkmcnt(0)
	v_mul_f64 v[12:13], v[18:19], v[10:11]
	v_mul_f64 v[10:11], v[16:17], v[10:11]
	v_fma_f64 v[12:13], v[16:17], v[8:9], -v[12:13]
	v_fmac_f64_e32 v[10:11], v[18:19], v[8:9]
	v_add_f64 v[4:5], v[4:5], v[12:13]
	v_add_f64 v[2:3], v[2:3], v[10:11]
	s_and_saveexec_b64 s[4:5], vcc
	s_cbranch_execz .LBB126_53
; %bb.50:
	scratch_load_dwordx4 v[8:11], v15, off offset:96
	ds_read_b128 v[16:19], v1 offset:96
	s_waitcnt vmcnt(0) lgkmcnt(0)
	v_mul_f64 v[12:13], v[18:19], v[10:11]
	v_mul_f64 v[10:11], v[16:17], v[10:11]
	v_fma_f64 v[12:13], v[16:17], v[8:9], -v[12:13]
	v_fmac_f64_e32 v[10:11], v[18:19], v[8:9]
	v_add_f64 v[4:5], v[4:5], v[12:13]
	v_add_f64 v[2:3], v[2:3], v[10:11]
	s_and_saveexec_b64 s[24:25], s[0:1]
	s_cbranch_execz .LBB126_52
; %bb.51:
	scratch_load_dwordx4 v[8:11], v15, off offset:112
	ds_read_b128 v[16:19], v1 offset:112
	s_waitcnt vmcnt(0) lgkmcnt(0)
	v_mul_f64 v[12:13], v[18:19], v[10:11]
	v_mul_f64 v[10:11], v[16:17], v[10:11]
	v_fma_f64 v[12:13], v[16:17], v[8:9], -v[12:13]
	v_fmac_f64_e32 v[10:11], v[18:19], v[8:9]
	v_add_f64 v[4:5], v[4:5], v[12:13]
	v_add_f64 v[2:3], v[2:3], v[10:11]
.LBB126_52:
	s_or_b64 exec, exec, s[24:25]
.LBB126_53:
	s_or_b64 exec, exec, s[4:5]
.LBB126_54:
	s_or_b64 exec, exec, s[22:23]
.LBB126_55:
	s_or_b64 exec, exec, s[6:7]
.LBB126_56:
	s_or_b64 exec, exec, s[20:21]
.LBB126_57:
	s_or_b64 exec, exec, s[8:9]
.LBB126_58:
	s_or_b64 exec, exec, s[18:19]
	v_mov_b32_e32 v7, 0
	ds_read_b128 v[8:11], v7 offset:128
	s_waitcnt lgkmcnt(0)
	v_mul_f64 v[16:17], v[2:3], v[10:11]
	v_mul_f64 v[12:13], v[4:5], v[10:11]
	v_fma_f64 v[10:11], v[4:5], v[8:9], -v[16:17]
	v_fmac_f64_e32 v[12:13], v[2:3], v[8:9]
	scratch_store_dwordx4 off, v[10:13], off offset:144
.LBB126_59:
	s_or_b64 exec, exec, s[16:17]
	; wave barrier
	scratch_load_dwordx4 v[2:5], off, s80
	v_cmp_gt_u32_e32 vcc, 9, v0
	s_waitcnt vmcnt(0)
	ds_write_b128 v1, v[2:5]
	s_waitcnt lgkmcnt(0)
	; wave barrier
	s_and_saveexec_b64 s[0:1], vcc
	s_cbranch_execz .LBB126_63
; %bb.60:
	v_add_u32_e32 v7, -1, v0
	v_add_u32_e32 v8, 0x3f0, v14
	v_add_u32_e32 v9, 16, v14
	v_mov_b64_e32 v[2:3], 0
	s_mov_b64 s[4:5], 0
	v_mov_b64_e32 v[4:5], 0
.LBB126_61:                             ; =>This Inner Loop Header: Depth=1
	scratch_load_dwordx4 v[10:13], v9, off
	ds_read_b128 v[16:19], v8
	v_add_u32_e32 v7, 1, v7
	v_cmp_lt_u32_e32 vcc, 7, v7
	v_add_u32_e32 v8, 16, v8
	v_add_u32_e32 v9, 16, v9
	s_or_b64 s[4:5], vcc, s[4:5]
	s_waitcnt vmcnt(0) lgkmcnt(0)
	v_mul_f64 v[20:21], v[18:19], v[12:13]
	v_mul_f64 v[12:13], v[16:17], v[12:13]
	v_fma_f64 v[16:17], v[16:17], v[10:11], -v[20:21]
	v_fmac_f64_e32 v[12:13], v[18:19], v[10:11]
	v_add_f64 v[4:5], v[4:5], v[16:17]
	v_add_f64 v[2:3], v[2:3], v[12:13]
	s_andn2_b64 exec, exec, s[4:5]
	s_cbranch_execnz .LBB126_61
; %bb.62:
	s_or_b64 exec, exec, s[4:5]
	v_mov_b32_e32 v7, 0
	ds_read_b128 v[8:11], v7 offset:144
	s_waitcnt lgkmcnt(0)
	v_mul_f64 v[16:17], v[2:3], v[10:11]
	v_mul_f64 v[12:13], v[4:5], v[10:11]
	v_fma_f64 v[10:11], v[4:5], v[8:9], -v[16:17]
	v_fmac_f64_e32 v[12:13], v[2:3], v[8:9]
	scratch_store_dwordx4 off, v[10:13], off offset:160
.LBB126_63:
	s_or_b64 exec, exec, s[0:1]
	; wave barrier
	scratch_load_dwordx4 v[2:5], off, s79
	v_cmp_gt_u32_e32 vcc, 10, v0
	s_waitcnt vmcnt(0)
	ds_write_b128 v1, v[2:5]
	s_waitcnt lgkmcnt(0)
	; wave barrier
	s_and_saveexec_b64 s[0:1], vcc
	s_cbranch_execz .LBB126_67
; %bb.64:
	v_add_u32_e32 v7, -1, v0
	v_add_u32_e32 v8, 0x3f0, v14
	v_add_u32_e32 v9, 16, v14
	v_mov_b64_e32 v[2:3], 0
	s_mov_b64 s[4:5], 0
	v_mov_b64_e32 v[4:5], 0
.LBB126_65:                             ; =>This Inner Loop Header: Depth=1
	scratch_load_dwordx4 v[10:13], v9, off
	ds_read_b128 v[16:19], v8
	v_add_u32_e32 v7, 1, v7
	v_cmp_lt_u32_e32 vcc, 8, v7
	v_add_u32_e32 v8, 16, v8
	v_add_u32_e32 v9, 16, v9
	s_or_b64 s[4:5], vcc, s[4:5]
	s_waitcnt vmcnt(0) lgkmcnt(0)
	v_mul_f64 v[20:21], v[18:19], v[12:13]
	v_mul_f64 v[12:13], v[16:17], v[12:13]
	v_fma_f64 v[16:17], v[16:17], v[10:11], -v[20:21]
	v_fmac_f64_e32 v[12:13], v[18:19], v[10:11]
	v_add_f64 v[4:5], v[4:5], v[16:17]
	v_add_f64 v[2:3], v[2:3], v[12:13]
	s_andn2_b64 exec, exec, s[4:5]
	s_cbranch_execnz .LBB126_65
; %bb.66:
	s_or_b64 exec, exec, s[4:5]
	v_mov_b32_e32 v7, 0
	ds_read_b128 v[8:11], v7 offset:160
	s_waitcnt lgkmcnt(0)
	v_mul_f64 v[16:17], v[2:3], v[10:11]
	v_mul_f64 v[12:13], v[4:5], v[10:11]
	v_fma_f64 v[10:11], v[4:5], v[8:9], -v[16:17]
	v_fmac_f64_e32 v[12:13], v[2:3], v[8:9]
	scratch_store_dwordx4 off, v[10:13], off offset:176
.LBB126_67:
	s_or_b64 exec, exec, s[0:1]
	; wave barrier
	scratch_load_dwordx4 v[2:5], off, s78
	v_cmp_gt_u32_e32 vcc, 11, v0
	s_waitcnt vmcnt(0)
	ds_write_b128 v1, v[2:5]
	s_waitcnt lgkmcnt(0)
	; wave barrier
	s_and_saveexec_b64 s[0:1], vcc
	s_cbranch_execz .LBB126_71
; %bb.68:
	v_add_u32_e32 v7, -1, v0
	v_add_u32_e32 v8, 0x3f0, v14
	v_add_u32_e32 v9, 16, v14
	v_mov_b64_e32 v[2:3], 0
	s_mov_b64 s[4:5], 0
	v_mov_b64_e32 v[4:5], 0
.LBB126_69:                             ; =>This Inner Loop Header: Depth=1
	scratch_load_dwordx4 v[10:13], v9, off
	ds_read_b128 v[16:19], v8
	v_add_u32_e32 v7, 1, v7
	v_cmp_lt_u32_e32 vcc, 9, v7
	v_add_u32_e32 v8, 16, v8
	v_add_u32_e32 v9, 16, v9
	s_or_b64 s[4:5], vcc, s[4:5]
	s_waitcnt vmcnt(0) lgkmcnt(0)
	v_mul_f64 v[20:21], v[18:19], v[12:13]
	v_mul_f64 v[12:13], v[16:17], v[12:13]
	v_fma_f64 v[16:17], v[16:17], v[10:11], -v[20:21]
	v_fmac_f64_e32 v[12:13], v[18:19], v[10:11]
	v_add_f64 v[4:5], v[4:5], v[16:17]
	v_add_f64 v[2:3], v[2:3], v[12:13]
	s_andn2_b64 exec, exec, s[4:5]
	s_cbranch_execnz .LBB126_69
; %bb.70:
	s_or_b64 exec, exec, s[4:5]
	v_mov_b32_e32 v7, 0
	ds_read_b128 v[8:11], v7 offset:176
	s_waitcnt lgkmcnt(0)
	v_mul_f64 v[16:17], v[2:3], v[10:11]
	v_mul_f64 v[12:13], v[4:5], v[10:11]
	v_fma_f64 v[10:11], v[4:5], v[8:9], -v[16:17]
	v_fmac_f64_e32 v[12:13], v[2:3], v[8:9]
	scratch_store_dwordx4 off, v[10:13], off offset:192
.LBB126_71:
	s_or_b64 exec, exec, s[0:1]
	; wave barrier
	scratch_load_dwordx4 v[2:5], off, s77
	v_cmp_gt_u32_e32 vcc, 12, v0
	s_waitcnt vmcnt(0)
	ds_write_b128 v1, v[2:5]
	s_waitcnt lgkmcnt(0)
	; wave barrier
	s_and_saveexec_b64 s[0:1], vcc
	s_cbranch_execz .LBB126_75
; %bb.72:
	v_add_u32_e32 v7, -1, v0
	v_add_u32_e32 v8, 0x3f0, v14
	v_add_u32_e32 v9, 16, v14
	v_mov_b64_e32 v[2:3], 0
	s_mov_b64 s[4:5], 0
	v_mov_b64_e32 v[4:5], 0
.LBB126_73:                             ; =>This Inner Loop Header: Depth=1
	scratch_load_dwordx4 v[10:13], v9, off
	ds_read_b128 v[16:19], v8
	v_add_u32_e32 v7, 1, v7
	v_cmp_lt_u32_e32 vcc, 10, v7
	v_add_u32_e32 v8, 16, v8
	v_add_u32_e32 v9, 16, v9
	s_or_b64 s[4:5], vcc, s[4:5]
	s_waitcnt vmcnt(0) lgkmcnt(0)
	v_mul_f64 v[20:21], v[18:19], v[12:13]
	v_mul_f64 v[12:13], v[16:17], v[12:13]
	v_fma_f64 v[16:17], v[16:17], v[10:11], -v[20:21]
	v_fmac_f64_e32 v[12:13], v[18:19], v[10:11]
	v_add_f64 v[4:5], v[4:5], v[16:17]
	v_add_f64 v[2:3], v[2:3], v[12:13]
	s_andn2_b64 exec, exec, s[4:5]
	s_cbranch_execnz .LBB126_73
; %bb.74:
	s_or_b64 exec, exec, s[4:5]
	v_mov_b32_e32 v7, 0
	ds_read_b128 v[8:11], v7 offset:192
	s_waitcnt lgkmcnt(0)
	v_mul_f64 v[16:17], v[2:3], v[10:11]
	v_mul_f64 v[12:13], v[4:5], v[10:11]
	v_fma_f64 v[10:11], v[4:5], v[8:9], -v[16:17]
	v_fmac_f64_e32 v[12:13], v[2:3], v[8:9]
	scratch_store_dwordx4 off, v[10:13], off offset:208
.LBB126_75:
	s_or_b64 exec, exec, s[0:1]
	; wave barrier
	scratch_load_dwordx4 v[2:5], off, s76
	v_cmp_gt_u32_e32 vcc, 13, v0
	s_waitcnt vmcnt(0)
	ds_write_b128 v1, v[2:5]
	s_waitcnt lgkmcnt(0)
	; wave barrier
	s_and_saveexec_b64 s[0:1], vcc
	s_cbranch_execz .LBB126_79
; %bb.76:
	v_add_u32_e32 v7, -1, v0
	v_add_u32_e32 v8, 0x3f0, v14
	v_add_u32_e32 v9, 16, v14
	v_mov_b64_e32 v[2:3], 0
	s_mov_b64 s[4:5], 0
	v_mov_b64_e32 v[4:5], 0
.LBB126_77:                             ; =>This Inner Loop Header: Depth=1
	scratch_load_dwordx4 v[10:13], v9, off
	ds_read_b128 v[16:19], v8
	v_add_u32_e32 v7, 1, v7
	v_cmp_lt_u32_e32 vcc, 11, v7
	v_add_u32_e32 v8, 16, v8
	v_add_u32_e32 v9, 16, v9
	s_or_b64 s[4:5], vcc, s[4:5]
	s_waitcnt vmcnt(0) lgkmcnt(0)
	v_mul_f64 v[20:21], v[18:19], v[12:13]
	v_mul_f64 v[12:13], v[16:17], v[12:13]
	v_fma_f64 v[16:17], v[16:17], v[10:11], -v[20:21]
	v_fmac_f64_e32 v[12:13], v[18:19], v[10:11]
	v_add_f64 v[4:5], v[4:5], v[16:17]
	v_add_f64 v[2:3], v[2:3], v[12:13]
	s_andn2_b64 exec, exec, s[4:5]
	s_cbranch_execnz .LBB126_77
; %bb.78:
	s_or_b64 exec, exec, s[4:5]
	v_mov_b32_e32 v7, 0
	ds_read_b128 v[8:11], v7 offset:208
	s_waitcnt lgkmcnt(0)
	v_mul_f64 v[16:17], v[2:3], v[10:11]
	v_mul_f64 v[12:13], v[4:5], v[10:11]
	v_fma_f64 v[10:11], v[4:5], v[8:9], -v[16:17]
	v_fmac_f64_e32 v[12:13], v[2:3], v[8:9]
	scratch_store_dwordx4 off, v[10:13], off offset:224
.LBB126_79:
	s_or_b64 exec, exec, s[0:1]
	; wave barrier
	scratch_load_dwordx4 v[2:5], off, s75
	v_cmp_gt_u32_e32 vcc, 14, v0
	s_waitcnt vmcnt(0)
	ds_write_b128 v1, v[2:5]
	s_waitcnt lgkmcnt(0)
	; wave barrier
	s_and_saveexec_b64 s[0:1], vcc
	s_cbranch_execz .LBB126_83
; %bb.80:
	v_add_u32_e32 v7, -1, v0
	v_add_u32_e32 v8, 0x3f0, v14
	v_add_u32_e32 v9, 16, v14
	v_mov_b64_e32 v[2:3], 0
	s_mov_b64 s[4:5], 0
	v_mov_b64_e32 v[4:5], 0
.LBB126_81:                             ; =>This Inner Loop Header: Depth=1
	scratch_load_dwordx4 v[10:13], v9, off
	ds_read_b128 v[16:19], v8
	v_add_u32_e32 v7, 1, v7
	v_cmp_lt_u32_e32 vcc, 12, v7
	v_add_u32_e32 v8, 16, v8
	v_add_u32_e32 v9, 16, v9
	s_or_b64 s[4:5], vcc, s[4:5]
	s_waitcnt vmcnt(0) lgkmcnt(0)
	v_mul_f64 v[20:21], v[18:19], v[12:13]
	v_mul_f64 v[12:13], v[16:17], v[12:13]
	v_fma_f64 v[16:17], v[16:17], v[10:11], -v[20:21]
	v_fmac_f64_e32 v[12:13], v[18:19], v[10:11]
	v_add_f64 v[4:5], v[4:5], v[16:17]
	v_add_f64 v[2:3], v[2:3], v[12:13]
	s_andn2_b64 exec, exec, s[4:5]
	s_cbranch_execnz .LBB126_81
; %bb.82:
	s_or_b64 exec, exec, s[4:5]
	v_mov_b32_e32 v7, 0
	ds_read_b128 v[8:11], v7 offset:224
	s_waitcnt lgkmcnt(0)
	v_mul_f64 v[16:17], v[2:3], v[10:11]
	v_mul_f64 v[12:13], v[4:5], v[10:11]
	v_fma_f64 v[10:11], v[4:5], v[8:9], -v[16:17]
	v_fmac_f64_e32 v[12:13], v[2:3], v[8:9]
	scratch_store_dwordx4 off, v[10:13], off offset:240
.LBB126_83:
	s_or_b64 exec, exec, s[0:1]
	; wave barrier
	scratch_load_dwordx4 v[2:5], off, s74
	v_cmp_gt_u32_e32 vcc, 15, v0
	s_waitcnt vmcnt(0)
	ds_write_b128 v1, v[2:5]
	s_waitcnt lgkmcnt(0)
	; wave barrier
	s_and_saveexec_b64 s[0:1], vcc
	s_cbranch_execz .LBB126_87
; %bb.84:
	v_add_u32_e32 v7, -1, v0
	v_add_u32_e32 v8, 0x3f0, v14
	v_add_u32_e32 v9, 16, v14
	v_mov_b64_e32 v[2:3], 0
	s_mov_b64 s[4:5], 0
	v_mov_b64_e32 v[4:5], 0
.LBB126_85:                             ; =>This Inner Loop Header: Depth=1
	scratch_load_dwordx4 v[10:13], v9, off
	ds_read_b128 v[16:19], v8
	v_add_u32_e32 v7, 1, v7
	v_cmp_lt_u32_e32 vcc, 13, v7
	v_add_u32_e32 v8, 16, v8
	v_add_u32_e32 v9, 16, v9
	s_or_b64 s[4:5], vcc, s[4:5]
	s_waitcnt vmcnt(0) lgkmcnt(0)
	v_mul_f64 v[20:21], v[18:19], v[12:13]
	v_mul_f64 v[12:13], v[16:17], v[12:13]
	v_fma_f64 v[16:17], v[16:17], v[10:11], -v[20:21]
	v_fmac_f64_e32 v[12:13], v[18:19], v[10:11]
	v_add_f64 v[4:5], v[4:5], v[16:17]
	v_add_f64 v[2:3], v[2:3], v[12:13]
	s_andn2_b64 exec, exec, s[4:5]
	s_cbranch_execnz .LBB126_85
; %bb.86:
	s_or_b64 exec, exec, s[4:5]
	v_mov_b32_e32 v7, 0
	ds_read_b128 v[8:11], v7 offset:240
	s_waitcnt lgkmcnt(0)
	v_mul_f64 v[16:17], v[2:3], v[10:11]
	v_mul_f64 v[12:13], v[4:5], v[10:11]
	v_fma_f64 v[10:11], v[4:5], v[8:9], -v[16:17]
	v_fmac_f64_e32 v[12:13], v[2:3], v[8:9]
	scratch_store_dwordx4 off, v[10:13], off offset:256
.LBB126_87:
	s_or_b64 exec, exec, s[0:1]
	; wave barrier
	scratch_load_dwordx4 v[2:5], off, s73
	v_cmp_gt_u32_e32 vcc, 16, v0
	s_waitcnt vmcnt(0)
	ds_write_b128 v1, v[2:5]
	s_waitcnt lgkmcnt(0)
	; wave barrier
	s_and_saveexec_b64 s[0:1], vcc
	s_cbranch_execz .LBB126_91
; %bb.88:
	v_add_u32_e32 v7, -1, v0
	v_add_u32_e32 v8, 0x3f0, v14
	v_add_u32_e32 v9, 16, v14
	v_mov_b64_e32 v[2:3], 0
	s_mov_b64 s[4:5], 0
	v_mov_b64_e32 v[4:5], 0
.LBB126_89:                             ; =>This Inner Loop Header: Depth=1
	scratch_load_dwordx4 v[10:13], v9, off
	ds_read_b128 v[16:19], v8
	v_add_u32_e32 v7, 1, v7
	v_cmp_lt_u32_e32 vcc, 14, v7
	v_add_u32_e32 v8, 16, v8
	v_add_u32_e32 v9, 16, v9
	s_or_b64 s[4:5], vcc, s[4:5]
	s_waitcnt vmcnt(0) lgkmcnt(0)
	v_mul_f64 v[20:21], v[18:19], v[12:13]
	v_mul_f64 v[12:13], v[16:17], v[12:13]
	v_fma_f64 v[16:17], v[16:17], v[10:11], -v[20:21]
	v_fmac_f64_e32 v[12:13], v[18:19], v[10:11]
	v_add_f64 v[4:5], v[4:5], v[16:17]
	v_add_f64 v[2:3], v[2:3], v[12:13]
	s_andn2_b64 exec, exec, s[4:5]
	s_cbranch_execnz .LBB126_89
; %bb.90:
	s_or_b64 exec, exec, s[4:5]
	v_mov_b32_e32 v7, 0
	ds_read_b128 v[8:11], v7 offset:256
	s_waitcnt lgkmcnt(0)
	v_mul_f64 v[16:17], v[2:3], v[10:11]
	v_mul_f64 v[12:13], v[4:5], v[10:11]
	v_fma_f64 v[10:11], v[4:5], v[8:9], -v[16:17]
	v_fmac_f64_e32 v[12:13], v[2:3], v[8:9]
	scratch_store_dwordx4 off, v[10:13], off offset:272
.LBB126_91:
	s_or_b64 exec, exec, s[0:1]
	; wave barrier
	scratch_load_dwordx4 v[2:5], off, s72
	v_cmp_gt_u32_e32 vcc, 17, v0
	s_waitcnt vmcnt(0)
	ds_write_b128 v1, v[2:5]
	s_waitcnt lgkmcnt(0)
	; wave barrier
	s_and_saveexec_b64 s[0:1], vcc
	s_cbranch_execz .LBB126_95
; %bb.92:
	v_add_u32_e32 v7, -1, v0
	v_add_u32_e32 v8, 0x3f0, v14
	v_add_u32_e32 v9, 16, v14
	v_mov_b64_e32 v[2:3], 0
	s_mov_b64 s[4:5], 0
	v_mov_b64_e32 v[4:5], 0
.LBB126_93:                             ; =>This Inner Loop Header: Depth=1
	scratch_load_dwordx4 v[10:13], v9, off
	ds_read_b128 v[16:19], v8
	v_add_u32_e32 v7, 1, v7
	v_cmp_lt_u32_e32 vcc, 15, v7
	v_add_u32_e32 v8, 16, v8
	v_add_u32_e32 v9, 16, v9
	s_or_b64 s[4:5], vcc, s[4:5]
	s_waitcnt vmcnt(0) lgkmcnt(0)
	v_mul_f64 v[20:21], v[18:19], v[12:13]
	v_mul_f64 v[12:13], v[16:17], v[12:13]
	v_fma_f64 v[16:17], v[16:17], v[10:11], -v[20:21]
	v_fmac_f64_e32 v[12:13], v[18:19], v[10:11]
	v_add_f64 v[4:5], v[4:5], v[16:17]
	v_add_f64 v[2:3], v[2:3], v[12:13]
	s_andn2_b64 exec, exec, s[4:5]
	s_cbranch_execnz .LBB126_93
; %bb.94:
	s_or_b64 exec, exec, s[4:5]
	v_mov_b32_e32 v7, 0
	ds_read_b128 v[8:11], v7 offset:272
	s_waitcnt lgkmcnt(0)
	v_mul_f64 v[16:17], v[2:3], v[10:11]
	v_mul_f64 v[12:13], v[4:5], v[10:11]
	v_fma_f64 v[10:11], v[4:5], v[8:9], -v[16:17]
	v_fmac_f64_e32 v[12:13], v[2:3], v[8:9]
	scratch_store_dwordx4 off, v[10:13], off offset:288
.LBB126_95:
	s_or_b64 exec, exec, s[0:1]
	; wave barrier
	scratch_load_dwordx4 v[2:5], off, s71
	v_cmp_gt_u32_e32 vcc, 18, v0
	s_waitcnt vmcnt(0)
	ds_write_b128 v1, v[2:5]
	s_waitcnt lgkmcnt(0)
	; wave barrier
	s_and_saveexec_b64 s[0:1], vcc
	s_cbranch_execz .LBB126_99
; %bb.96:
	v_add_u32_e32 v7, -1, v0
	v_add_u32_e32 v8, 0x3f0, v14
	v_add_u32_e32 v9, 16, v14
	v_mov_b64_e32 v[2:3], 0
	s_mov_b64 s[4:5], 0
	v_mov_b64_e32 v[4:5], 0
.LBB126_97:                             ; =>This Inner Loop Header: Depth=1
	scratch_load_dwordx4 v[10:13], v9, off
	ds_read_b128 v[16:19], v8
	v_add_u32_e32 v7, 1, v7
	v_cmp_lt_u32_e32 vcc, 16, v7
	v_add_u32_e32 v8, 16, v8
	v_add_u32_e32 v9, 16, v9
	s_or_b64 s[4:5], vcc, s[4:5]
	s_waitcnt vmcnt(0) lgkmcnt(0)
	v_mul_f64 v[20:21], v[18:19], v[12:13]
	v_mul_f64 v[12:13], v[16:17], v[12:13]
	v_fma_f64 v[16:17], v[16:17], v[10:11], -v[20:21]
	v_fmac_f64_e32 v[12:13], v[18:19], v[10:11]
	v_add_f64 v[4:5], v[4:5], v[16:17]
	v_add_f64 v[2:3], v[2:3], v[12:13]
	s_andn2_b64 exec, exec, s[4:5]
	s_cbranch_execnz .LBB126_97
; %bb.98:
	s_or_b64 exec, exec, s[4:5]
	v_mov_b32_e32 v7, 0
	ds_read_b128 v[8:11], v7 offset:288
	s_waitcnt lgkmcnt(0)
	v_mul_f64 v[16:17], v[2:3], v[10:11]
	v_mul_f64 v[12:13], v[4:5], v[10:11]
	v_fma_f64 v[10:11], v[4:5], v[8:9], -v[16:17]
	v_fmac_f64_e32 v[12:13], v[2:3], v[8:9]
	scratch_store_dwordx4 off, v[10:13], off offset:304
.LBB126_99:
	s_or_b64 exec, exec, s[0:1]
	; wave barrier
	scratch_load_dwordx4 v[2:5], off, s70
	v_cmp_gt_u32_e32 vcc, 19, v0
	s_waitcnt vmcnt(0)
	ds_write_b128 v1, v[2:5]
	s_waitcnt lgkmcnt(0)
	; wave barrier
	s_and_saveexec_b64 s[0:1], vcc
	s_cbranch_execz .LBB126_103
; %bb.100:
	v_add_u32_e32 v7, -1, v0
	v_add_u32_e32 v8, 0x3f0, v14
	v_add_u32_e32 v9, 16, v14
	v_mov_b64_e32 v[2:3], 0
	s_mov_b64 s[4:5], 0
	v_mov_b64_e32 v[4:5], 0
.LBB126_101:                            ; =>This Inner Loop Header: Depth=1
	scratch_load_dwordx4 v[10:13], v9, off
	ds_read_b128 v[16:19], v8
	v_add_u32_e32 v7, 1, v7
	v_cmp_lt_u32_e32 vcc, 17, v7
	v_add_u32_e32 v8, 16, v8
	v_add_u32_e32 v9, 16, v9
	s_or_b64 s[4:5], vcc, s[4:5]
	s_waitcnt vmcnt(0) lgkmcnt(0)
	v_mul_f64 v[20:21], v[18:19], v[12:13]
	v_mul_f64 v[12:13], v[16:17], v[12:13]
	v_fma_f64 v[16:17], v[16:17], v[10:11], -v[20:21]
	v_fmac_f64_e32 v[12:13], v[18:19], v[10:11]
	v_add_f64 v[4:5], v[4:5], v[16:17]
	v_add_f64 v[2:3], v[2:3], v[12:13]
	s_andn2_b64 exec, exec, s[4:5]
	s_cbranch_execnz .LBB126_101
; %bb.102:
	s_or_b64 exec, exec, s[4:5]
	v_mov_b32_e32 v7, 0
	ds_read_b128 v[8:11], v7 offset:304
	s_waitcnt lgkmcnt(0)
	v_mul_f64 v[16:17], v[2:3], v[10:11]
	v_mul_f64 v[12:13], v[4:5], v[10:11]
	v_fma_f64 v[10:11], v[4:5], v[8:9], -v[16:17]
	v_fmac_f64_e32 v[12:13], v[2:3], v[8:9]
	scratch_store_dwordx4 off, v[10:13], off offset:320
.LBB126_103:
	s_or_b64 exec, exec, s[0:1]
	; wave barrier
	scratch_load_dwordx4 v[2:5], off, s69
	v_cmp_gt_u32_e32 vcc, 20, v0
	s_waitcnt vmcnt(0)
	ds_write_b128 v1, v[2:5]
	s_waitcnt lgkmcnt(0)
	; wave barrier
	s_and_saveexec_b64 s[0:1], vcc
	s_cbranch_execz .LBB126_107
; %bb.104:
	v_add_u32_e32 v7, -1, v0
	v_add_u32_e32 v8, 0x3f0, v14
	v_add_u32_e32 v9, 16, v14
	v_mov_b64_e32 v[2:3], 0
	s_mov_b64 s[4:5], 0
	v_mov_b64_e32 v[4:5], 0
.LBB126_105:                            ; =>This Inner Loop Header: Depth=1
	scratch_load_dwordx4 v[10:13], v9, off
	ds_read_b128 v[16:19], v8
	v_add_u32_e32 v7, 1, v7
	v_cmp_lt_u32_e32 vcc, 18, v7
	v_add_u32_e32 v8, 16, v8
	v_add_u32_e32 v9, 16, v9
	s_or_b64 s[4:5], vcc, s[4:5]
	s_waitcnt vmcnt(0) lgkmcnt(0)
	v_mul_f64 v[20:21], v[18:19], v[12:13]
	v_mul_f64 v[12:13], v[16:17], v[12:13]
	v_fma_f64 v[16:17], v[16:17], v[10:11], -v[20:21]
	v_fmac_f64_e32 v[12:13], v[18:19], v[10:11]
	v_add_f64 v[4:5], v[4:5], v[16:17]
	v_add_f64 v[2:3], v[2:3], v[12:13]
	s_andn2_b64 exec, exec, s[4:5]
	s_cbranch_execnz .LBB126_105
; %bb.106:
	s_or_b64 exec, exec, s[4:5]
	v_mov_b32_e32 v7, 0
	ds_read_b128 v[8:11], v7 offset:320
	s_waitcnt lgkmcnt(0)
	v_mul_f64 v[16:17], v[2:3], v[10:11]
	v_mul_f64 v[12:13], v[4:5], v[10:11]
	v_fma_f64 v[10:11], v[4:5], v[8:9], -v[16:17]
	v_fmac_f64_e32 v[12:13], v[2:3], v[8:9]
	scratch_store_dwordx4 off, v[10:13], off offset:336
.LBB126_107:
	;; [unrolled: 45-line block ×43, first 2 shown]
	s_or_b64 exec, exec, s[0:1]
	; wave barrier
	scratch_load_dwordx4 v[2:5], off, s14
	v_cmp_ne_u32_e32 vcc, 62, v0
	s_waitcnt vmcnt(0)
	ds_write_b128 v1, v[2:5]
	s_waitcnt lgkmcnt(0)
	; wave barrier
	s_and_saveexec_b64 s[0:1], vcc
	s_cbranch_execz .LBB126_275
; %bb.272:
	v_add_u32_e32 v1, 0x3f0, v14
	v_add_u32_e32 v7, 16, v14
	v_mov_b64_e32 v[2:3], 0
	s_mov_b64 s[4:5], 0
	v_mov_b64_e32 v[4:5], 0
.LBB126_273:                            ; =>This Inner Loop Header: Depth=1
	scratch_load_dwordx4 v[8:11], v7, off
	ds_read_b128 v[12:15], v1
	v_add_u32_e32 v6, 1, v6
	v_cmp_lt_u32_e32 vcc, 60, v6
	v_add_u32_e32 v1, 16, v1
	v_add_u32_e32 v7, 16, v7
	s_or_b64 s[4:5], vcc, s[4:5]
	s_waitcnt vmcnt(0) lgkmcnt(0)
	v_mul_f64 v[16:17], v[14:15], v[10:11]
	v_mul_f64 v[10:11], v[12:13], v[10:11]
	v_fma_f64 v[12:13], v[12:13], v[8:9], -v[16:17]
	v_fmac_f64_e32 v[10:11], v[14:15], v[8:9]
	v_add_f64 v[4:5], v[4:5], v[12:13]
	v_add_f64 v[2:3], v[2:3], v[10:11]
	s_andn2_b64 exec, exec, s[4:5]
	s_cbranch_execnz .LBB126_273
; %bb.274:
	s_or_b64 exec, exec, s[4:5]
	v_mov_b32_e32 v1, 0
	ds_read_b128 v[6:9], v1 offset:992
	s_waitcnt lgkmcnt(0)
	v_mul_f64 v[12:13], v[2:3], v[8:9]
	v_mul_f64 v[10:11], v[4:5], v[8:9]
	v_fma_f64 v[8:9], v[4:5], v[6:7], -v[12:13]
	v_fmac_f64_e32 v[10:11], v[2:3], v[6:7]
	scratch_store_dwordx4 off, v[8:11], off offset:1008
.LBB126_275:
	s_or_b64 exec, exec, s[0:1]
	s_mov_b64 s[4:5], -1
	; wave barrier
.LBB126_276:
	s_and_b64 vcc, exec, s[4:5]
	s_cbranch_vccz .LBB126_278
; %bb.277:
	s_lshl_b64 s[0:1], s[2:3], 2
	s_add_u32 s0, s10, s0
	s_addc_u32 s1, s11, s1
	v_mov_b32_e32 v1, 0
	global_load_dword v1, v1, s[0:1]
	s_waitcnt vmcnt(0)
	v_cmp_ne_u32_e32 vcc, 0, v1
	s_cbranch_vccz .LBB126_279
.LBB126_278:
	s_endpgm
.LBB126_279:
	v_mov_b32_e32 v1, 0x3f0
	v_lshl_add_u32 v1, v0, 4, v1
	v_accvgpr_write_b32 a1, v1
	v_cmp_eq_u32_e32 vcc, 62, v0
	s_and_saveexec_b64 s[0:1], vcc
	s_cbranch_execz .LBB126_281
; %bb.280:
	scratch_load_dwordx4 v[2:5], off, s15
	v_mov_b32_e32 v6, 0
	v_mov_b32_e32 v7, v6
	;; [unrolled: 1-line block ×4, first 2 shown]
	v_accvgpr_read_b32 v1, a1
	scratch_store_dwordx4 off, v[6:9], off offset:992
	s_waitcnt vmcnt(1)
	ds_write_b128 v1, v[2:5]
.LBB126_281:
	s_or_b64 exec, exec, s[0:1]
	s_waitcnt lgkmcnt(0)
	; wave barrier
	scratch_load_dwordx4 v[4:7], off, off offset:1008
	scratch_load_dwordx4 v[8:11], off, off offset:992
	v_mov_b32_e32 v2, 0
	ds_read_b128 v[12:15], v2 offset:2000
	v_cmp_lt_u32_e32 vcc, 60, v0
	s_waitcnt vmcnt(1) lgkmcnt(0)
	v_mul_f64 v[16:17], v[12:13], v[6:7]
	v_mul_f64 v[6:7], v[14:15], v[6:7]
	v_fmac_f64_e32 v[16:17], v[14:15], v[4:5]
	v_fma_f64 v[4:5], v[12:13], v[4:5], -v[6:7]
	v_add_f64 v[6:7], v[16:17], 0
	v_add_f64 v[4:5], v[4:5], 0
	s_waitcnt vmcnt(0)
	v_add_f64 v[4:5], v[8:9], -v[4:5]
	v_add_f64 v[6:7], v[10:11], -v[6:7]
	scratch_store_dwordx4 off, v[4:7], off offset:992
	s_and_saveexec_b64 s[0:1], vcc
	s_cbranch_execz .LBB126_283
; %bb.282:
	scratch_load_dwordx4 v[6:9], off, s49
	v_mov_b32_e32 v3, v2
	v_mov_b32_e32 v4, v2
	;; [unrolled: 1-line block ×3, first 2 shown]
	v_accvgpr_read_b32 v1, a1
	scratch_store_dwordx4 off, v[2:5], off offset:976
	s_waitcnt vmcnt(1)
	ds_write_b128 v1, v[6:9]
.LBB126_283:
	s_or_b64 exec, exec, s[0:1]
	s_waitcnt lgkmcnt(0)
	; wave barrier
	scratch_load_dwordx4 v[4:7], off, off offset:992
	scratch_load_dwordx4 v[8:11], off, off offset:1008
	;; [unrolled: 1-line block ×3, first 2 shown]
	ds_read_b128 v[16:19], v2 offset:1984
	ds_read_b128 v[20:23], v2 offset:2000
	v_cmp_lt_u32_e32 vcc, 59, v0
	s_waitcnt vmcnt(2) lgkmcnt(1)
	v_mul_f64 v[2:3], v[16:17], v[6:7]
	v_mul_f64 v[6:7], v[18:19], v[6:7]
	s_waitcnt vmcnt(1) lgkmcnt(0)
	v_mul_f64 v[24:25], v[20:21], v[10:11]
	v_mul_f64 v[10:11], v[22:23], v[10:11]
	v_fmac_f64_e32 v[2:3], v[18:19], v[4:5]
	v_fma_f64 v[4:5], v[16:17], v[4:5], -v[6:7]
	v_fmac_f64_e32 v[24:25], v[22:23], v[8:9]
	v_fma_f64 v[6:7], v[20:21], v[8:9], -v[10:11]
	v_add_f64 v[2:3], v[2:3], 0
	v_add_f64 v[4:5], v[4:5], 0
	v_add_f64 v[8:9], v[2:3], v[24:25]
	v_add_f64 v[2:3], v[4:5], v[6:7]
	s_waitcnt vmcnt(0)
	v_add_f64 v[2:3], v[12:13], -v[2:3]
	v_add_f64 v[4:5], v[14:15], -v[8:9]
	scratch_store_dwordx4 off, v[2:5], off offset:976
	s_and_saveexec_b64 s[0:1], vcc
	s_cbranch_execz .LBB126_285
; %bb.284:
	scratch_load_dwordx4 v[2:5], off, s50
	v_mov_b32_e32 v6, 0
	v_mov_b32_e32 v7, v6
	;; [unrolled: 1-line block ×4, first 2 shown]
	v_accvgpr_read_b32 v1, a1
	scratch_store_dwordx4 off, v[6:9], off offset:960
	s_waitcnt vmcnt(1)
	ds_write_b128 v1, v[2:5]
.LBB126_285:
	s_or_b64 exec, exec, s[0:1]
	s_waitcnt lgkmcnt(0)
	; wave barrier
	scratch_load_dwordx4 v[4:7], off, off offset:976
	scratch_load_dwordx4 v[8:11], off, off offset:992
	;; [unrolled: 1-line block ×4, first 2 shown]
	v_mov_b32_e32 v2, 0
	ds_read_b128 v[20:23], v2 offset:1968
	ds_read_b128 v[24:27], v2 offset:1984
	;; [unrolled: 1-line block ×3, first 2 shown]
	v_cmp_lt_u32_e32 vcc, 58, v0
	s_waitcnt vmcnt(3) lgkmcnt(2)
	v_mul_f64 v[32:33], v[20:21], v[6:7]
	v_mul_f64 v[6:7], v[22:23], v[6:7]
	s_waitcnt vmcnt(2) lgkmcnt(1)
	v_mul_f64 v[34:35], v[24:25], v[10:11]
	v_mul_f64 v[10:11], v[26:27], v[10:11]
	v_fmac_f64_e32 v[32:33], v[22:23], v[4:5]
	v_fma_f64 v[4:5], v[20:21], v[4:5], -v[6:7]
	s_waitcnt vmcnt(1) lgkmcnt(0)
	v_mul_f64 v[36:37], v[28:29], v[14:15]
	v_mul_f64 v[14:15], v[30:31], v[14:15]
	v_fmac_f64_e32 v[34:35], v[26:27], v[8:9]
	v_fma_f64 v[6:7], v[24:25], v[8:9], -v[10:11]
	v_add_f64 v[10:11], v[32:33], 0
	v_add_f64 v[4:5], v[4:5], 0
	v_fmac_f64_e32 v[36:37], v[30:31], v[12:13]
	v_fma_f64 v[8:9], v[28:29], v[12:13], -v[14:15]
	v_add_f64 v[10:11], v[10:11], v[34:35]
	v_add_f64 v[4:5], v[4:5], v[6:7]
	;; [unrolled: 1-line block ×4, first 2 shown]
	s_waitcnt vmcnt(0)
	v_add_f64 v[4:5], v[16:17], -v[4:5]
	v_add_f64 v[6:7], v[18:19], -v[6:7]
	scratch_store_dwordx4 off, v[4:7], off offset:960
	s_and_saveexec_b64 s[0:1], vcc
	s_cbranch_execz .LBB126_287
; %bb.286:
	scratch_load_dwordx4 v[6:9], off, s89
	v_mov_b32_e32 v3, v2
	v_mov_b32_e32 v4, v2
	;; [unrolled: 1-line block ×3, first 2 shown]
	v_accvgpr_read_b32 v1, a1
	scratch_store_dwordx4 off, v[2:5], off offset:944
	s_waitcnt vmcnt(1)
	ds_write_b128 v1, v[6:9]
.LBB126_287:
	s_or_b64 exec, exec, s[0:1]
	s_waitcnt lgkmcnt(0)
	; wave barrier
	ds_read_b128 v[4:7], v2 offset:1952
	ds_read_b128 v[8:11], v2 offset:1968
	;; [unrolled: 1-line block ×4, first 2 shown]
	scratch_load_dwordx4 v[20:23], off, off offset:960
	scratch_load_dwordx4 v[24:27], off, off offset:976
	v_cmp_lt_u32_e32 vcc, 57, v0
	s_waitcnt vmcnt(1) lgkmcnt(3)
	v_mul_f64 v[2:3], v[4:5], v[22:23]
	v_fmac_f64_e32 v[2:3], v[6:7], v[20:21]
	s_waitcnt vmcnt(0) lgkmcnt(2)
	v_mul_f64 v[28:29], v[8:9], v[26:27]
	v_add_f64 v[2:3], v[2:3], 0
	v_fmac_f64_e32 v[28:29], v[10:11], v[24:25]
	v_add_f64 v[2:3], v[2:3], v[28:29]
	scratch_load_dwordx4 v[28:31], off, off offset:992
	s_waitcnt vmcnt(0) lgkmcnt(1)
	v_mul_f64 v[32:33], v[12:13], v[30:31]
	v_fmac_f64_e32 v[32:33], v[14:15], v[28:29]
	v_add_f64 v[2:3], v[2:3], v[32:33]
	scratch_load_dwordx4 v[32:35], off, off offset:1008
	s_waitcnt vmcnt(0) lgkmcnt(0)
	v_mul_f64 v[36:37], v[16:17], v[34:35]
	v_fmac_f64_e32 v[36:37], v[18:19], v[32:33]
	v_add_f64 v[36:37], v[2:3], v[36:37]
	v_mul_f64 v[2:3], v[6:7], v[22:23]
	v_fma_f64 v[2:3], v[4:5], v[20:21], -v[2:3]
	v_mul_f64 v[4:5], v[10:11], v[26:27]
	v_add_f64 v[2:3], v[2:3], 0
	v_fma_f64 v[4:5], v[8:9], v[24:25], -v[4:5]
	v_add_f64 v[2:3], v[2:3], v[4:5]
	v_mul_f64 v[4:5], v[14:15], v[30:31]
	v_fma_f64 v[4:5], v[12:13], v[28:29], -v[4:5]
	v_add_f64 v[2:3], v[2:3], v[4:5]
	v_mul_f64 v[4:5], v[18:19], v[34:35]
	v_fma_f64 v[4:5], v[16:17], v[32:33], -v[4:5]
	v_add_f64 v[6:7], v[2:3], v[4:5]
	scratch_load_dwordx4 v[2:5], off, off offset:944
	s_waitcnt vmcnt(0)
	v_add_f64 v[2:3], v[2:3], -v[6:7]
	v_add_f64 v[4:5], v[4:5], -v[36:37]
	scratch_store_dwordx4 off, v[2:5], off offset:944
	s_and_saveexec_b64 s[0:1], vcc
	s_cbranch_execz .LBB126_289
; %bb.288:
	scratch_load_dwordx4 v[2:5], off, s90
	v_mov_b32_e32 v6, 0
	v_mov_b32_e32 v7, v6
	;; [unrolled: 1-line block ×4, first 2 shown]
	v_accvgpr_read_b32 v1, a1
	scratch_store_dwordx4 off, v[6:9], off offset:928
	s_waitcnt vmcnt(1)
	ds_write_b128 v1, v[2:5]
.LBB126_289:
	s_or_b64 exec, exec, s[0:1]
	s_waitcnt lgkmcnt(0)
	; wave barrier
	scratch_load_dwordx4 v[4:7], off, off offset:944
	scratch_load_dwordx4 v[8:11], off, off offset:960
	;; [unrolled: 1-line block ×6, first 2 shown]
	v_mov_b32_e32 v2, 0
	ds_read_b128 v[28:31], v2 offset:1936
	ds_read_b128 v[32:35], v2 offset:1952
	ds_read_b128 v[36:39], v2 offset:1968
	ds_read_b128 v[40:43], v2 offset:1984
	ds_read_b128 v[44:47], v2 offset:2000
	v_cmp_lt_u32_e32 vcc, 56, v0
	s_waitcnt vmcnt(5) lgkmcnt(4)
	v_mul_f64 v[48:49], v[28:29], v[6:7]
	v_mul_f64 v[6:7], v[30:31], v[6:7]
	s_waitcnt vmcnt(4) lgkmcnt(3)
	v_mul_f64 v[50:51], v[32:33], v[10:11]
	s_waitcnt vmcnt(3) lgkmcnt(2)
	v_mul_f64 v[52:53], v[36:37], v[14:15]
	v_mul_f64 v[10:11], v[34:35], v[10:11]
	;; [unrolled: 1-line block ×3, first 2 shown]
	v_fmac_f64_e32 v[48:49], v[30:31], v[4:5]
	v_fma_f64 v[4:5], v[28:29], v[4:5], -v[6:7]
	v_fmac_f64_e32 v[50:51], v[34:35], v[8:9]
	v_fma_f64 v[6:7], v[32:33], v[8:9], -v[10:11]
	v_fma_f64 v[8:9], v[36:37], v[12:13], -v[14:15]
	v_add_f64 v[14:15], v[48:49], 0
	v_add_f64 v[4:5], v[4:5], 0
	s_waitcnt vmcnt(2) lgkmcnt(1)
	v_mul_f64 v[54:55], v[40:41], v[18:19]
	v_mul_f64 v[18:19], v[42:43], v[18:19]
	v_fmac_f64_e32 v[52:53], v[38:39], v[12:13]
	v_add_f64 v[14:15], v[14:15], v[50:51]
	v_add_f64 v[4:5], v[4:5], v[6:7]
	s_waitcnt vmcnt(1) lgkmcnt(0)
	v_mul_f64 v[56:57], v[44:45], v[22:23]
	v_mul_f64 v[22:23], v[46:47], v[22:23]
	v_fmac_f64_e32 v[54:55], v[42:43], v[16:17]
	v_fma_f64 v[10:11], v[40:41], v[16:17], -v[18:19]
	v_add_f64 v[6:7], v[14:15], v[52:53]
	v_add_f64 v[4:5], v[4:5], v[8:9]
	v_fmac_f64_e32 v[56:57], v[46:47], v[20:21]
	v_fma_f64 v[12:13], v[44:45], v[20:21], -v[22:23]
	v_add_f64 v[6:7], v[6:7], v[54:55]
	v_add_f64 v[4:5], v[4:5], v[10:11]
	;; [unrolled: 1-line block ×4, first 2 shown]
	s_waitcnt vmcnt(0)
	v_add_f64 v[4:5], v[24:25], -v[4:5]
	v_add_f64 v[6:7], v[26:27], -v[6:7]
	scratch_store_dwordx4 off, v[4:7], off offset:928
	s_and_saveexec_b64 s[0:1], vcc
	s_cbranch_execz .LBB126_291
; %bb.290:
	scratch_load_dwordx4 v[6:9], off, s33
	v_mov_b32_e32 v3, v2
	v_mov_b32_e32 v4, v2
	;; [unrolled: 1-line block ×3, first 2 shown]
	v_accvgpr_read_b32 v1, a1
	scratch_store_dwordx4 off, v[2:5], off offset:912
	s_waitcnt vmcnt(1)
	ds_write_b128 v1, v[6:9]
.LBB126_291:
	s_or_b64 exec, exec, s[0:1]
	s_waitcnt lgkmcnt(0)
	; wave barrier
	scratch_load_dwordx4 v[4:7], off, off offset:928
	scratch_load_dwordx4 v[8:11], off, off offset:944
	;; [unrolled: 1-line block ×7, first 2 shown]
	ds_read_b128 v[32:35], v2 offset:1920
	ds_read_b128 v[36:39], v2 offset:1936
	ds_read_b128 v[40:43], v2 offset:1952
	ds_read_b128 v[44:47], v2 offset:1968
	ds_read_b128 v[48:51], v2 offset:1984
	ds_read_b128 v[52:55], v2 offset:2000
	v_cmp_lt_u32_e32 vcc, 55, v0
	s_waitcnt vmcnt(6) lgkmcnt(5)
	v_mul_f64 v[2:3], v[32:33], v[6:7]
	v_mul_f64 v[6:7], v[34:35], v[6:7]
	s_waitcnt vmcnt(5) lgkmcnt(4)
	v_mul_f64 v[56:57], v[36:37], v[10:11]
	v_mul_f64 v[10:11], v[38:39], v[10:11]
	v_fmac_f64_e32 v[2:3], v[34:35], v[4:5]
	v_fma_f64 v[4:5], v[32:33], v[4:5], -v[6:7]
	s_waitcnt vmcnt(4) lgkmcnt(3)
	v_mul_f64 v[58:59], v[40:41], v[14:15]
	v_mul_f64 v[14:15], v[42:43], v[14:15]
	v_fmac_f64_e32 v[56:57], v[38:39], v[8:9]
	v_fma_f64 v[6:7], v[36:37], v[8:9], -v[10:11]
	v_add_f64 v[2:3], v[2:3], 0
	v_add_f64 v[4:5], v[4:5], 0
	s_waitcnt vmcnt(3) lgkmcnt(2)
	v_mul_f64 v[60:61], v[44:45], v[18:19]
	v_mul_f64 v[18:19], v[46:47], v[18:19]
	v_fmac_f64_e32 v[58:59], v[42:43], v[12:13]
	v_fma_f64 v[8:9], v[40:41], v[12:13], -v[14:15]
	v_add_f64 v[2:3], v[2:3], v[56:57]
	v_add_f64 v[4:5], v[4:5], v[6:7]
	;; [unrolled: 7-line block ×4, first 2 shown]
	v_fmac_f64_e32 v[64:65], v[54:55], v[24:25]
	v_fma_f64 v[14:15], v[52:53], v[24:25], -v[26:27]
	v_add_f64 v[2:3], v[2:3], v[62:63]
	v_add_f64 v[4:5], v[4:5], v[12:13]
	;; [unrolled: 1-line block ×4, first 2 shown]
	s_waitcnt vmcnt(0)
	v_add_f64 v[2:3], v[28:29], -v[2:3]
	v_add_f64 v[4:5], v[30:31], -v[6:7]
	scratch_store_dwordx4 off, v[2:5], off offset:912
	s_and_saveexec_b64 s[0:1], vcc
	s_cbranch_execz .LBB126_293
; %bb.292:
	scratch_load_dwordx4 v[2:5], off, s34
	v_mov_b32_e32 v6, 0
	v_mov_b32_e32 v7, v6
	;; [unrolled: 1-line block ×4, first 2 shown]
	v_accvgpr_read_b32 v1, a1
	scratch_store_dwordx4 off, v[6:9], off offset:896
	s_waitcnt vmcnt(1)
	ds_write_b128 v1, v[2:5]
.LBB126_293:
	s_or_b64 exec, exec, s[0:1]
	s_waitcnt lgkmcnt(0)
	; wave barrier
	scratch_load_dwordx4 v[4:7], off, off offset:912
	scratch_load_dwordx4 v[8:11], off, off offset:928
	;; [unrolled: 1-line block ×8, first 2 shown]
	v_mov_b32_e32 v2, 0
	ds_read_b128 v[36:39], v2 offset:1904
	ds_read_b128 v[40:43], v2 offset:1920
	;; [unrolled: 1-line block ×7, first 2 shown]
	v_cmp_lt_u32_e32 vcc, 54, v0
	s_waitcnt vmcnt(7) lgkmcnt(6)
	v_mul_f64 v[64:65], v[36:37], v[6:7]
	v_mul_f64 v[6:7], v[38:39], v[6:7]
	s_waitcnt vmcnt(6) lgkmcnt(5)
	v_mul_f64 v[66:67], v[40:41], v[10:11]
	s_waitcnt vmcnt(4) lgkmcnt(3)
	v_mul_f64 v[70:71], v[48:49], v[18:19]
	v_mul_f64 v[10:11], v[42:43], v[10:11]
	;; [unrolled: 1-line block ×3, first 2 shown]
	v_fmac_f64_e32 v[64:65], v[38:39], v[4:5]
	v_fma_f64 v[4:5], v[36:37], v[4:5], -v[6:7]
	v_mul_f64 v[68:69], v[44:45], v[14:15]
	v_mul_f64 v[14:15], v[46:47], v[14:15]
	v_fmac_f64_e32 v[66:67], v[42:43], v[8:9]
	v_fma_f64 v[6:7], v[40:41], v[8:9], -v[10:11]
	v_fma_f64 v[10:11], v[48:49], v[16:17], -v[18:19]
	v_add_f64 v[18:19], v[64:65], 0
	v_add_f64 v[4:5], v[4:5], 0
	v_fmac_f64_e32 v[68:69], v[46:47], v[12:13]
	v_fma_f64 v[8:9], v[44:45], v[12:13], -v[14:15]
	v_add_f64 v[18:19], v[18:19], v[66:67]
	v_add_f64 v[4:5], v[4:5], v[6:7]
	s_waitcnt vmcnt(3) lgkmcnt(2)
	v_mul_f64 v[72:73], v[52:53], v[22:23]
	v_mul_f64 v[22:23], v[54:55], v[22:23]
	v_fmac_f64_e32 v[70:71], v[50:51], v[16:17]
	v_add_f64 v[6:7], v[18:19], v[68:69]
	v_add_f64 v[4:5], v[4:5], v[8:9]
	s_waitcnt vmcnt(2) lgkmcnt(1)
	v_mul_f64 v[74:75], v[56:57], v[26:27]
	v_mul_f64 v[26:27], v[58:59], v[26:27]
	v_fmac_f64_e32 v[72:73], v[54:55], v[20:21]
	v_fma_f64 v[12:13], v[52:53], v[20:21], -v[22:23]
	v_add_f64 v[6:7], v[6:7], v[70:71]
	v_add_f64 v[4:5], v[4:5], v[10:11]
	s_waitcnt vmcnt(1) lgkmcnt(0)
	v_mul_f64 v[76:77], v[60:61], v[30:31]
	v_mul_f64 v[30:31], v[62:63], v[30:31]
	v_fmac_f64_e32 v[74:75], v[58:59], v[24:25]
	v_fma_f64 v[14:15], v[56:57], v[24:25], -v[26:27]
	v_add_f64 v[6:7], v[6:7], v[72:73]
	v_add_f64 v[4:5], v[4:5], v[12:13]
	v_fmac_f64_e32 v[76:77], v[62:63], v[28:29]
	v_fma_f64 v[16:17], v[60:61], v[28:29], -v[30:31]
	v_add_f64 v[6:7], v[6:7], v[74:75]
	v_add_f64 v[4:5], v[4:5], v[14:15]
	;; [unrolled: 1-line block ×4, first 2 shown]
	s_waitcnt vmcnt(0)
	v_add_f64 v[4:5], v[32:33], -v[4:5]
	v_add_f64 v[6:7], v[34:35], -v[6:7]
	scratch_store_dwordx4 off, v[4:7], off offset:896
	s_and_saveexec_b64 s[0:1], vcc
	s_cbranch_execz .LBB126_295
; %bb.294:
	scratch_load_dwordx4 v[6:9], off, s35
	v_mov_b32_e32 v3, v2
	v_mov_b32_e32 v4, v2
	v_mov_b32_e32 v5, v2
	v_accvgpr_read_b32 v1, a1
	scratch_store_dwordx4 off, v[2:5], off offset:880
	s_waitcnt vmcnt(1)
	ds_write_b128 v1, v[6:9]
.LBB126_295:
	s_or_b64 exec, exec, s[0:1]
	s_waitcnt lgkmcnt(0)
	; wave barrier
	scratch_load_dwordx4 v[4:7], off, off offset:896
	scratch_load_dwordx4 v[8:11], off, off offset:912
	;; [unrolled: 1-line block ×9, first 2 shown]
	ds_read_b128 v[40:43], v2 offset:1888
	ds_read_b128 v[44:47], v2 offset:1904
	;; [unrolled: 1-line block ×8, first 2 shown]
	v_cmp_lt_u32_e32 vcc, 53, v0
	s_waitcnt vmcnt(8) lgkmcnt(7)
	v_mul_f64 v[2:3], v[40:41], v[6:7]
	v_mul_f64 v[6:7], v[42:43], v[6:7]
	s_waitcnt vmcnt(7) lgkmcnt(6)
	v_mul_f64 v[72:73], v[44:45], v[10:11]
	v_mul_f64 v[10:11], v[46:47], v[10:11]
	v_fmac_f64_e32 v[2:3], v[42:43], v[4:5]
	v_fma_f64 v[4:5], v[40:41], v[4:5], -v[6:7]
	s_waitcnt vmcnt(6) lgkmcnt(5)
	v_mul_f64 v[74:75], v[48:49], v[14:15]
	v_mul_f64 v[14:15], v[50:51], v[14:15]
	v_fmac_f64_e32 v[72:73], v[46:47], v[8:9]
	v_fma_f64 v[6:7], v[44:45], v[8:9], -v[10:11]
	v_add_f64 v[2:3], v[2:3], 0
	v_add_f64 v[4:5], v[4:5], 0
	s_waitcnt vmcnt(5) lgkmcnt(4)
	v_mul_f64 v[76:77], v[52:53], v[18:19]
	v_mul_f64 v[18:19], v[54:55], v[18:19]
	v_fmac_f64_e32 v[74:75], v[50:51], v[12:13]
	v_fma_f64 v[8:9], v[48:49], v[12:13], -v[14:15]
	v_add_f64 v[2:3], v[2:3], v[72:73]
	v_add_f64 v[4:5], v[4:5], v[6:7]
	;; [unrolled: 7-line block ×6, first 2 shown]
	v_fmac_f64_e32 v[84:85], v[70:71], v[32:33]
	v_fma_f64 v[18:19], v[68:69], v[32:33], -v[34:35]
	v_add_f64 v[2:3], v[2:3], v[82:83]
	v_add_f64 v[4:5], v[4:5], v[16:17]
	;; [unrolled: 1-line block ×4, first 2 shown]
	s_waitcnt vmcnt(0)
	v_add_f64 v[2:3], v[36:37], -v[2:3]
	v_add_f64 v[4:5], v[38:39], -v[6:7]
	scratch_store_dwordx4 off, v[2:5], off offset:880
	s_and_saveexec_b64 s[0:1], vcc
	s_cbranch_execz .LBB126_297
; %bb.296:
	scratch_load_dwordx4 v[2:5], off, s36
	v_mov_b32_e32 v6, 0
	v_mov_b32_e32 v7, v6
	v_mov_b32_e32 v8, v6
	v_mov_b32_e32 v9, v6
	v_accvgpr_read_b32 v1, a1
	scratch_store_dwordx4 off, v[6:9], off offset:864
	s_waitcnt vmcnt(1)
	ds_write_b128 v1, v[2:5]
.LBB126_297:
	s_or_b64 exec, exec, s[0:1]
	s_waitcnt lgkmcnt(0)
	; wave barrier
	scratch_load_dwordx4 v[4:7], off, off offset:880
	scratch_load_dwordx4 v[8:11], off, off offset:896
	;; [unrolled: 1-line block ×10, first 2 shown]
	v_mov_b32_e32 v2, 0
	ds_read_b128 v[44:47], v2 offset:1872
	ds_read_b128 v[48:51], v2 offset:1888
	;; [unrolled: 1-line block ×9, first 2 shown]
	v_cmp_lt_u32_e32 vcc, 52, v0
	s_waitcnt vmcnt(9) lgkmcnt(8)
	v_mul_f64 v[80:81], v[44:45], v[6:7]
	v_mul_f64 v[6:7], v[46:47], v[6:7]
	s_waitcnt vmcnt(8) lgkmcnt(7)
	v_mul_f64 v[82:83], v[48:49], v[10:11]
	s_waitcnt vmcnt(7) lgkmcnt(6)
	;; [unrolled: 2-line block ×3, first 2 shown]
	v_mul_f64 v[88:89], v[60:61], v[22:23]
	v_mul_f64 v[10:11], v[50:51], v[10:11]
	;; [unrolled: 1-line block ×4, first 2 shown]
	v_fmac_f64_e32 v[80:81], v[46:47], v[4:5]
	v_fma_f64 v[4:5], v[44:45], v[4:5], -v[6:7]
	v_fmac_f64_e32 v[82:83], v[50:51], v[8:9]
	v_fmac_f64_e32 v[84:85], v[54:55], v[12:13]
	v_fma_f64 v[6:7], v[48:49], v[8:9], -v[10:11]
	v_fma_f64 v[8:9], v[52:53], v[12:13], -v[14:15]
	;; [unrolled: 1-line block ×3, first 2 shown]
	v_add_f64 v[22:23], v[80:81], 0
	v_add_f64 v[4:5], v[4:5], 0
	v_mul_f64 v[86:87], v[56:57], v[18:19]
	v_mul_f64 v[18:19], v[58:59], v[18:19]
	v_add_f64 v[22:23], v[22:23], v[82:83]
	v_add_f64 v[4:5], v[4:5], v[6:7]
	v_fmac_f64_e32 v[86:87], v[58:59], v[16:17]
	v_fma_f64 v[10:11], v[56:57], v[16:17], -v[18:19]
	v_add_f64 v[6:7], v[22:23], v[84:85]
	v_add_f64 v[4:5], v[4:5], v[8:9]
	s_waitcnt vmcnt(4) lgkmcnt(3)
	v_mul_f64 v[90:91], v[64:65], v[26:27]
	v_mul_f64 v[26:27], v[66:67], v[26:27]
	v_fmac_f64_e32 v[88:89], v[62:63], v[20:21]
	v_add_f64 v[6:7], v[6:7], v[86:87]
	v_add_f64 v[4:5], v[4:5], v[10:11]
	s_waitcnt vmcnt(3) lgkmcnt(2)
	v_mul_f64 v[92:93], v[68:69], v[30:31]
	v_mul_f64 v[30:31], v[70:71], v[30:31]
	v_fmac_f64_e32 v[90:91], v[66:67], v[24:25]
	v_fma_f64 v[14:15], v[64:65], v[24:25], -v[26:27]
	v_add_f64 v[6:7], v[6:7], v[88:89]
	v_add_f64 v[4:5], v[4:5], v[12:13]
	s_waitcnt vmcnt(2) lgkmcnt(1)
	v_mul_f64 v[94:95], v[72:73], v[34:35]
	v_mul_f64 v[34:35], v[74:75], v[34:35]
	v_fmac_f64_e32 v[92:93], v[70:71], v[28:29]
	v_fma_f64 v[16:17], v[68:69], v[28:29], -v[30:31]
	;; [unrolled: 7-line block ×3, first 2 shown]
	v_add_f64 v[6:7], v[6:7], v[92:93]
	v_add_f64 v[4:5], v[4:5], v[16:17]
	v_fmac_f64_e32 v[96:97], v[78:79], v[36:37]
	v_fma_f64 v[20:21], v[76:77], v[36:37], -v[38:39]
	v_add_f64 v[6:7], v[6:7], v[94:95]
	v_add_f64 v[4:5], v[4:5], v[18:19]
	;; [unrolled: 1-line block ×4, first 2 shown]
	s_waitcnt vmcnt(0)
	v_add_f64 v[4:5], v[40:41], -v[4:5]
	v_add_f64 v[6:7], v[42:43], -v[6:7]
	scratch_store_dwordx4 off, v[4:7], off offset:864
	s_and_saveexec_b64 s[0:1], vcc
	s_cbranch_execz .LBB126_299
; %bb.298:
	scratch_load_dwordx4 v[6:9], off, s37
	v_mov_b32_e32 v3, v2
	v_mov_b32_e32 v4, v2
	;; [unrolled: 1-line block ×3, first 2 shown]
	v_accvgpr_read_b32 v1, a1
	scratch_store_dwordx4 off, v[2:5], off offset:848
	s_waitcnt vmcnt(1)
	ds_write_b128 v1, v[6:9]
.LBB126_299:
	s_or_b64 exec, exec, s[0:1]
	s_waitcnt lgkmcnt(0)
	; wave barrier
	scratch_load_dwordx4 v[4:7], off, off offset:864
	scratch_load_dwordx4 v[8:11], off, off offset:880
	;; [unrolled: 1-line block ×11, first 2 shown]
	ds_read_b128 v[48:51], v2 offset:1856
	ds_read_b128 v[52:55], v2 offset:1872
	;; [unrolled: 1-line block ×10, first 2 shown]
	v_cmp_lt_u32_e32 vcc, 51, v0
	s_waitcnt vmcnt(10) lgkmcnt(9)
	v_mul_f64 v[2:3], v[48:49], v[6:7]
	v_mul_f64 v[6:7], v[50:51], v[6:7]
	s_waitcnt vmcnt(9) lgkmcnt(8)
	v_mul_f64 v[88:89], v[52:53], v[10:11]
	v_mul_f64 v[10:11], v[54:55], v[10:11]
	v_fmac_f64_e32 v[2:3], v[50:51], v[4:5]
	v_fma_f64 v[4:5], v[48:49], v[4:5], -v[6:7]
	s_waitcnt vmcnt(8) lgkmcnt(7)
	v_mul_f64 v[90:91], v[56:57], v[14:15]
	v_mul_f64 v[14:15], v[58:59], v[14:15]
	v_fmac_f64_e32 v[88:89], v[54:55], v[8:9]
	v_fma_f64 v[6:7], v[52:53], v[8:9], -v[10:11]
	v_add_f64 v[2:3], v[2:3], 0
	v_add_f64 v[4:5], v[4:5], 0
	s_waitcnt vmcnt(7) lgkmcnt(6)
	v_mul_f64 v[92:93], v[60:61], v[18:19]
	v_mul_f64 v[18:19], v[62:63], v[18:19]
	v_fmac_f64_e32 v[90:91], v[58:59], v[12:13]
	v_fma_f64 v[8:9], v[56:57], v[12:13], -v[14:15]
	v_add_f64 v[2:3], v[2:3], v[88:89]
	v_add_f64 v[4:5], v[4:5], v[6:7]
	s_waitcnt vmcnt(6) lgkmcnt(5)
	v_mul_f64 v[94:95], v[64:65], v[22:23]
	v_mul_f64 v[22:23], v[66:67], v[22:23]
	v_fmac_f64_e32 v[92:93], v[62:63], v[16:17]
	v_fma_f64 v[10:11], v[60:61], v[16:17], -v[18:19]
	v_add_f64 v[2:3], v[2:3], v[90:91]
	v_add_f64 v[4:5], v[4:5], v[8:9]
	s_waitcnt vmcnt(5) lgkmcnt(4)
	v_mul_f64 v[96:97], v[68:69], v[26:27]
	v_mul_f64 v[26:27], v[70:71], v[26:27]
	v_fmac_f64_e32 v[94:95], v[66:67], v[20:21]
	v_fma_f64 v[12:13], v[64:65], v[20:21], -v[22:23]
	v_add_f64 v[2:3], v[2:3], v[92:93]
	v_add_f64 v[4:5], v[4:5], v[10:11]
	s_waitcnt vmcnt(4) lgkmcnt(3)
	v_mul_f64 v[98:99], v[72:73], v[30:31]
	v_mul_f64 v[30:31], v[74:75], v[30:31]
	v_fmac_f64_e32 v[96:97], v[70:71], v[24:25]
	v_fma_f64 v[14:15], v[68:69], v[24:25], -v[26:27]
	v_add_f64 v[2:3], v[2:3], v[94:95]
	v_add_f64 v[4:5], v[4:5], v[12:13]
	s_waitcnt vmcnt(3) lgkmcnt(2)
	v_mul_f64 v[100:101], v[76:77], v[34:35]
	v_mul_f64 v[34:35], v[78:79], v[34:35]
	v_fmac_f64_e32 v[98:99], v[74:75], v[28:29]
	v_fma_f64 v[16:17], v[72:73], v[28:29], -v[30:31]
	v_add_f64 v[2:3], v[2:3], v[96:97]
	v_add_f64 v[4:5], v[4:5], v[14:15]
	s_waitcnt vmcnt(2) lgkmcnt(1)
	v_mul_f64 v[102:103], v[80:81], v[38:39]
	v_mul_f64 v[38:39], v[82:83], v[38:39]
	v_fmac_f64_e32 v[100:101], v[78:79], v[32:33]
	v_fma_f64 v[18:19], v[76:77], v[32:33], -v[34:35]
	v_add_f64 v[2:3], v[2:3], v[98:99]
	v_add_f64 v[4:5], v[4:5], v[16:17]
	s_waitcnt vmcnt(1) lgkmcnt(0)
	v_mul_f64 v[104:105], v[84:85], v[42:43]
	v_mul_f64 v[42:43], v[86:87], v[42:43]
	v_fmac_f64_e32 v[102:103], v[82:83], v[36:37]
	v_fma_f64 v[20:21], v[80:81], v[36:37], -v[38:39]
	v_add_f64 v[2:3], v[2:3], v[100:101]
	v_add_f64 v[4:5], v[4:5], v[18:19]
	v_fmac_f64_e32 v[104:105], v[86:87], v[40:41]
	v_fma_f64 v[22:23], v[84:85], v[40:41], -v[42:43]
	v_add_f64 v[2:3], v[2:3], v[102:103]
	v_add_f64 v[4:5], v[4:5], v[20:21]
	;; [unrolled: 1-line block ×4, first 2 shown]
	s_waitcnt vmcnt(0)
	v_add_f64 v[2:3], v[44:45], -v[2:3]
	v_add_f64 v[4:5], v[46:47], -v[6:7]
	scratch_store_dwordx4 off, v[2:5], off offset:848
	s_and_saveexec_b64 s[0:1], vcc
	s_cbranch_execz .LBB126_301
; %bb.300:
	scratch_load_dwordx4 v[2:5], off, s38
	v_mov_b32_e32 v6, 0
	v_mov_b32_e32 v7, v6
	;; [unrolled: 1-line block ×4, first 2 shown]
	v_accvgpr_read_b32 v1, a1
	scratch_store_dwordx4 off, v[6:9], off offset:832
	s_waitcnt vmcnt(1)
	ds_write_b128 v1, v[2:5]
.LBB126_301:
	s_or_b64 exec, exec, s[0:1]
	s_waitcnt lgkmcnt(0)
	; wave barrier
	scratch_load_dwordx4 v[4:7], off, off offset:848
	scratch_load_dwordx4 v[8:11], off, off offset:864
	;; [unrolled: 1-line block ×12, first 2 shown]
	v_mov_b32_e32 v2, 0
	ds_read_b128 v[52:55], v2 offset:1840
	ds_read_b128 v[56:59], v2 offset:1856
	;; [unrolled: 1-line block ×11, first 2 shown]
	v_cmp_lt_u32_e32 vcc, 50, v0
	s_waitcnt vmcnt(11) lgkmcnt(10)
	v_mul_f64 v[96:97], v[52:53], v[6:7]
	v_mul_f64 v[6:7], v[54:55], v[6:7]
	s_waitcnt vmcnt(10) lgkmcnt(9)
	v_mul_f64 v[98:99], v[56:57], v[10:11]
	s_waitcnt vmcnt(9) lgkmcnt(8)
	v_mul_f64 v[100:101], v[60:61], v[14:15]
	v_mul_f64 v[10:11], v[58:59], v[10:11]
	s_waitcnt vmcnt(6) lgkmcnt(5)
	v_mul_f64 v[106:107], v[72:73], v[26:27]
	v_mul_f64 v[14:15], v[62:63], v[14:15]
	;; [unrolled: 1-line block ×3, first 2 shown]
	v_fmac_f64_e32 v[96:97], v[54:55], v[4:5]
	v_fma_f64 v[4:5], v[52:53], v[4:5], -v[6:7]
	v_fmac_f64_e32 v[98:99], v[58:59], v[8:9]
	v_fma_f64 v[6:7], v[56:57], v[8:9], -v[10:11]
	v_fma_f64 v[8:9], v[60:61], v[12:13], -v[14:15]
	;; [unrolled: 1-line block ×3, first 2 shown]
	v_add_f64 v[26:27], v[96:97], 0
	v_add_f64 v[4:5], v[4:5], 0
	v_mul_f64 v[102:103], v[64:65], v[18:19]
	v_mul_f64 v[18:19], v[66:67], v[18:19]
	v_fmac_f64_e32 v[100:101], v[62:63], v[12:13]
	v_add_f64 v[26:27], v[26:27], v[98:99]
	v_add_f64 v[4:5], v[4:5], v[6:7]
	v_mul_f64 v[104:105], v[68:69], v[22:23]
	v_mul_f64 v[22:23], v[70:71], v[22:23]
	v_fmac_f64_e32 v[102:103], v[66:67], v[16:17]
	v_fma_f64 v[10:11], v[64:65], v[16:17], -v[18:19]
	v_add_f64 v[6:7], v[26:27], v[100:101]
	v_add_f64 v[4:5], v[4:5], v[8:9]
	v_fmac_f64_e32 v[104:105], v[70:71], v[20:21]
	v_fma_f64 v[12:13], v[68:69], v[20:21], -v[22:23]
	v_add_f64 v[6:7], v[6:7], v[102:103]
	v_add_f64 v[4:5], v[4:5], v[10:11]
	s_waitcnt vmcnt(5) lgkmcnt(4)
	v_mul_f64 v[108:109], v[76:77], v[30:31]
	v_mul_f64 v[30:31], v[78:79], v[30:31]
	v_fmac_f64_e32 v[106:107], v[74:75], v[24:25]
	v_add_f64 v[6:7], v[6:7], v[104:105]
	v_add_f64 v[4:5], v[4:5], v[12:13]
	s_waitcnt vmcnt(4) lgkmcnt(3)
	v_mul_f64 v[110:111], v[80:81], v[34:35]
	v_mul_f64 v[34:35], v[82:83], v[34:35]
	v_fmac_f64_e32 v[108:109], v[78:79], v[28:29]
	v_fma_f64 v[16:17], v[76:77], v[28:29], -v[30:31]
	v_add_f64 v[6:7], v[6:7], v[106:107]
	v_add_f64 v[4:5], v[4:5], v[14:15]
	s_waitcnt vmcnt(3) lgkmcnt(2)
	v_mul_f64 v[112:113], v[84:85], v[38:39]
	v_mul_f64 v[38:39], v[86:87], v[38:39]
	v_fmac_f64_e32 v[110:111], v[82:83], v[32:33]
	v_fma_f64 v[18:19], v[80:81], v[32:33], -v[34:35]
	;; [unrolled: 7-line block ×4, first 2 shown]
	v_add_f64 v[6:7], v[6:7], v[112:113]
	v_add_f64 v[4:5], v[4:5], v[20:21]
	v_fmac_f64_e32 v[116:117], v[94:95], v[44:45]
	v_fma_f64 v[24:25], v[92:93], v[44:45], -v[46:47]
	v_add_f64 v[6:7], v[6:7], v[114:115]
	v_add_f64 v[4:5], v[4:5], v[22:23]
	;; [unrolled: 1-line block ×4, first 2 shown]
	s_waitcnt vmcnt(0)
	v_add_f64 v[4:5], v[48:49], -v[4:5]
	v_add_f64 v[6:7], v[50:51], -v[6:7]
	scratch_store_dwordx4 off, v[4:7], off offset:832
	s_and_saveexec_b64 s[0:1], vcc
	s_cbranch_execz .LBB126_303
; %bb.302:
	scratch_load_dwordx4 v[6:9], off, s39
	v_mov_b32_e32 v3, v2
	v_mov_b32_e32 v4, v2
	;; [unrolled: 1-line block ×3, first 2 shown]
	v_accvgpr_read_b32 v1, a1
	scratch_store_dwordx4 off, v[2:5], off offset:816
	s_waitcnt vmcnt(1)
	ds_write_b128 v1, v[6:9]
.LBB126_303:
	s_or_b64 exec, exec, s[0:1]
	s_waitcnt lgkmcnt(0)
	; wave barrier
	scratch_load_dwordx4 v[4:7], off, off offset:832
	scratch_load_dwordx4 v[8:11], off, off offset:848
	;; [unrolled: 1-line block ×12, first 2 shown]
	ds_read_b128 v[52:55], v2 offset:1824
	ds_read_b128 v[56:59], v2 offset:1840
	;; [unrolled: 1-line block ×4, first 2 shown]
	scratch_load_dwordx4 v[68:71], off, off offset:816
	ds_read_b128 v[72:75], v2 offset:1888
	ds_read_b128 v[76:79], v2 offset:1904
	;; [unrolled: 1-line block ×8, first 2 shown]
	v_cmp_lt_u32_e32 vcc, 49, v0
	s_waitcnt vmcnt(12) lgkmcnt(11)
	v_mul_f64 v[2:3], v[52:53], v[6:7]
	s_waitcnt vmcnt(11) lgkmcnt(10)
	v_mul_f64 v[104:105], v[56:57], v[10:11]
	v_fmac_f64_e32 v[2:3], v[54:55], v[4:5]
	s_waitcnt vmcnt(10) lgkmcnt(9)
	v_mul_f64 v[106:107], v[60:61], v[14:15]
	v_mul_f64 v[6:7], v[54:55], v[6:7]
	v_fmac_f64_e32 v[104:105], v[58:59], v[8:9]
	v_add_f64 v[2:3], v[2:3], 0
	s_waitcnt vmcnt(9) lgkmcnt(8)
	v_mul_f64 v[108:109], v[64:65], v[18:19]
	v_mul_f64 v[10:11], v[58:59], v[10:11]
	v_fmac_f64_e32 v[106:107], v[62:63], v[12:13]
	v_fma_f64 v[4:5], v[52:53], v[4:5], -v[6:7]
	v_add_f64 v[2:3], v[2:3], v[104:105]
	s_waitcnt vmcnt(8) lgkmcnt(7)
	v_mul_f64 v[110:111], v[72:73], v[22:23]
	v_mul_f64 v[14:15], v[62:63], v[14:15]
	v_fmac_f64_e32 v[108:109], v[66:67], v[16:17]
	v_fma_f64 v[6:7], v[56:57], v[8:9], -v[10:11]
	v_add_f64 v[4:5], v[4:5], 0
	v_add_f64 v[2:3], v[2:3], v[106:107]
	s_waitcnt vmcnt(7) lgkmcnt(6)
	v_mul_f64 v[112:113], v[76:77], v[26:27]
	v_mul_f64 v[18:19], v[66:67], v[18:19]
	v_fmac_f64_e32 v[110:111], v[74:75], v[20:21]
	v_fma_f64 v[8:9], v[60:61], v[12:13], -v[14:15]
	v_add_f64 v[4:5], v[4:5], v[6:7]
	;; [unrolled: 7-line block ×8, first 2 shown]
	v_add_f64 v[2:3], v[2:3], v[120:121]
	v_mul_f64 v[46:47], v[98:99], v[46:47]
	v_fmac_f64_e32 v[124:125], v[102:103], v[48:49]
	v_fma_f64 v[22:23], v[92:93], v[40:41], -v[42:43]
	v_add_f64 v[4:5], v[4:5], v[20:21]
	v_add_f64 v[2:3], v[2:3], v[122:123]
	;; [unrolled: 1-line block ×4, first 2 shown]
	v_fma_f64 v[2:3], v[96:97], v[44:45], -v[46:47]
	v_add_f64 v[2:3], v[4:5], v[2:3]
	v_mul_f64 v[4:5], v[102:103], v[50:51]
	v_fma_f64 v[4:5], v[100:101], v[48:49], -v[4:5]
	v_add_f64 v[2:3], v[2:3], v[4:5]
	s_waitcnt vmcnt(0)
	v_add_f64 v[2:3], v[68:69], -v[2:3]
	v_add_f64 v[4:5], v[70:71], -v[6:7]
	scratch_store_dwordx4 off, v[2:5], off offset:816
	s_and_saveexec_b64 s[0:1], vcc
	s_cbranch_execz .LBB126_305
; %bb.304:
	scratch_load_dwordx4 v[2:5], off, s40
	v_mov_b32_e32 v6, 0
	v_mov_b32_e32 v7, v6
	;; [unrolled: 1-line block ×4, first 2 shown]
	v_accvgpr_read_b32 v1, a1
	scratch_store_dwordx4 off, v[6:9], off offset:800
	s_waitcnt vmcnt(1)
	ds_write_b128 v1, v[2:5]
.LBB126_305:
	s_or_b64 exec, exec, s[0:1]
	v_mov_b32_e32 v2, 0
	s_waitcnt lgkmcnt(0)
	; wave barrier
	ds_read_b128 v[16:19], v2 offset:1808
	ds_read_b128 v[12:15], v2 offset:1824
	;; [unrolled: 1-line block ×4, first 2 shown]
	scratch_load_dwordx4 v[20:23], off, off offset:816
	scratch_load_dwordx4 v[42:45], off, off offset:880
	;; [unrolled: 1-line block ×7, first 2 shown]
	v_cmp_lt_u32_e32 vcc, 48, v0
	scratch_load_dwordx4 v[50:53], off, off offset:896
	scratch_load_dwordx4 v[58:61], off, off offset:912
	;; [unrolled: 1-line block ×3, first 2 shown]
	s_waitcnt vmcnt(9) lgkmcnt(3)
	v_mul_f64 v[24:25], v[16:17], v[22:23]
	v_fmac_f64_e32 v[24:25], v[18:19], v[20:21]
	v_add_f64 v[28:29], v[24:25], 0
	scratch_load_dwordx4 v[24:27], off, off offset:832
	v_mul_f64 v[18:19], v[18:19], v[22:23]
	v_fma_f64 v[16:17], v[16:17], v[20:21], -v[18:19]
	v_add_f64 v[16:17], v[16:17], 0
	s_waitcnt vmcnt(0) lgkmcnt(2)
	v_mul_f64 v[30:31], v[12:13], v[26:27]
	v_fmac_f64_e32 v[30:31], v[14:15], v[24:25]
	v_add_f64 v[32:33], v[28:29], v[30:31]
	scratch_load_dwordx4 v[28:31], off, off offset:848
	v_mul_f64 v[14:15], v[14:15], v[26:27]
	v_fma_f64 v[12:13], v[12:13], v[24:25], -v[14:15]
	v_add_f64 v[12:13], v[16:17], v[12:13]
	;; [unrolled: 8-line block ×3, first 2 shown]
	s_waitcnt vmcnt(0) lgkmcnt(0)
	v_mul_f64 v[38:39], v[4:5], v[36:37]
	v_fmac_f64_e32 v[38:39], v[6:7], v[34:35]
	v_add_f64 v[32:33], v[32:33], v[38:39]
	ds_read_b128 v[38:41], v2 offset:1872
	v_mul_f64 v[6:7], v[6:7], v[36:37]
	v_fma_f64 v[4:5], v[4:5], v[34:35], -v[6:7]
	v_add_f64 v[4:5], v[8:9], v[4:5]
	s_waitcnt lgkmcnt(0)
	v_mul_f64 v[46:47], v[38:39], v[44:45]
	v_fmac_f64_e32 v[46:47], v[40:41], v[42:43]
	v_add_f64 v[32:33], v[32:33], v[46:47]
	ds_read_b128 v[46:49], v2 offset:1888
	v_mul_f64 v[6:7], v[40:41], v[44:45]
	v_fma_f64 v[6:7], v[38:39], v[42:43], -v[6:7]
	v_add_f64 v[4:5], v[4:5], v[6:7]
	s_waitcnt lgkmcnt(0)
	;; [unrolled: 8-line block ×9, first 2 shown]
	v_mul_f64 v[6:7], v[104:105], v[108:109]
	v_fma_f64 v[6:7], v[102:103], v[106:107], -v[6:7]
	v_add_f64 v[8:9], v[4:5], v[6:7]
	scratch_load_dwordx4 v[4:7], off, off offset:800
	v_mul_f64 v[110:111], v[102:103], v[108:109]
	v_fmac_f64_e32 v[110:111], v[104:105], v[106:107]
	v_add_f64 v[32:33], v[32:33], v[110:111]
	s_waitcnt vmcnt(0)
	v_add_f64 v[4:5], v[4:5], -v[8:9]
	v_add_f64 v[6:7], v[6:7], -v[32:33]
	scratch_store_dwordx4 off, v[4:7], off offset:800
	s_and_saveexec_b64 s[0:1], vcc
	s_cbranch_execz .LBB126_307
; %bb.306:
	scratch_load_dwordx4 v[6:9], off, s41
	v_mov_b32_e32 v3, v2
	v_mov_b32_e32 v4, v2
	;; [unrolled: 1-line block ×3, first 2 shown]
	v_accvgpr_read_b32 v1, a1
	scratch_store_dwordx4 off, v[2:5], off offset:784
	s_waitcnt vmcnt(1)
	ds_write_b128 v1, v[6:9]
.LBB126_307:
	s_or_b64 exec, exec, s[0:1]
	s_waitcnt lgkmcnt(0)
	; wave barrier
	ds_read_b128 v[16:19], v2 offset:1792
	ds_read_b128 v[12:15], v2 offset:1808
	;; [unrolled: 1-line block ×4, first 2 shown]
	scratch_load_dwordx4 v[20:23], off, off offset:800
	scratch_load_dwordx4 v[42:45], off, off offset:864
	;; [unrolled: 1-line block ×8, first 2 shown]
	v_cmp_lt_u32_e32 vcc, 47, v0
	scratch_load_dwordx4 v[50:53], off, off offset:880
	scratch_load_dwordx4 v[58:61], off, off offset:896
	;; [unrolled: 1-line block ×3, first 2 shown]
	s_waitcnt vmcnt(10) lgkmcnt(3)
	v_mul_f64 v[24:25], v[16:17], v[22:23]
	v_fmac_f64_e32 v[24:25], v[18:19], v[20:21]
	v_add_f64 v[28:29], v[24:25], 0
	scratch_load_dwordx4 v[24:27], off, off offset:816
	s_waitcnt vmcnt(0) lgkmcnt(2)
	v_mul_f64 v[30:31], v[12:13], v[26:27]
	v_fmac_f64_e32 v[30:31], v[14:15], v[24:25]
	v_add_f64 v[32:33], v[28:29], v[30:31]
	scratch_load_dwordx4 v[28:31], off, off offset:832
	v_mul_f64 v[14:15], v[14:15], v[26:27]
	v_fma_f64 v[12:13], v[12:13], v[24:25], -v[14:15]
	s_waitcnt vmcnt(0) lgkmcnt(1)
	v_mul_f64 v[34:35], v[8:9], v[30:31]
	v_fmac_f64_e32 v[34:35], v[10:11], v[28:29]
	v_add_f64 v[36:37], v[32:33], v[34:35]
	scratch_load_dwordx4 v[32:35], off, off offset:848
	v_mul_f64 v[10:11], v[10:11], v[30:31]
	v_fma_f64 v[8:9], v[8:9], v[28:29], -v[10:11]
	s_waitcnt vmcnt(0) lgkmcnt(0)
	v_mul_f64 v[38:39], v[4:5], v[34:35]
	v_fmac_f64_e32 v[38:39], v[6:7], v[32:33]
	v_add_f64 v[40:41], v[36:37], v[38:39]
	ds_read_b128 v[36:39], v2 offset:1856
	v_mul_f64 v[6:7], v[6:7], v[34:35]
	v_fma_f64 v[4:5], v[4:5], v[32:33], -v[6:7]
	s_waitcnt lgkmcnt(0)
	v_mul_f64 v[46:47], v[36:37], v[44:45]
	v_fmac_f64_e32 v[46:47], v[38:39], v[42:43]
	v_add_f64 v[40:41], v[40:41], v[46:47]
	ds_read_b128 v[46:49], v2 offset:1872
	s_waitcnt lgkmcnt(0)
	v_mul_f64 v[54:55], v[46:47], v[52:53]
	v_fmac_f64_e32 v[54:55], v[48:49], v[50:51]
	v_add_f64 v[40:41], v[40:41], v[54:55]
	ds_read_b128 v[54:57], v2 offset:1888
	;; [unrolled: 5-line block ×9, first 2 shown]
	s_waitcnt lgkmcnt(0)
	v_mul_f64 v[2:3], v[110:111], v[116:117]
	v_fmac_f64_e32 v[2:3], v[112:113], v[114:115]
	v_add_f64 v[40:41], v[40:41], v[2:3]
	v_mul_f64 v[2:3], v[18:19], v[22:23]
	v_fma_f64 v[2:3], v[16:17], v[20:21], -v[2:3]
	v_add_f64 v[2:3], v[2:3], 0
	v_add_f64 v[2:3], v[2:3], v[12:13]
	;; [unrolled: 1-line block ×4, first 2 shown]
	v_mul_f64 v[4:5], v[38:39], v[44:45]
	v_fma_f64 v[4:5], v[36:37], v[42:43], -v[4:5]
	v_add_f64 v[2:3], v[2:3], v[4:5]
	v_mul_f64 v[4:5], v[48:49], v[52:53]
	v_fma_f64 v[4:5], v[46:47], v[50:51], -v[4:5]
	v_add_f64 v[2:3], v[2:3], v[4:5]
	;; [unrolled: 3-line block ×10, first 2 shown]
	scratch_load_dwordx4 v[2:5], off, off offset:784
	s_waitcnt vmcnt(0)
	v_add_f64 v[2:3], v[2:3], -v[6:7]
	v_add_f64 v[4:5], v[4:5], -v[40:41]
	scratch_store_dwordx4 off, v[2:5], off offset:784
	s_and_saveexec_b64 s[0:1], vcc
	s_cbranch_execz .LBB126_309
; %bb.308:
	scratch_load_dwordx4 v[2:5], off, s42
	v_mov_b32_e32 v6, 0
	v_mov_b32_e32 v7, v6
	;; [unrolled: 1-line block ×4, first 2 shown]
	v_accvgpr_read_b32 v1, a1
	scratch_store_dwordx4 off, v[6:9], off offset:768
	s_waitcnt vmcnt(1)
	ds_write_b128 v1, v[2:5]
.LBB126_309:
	s_or_b64 exec, exec, s[0:1]
	v_mov_b32_e32 v2, 0
	s_waitcnt lgkmcnt(0)
	; wave barrier
	ds_read_b128 v[16:19], v2 offset:1776
	ds_read_b128 v[12:15], v2 offset:1792
	;; [unrolled: 1-line block ×4, first 2 shown]
	scratch_load_dwordx4 v[20:23], off, off offset:784
	scratch_load_dwordx4 v[40:43], off, off offset:848
	;; [unrolled: 1-line block ×9, first 2 shown]
	v_cmp_lt_u32_e32 vcc, 46, v0
	scratch_load_dwordx4 v[48:51], off, off offset:864
	scratch_load_dwordx4 v[58:61], off, off offset:880
	;; [unrolled: 1-line block ×3, first 2 shown]
	s_waitcnt vmcnt(11) lgkmcnt(3)
	v_mul_f64 v[24:25], v[16:17], v[22:23]
	v_fmac_f64_e32 v[24:25], v[18:19], v[20:21]
	v_add_f64 v[28:29], v[24:25], 0
	scratch_load_dwordx4 v[24:27], off, off offset:800
	v_mul_f64 v[18:19], v[18:19], v[22:23]
	v_fma_f64 v[16:17], v[16:17], v[20:21], -v[18:19]
	v_add_f64 v[16:17], v[16:17], 0
	s_waitcnt vmcnt(0) lgkmcnt(2)
	v_mul_f64 v[30:31], v[12:13], v[26:27]
	v_fmac_f64_e32 v[30:31], v[14:15], v[24:25]
	v_add_f64 v[32:33], v[28:29], v[30:31]
	scratch_load_dwordx4 v[28:31], off, off offset:816
	v_mul_f64 v[14:15], v[14:15], v[26:27]
	v_fma_f64 v[12:13], v[12:13], v[24:25], -v[14:15]
	v_add_f64 v[12:13], v[16:17], v[12:13]
	;; [unrolled: 8-line block ×3, first 2 shown]
	s_waitcnt vmcnt(0) lgkmcnt(0)
	v_mul_f64 v[38:39], v[4:5], v[34:35]
	v_fmac_f64_e32 v[38:39], v[6:7], v[32:33]
	v_add_f64 v[44:45], v[36:37], v[38:39]
	ds_read_b128 v[36:39], v2 offset:1840
	v_mul_f64 v[6:7], v[6:7], v[34:35]
	v_fma_f64 v[4:5], v[4:5], v[32:33], -v[6:7]
	v_add_f64 v[4:5], v[8:9], v[4:5]
	s_waitcnt lgkmcnt(0)
	v_mul_f64 v[46:47], v[36:37], v[42:43]
	v_fmac_f64_e32 v[46:47], v[38:39], v[40:41]
	v_add_f64 v[52:53], v[44:45], v[46:47]
	ds_read_b128 v[44:47], v2 offset:1856
	v_mul_f64 v[6:7], v[38:39], v[42:43]
	v_fma_f64 v[6:7], v[36:37], v[40:41], -v[6:7]
	v_add_f64 v[4:5], v[4:5], v[6:7]
	s_waitcnt lgkmcnt(0)
	v_mul_f64 v[54:55], v[44:45], v[50:51]
	v_fmac_f64_e32 v[54:55], v[46:47], v[48:49]
	v_add_f64 v[56:57], v[52:53], v[54:55]
	ds_read_b128 v[52:55], v2 offset:1872
	v_mul_f64 v[6:7], v[46:47], v[50:51]
	v_fma_f64 v[6:7], v[44:45], v[48:49], -v[6:7]
	v_add_f64 v[4:5], v[4:5], v[6:7]
	s_waitcnt lgkmcnt(0)
	v_mul_f64 v[62:63], v[52:53], v[60:61]
	v_fmac_f64_e32 v[62:63], v[54:55], v[58:59]
	v_add_f64 v[56:57], v[56:57], v[62:63]
	ds_read_b128 v[62:65], v2 offset:1888
	v_mul_f64 v[6:7], v[54:55], v[60:61]
	v_fma_f64 v[6:7], v[52:53], v[58:59], -v[6:7]
	v_add_f64 v[4:5], v[4:5], v[6:7]
	s_waitcnt lgkmcnt(0)
	v_mul_f64 v[70:71], v[62:63], v[68:69]
	v_fmac_f64_e32 v[70:71], v[64:65], v[66:67]
	v_add_f64 v[56:57], v[56:57], v[70:71]
	ds_read_b128 v[70:73], v2 offset:1904
	v_mul_f64 v[6:7], v[64:65], v[68:69]
	v_fma_f64 v[6:7], v[62:63], v[66:67], -v[6:7]
	v_add_f64 v[4:5], v[4:5], v[6:7]
	s_waitcnt lgkmcnt(0)
	v_mul_f64 v[78:79], v[70:71], v[76:77]
	v_fmac_f64_e32 v[78:79], v[72:73], v[74:75]
	v_add_f64 v[56:57], v[56:57], v[78:79]
	ds_read_b128 v[78:81], v2 offset:1920
	v_mul_f64 v[6:7], v[72:73], v[76:77]
	v_fma_f64 v[6:7], v[70:71], v[74:75], -v[6:7]
	v_add_f64 v[4:5], v[4:5], v[6:7]
	s_waitcnt lgkmcnt(0)
	v_mul_f64 v[86:87], v[78:79], v[84:85]
	v_fmac_f64_e32 v[86:87], v[80:81], v[82:83]
	v_add_f64 v[56:57], v[56:57], v[86:87]
	ds_read_b128 v[86:89], v2 offset:1936
	v_mul_f64 v[6:7], v[80:81], v[84:85]
	v_fma_f64 v[6:7], v[78:79], v[82:83], -v[6:7]
	v_add_f64 v[4:5], v[4:5], v[6:7]
	s_waitcnt lgkmcnt(0)
	v_mul_f64 v[94:95], v[86:87], v[92:93]
	v_fmac_f64_e32 v[94:95], v[88:89], v[90:91]
	v_add_f64 v[56:57], v[56:57], v[94:95]
	ds_read_b128 v[94:97], v2 offset:1952
	v_mul_f64 v[6:7], v[88:89], v[92:93]
	v_fma_f64 v[6:7], v[86:87], v[90:91], -v[6:7]
	v_add_f64 v[4:5], v[4:5], v[6:7]
	s_waitcnt lgkmcnt(0)
	v_mul_f64 v[102:103], v[94:95], v[100:101]
	v_fmac_f64_e32 v[102:103], v[96:97], v[98:99]
	v_add_f64 v[56:57], v[56:57], v[102:103]
	ds_read_b128 v[102:105], v2 offset:1968
	v_mul_f64 v[6:7], v[96:97], v[100:101]
	v_fma_f64 v[6:7], v[94:95], v[98:99], -v[6:7]
	v_add_f64 v[4:5], v[4:5], v[6:7]
	s_waitcnt lgkmcnt(0)
	v_mul_f64 v[110:111], v[102:103], v[108:109]
	v_fmac_f64_e32 v[110:111], v[104:105], v[106:107]
	v_add_f64 v[56:57], v[56:57], v[110:111]
	ds_read_b128 v[110:113], v2 offset:1984
	v_mul_f64 v[6:7], v[104:105], v[108:109]
	v_fma_f64 v[6:7], v[102:103], v[106:107], -v[6:7]
	v_add_f64 v[4:5], v[4:5], v[6:7]
	s_waitcnt lgkmcnt(0)
	v_mul_f64 v[118:119], v[110:111], v[116:117]
	v_fmac_f64_e32 v[118:119], v[112:113], v[114:115]
	v_add_f64 v[56:57], v[56:57], v[118:119]
	ds_read_b128 v[118:121], v2 offset:2000
	v_mul_f64 v[6:7], v[112:113], v[116:117]
	v_fma_f64 v[6:7], v[110:111], v[114:115], -v[6:7]
	v_add_f64 v[4:5], v[4:5], v[6:7]
	s_waitcnt lgkmcnt(0)
	v_mul_f64 v[6:7], v[120:121], v[124:125]
	v_fma_f64 v[6:7], v[118:119], v[122:123], -v[6:7]
	v_add_f64 v[8:9], v[4:5], v[6:7]
	scratch_load_dwordx4 v[4:7], off, off offset:768
	v_mul_f64 v[126:127], v[118:119], v[124:125]
	v_fmac_f64_e32 v[126:127], v[120:121], v[122:123]
	v_add_f64 v[56:57], v[56:57], v[126:127]
	s_waitcnt vmcnt(0)
	v_add_f64 v[4:5], v[4:5], -v[8:9]
	v_add_f64 v[6:7], v[6:7], -v[56:57]
	scratch_store_dwordx4 off, v[4:7], off offset:768
	s_and_saveexec_b64 s[0:1], vcc
	s_cbranch_execz .LBB126_311
; %bb.310:
	scratch_load_dwordx4 v[6:9], off, s43
	v_mov_b32_e32 v3, v2
	v_mov_b32_e32 v4, v2
	;; [unrolled: 1-line block ×3, first 2 shown]
	v_accvgpr_read_b32 v1, a1
	scratch_store_dwordx4 off, v[2:5], off offset:752
	s_waitcnt vmcnt(1)
	ds_write_b128 v1, v[6:9]
.LBB126_311:
	s_or_b64 exec, exec, s[0:1]
	s_waitcnt lgkmcnt(0)
	; wave barrier
	ds_read_b128 v[16:19], v2 offset:1760
	ds_read_b128 v[12:15], v2 offset:1776
	;; [unrolled: 1-line block ×4, first 2 shown]
	scratch_load_dwordx4 v[20:23], off, off offset:768
	scratch_load_dwordx4 v[40:43], off, off offset:832
	;; [unrolled: 1-line block ×10, first 2 shown]
	v_cmp_lt_u32_e32 vcc, 45, v0
	scratch_load_dwordx4 v[48:51], off, off offset:848
	scratch_load_dwordx4 v[56:59], off, off offset:864
	;; [unrolled: 1-line block ×3, first 2 shown]
	s_waitcnt vmcnt(12) lgkmcnt(3)
	v_mul_f64 v[24:25], v[16:17], v[22:23]
	v_fmac_f64_e32 v[24:25], v[18:19], v[20:21]
	v_add_f64 v[28:29], v[24:25], 0
	scratch_load_dwordx4 v[24:27], off, off offset:784
	s_waitcnt vmcnt(0) lgkmcnt(2)
	v_mul_f64 v[30:31], v[12:13], v[26:27]
	v_fmac_f64_e32 v[30:31], v[14:15], v[24:25]
	v_add_f64 v[32:33], v[28:29], v[30:31]
	scratch_load_dwordx4 v[28:31], off, off offset:800
	v_mul_f64 v[14:15], v[14:15], v[26:27]
	v_fma_f64 v[12:13], v[12:13], v[24:25], -v[14:15]
	s_waitcnt vmcnt(0) lgkmcnt(1)
	v_mul_f64 v[34:35], v[8:9], v[30:31]
	v_fmac_f64_e32 v[34:35], v[10:11], v[28:29]
	v_add_f64 v[36:37], v[32:33], v[34:35]
	scratch_load_dwordx4 v[32:35], off, off offset:816
	v_mul_f64 v[10:11], v[10:11], v[30:31]
	v_fma_f64 v[8:9], v[8:9], v[28:29], -v[10:11]
	s_waitcnt vmcnt(0) lgkmcnt(0)
	v_mul_f64 v[38:39], v[4:5], v[34:35]
	v_fmac_f64_e32 v[38:39], v[6:7], v[32:33]
	v_add_f64 v[44:45], v[36:37], v[38:39]
	ds_read_b128 v[36:39], v2 offset:1824
	v_mul_f64 v[6:7], v[6:7], v[34:35]
	v_fma_f64 v[4:5], v[4:5], v[32:33], -v[6:7]
	s_waitcnt lgkmcnt(0)
	v_mul_f64 v[46:47], v[36:37], v[42:43]
	v_fmac_f64_e32 v[46:47], v[38:39], v[40:41]
	v_add_f64 v[52:53], v[44:45], v[46:47]
	ds_read_b128 v[44:47], v2 offset:1840
	s_waitcnt lgkmcnt(0)
	v_mul_f64 v[54:55], v[44:45], v[50:51]
	v_fmac_f64_e32 v[54:55], v[46:47], v[48:49]
	v_add_f64 v[60:61], v[52:53], v[54:55]
	ds_read_b128 v[52:55], v2 offset:1856
	;; [unrolled: 5-line block ×11, first 2 shown]
	s_waitcnt lgkmcnt(0)
	v_mul_f64 v[2:3], v[126:127], v[132:133]
	v_fmac_f64_e32 v[2:3], v[128:129], v[130:131]
	v_add_f64 v[64:65], v[64:65], v[2:3]
	v_mul_f64 v[2:3], v[18:19], v[22:23]
	v_fma_f64 v[2:3], v[16:17], v[20:21], -v[2:3]
	v_add_f64 v[2:3], v[2:3], 0
	v_add_f64 v[2:3], v[2:3], v[12:13]
	;; [unrolled: 1-line block ×4, first 2 shown]
	v_mul_f64 v[4:5], v[38:39], v[42:43]
	v_fma_f64 v[4:5], v[36:37], v[40:41], -v[4:5]
	v_add_f64 v[2:3], v[2:3], v[4:5]
	v_mul_f64 v[4:5], v[46:47], v[50:51]
	v_fma_f64 v[4:5], v[44:45], v[48:49], -v[4:5]
	v_add_f64 v[2:3], v[2:3], v[4:5]
	;; [unrolled: 3-line block ×12, first 2 shown]
	scratch_load_dwordx4 v[2:5], off, off offset:752
	s_waitcnt vmcnt(0)
	v_add_f64 v[2:3], v[2:3], -v[6:7]
	v_add_f64 v[4:5], v[4:5], -v[64:65]
	scratch_store_dwordx4 off, v[2:5], off offset:752
	s_and_saveexec_b64 s[0:1], vcc
	s_cbranch_execz .LBB126_313
; %bb.312:
	scratch_load_dwordx4 v[2:5], off, s44
	v_mov_b32_e32 v6, 0
	v_mov_b32_e32 v7, v6
	;; [unrolled: 1-line block ×4, first 2 shown]
	v_accvgpr_read_b32 v1, a1
	scratch_store_dwordx4 off, v[6:9], off offset:736
	s_waitcnt vmcnt(1)
	ds_write_b128 v1, v[2:5]
.LBB126_313:
	s_or_b64 exec, exec, s[0:1]
	v_mov_b32_e32 v2, 0
	s_waitcnt lgkmcnt(0)
	; wave barrier
	ds_read_b128 v[16:19], v2 offset:1744
	ds_read_b128 v[12:15], v2 offset:1760
	;; [unrolled: 1-line block ×4, first 2 shown]
	scratch_load_dwordx4 v[20:23], off, off offset:752
	scratch_load_dwordx4 v[40:43], off, off offset:816
	;; [unrolled: 1-line block ×11, first 2 shown]
	v_cmp_lt_u32_e32 vcc, 44, v0
	scratch_load_dwordx4 v[48:51], off, off offset:832
	scratch_load_dwordx4 v[56:59], off, off offset:848
	;; [unrolled: 1-line block ×3, first 2 shown]
	s_waitcnt vmcnt(13) lgkmcnt(3)
	v_mul_f64 v[24:25], v[16:17], v[22:23]
	v_fmac_f64_e32 v[24:25], v[18:19], v[20:21]
	v_add_f64 v[28:29], v[24:25], 0
	scratch_load_dwordx4 v[24:27], off, off offset:768
	v_mul_f64 v[18:19], v[18:19], v[22:23]
	v_fma_f64 v[16:17], v[16:17], v[20:21], -v[18:19]
	v_add_f64 v[16:17], v[16:17], 0
	s_waitcnt vmcnt(0) lgkmcnt(2)
	v_mul_f64 v[30:31], v[12:13], v[26:27]
	v_fmac_f64_e32 v[30:31], v[14:15], v[24:25]
	v_add_f64 v[32:33], v[28:29], v[30:31]
	scratch_load_dwordx4 v[28:31], off, off offset:784
	v_mul_f64 v[14:15], v[14:15], v[26:27]
	v_fma_f64 v[12:13], v[12:13], v[24:25], -v[14:15]
	v_add_f64 v[12:13], v[16:17], v[12:13]
	;; [unrolled: 8-line block ×3, first 2 shown]
	s_waitcnt vmcnt(0) lgkmcnt(0)
	v_mul_f64 v[38:39], v[4:5], v[34:35]
	v_fmac_f64_e32 v[38:39], v[6:7], v[32:33]
	v_add_f64 v[44:45], v[36:37], v[38:39]
	ds_read_b128 v[36:39], v2 offset:1808
	v_mul_f64 v[6:7], v[6:7], v[34:35]
	v_fma_f64 v[4:5], v[4:5], v[32:33], -v[6:7]
	v_add_f64 v[4:5], v[8:9], v[4:5]
	s_waitcnt lgkmcnt(0)
	v_mul_f64 v[46:47], v[36:37], v[42:43]
	v_fmac_f64_e32 v[46:47], v[38:39], v[40:41]
	v_add_f64 v[52:53], v[44:45], v[46:47]
	ds_read_b128 v[44:47], v2 offset:1824
	v_mul_f64 v[6:7], v[38:39], v[42:43]
	v_fma_f64 v[6:7], v[36:37], v[40:41], -v[6:7]
	v_add_f64 v[4:5], v[4:5], v[6:7]
	s_waitcnt lgkmcnt(0)
	;; [unrolled: 8-line block ×13, first 2 shown]
	v_mul_f64 v[6:7], v[136:137], v[140:141]
	v_fma_f64 v[6:7], v[134:135], v[138:139], -v[6:7]
	v_add_f64 v[8:9], v[4:5], v[6:7]
	scratch_load_dwordx4 v[4:7], off, off offset:736
	v_mul_f64 v[142:143], v[134:135], v[140:141]
	v_fmac_f64_e32 v[142:143], v[136:137], v[138:139]
	v_add_f64 v[72:73], v[72:73], v[142:143]
	s_waitcnt vmcnt(0)
	v_add_f64 v[4:5], v[4:5], -v[8:9]
	v_add_f64 v[6:7], v[6:7], -v[72:73]
	scratch_store_dwordx4 off, v[4:7], off offset:736
	s_and_saveexec_b64 s[0:1], vcc
	s_cbranch_execz .LBB126_315
; %bb.314:
	scratch_load_dwordx4 v[6:9], off, s45
	v_mov_b32_e32 v3, v2
	v_mov_b32_e32 v4, v2
	;; [unrolled: 1-line block ×3, first 2 shown]
	v_accvgpr_read_b32 v1, a1
	scratch_store_dwordx4 off, v[2:5], off offset:720
	s_waitcnt vmcnt(1)
	ds_write_b128 v1, v[6:9]
.LBB126_315:
	s_or_b64 exec, exec, s[0:1]
	s_waitcnt lgkmcnt(0)
	; wave barrier
	ds_read_b128 v[16:19], v2 offset:1728
	ds_read_b128 v[12:15], v2 offset:1744
	;; [unrolled: 1-line block ×4, first 2 shown]
	scratch_load_dwordx4 v[20:23], off, off offset:736
	scratch_load_dwordx4 v[40:43], off, off offset:800
	;; [unrolled: 1-line block ×12, first 2 shown]
	v_cmp_lt_u32_e32 vcc, 43, v0
	scratch_load_dwordx4 v[48:51], off, off offset:816
	scratch_load_dwordx4 v[56:59], off, off offset:832
	;; [unrolled: 1-line block ×3, first 2 shown]
	s_waitcnt vmcnt(14) lgkmcnt(3)
	v_mul_f64 v[24:25], v[16:17], v[22:23]
	v_fmac_f64_e32 v[24:25], v[18:19], v[20:21]
	v_add_f64 v[28:29], v[24:25], 0
	scratch_load_dwordx4 v[24:27], off, off offset:752
	s_waitcnt vmcnt(0) lgkmcnt(2)
	v_mul_f64 v[30:31], v[12:13], v[26:27]
	v_fmac_f64_e32 v[30:31], v[14:15], v[24:25]
	v_add_f64 v[32:33], v[28:29], v[30:31]
	scratch_load_dwordx4 v[28:31], off, off offset:768
	v_mul_f64 v[14:15], v[14:15], v[26:27]
	v_fma_f64 v[12:13], v[12:13], v[24:25], -v[14:15]
	s_waitcnt vmcnt(0) lgkmcnt(1)
	v_mul_f64 v[34:35], v[8:9], v[30:31]
	v_fmac_f64_e32 v[34:35], v[10:11], v[28:29]
	v_add_f64 v[36:37], v[32:33], v[34:35]
	scratch_load_dwordx4 v[32:35], off, off offset:784
	v_mul_f64 v[10:11], v[10:11], v[30:31]
	v_fma_f64 v[8:9], v[8:9], v[28:29], -v[10:11]
	s_waitcnt vmcnt(0) lgkmcnt(0)
	v_mul_f64 v[38:39], v[4:5], v[34:35]
	v_fmac_f64_e32 v[38:39], v[6:7], v[32:33]
	v_add_f64 v[44:45], v[36:37], v[38:39]
	ds_read_b128 v[36:39], v2 offset:1792
	v_mul_f64 v[6:7], v[6:7], v[34:35]
	v_fma_f64 v[4:5], v[4:5], v[32:33], -v[6:7]
	s_waitcnt lgkmcnt(0)
	v_mul_f64 v[46:47], v[36:37], v[42:43]
	v_fmac_f64_e32 v[46:47], v[38:39], v[40:41]
	v_add_f64 v[52:53], v[44:45], v[46:47]
	ds_read_b128 v[44:47], v2 offset:1808
	s_waitcnt lgkmcnt(0)
	v_mul_f64 v[54:55], v[44:45], v[50:51]
	v_fmac_f64_e32 v[54:55], v[46:47], v[48:49]
	v_add_f64 v[60:61], v[52:53], v[54:55]
	ds_read_b128 v[52:55], v2 offset:1824
	;; [unrolled: 5-line block ×13, first 2 shown]
	s_waitcnt lgkmcnt(0)
	v_mul_f64 v[2:3], v[142:143], v[148:149]
	v_fmac_f64_e32 v[2:3], v[144:145], v[146:147]
	v_add_f64 v[80:81], v[80:81], v[2:3]
	v_mul_f64 v[2:3], v[18:19], v[22:23]
	v_fma_f64 v[2:3], v[16:17], v[20:21], -v[2:3]
	v_add_f64 v[2:3], v[2:3], 0
	v_add_f64 v[2:3], v[2:3], v[12:13]
	v_add_f64 v[2:3], v[2:3], v[8:9]
	v_add_f64 v[2:3], v[2:3], v[4:5]
	v_mul_f64 v[4:5], v[38:39], v[42:43]
	v_fma_f64 v[4:5], v[36:37], v[40:41], -v[4:5]
	v_add_f64 v[2:3], v[2:3], v[4:5]
	v_mul_f64 v[4:5], v[46:47], v[50:51]
	v_fma_f64 v[4:5], v[44:45], v[48:49], -v[4:5]
	v_add_f64 v[2:3], v[2:3], v[4:5]
	v_mul_f64 v[4:5], v[54:55], v[58:59]
	v_fma_f64 v[4:5], v[52:53], v[56:57], -v[4:5]
	v_add_f64 v[2:3], v[2:3], v[4:5]
	v_mul_f64 v[4:5], v[62:63], v[66:67]
	v_fma_f64 v[4:5], v[60:61], v[64:65], -v[4:5]
	v_add_f64 v[2:3], v[2:3], v[4:5]
	v_mul_f64 v[4:5], v[70:71], v[74:75]
	v_fma_f64 v[4:5], v[68:69], v[72:73], -v[4:5]
	v_add_f64 v[2:3], v[2:3], v[4:5]
	v_mul_f64 v[4:5], v[78:79], v[84:85]
	v_fma_f64 v[4:5], v[76:77], v[82:83], -v[4:5]
	v_add_f64 v[2:3], v[2:3], v[4:5]
	v_mul_f64 v[4:5], v[88:89], v[92:93]
	v_fma_f64 v[4:5], v[86:87], v[90:91], -v[4:5]
	v_add_f64 v[2:3], v[2:3], v[4:5]
	v_mul_f64 v[4:5], v[96:97], v[100:101]
	v_fma_f64 v[4:5], v[94:95], v[98:99], -v[4:5]
	v_add_f64 v[2:3], v[2:3], v[4:5]
	v_mul_f64 v[4:5], v[104:105], v[108:109]
	v_fma_f64 v[4:5], v[102:103], v[106:107], -v[4:5]
	v_add_f64 v[2:3], v[2:3], v[4:5]
	v_mul_f64 v[4:5], v[112:113], v[116:117]
	v_fma_f64 v[4:5], v[110:111], v[114:115], -v[4:5]
	v_add_f64 v[2:3], v[2:3], v[4:5]
	v_mul_f64 v[4:5], v[120:121], v[124:125]
	v_fma_f64 v[4:5], v[118:119], v[122:123], -v[4:5]
	v_add_f64 v[2:3], v[2:3], v[4:5]
	v_mul_f64 v[4:5], v[128:129], v[132:133]
	v_fma_f64 v[4:5], v[126:127], v[130:131], -v[4:5]
	v_add_f64 v[2:3], v[2:3], v[4:5]
	v_mul_f64 v[4:5], v[136:137], v[140:141]
	v_fma_f64 v[4:5], v[134:135], v[138:139], -v[4:5]
	v_add_f64 v[2:3], v[2:3], v[4:5]
	v_mul_f64 v[4:5], v[144:145], v[148:149]
	v_fma_f64 v[4:5], v[142:143], v[146:147], -v[4:5]
	v_add_f64 v[6:7], v[2:3], v[4:5]
	scratch_load_dwordx4 v[2:5], off, off offset:720
	s_waitcnt vmcnt(0)
	v_add_f64 v[2:3], v[2:3], -v[6:7]
	v_add_f64 v[4:5], v[4:5], -v[80:81]
	scratch_store_dwordx4 off, v[2:5], off offset:720
	s_and_saveexec_b64 s[0:1], vcc
	s_cbranch_execz .LBB126_317
; %bb.316:
	scratch_load_dwordx4 v[2:5], off, s46
	v_mov_b32_e32 v6, 0
	v_mov_b32_e32 v7, v6
	;; [unrolled: 1-line block ×4, first 2 shown]
	v_accvgpr_read_b32 v1, a1
	scratch_store_dwordx4 off, v[6:9], off offset:704
	s_waitcnt vmcnt(1)
	ds_write_b128 v1, v[2:5]
.LBB126_317:
	s_or_b64 exec, exec, s[0:1]
	v_mov_b32_e32 v2, 0
	s_waitcnt lgkmcnt(0)
	; wave barrier
	ds_read_b128 v[16:19], v2 offset:1712
	ds_read_b128 v[12:15], v2 offset:1728
	;; [unrolled: 1-line block ×4, first 2 shown]
	scratch_load_dwordx4 v[20:23], off, off offset:720
	scratch_load_dwordx4 v[40:43], off, off offset:784
	;; [unrolled: 1-line block ×13, first 2 shown]
	v_cmp_lt_u32_e32 vcc, 42, v0
	scratch_load_dwordx4 v[48:51], off, off offset:800
	scratch_load_dwordx4 v[56:59], off, off offset:816
	;; [unrolled: 1-line block ×3, first 2 shown]
	s_waitcnt vmcnt(15) lgkmcnt(3)
	v_mul_f64 v[24:25], v[16:17], v[22:23]
	v_fmac_f64_e32 v[24:25], v[18:19], v[20:21]
	v_add_f64 v[28:29], v[24:25], 0
	scratch_load_dwordx4 v[24:27], off, off offset:736
	v_mul_f64 v[18:19], v[18:19], v[22:23]
	v_fma_f64 v[16:17], v[16:17], v[20:21], -v[18:19]
	v_add_f64 v[16:17], v[16:17], 0
	s_waitcnt vmcnt(0) lgkmcnt(2)
	v_mul_f64 v[30:31], v[12:13], v[26:27]
	v_fmac_f64_e32 v[30:31], v[14:15], v[24:25]
	v_add_f64 v[32:33], v[28:29], v[30:31]
	scratch_load_dwordx4 v[28:31], off, off offset:752
	v_mul_f64 v[14:15], v[14:15], v[26:27]
	v_fma_f64 v[12:13], v[12:13], v[24:25], -v[14:15]
	v_add_f64 v[12:13], v[16:17], v[12:13]
	;; [unrolled: 8-line block ×3, first 2 shown]
	s_waitcnt vmcnt(0) lgkmcnt(0)
	v_mul_f64 v[38:39], v[4:5], v[34:35]
	v_fmac_f64_e32 v[38:39], v[6:7], v[32:33]
	v_add_f64 v[44:45], v[36:37], v[38:39]
	ds_read_b128 v[36:39], v2 offset:1776
	v_mul_f64 v[6:7], v[6:7], v[34:35]
	v_fma_f64 v[4:5], v[4:5], v[32:33], -v[6:7]
	v_add_f64 v[4:5], v[8:9], v[4:5]
	s_waitcnt lgkmcnt(0)
	v_mul_f64 v[46:47], v[36:37], v[42:43]
	v_fmac_f64_e32 v[46:47], v[38:39], v[40:41]
	v_add_f64 v[52:53], v[44:45], v[46:47]
	ds_read_b128 v[44:47], v2 offset:1792
	v_mul_f64 v[6:7], v[38:39], v[42:43]
	v_fma_f64 v[6:7], v[36:37], v[40:41], -v[6:7]
	v_add_f64 v[4:5], v[4:5], v[6:7]
	s_waitcnt lgkmcnt(0)
	;; [unrolled: 8-line block ×15, first 2 shown]
	v_mul_f64 v[6:7], v[152:153], v[156:157]
	v_fma_f64 v[6:7], v[150:151], v[154:155], -v[6:7]
	v_add_f64 v[8:9], v[4:5], v[6:7]
	scratch_load_dwordx4 v[4:7], off, off offset:704
	v_mul_f64 v[158:159], v[150:151], v[156:157]
	v_fmac_f64_e32 v[158:159], v[152:153], v[154:155]
	v_add_f64 v[88:89], v[88:89], v[158:159]
	s_waitcnt vmcnt(0)
	v_add_f64 v[4:5], v[4:5], -v[8:9]
	v_add_f64 v[6:7], v[6:7], -v[88:89]
	scratch_store_dwordx4 off, v[4:7], off offset:704
	s_and_saveexec_b64 s[0:1], vcc
	s_cbranch_execz .LBB126_319
; %bb.318:
	scratch_load_dwordx4 v[6:9], off, s47
	v_mov_b32_e32 v3, v2
	v_mov_b32_e32 v4, v2
	;; [unrolled: 1-line block ×3, first 2 shown]
	v_accvgpr_read_b32 v1, a1
	scratch_store_dwordx4 off, v[2:5], off offset:688
	s_waitcnt vmcnt(1)
	ds_write_b128 v1, v[6:9]
.LBB126_319:
	s_or_b64 exec, exec, s[0:1]
	s_waitcnt lgkmcnt(0)
	; wave barrier
	ds_read_b128 v[16:19], v2 offset:1696
	ds_read_b128 v[12:15], v2 offset:1712
	ds_read_b128 v[8:11], v2 offset:1728
	ds_read_b128 v[4:7], v2 offset:1744
	scratch_load_dwordx4 v[20:23], off, off offset:704
	scratch_load_dwordx4 v[40:43], off, off offset:768
	;; [unrolled: 1-line block ×14, first 2 shown]
	v_cmp_lt_u32_e32 vcc, 41, v0
	scratch_load_dwordx4 v[48:51], off, off offset:784
	scratch_load_dwordx4 v[56:59], off, off offset:800
	;; [unrolled: 1-line block ×3, first 2 shown]
	s_waitcnt vmcnt(16) lgkmcnt(3)
	v_mul_f64 v[24:25], v[16:17], v[22:23]
	v_fmac_f64_e32 v[24:25], v[18:19], v[20:21]
	v_add_f64 v[28:29], v[24:25], 0
	scratch_load_dwordx4 v[24:27], off, off offset:720
	s_waitcnt vmcnt(0) lgkmcnt(2)
	v_mul_f64 v[30:31], v[12:13], v[26:27]
	v_fmac_f64_e32 v[30:31], v[14:15], v[24:25]
	v_add_f64 v[32:33], v[28:29], v[30:31]
	scratch_load_dwordx4 v[28:31], off, off offset:736
	v_mul_f64 v[14:15], v[14:15], v[26:27]
	v_fma_f64 v[12:13], v[12:13], v[24:25], -v[14:15]
	s_waitcnt vmcnt(0) lgkmcnt(1)
	v_mul_f64 v[34:35], v[8:9], v[30:31]
	v_fmac_f64_e32 v[34:35], v[10:11], v[28:29]
	v_add_f64 v[36:37], v[32:33], v[34:35]
	scratch_load_dwordx4 v[32:35], off, off offset:752
	v_mul_f64 v[10:11], v[10:11], v[30:31]
	v_fma_f64 v[8:9], v[8:9], v[28:29], -v[10:11]
	s_waitcnt vmcnt(0) lgkmcnt(0)
	v_mul_f64 v[38:39], v[4:5], v[34:35]
	v_fmac_f64_e32 v[38:39], v[6:7], v[32:33]
	v_add_f64 v[44:45], v[36:37], v[38:39]
	ds_read_b128 v[36:39], v2 offset:1760
	v_mul_f64 v[6:7], v[6:7], v[34:35]
	v_fma_f64 v[4:5], v[4:5], v[32:33], -v[6:7]
	s_waitcnt lgkmcnt(0)
	v_mul_f64 v[46:47], v[36:37], v[42:43]
	v_fmac_f64_e32 v[46:47], v[38:39], v[40:41]
	v_add_f64 v[52:53], v[44:45], v[46:47]
	ds_read_b128 v[44:47], v2 offset:1776
	s_waitcnt lgkmcnt(0)
	v_mul_f64 v[54:55], v[44:45], v[50:51]
	v_fmac_f64_e32 v[54:55], v[46:47], v[48:49]
	v_add_f64 v[60:61], v[52:53], v[54:55]
	ds_read_b128 v[52:55], v2 offset:1792
	;; [unrolled: 5-line block ×15, first 2 shown]
	s_waitcnt lgkmcnt(0)
	v_mul_f64 v[2:3], v[158:159], v[164:165]
	v_fmac_f64_e32 v[2:3], v[160:161], v[162:163]
	v_add_f64 v[96:97], v[96:97], v[2:3]
	v_mul_f64 v[2:3], v[18:19], v[22:23]
	v_fma_f64 v[2:3], v[16:17], v[20:21], -v[2:3]
	v_add_f64 v[2:3], v[2:3], 0
	v_add_f64 v[2:3], v[2:3], v[12:13]
	;; [unrolled: 1-line block ×4, first 2 shown]
	v_mul_f64 v[4:5], v[38:39], v[42:43]
	v_fma_f64 v[4:5], v[36:37], v[40:41], -v[4:5]
	v_add_f64 v[2:3], v[2:3], v[4:5]
	v_mul_f64 v[4:5], v[46:47], v[50:51]
	v_fma_f64 v[4:5], v[44:45], v[48:49], -v[4:5]
	v_add_f64 v[2:3], v[2:3], v[4:5]
	;; [unrolled: 3-line block ×16, first 2 shown]
	scratch_load_dwordx4 v[2:5], off, off offset:688
	s_waitcnt vmcnt(0)
	v_add_f64 v[2:3], v[2:3], -v[6:7]
	v_add_f64 v[4:5], v[4:5], -v[96:97]
	scratch_store_dwordx4 off, v[2:5], off offset:688
	s_and_saveexec_b64 s[0:1], vcc
	s_cbranch_execz .LBB126_321
; %bb.320:
	scratch_load_dwordx4 v[2:5], off, s48
	v_mov_b32_e32 v6, 0
	v_mov_b32_e32 v7, v6
	;; [unrolled: 1-line block ×4, first 2 shown]
	v_accvgpr_read_b32 v1, a1
	scratch_store_dwordx4 off, v[6:9], off offset:672
	s_waitcnt vmcnt(1)
	ds_write_b128 v1, v[2:5]
.LBB126_321:
	s_or_b64 exec, exec, s[0:1]
	v_mov_b32_e32 v2, 0
	s_waitcnt lgkmcnt(0)
	; wave barrier
	ds_read_b128 v[16:19], v2 offset:1680
	ds_read_b128 v[12:15], v2 offset:1696
	;; [unrolled: 1-line block ×4, first 2 shown]
	scratch_load_dwordx4 v[20:23], off, off offset:688
	scratch_load_dwordx4 v[40:43], off, off offset:752
	;; [unrolled: 1-line block ×15, first 2 shown]
	v_cmp_lt_u32_e32 vcc, 40, v0
	scratch_load_dwordx4 v[48:51], off, off offset:768
	scratch_load_dwordx4 v[56:59], off, off offset:784
	;; [unrolled: 1-line block ×3, first 2 shown]
	s_waitcnt vmcnt(17) lgkmcnt(3)
	v_mul_f64 v[24:25], v[16:17], v[22:23]
	v_fmac_f64_e32 v[24:25], v[18:19], v[20:21]
	v_add_f64 v[28:29], v[24:25], 0
	scratch_load_dwordx4 v[24:27], off, off offset:704
	v_mul_f64 v[18:19], v[18:19], v[22:23]
	v_fma_f64 v[16:17], v[16:17], v[20:21], -v[18:19]
	v_add_f64 v[16:17], v[16:17], 0
	s_waitcnt vmcnt(0) lgkmcnt(2)
	v_mul_f64 v[30:31], v[12:13], v[26:27]
	v_fmac_f64_e32 v[30:31], v[14:15], v[24:25]
	v_add_f64 v[32:33], v[28:29], v[30:31]
	scratch_load_dwordx4 v[28:31], off, off offset:720
	v_mul_f64 v[14:15], v[14:15], v[26:27]
	v_fma_f64 v[12:13], v[12:13], v[24:25], -v[14:15]
	v_add_f64 v[12:13], v[16:17], v[12:13]
	s_waitcnt vmcnt(0) lgkmcnt(1)
	v_mul_f64 v[34:35], v[8:9], v[30:31]
	v_fmac_f64_e32 v[34:35], v[10:11], v[28:29]
	v_add_f64 v[36:37], v[32:33], v[34:35]
	scratch_load_dwordx4 v[32:35], off, off offset:736
	v_mul_f64 v[10:11], v[10:11], v[30:31]
	v_fma_f64 v[8:9], v[8:9], v[28:29], -v[10:11]
	v_add_f64 v[8:9], v[12:13], v[8:9]
	s_waitcnt vmcnt(0) lgkmcnt(0)
	v_mul_f64 v[38:39], v[4:5], v[34:35]
	v_fmac_f64_e32 v[38:39], v[6:7], v[32:33]
	v_add_f64 v[44:45], v[36:37], v[38:39]
	ds_read_b128 v[36:39], v2 offset:1744
	v_mul_f64 v[6:7], v[6:7], v[34:35]
	v_fma_f64 v[4:5], v[4:5], v[32:33], -v[6:7]
	v_add_f64 v[4:5], v[8:9], v[4:5]
	s_waitcnt lgkmcnt(0)
	v_mul_f64 v[46:47], v[36:37], v[42:43]
	v_fmac_f64_e32 v[46:47], v[38:39], v[40:41]
	v_add_f64 v[52:53], v[44:45], v[46:47]
	ds_read_b128 v[44:47], v2 offset:1760
	v_mul_f64 v[6:7], v[38:39], v[42:43]
	v_fma_f64 v[6:7], v[36:37], v[40:41], -v[6:7]
	v_add_f64 v[4:5], v[4:5], v[6:7]
	s_waitcnt lgkmcnt(0)
	;; [unrolled: 8-line block ×17, first 2 shown]
	v_mul_f64 v[6:7], v[168:169], v[172:173]
	v_fma_f64 v[6:7], v[166:167], v[170:171], -v[6:7]
	v_add_f64 v[8:9], v[4:5], v[6:7]
	scratch_load_dwordx4 v[4:7], off, off offset:672
	v_mul_f64 v[174:175], v[166:167], v[172:173]
	v_fmac_f64_e32 v[174:175], v[168:169], v[170:171]
	v_add_f64 v[104:105], v[104:105], v[174:175]
	s_waitcnt vmcnt(0)
	v_add_f64 v[4:5], v[4:5], -v[8:9]
	v_add_f64 v[6:7], v[6:7], -v[104:105]
	scratch_store_dwordx4 off, v[4:7], off offset:672
	s_and_saveexec_b64 s[0:1], vcc
	s_cbranch_execz .LBB126_323
; %bb.322:
	scratch_load_dwordx4 v[6:9], off, s26
	v_mov_b32_e32 v3, v2
	v_mov_b32_e32 v4, v2
	;; [unrolled: 1-line block ×3, first 2 shown]
	v_accvgpr_read_b32 v1, a1
	scratch_store_dwordx4 off, v[2:5], off offset:656
	s_waitcnt vmcnt(1)
	ds_write_b128 v1, v[6:9]
.LBB126_323:
	s_or_b64 exec, exec, s[0:1]
	s_waitcnt lgkmcnt(0)
	; wave barrier
	ds_read_b128 v[16:19], v2 offset:1664
	ds_read_b128 v[12:15], v2 offset:1680
	;; [unrolled: 1-line block ×4, first 2 shown]
	scratch_load_dwordx4 v[20:23], off, off offset:672
	scratch_load_dwordx4 v[40:43], off, off offset:736
	;; [unrolled: 1-line block ×16, first 2 shown]
	v_cmp_lt_u32_e32 vcc, 39, v0
	scratch_load_dwordx4 v[48:51], off, off offset:752
	scratch_load_dwordx4 v[56:59], off, off offset:768
	;; [unrolled: 1-line block ×3, first 2 shown]
	s_waitcnt vmcnt(18) lgkmcnt(3)
	v_mul_f64 v[24:25], v[16:17], v[22:23]
	v_fmac_f64_e32 v[24:25], v[18:19], v[20:21]
	v_add_f64 v[28:29], v[24:25], 0
	scratch_load_dwordx4 v[24:27], off, off offset:688
	s_waitcnt vmcnt(0) lgkmcnt(2)
	v_mul_f64 v[30:31], v[12:13], v[26:27]
	v_fmac_f64_e32 v[30:31], v[14:15], v[24:25]
	v_add_f64 v[32:33], v[28:29], v[30:31]
	scratch_load_dwordx4 v[28:31], off, off offset:704
	v_mul_f64 v[14:15], v[14:15], v[26:27]
	v_fma_f64 v[12:13], v[12:13], v[24:25], -v[14:15]
	s_waitcnt vmcnt(0) lgkmcnt(1)
	v_mul_f64 v[34:35], v[8:9], v[30:31]
	v_fmac_f64_e32 v[34:35], v[10:11], v[28:29]
	v_add_f64 v[36:37], v[32:33], v[34:35]
	scratch_load_dwordx4 v[32:35], off, off offset:720
	v_mul_f64 v[10:11], v[10:11], v[30:31]
	v_fma_f64 v[8:9], v[8:9], v[28:29], -v[10:11]
	s_waitcnt vmcnt(0) lgkmcnt(0)
	v_mul_f64 v[38:39], v[4:5], v[34:35]
	v_fmac_f64_e32 v[38:39], v[6:7], v[32:33]
	v_add_f64 v[44:45], v[36:37], v[38:39]
	ds_read_b128 v[36:39], v2 offset:1728
	v_mul_f64 v[6:7], v[6:7], v[34:35]
	v_fma_f64 v[4:5], v[4:5], v[32:33], -v[6:7]
	s_waitcnt lgkmcnt(0)
	v_mul_f64 v[46:47], v[36:37], v[42:43]
	v_fmac_f64_e32 v[46:47], v[38:39], v[40:41]
	v_add_f64 v[52:53], v[44:45], v[46:47]
	ds_read_b128 v[44:47], v2 offset:1744
	s_waitcnt lgkmcnt(0)
	v_mul_f64 v[54:55], v[44:45], v[50:51]
	v_fmac_f64_e32 v[54:55], v[46:47], v[48:49]
	v_add_f64 v[60:61], v[52:53], v[54:55]
	ds_read_b128 v[52:55], v2 offset:1760
	s_waitcnt lgkmcnt(0)
	v_mul_f64 v[62:63], v[52:53], v[58:59]
	v_fmac_f64_e32 v[62:63], v[54:55], v[56:57]
	v_add_f64 v[68:69], v[60:61], v[62:63]
	ds_read_b128 v[60:63], v2 offset:1776
	s_waitcnt lgkmcnt(0)
	v_mul_f64 v[70:71], v[60:61], v[66:67]
	v_fmac_f64_e32 v[70:71], v[62:63], v[64:65]
	v_add_f64 v[76:77], v[68:69], v[70:71]
	ds_read_b128 v[68:71], v2 offset:1792
	s_waitcnt lgkmcnt(0)
	v_mul_f64 v[78:79], v[68:69], v[74:75]
	v_fmac_f64_e32 v[78:79], v[70:71], v[72:73]
	v_add_f64 v[84:85], v[76:77], v[78:79]
	ds_read_b128 v[76:79], v2 offset:1808
	s_waitcnt lgkmcnt(0)
	v_mul_f64 v[86:87], v[76:77], v[82:83]
	v_fmac_f64_e32 v[86:87], v[78:79], v[80:81]
	v_add_f64 v[92:93], v[84:85], v[86:87]
	ds_read_b128 v[84:87], v2 offset:1824
	s_waitcnt lgkmcnt(0)
	v_mul_f64 v[94:95], v[84:85], v[90:91]
	v_fmac_f64_e32 v[94:95], v[86:87], v[88:89]
	v_add_f64 v[100:101], v[92:93], v[94:95]
	ds_read_b128 v[92:95], v2 offset:1840
	s_waitcnt lgkmcnt(0)
	v_mul_f64 v[102:103], v[92:93], v[98:99]
	v_fmac_f64_e32 v[102:103], v[94:95], v[96:97]
	v_add_f64 v[108:109], v[100:101], v[102:103]
	ds_read_b128 v[100:103], v2 offset:1856
	s_waitcnt lgkmcnt(0)
	v_mul_f64 v[110:111], v[100:101], v[106:107]
	v_fmac_f64_e32 v[110:111], v[102:103], v[104:105]
	v_add_f64 v[116:117], v[108:109], v[110:111]
	ds_read_b128 v[108:111], v2 offset:1872
	s_waitcnt lgkmcnt(0)
	v_mul_f64 v[118:119], v[108:109], v[114:115]
	v_fmac_f64_e32 v[118:119], v[110:111], v[112:113]
	v_add_f64 v[120:121], v[116:117], v[118:119]
	ds_read_b128 v[116:119], v2 offset:1888
	s_waitcnt lgkmcnt(0)
	v_mul_f64 v[126:127], v[116:117], v[124:125]
	v_fmac_f64_e32 v[126:127], v[118:119], v[122:123]
	v_add_f64 v[120:121], v[120:121], v[126:127]
	ds_read_b128 v[126:129], v2 offset:1904
	s_waitcnt lgkmcnt(0)
	v_mul_f64 v[134:135], v[126:127], v[132:133]
	v_fmac_f64_e32 v[134:135], v[128:129], v[130:131]
	v_add_f64 v[120:121], v[120:121], v[134:135]
	ds_read_b128 v[134:137], v2 offset:1920
	s_waitcnt lgkmcnt(0)
	v_mul_f64 v[142:143], v[134:135], v[140:141]
	v_fmac_f64_e32 v[142:143], v[136:137], v[138:139]
	v_add_f64 v[120:121], v[120:121], v[142:143]
	ds_read_b128 v[142:145], v2 offset:1936
	s_waitcnt lgkmcnt(0)
	v_mul_f64 v[150:151], v[142:143], v[148:149]
	v_fmac_f64_e32 v[150:151], v[144:145], v[146:147]
	v_add_f64 v[120:121], v[120:121], v[150:151]
	ds_read_b128 v[150:153], v2 offset:1952
	s_waitcnt lgkmcnt(0)
	v_mul_f64 v[158:159], v[150:151], v[156:157]
	v_fmac_f64_e32 v[158:159], v[152:153], v[154:155]
	v_add_f64 v[120:121], v[120:121], v[158:159]
	ds_read_b128 v[158:161], v2 offset:1968
	s_waitcnt lgkmcnt(0)
	v_mul_f64 v[166:167], v[158:159], v[164:165]
	v_fmac_f64_e32 v[166:167], v[160:161], v[162:163]
	v_add_f64 v[120:121], v[120:121], v[166:167]
	ds_read_b128 v[166:169], v2 offset:1984
	s_waitcnt lgkmcnt(0)
	v_mul_f64 v[174:175], v[166:167], v[172:173]
	v_fmac_f64_e32 v[174:175], v[168:169], v[170:171]
	v_add_f64 v[120:121], v[120:121], v[174:175]
	ds_read_b128 v[174:177], v2 offset:2000
	s_waitcnt lgkmcnt(0)
	v_mul_f64 v[2:3], v[174:175], v[180:181]
	v_fmac_f64_e32 v[2:3], v[176:177], v[178:179]
	v_add_f64 v[120:121], v[120:121], v[2:3]
	v_mul_f64 v[2:3], v[18:19], v[22:23]
	v_fma_f64 v[2:3], v[16:17], v[20:21], -v[2:3]
	v_add_f64 v[2:3], v[2:3], 0
	v_add_f64 v[2:3], v[2:3], v[12:13]
	;; [unrolled: 1-line block ×4, first 2 shown]
	v_mul_f64 v[4:5], v[38:39], v[42:43]
	v_fma_f64 v[4:5], v[36:37], v[40:41], -v[4:5]
	v_add_f64 v[2:3], v[2:3], v[4:5]
	v_mul_f64 v[4:5], v[46:47], v[50:51]
	v_fma_f64 v[4:5], v[44:45], v[48:49], -v[4:5]
	v_add_f64 v[2:3], v[2:3], v[4:5]
	;; [unrolled: 3-line block ×18, first 2 shown]
	scratch_load_dwordx4 v[2:5], off, off offset:656
	s_waitcnt vmcnt(0)
	v_add_f64 v[2:3], v[2:3], -v[6:7]
	v_add_f64 v[4:5], v[4:5], -v[120:121]
	scratch_store_dwordx4 off, v[2:5], off offset:656
	s_and_saveexec_b64 s[0:1], vcc
	s_cbranch_execz .LBB126_325
; %bb.324:
	scratch_load_dwordx4 v[2:5], off, s27
	v_mov_b32_e32 v6, 0
	v_mov_b32_e32 v7, v6
	;; [unrolled: 1-line block ×4, first 2 shown]
	v_accvgpr_read_b32 v1, a1
	scratch_store_dwordx4 off, v[6:9], off offset:640
	s_waitcnt vmcnt(1)
	ds_write_b128 v1, v[2:5]
.LBB126_325:
	s_or_b64 exec, exec, s[0:1]
	v_mov_b32_e32 v2, 0
	s_waitcnt lgkmcnt(0)
	; wave barrier
	ds_read_b128 v[16:19], v2 offset:1648
	ds_read_b128 v[12:15], v2 offset:1664
	;; [unrolled: 1-line block ×4, first 2 shown]
	scratch_load_dwordx4 v[20:23], off, off offset:656
	scratch_load_dwordx4 v[40:43], off, off offset:720
	;; [unrolled: 1-line block ×17, first 2 shown]
	v_cmp_lt_u32_e32 vcc, 38, v0
	scratch_load_dwordx4 v[48:51], off, off offset:736
	scratch_load_dwordx4 v[56:59], off, off offset:752
	;; [unrolled: 1-line block ×3, first 2 shown]
	s_waitcnt vmcnt(19) lgkmcnt(3)
	v_mul_f64 v[24:25], v[16:17], v[22:23]
	v_fmac_f64_e32 v[24:25], v[18:19], v[20:21]
	v_add_f64 v[28:29], v[24:25], 0
	scratch_load_dwordx4 v[24:27], off, off offset:672
	v_mul_f64 v[18:19], v[18:19], v[22:23]
	v_fma_f64 v[16:17], v[16:17], v[20:21], -v[18:19]
	v_add_f64 v[16:17], v[16:17], 0
	s_waitcnt vmcnt(0) lgkmcnt(2)
	v_mul_f64 v[30:31], v[12:13], v[26:27]
	v_fmac_f64_e32 v[30:31], v[14:15], v[24:25]
	v_add_f64 v[32:33], v[28:29], v[30:31]
	scratch_load_dwordx4 v[28:31], off, off offset:688
	v_mul_f64 v[14:15], v[14:15], v[26:27]
	v_fma_f64 v[12:13], v[12:13], v[24:25], -v[14:15]
	v_add_f64 v[12:13], v[16:17], v[12:13]
	;; [unrolled: 8-line block ×3, first 2 shown]
	s_waitcnt vmcnt(0) lgkmcnt(0)
	v_mul_f64 v[38:39], v[4:5], v[34:35]
	v_fmac_f64_e32 v[38:39], v[6:7], v[32:33]
	v_add_f64 v[44:45], v[36:37], v[38:39]
	ds_read_b128 v[36:39], v2 offset:1712
	v_mul_f64 v[6:7], v[6:7], v[34:35]
	v_fma_f64 v[4:5], v[4:5], v[32:33], -v[6:7]
	v_add_f64 v[4:5], v[8:9], v[4:5]
	s_waitcnt lgkmcnt(0)
	v_mul_f64 v[46:47], v[36:37], v[42:43]
	v_fmac_f64_e32 v[46:47], v[38:39], v[40:41]
	v_add_f64 v[52:53], v[44:45], v[46:47]
	ds_read_b128 v[44:47], v2 offset:1728
	v_mul_f64 v[6:7], v[38:39], v[42:43]
	v_fma_f64 v[6:7], v[36:37], v[40:41], -v[6:7]
	v_add_f64 v[4:5], v[4:5], v[6:7]
	s_waitcnt lgkmcnt(0)
	;; [unrolled: 8-line block ×19, first 2 shown]
	v_mul_f64 v[6:7], v[184:185], v[188:189]
	v_fma_f64 v[6:7], v[182:183], v[186:187], -v[6:7]
	v_add_f64 v[8:9], v[4:5], v[6:7]
	scratch_load_dwordx4 v[4:7], off, off offset:640
	v_mul_f64 v[190:191], v[182:183], v[188:189]
	v_fmac_f64_e32 v[190:191], v[184:185], v[186:187]
	v_add_f64 v[128:129], v[128:129], v[190:191]
	s_waitcnt vmcnt(0)
	v_add_f64 v[4:5], v[4:5], -v[8:9]
	v_add_f64 v[6:7], v[6:7], -v[128:129]
	scratch_store_dwordx4 off, v[4:7], off offset:640
	s_and_saveexec_b64 s[0:1], vcc
	s_cbranch_execz .LBB126_327
; %bb.326:
	scratch_load_dwordx4 v[6:9], off, s28
	v_mov_b32_e32 v3, v2
	v_mov_b32_e32 v4, v2
	;; [unrolled: 1-line block ×3, first 2 shown]
	v_accvgpr_read_b32 v1, a1
	scratch_store_dwordx4 off, v[2:5], off offset:624
	s_waitcnt vmcnt(1)
	ds_write_b128 v1, v[6:9]
.LBB126_327:
	s_or_b64 exec, exec, s[0:1]
	s_waitcnt lgkmcnt(0)
	; wave barrier
	ds_read_b128 v[16:19], v2 offset:1632
	ds_read_b128 v[12:15], v2 offset:1648
	;; [unrolled: 1-line block ×4, first 2 shown]
	scratch_load_dwordx4 v[20:23], off, off offset:640
	scratch_load_dwordx4 v[40:43], off, off offset:704
	;; [unrolled: 1-line block ×18, first 2 shown]
	v_cmp_lt_u32_e32 vcc, 37, v0
	scratch_load_dwordx4 v[48:51], off, off offset:720
	scratch_load_dwordx4 v[56:59], off, off offset:736
	;; [unrolled: 1-line block ×3, first 2 shown]
	s_waitcnt vmcnt(20) lgkmcnt(3)
	v_mul_f64 v[24:25], v[16:17], v[22:23]
	v_fmac_f64_e32 v[24:25], v[18:19], v[20:21]
	v_add_f64 v[28:29], v[24:25], 0
	scratch_load_dwordx4 v[24:27], off, off offset:656
	s_waitcnt vmcnt(0) lgkmcnt(2)
	v_mul_f64 v[30:31], v[12:13], v[26:27]
	v_fmac_f64_e32 v[30:31], v[14:15], v[24:25]
	v_add_f64 v[32:33], v[28:29], v[30:31]
	scratch_load_dwordx4 v[28:31], off, off offset:672
	v_mul_f64 v[14:15], v[14:15], v[26:27]
	v_fma_f64 v[12:13], v[12:13], v[24:25], -v[14:15]
	s_waitcnt vmcnt(0) lgkmcnt(1)
	v_mul_f64 v[34:35], v[8:9], v[30:31]
	v_fmac_f64_e32 v[34:35], v[10:11], v[28:29]
	v_add_f64 v[36:37], v[32:33], v[34:35]
	scratch_load_dwordx4 v[32:35], off, off offset:688
	v_mul_f64 v[10:11], v[10:11], v[30:31]
	v_fma_f64 v[8:9], v[8:9], v[28:29], -v[10:11]
	s_waitcnt vmcnt(0) lgkmcnt(0)
	v_mul_f64 v[38:39], v[4:5], v[34:35]
	v_fmac_f64_e32 v[38:39], v[6:7], v[32:33]
	v_add_f64 v[44:45], v[36:37], v[38:39]
	ds_read_b128 v[36:39], v2 offset:1696
	v_mul_f64 v[6:7], v[6:7], v[34:35]
	v_fma_f64 v[4:5], v[4:5], v[32:33], -v[6:7]
	s_waitcnt lgkmcnt(0)
	v_mul_f64 v[46:47], v[36:37], v[42:43]
	v_fmac_f64_e32 v[46:47], v[38:39], v[40:41]
	v_add_f64 v[52:53], v[44:45], v[46:47]
	ds_read_b128 v[44:47], v2 offset:1712
	s_waitcnt lgkmcnt(0)
	v_mul_f64 v[54:55], v[44:45], v[50:51]
	v_fmac_f64_e32 v[54:55], v[46:47], v[48:49]
	v_add_f64 v[60:61], v[52:53], v[54:55]
	ds_read_b128 v[52:55], v2 offset:1728
	;; [unrolled: 5-line block ×19, first 2 shown]
	s_waitcnt lgkmcnt(0)
	v_mul_f64 v[2:3], v[190:191], v[196:197]
	v_fmac_f64_e32 v[2:3], v[192:193], v[194:195]
	v_add_f64 v[152:153], v[152:153], v[2:3]
	v_mul_f64 v[2:3], v[18:19], v[22:23]
	v_fma_f64 v[2:3], v[16:17], v[20:21], -v[2:3]
	v_add_f64 v[2:3], v[2:3], 0
	v_add_f64 v[2:3], v[2:3], v[12:13]
	;; [unrolled: 1-line block ×4, first 2 shown]
	v_mul_f64 v[4:5], v[38:39], v[42:43]
	v_fma_f64 v[4:5], v[36:37], v[40:41], -v[4:5]
	v_add_f64 v[2:3], v[2:3], v[4:5]
	v_mul_f64 v[4:5], v[46:47], v[50:51]
	v_fma_f64 v[4:5], v[44:45], v[48:49], -v[4:5]
	v_add_f64 v[2:3], v[2:3], v[4:5]
	;; [unrolled: 3-line block ×20, first 2 shown]
	scratch_load_dwordx4 v[2:5], off, off offset:624
	s_waitcnt vmcnt(0)
	v_add_f64 v[2:3], v[2:3], -v[6:7]
	v_add_f64 v[4:5], v[4:5], -v[152:153]
	scratch_store_dwordx4 off, v[2:5], off offset:624
	s_and_saveexec_b64 s[0:1], vcc
	s_cbranch_execz .LBB126_329
; %bb.328:
	scratch_load_dwordx4 v[2:5], off, s29
	v_mov_b32_e32 v6, 0
	v_mov_b32_e32 v7, v6
	;; [unrolled: 1-line block ×4, first 2 shown]
	v_accvgpr_read_b32 v1, a1
	scratch_store_dwordx4 off, v[6:9], off offset:608
	s_waitcnt vmcnt(1)
	ds_write_b128 v1, v[2:5]
.LBB126_329:
	s_or_b64 exec, exec, s[0:1]
	v_mov_b32_e32 v2, 0
	s_waitcnt lgkmcnt(0)
	; wave barrier
	ds_read_b128 v[16:19], v2 offset:1616
	ds_read_b128 v[12:15], v2 offset:1632
	;; [unrolled: 1-line block ×4, first 2 shown]
	scratch_load_dwordx4 v[20:23], off, off offset:624
	scratch_load_dwordx4 v[40:43], off, off offset:688
	;; [unrolled: 1-line block ×19, first 2 shown]
	v_cmp_lt_u32_e32 vcc, 36, v0
	scratch_load_dwordx4 v[48:51], off, off offset:704
	scratch_load_dwordx4 v[56:59], off, off offset:720
	;; [unrolled: 1-line block ×3, first 2 shown]
	s_waitcnt vmcnt(21) lgkmcnt(3)
	v_mul_f64 v[24:25], v[16:17], v[22:23]
	v_fmac_f64_e32 v[24:25], v[18:19], v[20:21]
	v_add_f64 v[28:29], v[24:25], 0
	scratch_load_dwordx4 v[24:27], off, off offset:640
	v_mul_f64 v[18:19], v[18:19], v[22:23]
	v_fma_f64 v[16:17], v[16:17], v[20:21], -v[18:19]
	v_add_f64 v[16:17], v[16:17], 0
	s_waitcnt vmcnt(0) lgkmcnt(2)
	v_mul_f64 v[30:31], v[12:13], v[26:27]
	v_fmac_f64_e32 v[30:31], v[14:15], v[24:25]
	v_add_f64 v[32:33], v[28:29], v[30:31]
	scratch_load_dwordx4 v[28:31], off, off offset:656
	v_mul_f64 v[14:15], v[14:15], v[26:27]
	v_fma_f64 v[12:13], v[12:13], v[24:25], -v[14:15]
	v_add_f64 v[12:13], v[16:17], v[12:13]
	;; [unrolled: 8-line block ×3, first 2 shown]
	s_waitcnt vmcnt(0) lgkmcnt(0)
	v_mul_f64 v[38:39], v[4:5], v[34:35]
	v_fmac_f64_e32 v[38:39], v[6:7], v[32:33]
	v_add_f64 v[44:45], v[36:37], v[38:39]
	ds_read_b128 v[36:39], v2 offset:1680
	v_mul_f64 v[6:7], v[6:7], v[34:35]
	v_fma_f64 v[4:5], v[4:5], v[32:33], -v[6:7]
	v_add_f64 v[4:5], v[8:9], v[4:5]
	s_waitcnt lgkmcnt(0)
	v_mul_f64 v[46:47], v[36:37], v[42:43]
	v_fmac_f64_e32 v[46:47], v[38:39], v[40:41]
	v_add_f64 v[52:53], v[44:45], v[46:47]
	ds_read_b128 v[44:47], v2 offset:1696
	v_mul_f64 v[6:7], v[38:39], v[42:43]
	v_fma_f64 v[6:7], v[36:37], v[40:41], -v[6:7]
	v_add_f64 v[4:5], v[4:5], v[6:7]
	s_waitcnt lgkmcnt(0)
	;; [unrolled: 8-line block ×21, first 2 shown]
	v_mul_f64 v[6:7], v[200:201], v[204:205]
	v_fma_f64 v[6:7], v[198:199], v[202:203], -v[6:7]
	v_add_f64 v[8:9], v[4:5], v[6:7]
	scratch_load_dwordx4 v[4:7], off, off offset:608
	v_mul_f64 v[206:207], v[198:199], v[204:205]
	v_fmac_f64_e32 v[206:207], v[200:201], v[202:203]
	v_add_f64 v[144:145], v[144:145], v[206:207]
	s_waitcnt vmcnt(0)
	v_add_f64 v[4:5], v[4:5], -v[8:9]
	v_add_f64 v[6:7], v[6:7], -v[144:145]
	scratch_store_dwordx4 off, v[4:7], off offset:608
	s_and_saveexec_b64 s[0:1], vcc
	s_cbranch_execz .LBB126_331
; %bb.330:
	scratch_load_dwordx4 v[6:9], off, s30
	v_mov_b32_e32 v3, v2
	v_mov_b32_e32 v4, v2
	;; [unrolled: 1-line block ×3, first 2 shown]
	v_accvgpr_read_b32 v1, a1
	scratch_store_dwordx4 off, v[2:5], off offset:592
	s_waitcnt vmcnt(1)
	ds_write_b128 v1, v[6:9]
.LBB126_331:
	s_or_b64 exec, exec, s[0:1]
	s_waitcnt lgkmcnt(0)
	; wave barrier
	ds_read_b128 v[16:19], v2 offset:1600
	ds_read_b128 v[12:15], v2 offset:1616
	;; [unrolled: 1-line block ×4, first 2 shown]
	scratch_load_dwordx4 v[20:23], off, off offset:608
	scratch_load_dwordx4 v[40:43], off, off offset:672
	;; [unrolled: 1-line block ×20, first 2 shown]
	v_cmp_lt_u32_e32 vcc, 35, v0
	scratch_load_dwordx4 v[48:51], off, off offset:688
	scratch_load_dwordx4 v[56:59], off, off offset:704
	;; [unrolled: 1-line block ×3, first 2 shown]
	s_waitcnt vmcnt(22) lgkmcnt(3)
	v_mul_f64 v[24:25], v[16:17], v[22:23]
	v_fmac_f64_e32 v[24:25], v[18:19], v[20:21]
	v_add_f64 v[28:29], v[24:25], 0
	scratch_load_dwordx4 v[24:27], off, off offset:624
	s_waitcnt vmcnt(0) lgkmcnt(2)
	v_mul_f64 v[30:31], v[12:13], v[26:27]
	v_fmac_f64_e32 v[30:31], v[14:15], v[24:25]
	v_add_f64 v[32:33], v[28:29], v[30:31]
	scratch_load_dwordx4 v[28:31], off, off offset:640
	v_mul_f64 v[14:15], v[14:15], v[26:27]
	v_fma_f64 v[12:13], v[12:13], v[24:25], -v[14:15]
	s_waitcnt vmcnt(0) lgkmcnt(1)
	v_mul_f64 v[34:35], v[8:9], v[30:31]
	v_fmac_f64_e32 v[34:35], v[10:11], v[28:29]
	v_add_f64 v[36:37], v[32:33], v[34:35]
	scratch_load_dwordx4 v[32:35], off, off offset:656
	v_mul_f64 v[10:11], v[10:11], v[30:31]
	v_fma_f64 v[8:9], v[8:9], v[28:29], -v[10:11]
	s_waitcnt vmcnt(0) lgkmcnt(0)
	v_mul_f64 v[38:39], v[4:5], v[34:35]
	v_fmac_f64_e32 v[38:39], v[6:7], v[32:33]
	v_add_f64 v[44:45], v[36:37], v[38:39]
	ds_read_b128 v[36:39], v2 offset:1664
	v_mul_f64 v[6:7], v[6:7], v[34:35]
	v_fma_f64 v[4:5], v[4:5], v[32:33], -v[6:7]
	s_waitcnt lgkmcnt(0)
	v_mul_f64 v[46:47], v[36:37], v[42:43]
	v_fmac_f64_e32 v[46:47], v[38:39], v[40:41]
	v_add_f64 v[52:53], v[44:45], v[46:47]
	ds_read_b128 v[44:47], v2 offset:1680
	s_waitcnt lgkmcnt(0)
	v_mul_f64 v[54:55], v[44:45], v[50:51]
	v_fmac_f64_e32 v[54:55], v[46:47], v[48:49]
	v_add_f64 v[60:61], v[52:53], v[54:55]
	ds_read_b128 v[52:55], v2 offset:1696
	;; [unrolled: 5-line block ×21, first 2 shown]
	s_waitcnt lgkmcnt(0)
	v_mul_f64 v[2:3], v[206:207], v[212:213]
	v_fmac_f64_e32 v[2:3], v[208:209], v[210:211]
	v_add_f64 v[168:169], v[168:169], v[2:3]
	v_mul_f64 v[2:3], v[18:19], v[22:23]
	v_fma_f64 v[2:3], v[16:17], v[20:21], -v[2:3]
	v_add_f64 v[2:3], v[2:3], 0
	v_add_f64 v[2:3], v[2:3], v[12:13]
	;; [unrolled: 1-line block ×4, first 2 shown]
	v_mul_f64 v[4:5], v[38:39], v[42:43]
	v_fma_f64 v[4:5], v[36:37], v[40:41], -v[4:5]
	v_add_f64 v[2:3], v[2:3], v[4:5]
	v_mul_f64 v[4:5], v[46:47], v[50:51]
	v_fma_f64 v[4:5], v[44:45], v[48:49], -v[4:5]
	v_add_f64 v[2:3], v[2:3], v[4:5]
	;; [unrolled: 3-line block ×22, first 2 shown]
	scratch_load_dwordx4 v[2:5], off, off offset:592
	s_waitcnt vmcnt(0)
	v_add_f64 v[2:3], v[2:3], -v[6:7]
	v_add_f64 v[4:5], v[4:5], -v[168:169]
	scratch_store_dwordx4 off, v[2:5], off offset:592
	s_and_saveexec_b64 s[0:1], vcc
	s_cbranch_execz .LBB126_333
; %bb.332:
	scratch_load_dwordx4 v[2:5], off, s31
	v_mov_b32_e32 v6, 0
	v_mov_b32_e32 v7, v6
	;; [unrolled: 1-line block ×4, first 2 shown]
	v_accvgpr_read_b32 v1, a1
	scratch_store_dwordx4 off, v[6:9], off offset:576
	s_waitcnt vmcnt(1)
	ds_write_b128 v1, v[2:5]
.LBB126_333:
	s_or_b64 exec, exec, s[0:1]
	v_mov_b32_e32 v2, 0
	s_waitcnt lgkmcnt(0)
	; wave barrier
	ds_read_b128 v[16:19], v2 offset:1584
	ds_read_b128 v[12:15], v2 offset:1600
	;; [unrolled: 1-line block ×4, first 2 shown]
	scratch_load_dwordx4 v[20:23], off, off offset:592
	scratch_load_dwordx4 v[40:43], off, off offset:656
	;; [unrolled: 1-line block ×21, first 2 shown]
	v_cmp_lt_u32_e32 vcc, 34, v0
	scratch_load_dwordx4 v[48:51], off, off offset:672
	scratch_load_dwordx4 v[56:59], off, off offset:688
	;; [unrolled: 1-line block ×3, first 2 shown]
	s_waitcnt vmcnt(23) lgkmcnt(3)
	v_mul_f64 v[24:25], v[16:17], v[22:23]
	v_fmac_f64_e32 v[24:25], v[18:19], v[20:21]
	v_add_f64 v[28:29], v[24:25], 0
	scratch_load_dwordx4 v[24:27], off, off offset:608
	v_mul_f64 v[18:19], v[18:19], v[22:23]
	v_fma_f64 v[16:17], v[16:17], v[20:21], -v[18:19]
	v_add_f64 v[16:17], v[16:17], 0
	s_waitcnt vmcnt(0) lgkmcnt(2)
	v_mul_f64 v[30:31], v[12:13], v[26:27]
	v_fmac_f64_e32 v[30:31], v[14:15], v[24:25]
	v_add_f64 v[32:33], v[28:29], v[30:31]
	scratch_load_dwordx4 v[28:31], off, off offset:624
	v_mul_f64 v[14:15], v[14:15], v[26:27]
	v_fma_f64 v[12:13], v[12:13], v[24:25], -v[14:15]
	v_add_f64 v[12:13], v[16:17], v[12:13]
	;; [unrolled: 8-line block ×3, first 2 shown]
	s_waitcnt vmcnt(0) lgkmcnt(0)
	v_mul_f64 v[38:39], v[4:5], v[34:35]
	v_fmac_f64_e32 v[38:39], v[6:7], v[32:33]
	v_add_f64 v[44:45], v[36:37], v[38:39]
	ds_read_b128 v[36:39], v2 offset:1648
	v_mul_f64 v[6:7], v[6:7], v[34:35]
	v_fma_f64 v[4:5], v[4:5], v[32:33], -v[6:7]
	v_add_f64 v[4:5], v[8:9], v[4:5]
	s_waitcnt lgkmcnt(0)
	v_mul_f64 v[46:47], v[36:37], v[42:43]
	v_fmac_f64_e32 v[46:47], v[38:39], v[40:41]
	v_add_f64 v[52:53], v[44:45], v[46:47]
	ds_read_b128 v[44:47], v2 offset:1664
	v_mul_f64 v[6:7], v[38:39], v[42:43]
	v_fma_f64 v[6:7], v[36:37], v[40:41], -v[6:7]
	v_add_f64 v[4:5], v[4:5], v[6:7]
	s_waitcnt lgkmcnt(0)
	;; [unrolled: 8-line block ×23, first 2 shown]
	v_mul_f64 v[6:7], v[216:217], v[220:221]
	v_fma_f64 v[6:7], v[214:215], v[218:219], -v[6:7]
	v_add_f64 v[8:9], v[4:5], v[6:7]
	scratch_load_dwordx4 v[4:7], off, off offset:576
	v_mul_f64 v[222:223], v[214:215], v[220:221]
	v_fmac_f64_e32 v[222:223], v[216:217], v[218:219]
	v_add_f64 v[160:161], v[160:161], v[222:223]
	s_waitcnt vmcnt(0)
	v_add_f64 v[4:5], v[4:5], -v[8:9]
	v_add_f64 v[6:7], v[6:7], -v[160:161]
	scratch_store_dwordx4 off, v[4:7], off offset:576
	s_and_saveexec_b64 s[0:1], vcc
	s_cbranch_execz .LBB126_335
; %bb.334:
	scratch_load_dwordx4 v[6:9], off, s55
	v_mov_b32_e32 v3, v2
	v_mov_b32_e32 v4, v2
	;; [unrolled: 1-line block ×3, first 2 shown]
	v_accvgpr_read_b32 v1, a1
	scratch_store_dwordx4 off, v[2:5], off offset:560
	s_waitcnt vmcnt(1)
	ds_write_b128 v1, v[6:9]
.LBB126_335:
	s_or_b64 exec, exec, s[0:1]
	s_waitcnt lgkmcnt(0)
	; wave barrier
	ds_read_b128 v[16:19], v2 offset:1568
	ds_read_b128 v[12:15], v2 offset:1584
	;; [unrolled: 1-line block ×4, first 2 shown]
	scratch_load_dwordx4 v[20:23], off, off offset:576
	scratch_load_dwordx4 v[40:43], off, off offset:640
	;; [unrolled: 1-line block ×22, first 2 shown]
	v_cmp_lt_u32_e32 vcc, 33, v0
	scratch_load_dwordx4 v[48:51], off, off offset:656
	scratch_load_dwordx4 v[56:59], off, off offset:672
	;; [unrolled: 1-line block ×3, first 2 shown]
	s_waitcnt vmcnt(24) lgkmcnt(3)
	v_mul_f64 v[24:25], v[16:17], v[22:23]
	v_fmac_f64_e32 v[24:25], v[18:19], v[20:21]
	v_add_f64 v[28:29], v[24:25], 0
	scratch_load_dwordx4 v[24:27], off, off offset:592
	s_waitcnt vmcnt(0) lgkmcnt(2)
	v_mul_f64 v[30:31], v[12:13], v[26:27]
	v_fmac_f64_e32 v[30:31], v[14:15], v[24:25]
	v_add_f64 v[32:33], v[28:29], v[30:31]
	scratch_load_dwordx4 v[28:31], off, off offset:608
	v_mul_f64 v[14:15], v[14:15], v[26:27]
	v_fma_f64 v[12:13], v[12:13], v[24:25], -v[14:15]
	s_waitcnt vmcnt(0) lgkmcnt(1)
	v_mul_f64 v[34:35], v[8:9], v[30:31]
	v_fmac_f64_e32 v[34:35], v[10:11], v[28:29]
	v_add_f64 v[36:37], v[32:33], v[34:35]
	scratch_load_dwordx4 v[32:35], off, off offset:624
	v_mul_f64 v[10:11], v[10:11], v[30:31]
	v_fma_f64 v[8:9], v[8:9], v[28:29], -v[10:11]
	s_waitcnt vmcnt(0) lgkmcnt(0)
	v_mul_f64 v[38:39], v[4:5], v[34:35]
	v_fmac_f64_e32 v[38:39], v[6:7], v[32:33]
	v_add_f64 v[44:45], v[36:37], v[38:39]
	ds_read_b128 v[36:39], v2 offset:1632
	v_mul_f64 v[6:7], v[6:7], v[34:35]
	v_fma_f64 v[4:5], v[4:5], v[32:33], -v[6:7]
	s_waitcnt lgkmcnt(0)
	v_mul_f64 v[46:47], v[36:37], v[42:43]
	v_fmac_f64_e32 v[46:47], v[38:39], v[40:41]
	v_add_f64 v[52:53], v[44:45], v[46:47]
	ds_read_b128 v[44:47], v2 offset:1648
	s_waitcnt lgkmcnt(0)
	v_mul_f64 v[54:55], v[44:45], v[50:51]
	v_fmac_f64_e32 v[54:55], v[46:47], v[48:49]
	v_add_f64 v[60:61], v[52:53], v[54:55]
	ds_read_b128 v[52:55], v2 offset:1664
	;; [unrolled: 5-line block ×23, first 2 shown]
	s_waitcnt lgkmcnt(0)
	v_mul_f64 v[2:3], v[222:223], v[228:229]
	v_fmac_f64_e32 v[2:3], v[224:225], v[226:227]
	v_add_f64 v[176:177], v[176:177], v[2:3]
	v_mul_f64 v[2:3], v[18:19], v[22:23]
	v_fma_f64 v[2:3], v[16:17], v[20:21], -v[2:3]
	v_add_f64 v[2:3], v[2:3], 0
	v_add_f64 v[2:3], v[2:3], v[12:13]
	;; [unrolled: 1-line block ×4, first 2 shown]
	v_mul_f64 v[4:5], v[38:39], v[42:43]
	v_fma_f64 v[4:5], v[36:37], v[40:41], -v[4:5]
	v_add_f64 v[2:3], v[2:3], v[4:5]
	v_mul_f64 v[4:5], v[46:47], v[50:51]
	v_fma_f64 v[4:5], v[44:45], v[48:49], -v[4:5]
	v_add_f64 v[2:3], v[2:3], v[4:5]
	;; [unrolled: 3-line block ×24, first 2 shown]
	scratch_load_dwordx4 v[2:5], off, off offset:560
	s_waitcnt vmcnt(0)
	v_add_f64 v[2:3], v[2:3], -v[6:7]
	v_add_f64 v[4:5], v[4:5], -v[176:177]
	scratch_store_dwordx4 off, v[2:5], off offset:560
	s_and_saveexec_b64 s[0:1], vcc
	s_cbranch_execz .LBB126_337
; %bb.336:
	scratch_load_dwordx4 v[2:5], off, s56
	v_mov_b32_e32 v6, 0
	v_mov_b32_e32 v7, v6
	;; [unrolled: 1-line block ×4, first 2 shown]
	v_accvgpr_read_b32 v1, a1
	scratch_store_dwordx4 off, v[6:9], off offset:544
	s_waitcnt vmcnt(1)
	ds_write_b128 v1, v[2:5]
.LBB126_337:
	s_or_b64 exec, exec, s[0:1]
	v_mov_b32_e32 v2, 0
	s_waitcnt lgkmcnt(0)
	; wave barrier
	ds_read_b128 v[16:19], v2 offset:1552
	ds_read_b128 v[12:15], v2 offset:1568
	;; [unrolled: 1-line block ×4, first 2 shown]
	scratch_load_dwordx4 v[20:23], off, off offset:560
	scratch_load_dwordx4 v[40:43], off, off offset:624
	;; [unrolled: 1-line block ×23, first 2 shown]
	v_cmp_lt_u32_e32 vcc, 32, v0
	scratch_load_dwordx4 v[48:51], off, off offset:640
	scratch_load_dwordx4 v[56:59], off, off offset:656
	;; [unrolled: 1-line block ×3, first 2 shown]
	s_waitcnt vmcnt(25) lgkmcnt(3)
	v_mul_f64 v[24:25], v[16:17], v[22:23]
	v_fmac_f64_e32 v[24:25], v[18:19], v[20:21]
	v_add_f64 v[28:29], v[24:25], 0
	scratch_load_dwordx4 v[24:27], off, off offset:576
	v_mul_f64 v[18:19], v[18:19], v[22:23]
	v_fma_f64 v[16:17], v[16:17], v[20:21], -v[18:19]
	v_add_f64 v[16:17], v[16:17], 0
	s_waitcnt vmcnt(0) lgkmcnt(2)
	v_mul_f64 v[30:31], v[12:13], v[26:27]
	v_fmac_f64_e32 v[30:31], v[14:15], v[24:25]
	v_add_f64 v[32:33], v[28:29], v[30:31]
	scratch_load_dwordx4 v[28:31], off, off offset:592
	v_mul_f64 v[14:15], v[14:15], v[26:27]
	v_fma_f64 v[12:13], v[12:13], v[24:25], -v[14:15]
	v_add_f64 v[12:13], v[16:17], v[12:13]
	;; [unrolled: 8-line block ×3, first 2 shown]
	s_waitcnt vmcnt(0) lgkmcnt(0)
	v_mul_f64 v[38:39], v[4:5], v[34:35]
	v_fmac_f64_e32 v[38:39], v[6:7], v[32:33]
	v_add_f64 v[44:45], v[36:37], v[38:39]
	ds_read_b128 v[36:39], v2 offset:1616
	v_mul_f64 v[6:7], v[6:7], v[34:35]
	v_fma_f64 v[4:5], v[4:5], v[32:33], -v[6:7]
	v_add_f64 v[4:5], v[8:9], v[4:5]
	s_waitcnt lgkmcnt(0)
	v_mul_f64 v[46:47], v[36:37], v[42:43]
	v_fmac_f64_e32 v[46:47], v[38:39], v[40:41]
	v_add_f64 v[52:53], v[44:45], v[46:47]
	ds_read_b128 v[44:47], v2 offset:1632
	v_mul_f64 v[6:7], v[38:39], v[42:43]
	v_fma_f64 v[6:7], v[36:37], v[40:41], -v[6:7]
	v_add_f64 v[4:5], v[4:5], v[6:7]
	s_waitcnt lgkmcnt(0)
	;; [unrolled: 8-line block ×25, first 2 shown]
	v_mul_f64 v[6:7], v[232:233], v[236:237]
	v_fma_f64 v[6:7], v[230:231], v[234:235], -v[6:7]
	v_add_f64 v[8:9], v[4:5], v[6:7]
	scratch_load_dwordx4 v[4:7], off, off offset:544
	v_mul_f64 v[238:239], v[230:231], v[236:237]
	v_fmac_f64_e32 v[238:239], v[232:233], v[234:235]
	v_add_f64 v[176:177], v[176:177], v[238:239]
	s_waitcnt vmcnt(0)
	v_add_f64 v[4:5], v[4:5], -v[8:9]
	v_add_f64 v[6:7], v[6:7], -v[176:177]
	scratch_store_dwordx4 off, v[4:7], off offset:544
	s_and_saveexec_b64 s[0:1], vcc
	s_cbranch_execz .LBB126_339
; %bb.338:
	scratch_load_dwordx4 v[6:9], off, s57
	v_mov_b32_e32 v3, v2
	v_mov_b32_e32 v4, v2
	v_mov_b32_e32 v5, v2
	v_accvgpr_read_b32 v1, a1
	scratch_store_dwordx4 off, v[2:5], off offset:528
	s_waitcnt vmcnt(1)
	ds_write_b128 v1, v[6:9]
.LBB126_339:
	s_or_b64 exec, exec, s[0:1]
	s_waitcnt lgkmcnt(0)
	; wave barrier
	ds_read_b128 v[16:19], v2 offset:1536
	ds_read_b128 v[12:15], v2 offset:1552
	ds_read_b128 v[8:11], v2 offset:1568
	ds_read_b128 v[4:7], v2 offset:1584
	scratch_load_dwordx4 v[20:23], off, off offset:544
	scratch_load_dwordx4 v[40:43], off, off offset:608
	;; [unrolled: 1-line block ×24, first 2 shown]
	v_cmp_lt_u32_e32 vcc, 31, v0
	scratch_load_dwordx4 v[48:51], off, off offset:624
	scratch_load_dwordx4 v[56:59], off, off offset:640
	;; [unrolled: 1-line block ×3, first 2 shown]
	ds_read_b128 v[246:249], v2 offset:2000
	s_waitcnt vmcnt(26) lgkmcnt(4)
	v_mul_f64 v[24:25], v[16:17], v[22:23]
	v_fmac_f64_e32 v[24:25], v[18:19], v[20:21]
	v_add_f64 v[28:29], v[24:25], 0
	scratch_load_dwordx4 v[24:27], off, off offset:560
	s_waitcnt vmcnt(0) lgkmcnt(3)
	v_mul_f64 v[30:31], v[12:13], v[26:27]
	v_fmac_f64_e32 v[30:31], v[14:15], v[24:25]
	v_add_f64 v[32:33], v[28:29], v[30:31]
	scratch_load_dwordx4 v[28:31], off, off offset:576
	v_mul_f64 v[14:15], v[14:15], v[26:27]
	v_fma_f64 v[12:13], v[12:13], v[24:25], -v[14:15]
	s_waitcnt vmcnt(0) lgkmcnt(2)
	v_mul_f64 v[34:35], v[8:9], v[30:31]
	v_fmac_f64_e32 v[34:35], v[10:11], v[28:29]
	v_add_f64 v[36:37], v[32:33], v[34:35]
	scratch_load_dwordx4 v[32:35], off, off offset:592
	v_mul_f64 v[10:11], v[10:11], v[30:31]
	v_fma_f64 v[8:9], v[8:9], v[28:29], -v[10:11]
	s_waitcnt vmcnt(0) lgkmcnt(1)
	v_mul_f64 v[38:39], v[4:5], v[34:35]
	v_fmac_f64_e32 v[38:39], v[6:7], v[32:33]
	v_add_f64 v[44:45], v[36:37], v[38:39]
	ds_read_b128 v[36:39], v2 offset:1600
	v_mul_f64 v[6:7], v[6:7], v[34:35]
	v_fma_f64 v[4:5], v[4:5], v[32:33], -v[6:7]
	s_waitcnt lgkmcnt(0)
	v_mul_f64 v[46:47], v[36:37], v[42:43]
	v_fmac_f64_e32 v[46:47], v[38:39], v[40:41]
	v_add_f64 v[52:53], v[44:45], v[46:47]
	ds_read_b128 v[44:47], v2 offset:1616
	s_waitcnt lgkmcnt(0)
	v_mul_f64 v[54:55], v[44:45], v[50:51]
	v_fmac_f64_e32 v[54:55], v[46:47], v[48:49]
	v_add_f64 v[60:61], v[52:53], v[54:55]
	ds_read_b128 v[52:55], v2 offset:1632
	;; [unrolled: 5-line block ×24, first 2 shown]
	v_mul_f64 v[2:3], v[246:247], v[252:253]
	v_fmac_f64_e32 v[2:3], v[248:249], v[250:251]
	s_waitcnt lgkmcnt(0)
	v_mul_f64 v[238:239], v[230:231], v[236:237]
	v_fmac_f64_e32 v[238:239], v[232:233], v[234:235]
	v_add_f64 v[188:189], v[188:189], v[238:239]
	v_add_f64 v[188:189], v[188:189], v[2:3]
	v_mul_f64 v[2:3], v[18:19], v[22:23]
	v_fma_f64 v[2:3], v[16:17], v[20:21], -v[2:3]
	v_add_f64 v[2:3], v[2:3], 0
	v_add_f64 v[2:3], v[2:3], v[12:13]
	;; [unrolled: 1-line block ×4, first 2 shown]
	v_mul_f64 v[4:5], v[38:39], v[42:43]
	v_fma_f64 v[4:5], v[36:37], v[40:41], -v[4:5]
	v_add_f64 v[2:3], v[2:3], v[4:5]
	v_mul_f64 v[4:5], v[46:47], v[50:51]
	v_fma_f64 v[4:5], v[44:45], v[48:49], -v[4:5]
	v_add_f64 v[2:3], v[2:3], v[4:5]
	;; [unrolled: 3-line block ×26, first 2 shown]
	scratch_load_dwordx4 v[2:5], off, off offset:528
	s_waitcnt vmcnt(0)
	v_add_f64 v[2:3], v[2:3], -v[6:7]
	v_add_f64 v[4:5], v[4:5], -v[188:189]
	scratch_store_dwordx4 off, v[2:5], off offset:528
	s_and_saveexec_b64 s[0:1], vcc
	s_cbranch_execz .LBB126_341
; %bb.340:
	scratch_load_dwordx4 v[2:5], off, s58
	v_mov_b32_e32 v6, 0
	v_mov_b32_e32 v7, v6
	;; [unrolled: 1-line block ×4, first 2 shown]
	v_accvgpr_read_b32 v1, a1
	scratch_store_dwordx4 off, v[6:9], off offset:512
	s_waitcnt vmcnt(1)
	ds_write_b128 v1, v[2:5]
.LBB126_341:
	s_or_b64 exec, exec, s[0:1]
	s_waitcnt lgkmcnt(0)
	; wave barrier
	scratch_load_dwordx4 v[16:19], off, off offset:528
	scratch_load_dwordx4 v[12:15], off, off offset:544
	;; [unrolled: 1-line block ×32, first 2 shown]
	v_mov_b32_e32 v2, 0
	ds_read_b128 v[132:135], v2 offset:1520
	ds_read_b128 v[136:139], v2 offset:1536
	;; [unrolled: 1-line block ×17, first 2 shown]
	v_cmp_lt_u32_e32 vcc, 30, v0
	s_waitcnt vmcnt(31) lgkmcnt(14)
	v_mul_f64 v[200:201], v[132:133], v[18:19]
	s_waitcnt vmcnt(30)
	v_mul_f64 v[202:203], v[136:137], v[14:15]
	v_fmac_f64_e32 v[200:201], v[134:135], v[16:17]
	s_waitcnt vmcnt(29)
	v_mul_f64 v[204:205], v[140:141], v[10:11]
	v_fmac_f64_e32 v[202:203], v[138:139], v[12:13]
	v_add_f64 v[200:201], v[200:201], 0
	s_waitcnt vmcnt(28) lgkmcnt(13)
	v_mul_f64 v[206:207], v[144:145], v[6:7]
	v_fmac_f64_e32 v[204:205], v[142:143], v[8:9]
	v_add_f64 v[200:201], v[200:201], v[202:203]
	s_waitcnt vmcnt(27) lgkmcnt(12)
	;; [unrolled: 4-line block ×12, first 2 shown]
	v_mul_f64 v[228:229], v[188:189], v[62:63]
	v_fmac_f64_e32 v[226:227], v[186:187], v[56:57]
	v_add_f64 v[200:201], v[200:201], v[224:225]
	v_fmac_f64_e32 v[228:229], v[190:191], v[60:61]
	v_add_f64 v[200:201], v[200:201], v[226:227]
	s_waitcnt vmcnt(16) lgkmcnt(1)
	v_mul_f64 v[202:203], v[192:193], v[66:67]
	v_add_f64 v[200:201], v[200:201], v[228:229]
	v_fmac_f64_e32 v[202:203], v[194:195], v[64:65]
	s_waitcnt vmcnt(15) lgkmcnt(0)
	v_mul_f64 v[206:207], v[196:197], v[70:71]
	v_add_f64 v[204:205], v[200:201], v[202:203]
	ds_read_b128 v[200:203], v2 offset:1792
	v_fmac_f64_e32 v[206:207], v[198:199], v[68:69]
	v_add_f64 v[208:209], v[204:205], v[206:207]
	ds_read_b128 v[204:207], v2 offset:1808
	v_mul_f64 v[18:19], v[134:135], v[18:19]
	s_waitcnt vmcnt(14) lgkmcnt(1)
	v_mul_f64 v[210:211], v[200:201], v[74:75]
	v_fmac_f64_e32 v[210:211], v[202:203], v[72:73]
	v_add_f64 v[212:213], v[208:209], v[210:211]
	s_waitcnt vmcnt(13) lgkmcnt(0)
	v_mul_f64 v[214:215], v[204:205], v[78:79]
	ds_read_b128 v[208:211], v2 offset:1824
	v_fmac_f64_e32 v[214:215], v[206:207], v[76:77]
	v_add_f64 v[216:217], v[212:213], v[214:215]
	ds_read_b128 v[212:215], v2 offset:1840
	v_fma_f64 v[244:245], v[132:133], v[16:17], -v[18:19]
	s_waitcnt vmcnt(12) lgkmcnt(1)
	v_mul_f64 v[218:219], v[208:209], v[82:83]
	v_fmac_f64_e32 v[218:219], v[210:211], v[80:81]
	v_add_f64 v[220:221], v[216:217], v[218:219]
	s_waitcnt vmcnt(11) lgkmcnt(0)
	v_mul_f64 v[222:223], v[212:213], v[86:87]
	ds_read_b128 v[216:219], v2 offset:1856
	v_fmac_f64_e32 v[222:223], v[214:215], v[84:85]
	v_add_f64 v[224:225], v[220:221], v[222:223]
	ds_read_b128 v[220:223], v2 offset:1872
	ds_read_b128 v[16:19], v2 offset:1952
	s_waitcnt vmcnt(10) lgkmcnt(2)
	v_mul_f64 v[226:227], v[216:217], v[90:91]
	v_fmac_f64_e32 v[226:227], v[218:219], v[88:89]
	v_add_f64 v[228:229], v[224:225], v[226:227]
	s_waitcnt vmcnt(9) lgkmcnt(1)
	v_mul_f64 v[230:231], v[220:221], v[94:95]
	ds_read_b128 v[224:227], v2 offset:1888
	v_fmac_f64_e32 v[230:231], v[222:223], v[92:93]
	v_add_f64 v[232:233], v[228:229], v[230:231]
	ds_read_b128 v[228:231], v2 offset:1904
	v_mul_f64 v[14:15], v[138:139], v[14:15]
	s_waitcnt vmcnt(8) lgkmcnt(1)
	v_mul_f64 v[234:235], v[224:225], v[98:99]
	v_fmac_f64_e32 v[234:235], v[226:227], v[96:97]
	v_add_f64 v[236:237], v[232:233], v[234:235]
	s_waitcnt vmcnt(7) lgkmcnt(0)
	v_mul_f64 v[238:239], v[228:229], v[102:103]
	ds_read_b128 v[232:235], v2 offset:1920
	v_fmac_f64_e32 v[238:239], v[230:231], v[100:101]
	v_add_f64 v[242:243], v[236:237], v[238:239]
	ds_read_b128 v[236:239], v2 offset:1936
	v_fma_f64 v[136:137], v[136:137], v[12:13], -v[14:15]
	s_waitcnt vmcnt(6) lgkmcnt(1)
	v_mul_f64 v[132:133], v[232:233], v[106:107]
	v_fmac_f64_e32 v[132:133], v[234:235], v[104:105]
	v_add_f64 v[132:133], v[242:243], v[132:133]
	s_waitcnt vmcnt(5) lgkmcnt(0)
	v_mul_f64 v[134:135], v[236:237], v[110:111]
	v_fmac_f64_e32 v[134:135], v[238:239], v[108:109]
	v_add_f64 v[132:133], v[132:133], v[134:135]
	ds_read_b128 v[12:15], v2 offset:1968
	s_waitcnt vmcnt(4)
	v_mul_f64 v[134:135], v[16:17], v[114:115]
	v_fmac_f64_e32 v[134:135], v[18:19], v[112:113]
	v_add_f64 v[138:139], v[132:133], v[134:135]
	ds_read_b128 v[132:135], v2 offset:1984
	v_mul_f64 v[10:11], v[142:143], v[10:11]
	v_fma_f64 v[140:141], v[140:141], v[8:9], -v[10:11]
	ds_read_b128 v[8:11], v2 offset:2000
	s_waitcnt vmcnt(3) lgkmcnt(2)
	v_mul_f64 v[142:143], v[12:13], v[118:119]
	v_fmac_f64_e32 v[142:143], v[14:15], v[116:117]
	v_add_f64 v[138:139], v[138:139], v[142:143]
	s_waitcnt vmcnt(2) lgkmcnt(1)
	v_mul_f64 v[142:143], v[132:133], v[122:123]
	v_fmac_f64_e32 v[142:143], v[134:135], v[120:121]
	v_add_f64 v[138:139], v[138:139], v[142:143]
	;; [unrolled: 4-line block ×3, first 2 shown]
	v_add_f64 v[142:143], v[244:245], 0
	v_add_f64 v[136:137], v[142:143], v[136:137]
	v_mul_f64 v[6:7], v[146:147], v[6:7]
	v_add_f64 v[136:137], v[136:137], v[140:141]
	v_fma_f64 v[4:5], v[144:145], v[4:5], -v[6:7]
	v_mul_f64 v[6:7], v[150:151], v[22:23]
	v_add_f64 v[4:5], v[136:137], v[4:5]
	v_fma_f64 v[6:7], v[148:149], v[20:21], -v[6:7]
	v_add_f64 v[4:5], v[4:5], v[6:7]
	v_mul_f64 v[6:7], v[154:155], v[26:27]
	v_fma_f64 v[6:7], v[152:153], v[24:25], -v[6:7]
	v_add_f64 v[4:5], v[4:5], v[6:7]
	v_mul_f64 v[6:7], v[158:159], v[30:31]
	;; [unrolled: 3-line block ×26, first 2 shown]
	v_fma_f64 v[6:7], v[8:9], v[124:125], -v[6:7]
	v_add_f64 v[4:5], v[4:5], v[6:7]
	s_waitcnt vmcnt(0)
	v_add_f64 v[4:5], v[128:129], -v[4:5]
	v_add_f64 v[6:7], v[130:131], -v[138:139]
	scratch_store_dwordx4 off, v[4:7], off offset:512
	s_and_saveexec_b64 s[0:1], vcc
	s_cbranch_execz .LBB126_343
; %bb.342:
	scratch_load_dwordx4 v[6:9], off, s59
	v_mov_b32_e32 v3, v2
	v_mov_b32_e32 v4, v2
	v_mov_b32_e32 v5, v2
	v_accvgpr_read_b32 v1, a1
	scratch_store_dwordx4 off, v[2:5], off offset:496
	s_waitcnt vmcnt(1)
	ds_write_b128 v1, v[6:9]
.LBB126_343:
	s_or_b64 exec, exec, s[0:1]
	s_waitcnt lgkmcnt(0)
	; wave barrier
	scratch_load_dwordx4 v[140:143], off, off offset:512
	scratch_load_dwordx4 v[148:151], off, off offset:528
	;; [unrolled: 1-line block ×16, first 2 shown]
	ds_read_b128 v[188:191], v2 offset:1504
	ds_read_b128 v[184:187], v2 offset:1520
	scratch_load_dwordx4 v[56:59], off, off offset:768
	ds_read_b128 v[192:195], v2 offset:1536
	ds_read_b128 v[68:71], v2 offset:1552
	scratch_load_dwordx4 v[60:63], off, off offset:784
	ds_read_b128 v[88:91], v2 offset:1568
	ds_read_b128 v[84:87], v2 offset:1584
	;; [unrolled: 1-line block ×4, first 2 shown]
	scratch_load_dwordx4 v[64:67], off, off offset:800
	ds_read_b128 v[100:103], v2 offset:1632
	ds_read_b128 v[96:99], v2 offset:1648
	scratch_load_dwordx4 v[72:75], off, off offset:816
	ds_read_b128 v[116:119], v2 offset:1664
	ds_read_b128 v[112:115], v2 offset:1680
	;; [unrolled: 1-line block ×4, first 2 shown]
	scratch_load_dwordx4 v[92:95], off, off offset:832
	ds_read_b128 v[132:135], v2 offset:1728
	ds_read_b128 v[128:131], v2 offset:1744
	;; [unrolled: 1-line block ×3, first 2 shown]
	scratch_load_dwordx4 v[120:123], off, off offset:848
	scratch_load_dwordx4 v[136:139], off, off offset:864
	;; [unrolled: 1-line block ×11, first 2 shown]
	v_cmp_lt_u32_e32 vcc, 29, v0
	s_waitcnt vmcnt(31) lgkmcnt(14)
	v_mul_f64 v[200:201], v[188:189], v[142:143]
	s_waitcnt vmcnt(30)
	v_mul_f64 v[202:203], v[184:185], v[150:151]
	v_fmac_f64_e32 v[200:201], v[190:191], v[140:141]
	s_waitcnt vmcnt(29)
	v_mul_f64 v[204:205], v[192:193], v[154:155]
	v_fmac_f64_e32 v[202:203], v[186:187], v[148:149]
	v_add_f64 v[200:201], v[200:201], 0
	s_waitcnt vmcnt(28) lgkmcnt(13)
	v_mul_f64 v[206:207], v[68:69], v[6:7]
	v_fmac_f64_e32 v[204:205], v[194:195], v[152:153]
	v_add_f64 v[200:201], v[200:201], v[202:203]
	s_waitcnt vmcnt(27) lgkmcnt(12)
	;; [unrolled: 4-line block ×13, first 2 shown]
	v_mul_f64 v[230:231], v[128:129], v[54:55]
	v_fmac_f64_e32 v[228:229], v[134:135], v[48:49]
	v_add_f64 v[200:201], v[200:201], v[226:227]
	v_add_f64 v[200:201], v[200:201], v[228:229]
	v_fmac_f64_e32 v[230:231], v[130:131], v[52:53]
	s_waitcnt vmcnt(15) lgkmcnt(0)
	v_mul_f64 v[206:207], v[124:125], v[58:59]
	v_add_f64 v[204:205], v[200:201], v[230:231]
	ds_read_b128 v[200:203], v2 offset:1776
	v_fmac_f64_e32 v[206:207], v[126:127], v[56:57]
	v_add_f64 v[208:209], v[204:205], v[206:207]
	ds_read_b128 v[204:207], v2 offset:1792
	v_mul_f64 v[142:143], v[190:191], v[142:143]
	s_waitcnt vmcnt(14) lgkmcnt(1)
	v_mul_f64 v[210:211], v[200:201], v[62:63]
	v_fmac_f64_e32 v[210:211], v[202:203], v[60:61]
	v_add_f64 v[212:213], v[208:209], v[210:211]
	s_waitcnt vmcnt(13) lgkmcnt(0)
	v_mul_f64 v[214:215], v[204:205], v[66:67]
	ds_read_b128 v[208:211], v2 offset:1808
	v_fmac_f64_e32 v[214:215], v[206:207], v[64:65]
	v_add_f64 v[216:217], v[212:213], v[214:215]
	ds_read_b128 v[212:215], v2 offset:1824
	v_fma_f64 v[246:247], v[188:189], v[140:141], -v[142:143]
	s_waitcnt vmcnt(12) lgkmcnt(1)
	v_mul_f64 v[218:219], v[208:209], v[74:75]
	v_fmac_f64_e32 v[218:219], v[210:211], v[72:73]
	v_add_f64 v[220:221], v[216:217], v[218:219]
	s_waitcnt vmcnt(11) lgkmcnt(0)
	v_mul_f64 v[222:223], v[212:213], v[94:95]
	ds_read_b128 v[216:219], v2 offset:1840
	v_fmac_f64_e32 v[222:223], v[214:215], v[92:93]
	v_add_f64 v[224:225], v[220:221], v[222:223]
	ds_read_b128 v[220:223], v2 offset:1856
	ds_read_b128 v[140:143], v2 offset:1936
	s_waitcnt vmcnt(10) lgkmcnt(2)
	v_mul_f64 v[226:227], v[216:217], v[122:123]
	v_fmac_f64_e32 v[226:227], v[218:219], v[120:121]
	v_add_f64 v[228:229], v[224:225], v[226:227]
	s_waitcnt vmcnt(9) lgkmcnt(1)
	v_mul_f64 v[230:231], v[220:221], v[138:139]
	ds_read_b128 v[224:227], v2 offset:1872
	v_fmac_f64_e32 v[230:231], v[222:223], v[136:137]
	v_add_f64 v[232:233], v[228:229], v[230:231]
	ds_read_b128 v[228:231], v2 offset:1888
	v_mul_f64 v[150:151], v[186:187], v[150:151]
	s_waitcnt vmcnt(8) lgkmcnt(1)
	v_mul_f64 v[234:235], v[224:225], v[146:147]
	v_fmac_f64_e32 v[234:235], v[226:227], v[144:145]
	v_add_f64 v[236:237], v[232:233], v[234:235]
	s_waitcnt vmcnt(7) lgkmcnt(0)
	v_mul_f64 v[238:239], v[228:229], v[158:159]
	ds_read_b128 v[232:235], v2 offset:1904
	v_fmac_f64_e32 v[238:239], v[230:231], v[156:157]
	v_add_f64 v[242:243], v[236:237], v[238:239]
	ds_read_b128 v[236:239], v2 offset:1920
	v_fma_f64 v[248:249], v[184:185], v[148:149], -v[150:151]
	s_waitcnt vmcnt(6) lgkmcnt(1)
	v_mul_f64 v[244:245], v[232:233], v[162:163]
	v_fmac_f64_e32 v[244:245], v[234:235], v[160:161]
	ds_read_b128 v[148:151], v2 offset:1952
	s_waitcnt vmcnt(5) lgkmcnt(1)
	v_mul_f64 v[188:189], v[236:237], v[166:167]
	v_add_f64 v[242:243], v[242:243], v[244:245]
	v_fmac_f64_e32 v[188:189], v[238:239], v[164:165]
	s_waitcnt vmcnt(4)
	v_mul_f64 v[184:185], v[140:141], v[170:171]
	v_add_f64 v[188:189], v[242:243], v[188:189]
	v_fmac_f64_e32 v[184:185], v[142:143], v[168:169]
	v_add_f64 v[188:189], v[188:189], v[184:185]
	ds_read_b128 v[184:187], v2 offset:1968
	v_mul_f64 v[154:155], v[194:195], v[154:155]
	s_waitcnt vmcnt(3) lgkmcnt(1)
	v_mul_f64 v[190:191], v[148:149], v[174:175]
	v_fma_f64 v[244:245], v[192:193], v[152:153], -v[154:155]
	ds_read_b128 v[152:155], v2 offset:1984
	v_fmac_f64_e32 v[190:191], v[150:151], v[172:173]
	v_add_f64 v[242:243], v[188:189], v[190:191]
	ds_read_b128 v[188:191], v2 offset:2000
	s_waitcnt vmcnt(2) lgkmcnt(2)
	v_mul_f64 v[192:193], v[184:185], v[178:179]
	v_fmac_f64_e32 v[192:193], v[186:187], v[176:177]
	v_add_f64 v[2:3], v[242:243], v[192:193]
	s_waitcnt vmcnt(1) lgkmcnt(1)
	v_mul_f64 v[192:193], v[152:153], v[182:183]
	v_fmac_f64_e32 v[192:193], v[154:155], v[180:181]
	v_add_f64 v[2:3], v[2:3], v[192:193]
	;; [unrolled: 4-line block ×3, first 2 shown]
	scratch_load_dwordx4 v[192:195], off, off offset:496
	v_add_f64 v[242:243], v[246:247], 0
	v_add_f64 v[242:243], v[242:243], v[248:249]
	v_mul_f64 v[6:7], v[70:71], v[6:7]
	v_add_f64 v[242:243], v[242:243], v[244:245]
	v_fma_f64 v[4:5], v[68:69], v[4:5], -v[6:7]
	v_mul_f64 v[6:7], v[90:91], v[10:11]
	v_add_f64 v[4:5], v[242:243], v[4:5]
	v_fma_f64 v[6:7], v[88:89], v[8:9], -v[6:7]
	v_add_f64 v[4:5], v[4:5], v[6:7]
	v_mul_f64 v[6:7], v[86:87], v[14:15]
	v_fma_f64 v[6:7], v[84:85], v[12:13], -v[6:7]
	v_add_f64 v[4:5], v[4:5], v[6:7]
	v_mul_f64 v[6:7], v[82:83], v[18:19]
	;; [unrolled: 3-line block ×27, first 2 shown]
	v_fma_f64 v[6:7], v[188:189], v[196:197], -v[6:7]
	v_add_f64 v[4:5], v[4:5], v[6:7]
	s_waitcnt vmcnt(0)
	v_add_f64 v[4:5], v[192:193], -v[4:5]
	v_add_f64 v[6:7], v[194:195], -v[2:3]
	scratch_store_dwordx4 off, v[4:7], off offset:496
	s_and_saveexec_b64 s[0:1], vcc
	s_cbranch_execz .LBB126_345
; %bb.344:
	scratch_load_dwordx4 v[2:5], off, s60
	v_mov_b32_e32 v6, 0
	v_mov_b32_e32 v7, v6
	;; [unrolled: 1-line block ×4, first 2 shown]
	v_accvgpr_read_b32 v1, a1
	scratch_store_dwordx4 off, v[6:9], off offset:480
	s_waitcnt vmcnt(1)
	ds_write_b128 v1, v[2:5]
.LBB126_345:
	s_or_b64 exec, exec, s[0:1]
	s_waitcnt lgkmcnt(0)
	; wave barrier
	scratch_load_dwordx4 v[108:111], off, off offset:496
	scratch_load_dwordx4 v[116:119], off, off offset:512
	;; [unrolled: 1-line block ×33, first 2 shown]
	v_mov_b32_e32 v2, 0
	ds_read_b128 v[220:223], v2 offset:1488
	ds_read_b128 v[224:227], v2 offset:1504
	;; [unrolled: 1-line block ×16, first 2 shown]
	v_cmp_lt_u32_e32 vcc, 28, v0
	s_waitcnt vmcnt(32) lgkmcnt(14)
	v_mul_f64 v[180:181], v[220:221], v[110:111]
	s_waitcnt vmcnt(31)
	v_mul_f64 v[182:183], v[224:225], v[118:119]
	v_fmac_f64_e32 v[180:181], v[222:223], v[108:109]
	s_waitcnt vmcnt(30) lgkmcnt(13)
	v_mul_f64 v[184:185], v[234:235], v[122:123]
	v_fmac_f64_e32 v[182:183], v[226:227], v[116:117]
	v_add_f64 v[180:181], v[180:181], 0
	s_waitcnt vmcnt(29) lgkmcnt(12)
	v_mul_f64 v[186:187], v[246:247], v[126:127]
	v_fmac_f64_e32 v[184:185], v[236:237], v[120:121]
	v_add_f64 v[180:181], v[180:181], v[182:183]
	;; [unrolled: 4-line block ×13, first 2 shown]
	v_fmac_f64_e32 v[208:209], v[142:143], v[40:41]
	v_add_f64 v[180:181], v[180:181], v[206:207]
	v_add_f64 v[184:185], v[180:181], v[208:209]
	ds_read_b128 v[180:183], v2 offset:1744
	s_waitcnt vmcnt(17) lgkmcnt(1)
	v_mul_f64 v[186:187], v[136:137], v[46:47]
	v_fmac_f64_e32 v[186:187], v[138:139], v[44:45]
	v_add_f64 v[188:189], v[184:185], v[186:187]
	ds_read_b128 v[184:187], v2 offset:1760
	s_waitcnt vmcnt(16) lgkmcnt(1)
	v_mul_f64 v[190:191], v[180:181], v[50:51]
	v_fmac_f64_e32 v[190:191], v[182:183], v[48:49]
	;; [unrolled: 5-line block ×7, first 2 shown]
	v_mul_f64 v[126:127], v[248:249], v[126:127]
	v_add_f64 v[212:213], v[208:209], v[210:211]
	ds_read_b128 v[208:211], v2 offset:1856
	s_waitcnt vmcnt(10) lgkmcnt(1)
	v_mul_f64 v[214:215], v[204:205], v[74:75]
	v_mul_f64 v[122:123], v[236:237], v[122:123]
	v_fma_f64 v[236:237], v[246:247], v[124:125], -v[126:127]
	scratch_load_dwordx4 v[246:249], off, off offset:480
	v_fmac_f64_e32 v[214:215], v[206:207], v[72:73]
	v_add_f64 v[216:217], v[212:213], v[214:215]
	ds_read_b128 v[212:215], v2 offset:1872
	s_waitcnt vmcnt(10) lgkmcnt(1)
	v_mul_f64 v[218:219], v[208:209], v[78:79]
	v_fmac_f64_e32 v[218:219], v[210:211], v[76:77]
	v_add_f64 v[228:229], v[216:217], v[218:219]
	ds_read_b128 v[216:219], v2 offset:1888
	s_waitcnt vmcnt(9) lgkmcnt(1)
	v_mul_f64 v[230:231], v[212:213], v[82:83]
	v_fmac_f64_e32 v[230:231], v[214:215], v[80:81]
	v_mul_f64 v[110:111], v[222:223], v[110:111]
	v_add_f64 v[228:229], v[228:229], v[230:231]
	v_fma_f64 v[230:231], v[220:221], v[108:109], -v[110:111]
	ds_read_b128 v[108:111], v2 offset:1904
	s_waitcnt vmcnt(8) lgkmcnt(1)
	v_mul_f64 v[220:221], v[216:217], v[86:87]
	v_mul_f64 v[118:119], v[226:227], v[118:119]
	v_fmac_f64_e32 v[220:221], v[218:219], v[84:85]
	v_fma_f64 v[232:233], v[224:225], v[116:117], -v[118:119]
	ds_read_b128 v[116:119], v2 offset:1920
	s_waitcnt vmcnt(7) lgkmcnt(1)
	v_mul_f64 v[222:223], v[108:109], v[90:91]
	v_add_f64 v[220:221], v[228:229], v[220:221]
	v_fmac_f64_e32 v[222:223], v[110:111], v[88:89]
	v_add_f64 v[224:225], v[220:221], v[222:223]
	ds_read_b128 v[220:223], v2 offset:1936
	v_fma_f64 v[234:235], v[234:235], v[120:121], -v[122:123]
	ds_read_b128 v[120:123], v2 offset:1952
	s_waitcnt vmcnt(6) lgkmcnt(2)
	v_mul_f64 v[226:227], v[116:117], v[94:95]
	v_fmac_f64_e32 v[226:227], v[118:119], v[92:93]
	v_add_f64 v[224:225], v[224:225], v[226:227]
	s_waitcnt vmcnt(5) lgkmcnt(1)
	v_mul_f64 v[226:227], v[220:221], v[98:99]
	v_add_f64 v[230:231], v[230:231], 0
	v_fmac_f64_e32 v[226:227], v[222:223], v[96:97]
	s_waitcnt vmcnt(4) lgkmcnt(0)
	v_mul_f64 v[238:239], v[120:121], v[102:103]
	v_add_f64 v[230:231], v[230:231], v[232:233]
	v_add_f64 v[228:229], v[224:225], v[226:227]
	v_fmac_f64_e32 v[238:239], v[122:123], v[100:101]
	v_mul_f64 v[130:131], v[252:253], v[130:131]
	v_add_f64 v[230:231], v[230:231], v[234:235]
	v_add_f64 v[228:229], v[228:229], v[238:239]
	v_fma_f64 v[238:239], v[250:251], v[128:129], -v[130:131]
	v_add_f64 v[230:231], v[230:231], v[236:237]
	v_mul_f64 v[6:7], v[178:179], v[6:7]
	v_add_f64 v[230:231], v[230:231], v[238:239]
	v_fma_f64 v[4:5], v[176:177], v[4:5], -v[6:7]
	v_mul_f64 v[6:7], v[174:175], v[10:11]
	v_add_f64 v[4:5], v[230:231], v[4:5]
	v_fma_f64 v[6:7], v[172:173], v[8:9], -v[6:7]
	v_add_f64 v[4:5], v[4:5], v[6:7]
	v_mul_f64 v[6:7], v[170:171], v[14:15]
	v_fma_f64 v[6:7], v[168:169], v[12:13], -v[6:7]
	v_add_f64 v[4:5], v[4:5], v[6:7]
	v_mul_f64 v[6:7], v[166:167], v[18:19]
	v_fma_f64 v[6:7], v[164:165], v[16:17], -v[6:7]
	v_add_f64 v[4:5], v[4:5], v[6:7]
	v_mul_f64 v[6:7], v[162:163], v[22:23]
	v_fma_f64 v[6:7], v[160:161], v[20:21], -v[6:7]
	v_add_f64 v[4:5], v[4:5], v[6:7]
	v_mul_f64 v[6:7], v[158:159], v[26:27]
	v_fma_f64 v[6:7], v[156:157], v[24:25], -v[6:7]
	v_add_f64 v[4:5], v[4:5], v[6:7]
	v_mul_f64 v[6:7], v[154:155], v[30:31]
	v_fma_f64 v[6:7], v[152:153], v[28:29], -v[6:7]
	v_add_f64 v[4:5], v[4:5], v[6:7]
	v_mul_f64 v[6:7], v[150:151], v[34:35]
	v_fma_f64 v[6:7], v[148:149], v[32:33], -v[6:7]
	v_add_f64 v[4:5], v[4:5], v[6:7]
	v_mul_f64 v[6:7], v[146:147], v[38:39]
	v_fma_f64 v[6:7], v[144:145], v[36:37], -v[6:7]
	v_add_f64 v[4:5], v[4:5], v[6:7]
	v_mul_f64 v[6:7], v[142:143], v[42:43]
	v_fma_f64 v[6:7], v[140:141], v[40:41], -v[6:7]
	v_add_f64 v[4:5], v[4:5], v[6:7]
	v_mul_f64 v[6:7], v[138:139], v[46:47]
	v_fma_f64 v[6:7], v[136:137], v[44:45], -v[6:7]
	v_add_f64 v[4:5], v[4:5], v[6:7]
	v_mul_f64 v[6:7], v[182:183], v[50:51]
	v_fma_f64 v[6:7], v[180:181], v[48:49], -v[6:7]
	v_add_f64 v[4:5], v[4:5], v[6:7]
	v_mul_f64 v[6:7], v[186:187], v[54:55]
	v_fma_f64 v[6:7], v[184:185], v[52:53], -v[6:7]
	v_add_f64 v[4:5], v[4:5], v[6:7]
	v_mul_f64 v[6:7], v[190:191], v[58:59]
	v_fma_f64 v[6:7], v[188:189], v[56:57], -v[6:7]
	v_add_f64 v[4:5], v[4:5], v[6:7]
	v_mul_f64 v[6:7], v[194:195], v[62:63]
	v_fma_f64 v[6:7], v[192:193], v[60:61], -v[6:7]
	v_add_f64 v[4:5], v[4:5], v[6:7]
	v_mul_f64 v[6:7], v[198:199], v[66:67]
	v_fma_f64 v[6:7], v[196:197], v[64:65], -v[6:7]
	v_add_f64 v[4:5], v[4:5], v[6:7]
	v_mul_f64 v[6:7], v[202:203], v[70:71]
	v_fma_f64 v[6:7], v[200:201], v[68:69], -v[6:7]
	v_add_f64 v[4:5], v[4:5], v[6:7]
	v_mul_f64 v[6:7], v[206:207], v[74:75]
	v_fma_f64 v[6:7], v[204:205], v[72:73], -v[6:7]
	v_add_f64 v[4:5], v[4:5], v[6:7]
	v_mul_f64 v[6:7], v[210:211], v[78:79]
	v_fma_f64 v[6:7], v[208:209], v[76:77], -v[6:7]
	v_add_f64 v[4:5], v[4:5], v[6:7]
	v_mul_f64 v[6:7], v[214:215], v[82:83]
	v_fma_f64 v[6:7], v[212:213], v[80:81], -v[6:7]
	v_add_f64 v[4:5], v[4:5], v[6:7]
	v_mul_f64 v[6:7], v[218:219], v[86:87]
	v_fma_f64 v[6:7], v[216:217], v[84:85], -v[6:7]
	v_add_f64 v[4:5], v[4:5], v[6:7]
	v_mul_f64 v[6:7], v[110:111], v[90:91]
	v_fma_f64 v[6:7], v[108:109], v[88:89], -v[6:7]
	v_add_f64 v[4:5], v[4:5], v[6:7]
	v_mul_f64 v[6:7], v[118:119], v[94:95]
	ds_read_b128 v[124:127], v2 offset:1968
	ds_read_b128 v[224:227], v2 offset:1984
	v_fma_f64 v[6:7], v[116:117], v[92:93], -v[6:7]
	v_add_f64 v[4:5], v[4:5], v[6:7]
	v_mul_f64 v[6:7], v[222:223], v[98:99]
	v_fma_f64 v[6:7], v[220:221], v[96:97], -v[6:7]
	v_add_f64 v[4:5], v[4:5], v[6:7]
	v_mul_f64 v[6:7], v[122:123], v[102:103]
	ds_read_b128 v[128:131], v2 offset:2000
	v_fma_f64 v[6:7], v[120:121], v[100:101], -v[6:7]
	s_waitcnt vmcnt(3) lgkmcnt(2)
	v_mul_f64 v[242:243], v[124:125], v[106:107]
	v_add_f64 v[4:5], v[4:5], v[6:7]
	v_mul_f64 v[6:7], v[126:127], v[106:107]
	v_fmac_f64_e32 v[242:243], v[126:127], v[104:105]
	v_fma_f64 v[6:7], v[124:125], v[104:105], -v[6:7]
	v_add_f64 v[228:229], v[228:229], v[242:243]
	s_waitcnt vmcnt(2) lgkmcnt(1)
	v_mul_f64 v[242:243], v[224:225], v[114:115]
	v_add_f64 v[4:5], v[4:5], v[6:7]
	v_mul_f64 v[6:7], v[226:227], v[114:115]
	v_fmac_f64_e32 v[242:243], v[226:227], v[112:113]
	v_fma_f64 v[6:7], v[224:225], v[112:113], -v[6:7]
	v_add_f64 v[228:229], v[228:229], v[242:243]
	;; [unrolled: 7-line block ×3, first 2 shown]
	v_add_f64 v[4:5], v[4:5], v[6:7]
	s_waitcnt vmcnt(0)
	v_add_f64 v[4:5], v[246:247], -v[4:5]
	v_add_f64 v[6:7], v[248:249], -v[228:229]
	scratch_store_dwordx4 off, v[4:7], off offset:480
	s_and_saveexec_b64 s[0:1], vcc
	s_cbranch_execz .LBB126_347
; %bb.346:
	scratch_load_dwordx4 v[6:9], off, s61
	v_mov_b32_e32 v3, v2
	v_mov_b32_e32 v4, v2
	;; [unrolled: 1-line block ×3, first 2 shown]
	v_accvgpr_read_b32 v1, a1
	scratch_store_dwordx4 off, v[2:5], off offset:464
	s_waitcnt vmcnt(1)
	ds_write_b128 v1, v[6:9]
.LBB126_347:
	s_or_b64 exec, exec, s[0:1]
	s_waitcnt lgkmcnt(0)
	; wave barrier
	scratch_load_dwordx4 v[144:147], off, off offset:480
	scratch_load_dwordx4 v[152:155], off, off offset:496
	scratch_load_dwordx4 v[156:159], off, off offset:512
	scratch_load_dwordx4 v[160:163], off, off offset:528
	scratch_load_dwordx4 v[168:171], off, off offset:544
	scratch_load_dwordx4 v[4:7], off, off offset:560
	scratch_load_dwordx4 v[8:11], off, off offset:576
	scratch_load_dwordx4 v[12:15], off, off offset:592
	scratch_load_dwordx4 v[16:19], off, off offset:608
	scratch_load_dwordx4 v[20:23], off, off offset:624
	scratch_load_dwordx4 v[24:27], off, off offset:640
	scratch_load_dwordx4 v[28:31], off, off offset:656
	scratch_load_dwordx4 v[32:35], off, off offset:672
	scratch_load_dwordx4 v[36:39], off, off offset:688
	scratch_load_dwordx4 v[40:43], off, off offset:704
	scratch_load_dwordx4 v[44:47], off, off offset:720
	ds_read_b128 v[196:199], v2 offset:1472
	ds_read_b128 v[188:191], v2 offset:1488
	ds_read_b128 v[180:183], v2 offset:1504
	scratch_load_dwordx4 v[48:51], off, off offset:736
	ds_read_b128 v[192:195], v2 offset:1520
	ds_read_b128 v[184:187], v2 offset:1536
	ds_read_b128 v[64:67], v2 offset:1552
	scratch_load_dwordx4 v[52:55], off, off offset:752
	;; [unrolled: 4-line block ×5, first 2 shown]
	ds_read_b128 v[116:119], v2 offset:1712
	ds_read_b128 v[112:115], v2 offset:1728
	scratch_load_dwordx4 v[108:111], off, off offset:816
	scratch_load_dwordx4 v[120:123], off, off offset:832
	;; [unrolled: 1-line block ×12, first 2 shown]
	v_cmp_lt_u32_e32 vcc, 27, v0
	s_waitcnt vmcnt(32) lgkmcnt(14)
	v_mul_f64 v[204:205], v[196:197], v[146:147]
	s_waitcnt vmcnt(31)
	v_mul_f64 v[206:207], v[188:189], v[154:155]
	v_fmac_f64_e32 v[204:205], v[198:199], v[144:145]
	s_waitcnt vmcnt(30)
	v_mul_f64 v[208:209], v[180:181], v[158:159]
	v_fmac_f64_e32 v[206:207], v[190:191], v[152:153]
	v_add_f64 v[204:205], v[204:205], 0
	s_waitcnt vmcnt(29) lgkmcnt(13)
	v_mul_f64 v[210:211], v[192:193], v[162:163]
	v_fmac_f64_e32 v[208:209], v[182:183], v[156:157]
	v_add_f64 v[204:205], v[204:205], v[206:207]
	s_waitcnt vmcnt(28) lgkmcnt(12)
	;; [unrolled: 4-line block ×12, first 2 shown]
	v_mul_f64 v[232:233], v[96:97], v[42:43]
	v_fmac_f64_e32 v[230:231], v[102:103], v[36:37]
	v_add_f64 v[204:205], v[204:205], v[228:229]
	v_fmac_f64_e32 v[232:233], v[98:99], v[40:41]
	v_add_f64 v[204:205], v[204:205], v[230:231]
	s_waitcnt vmcnt(17) lgkmcnt(1)
	v_mul_f64 v[206:207], v[116:117], v[46:47]
	v_add_f64 v[204:205], v[204:205], v[232:233]
	v_fmac_f64_e32 v[206:207], v[118:119], v[44:45]
	s_waitcnt vmcnt(16) lgkmcnt(0)
	v_mul_f64 v[210:211], v[112:113], v[50:51]
	v_add_f64 v[208:209], v[204:205], v[206:207]
	ds_read_b128 v[204:207], v2 offset:1744
	v_fmac_f64_e32 v[210:211], v[114:115], v[48:49]
	v_add_f64 v[212:213], v[208:209], v[210:211]
	ds_read_b128 v[208:211], v2 offset:1760
	v_mul_f64 v[146:147], v[198:199], v[146:147]
	s_waitcnt vmcnt(15) lgkmcnt(1)
	v_mul_f64 v[214:215], v[204:205], v[54:55]
	v_fmac_f64_e32 v[214:215], v[206:207], v[52:53]
	v_add_f64 v[216:217], v[212:213], v[214:215]
	s_waitcnt vmcnt(14) lgkmcnt(0)
	v_mul_f64 v[218:219], v[208:209], v[58:59]
	ds_read_b128 v[212:215], v2 offset:1776
	v_fmac_f64_e32 v[218:219], v[210:211], v[56:57]
	v_add_f64 v[220:221], v[216:217], v[218:219]
	ds_read_b128 v[216:219], v2 offset:1792
	v_mul_f64 v[154:155], v[190:191], v[154:155]
	s_waitcnt vmcnt(13) lgkmcnt(1)
	v_mul_f64 v[222:223], v[212:213], v[62:63]
	v_fmac_f64_e32 v[222:223], v[214:215], v[60:61]
	v_add_f64 v[224:225], v[220:221], v[222:223]
	s_waitcnt vmcnt(12) lgkmcnt(0)
	v_mul_f64 v[226:227], v[216:217], v[94:95]
	ds_read_b128 v[220:223], v2 offset:1808
	v_fmac_f64_e32 v[226:227], v[218:219], v[92:93]
	v_add_f64 v[228:229], v[224:225], v[226:227]
	ds_read_b128 v[224:227], v2 offset:1824
	v_fma_f64 v[246:247], v[188:189], v[152:153], -v[154:155]
	s_waitcnt vmcnt(11) lgkmcnt(1)
	v_mul_f64 v[230:231], v[220:221], v[110:111]
	v_fmac_f64_e32 v[230:231], v[222:223], v[108:109]
	v_add_f64 v[232:233], v[228:229], v[230:231]
	s_waitcnt vmcnt(10) lgkmcnt(0)
	v_mul_f64 v[234:235], v[224:225], v[122:123]
	ds_read_b128 v[228:231], v2 offset:1840
	v_fmac_f64_e32 v[234:235], v[226:227], v[120:121]
	v_add_f64 v[236:237], v[232:233], v[234:235]
	ds_read_b128 v[232:235], v2 offset:1856
	ds_read_b128 v[152:155], v2 offset:1904
	s_waitcnt vmcnt(9) lgkmcnt(2)
	v_mul_f64 v[238:239], v[228:229], v[126:127]
	v_fmac_f64_e32 v[238:239], v[230:231], v[124:125]
	v_add_f64 v[242:243], v[236:237], v[238:239]
	s_waitcnt vmcnt(8) lgkmcnt(1)
	v_mul_f64 v[244:245], v[232:233], v[130:131]
	ds_read_b128 v[236:239], v2 offset:1872
	v_fmac_f64_e32 v[244:245], v[234:235], v[128:129]
	v_add_f64 v[242:243], v[242:243], v[244:245]
	v_fma_f64 v[244:245], v[196:197], v[144:145], -v[146:147]
	ds_read_b128 v[144:147], v2 offset:1888
	s_waitcnt vmcnt(7) lgkmcnt(1)
	v_mul_f64 v[196:197], v[236:237], v[134:135]
	v_fmac_f64_e32 v[196:197], v[238:239], v[132:133]
	v_add_f64 v[188:189], v[242:243], v[196:197]
	v_mul_f64 v[158:159], v[182:183], v[158:159]
	s_waitcnt vmcnt(6) lgkmcnt(0)
	v_mul_f64 v[190:191], v[144:145], v[138:139]
	v_fmac_f64_e32 v[190:191], v[146:147], v[136:137]
	v_add_f64 v[196:197], v[188:189], v[190:191]
	ds_read_b128 v[188:191], v2 offset:1920
	v_fma_f64 v[242:243], v[180:181], v[156:157], -v[158:159]
	ds_read_b128 v[156:159], v2 offset:1936
	s_waitcnt vmcnt(5)
	v_mul_f64 v[198:199], v[152:153], v[142:143]
	v_fmac_f64_e32 v[198:199], v[154:155], v[140:141]
	s_waitcnt vmcnt(4) lgkmcnt(1)
	v_mul_f64 v[180:181], v[188:189], v[150:151]
	v_add_f64 v[196:197], v[196:197], v[198:199]
	v_fmac_f64_e32 v[180:181], v[190:191], v[148:149]
	v_mul_f64 v[162:163], v[194:195], v[162:163]
	v_add_f64 v[198:199], v[196:197], v[180:181]
	v_fma_f64 v[196:197], v[192:193], v[160:161], -v[162:163]
	ds_read_b128 v[160:163], v2 offset:1952
	s_waitcnt vmcnt(3) lgkmcnt(1)
	v_mul_f64 v[192:193], v[156:157], v[166:167]
	ds_read_b128 v[180:183], v2 offset:1968
	v_fmac_f64_e32 v[192:193], v[158:159], v[164:165]
	v_mul_f64 v[170:171], v[186:187], v[170:171]
	v_add_f64 v[192:193], v[198:199], v[192:193]
	v_fma_f64 v[198:199], v[184:185], v[168:169], -v[170:171]
	ds_read_b128 v[168:171], v2 offset:1984
	s_waitcnt vmcnt(2) lgkmcnt(2)
	v_mul_f64 v[184:185], v[160:161], v[174:175]
	v_fmac_f64_e32 v[184:185], v[162:163], v[172:173]
	s_waitcnt vmcnt(1) lgkmcnt(1)
	v_mul_f64 v[186:187], v[180:181], v[178:179]
	v_add_f64 v[184:185], v[192:193], v[184:185]
	v_fmac_f64_e32 v[186:187], v[182:183], v[176:177]
	v_add_f64 v[184:185], v[184:185], v[186:187]
	s_waitcnt vmcnt(0) lgkmcnt(0)
	v_mul_f64 v[186:187], v[168:169], v[202:203]
	v_fmac_f64_e32 v[186:187], v[170:171], v[200:201]
	v_add_f64 v[248:249], v[184:185], v[186:187]
	scratch_load_dwordx4 v[184:187], off, off offset:1008
	ds_read_b128 v[192:195], v2 offset:2000
	v_add_f64 v[244:245], v[244:245], 0
	v_add_f64 v[244:245], v[244:245], v[246:247]
	;; [unrolled: 1-line block ×4, first 2 shown]
	v_mul_f64 v[6:7], v[66:67], v[6:7]
	v_add_f64 v[196:197], v[196:197], v[198:199]
	v_fma_f64 v[4:5], v[64:65], v[4:5], -v[6:7]
	v_mul_f64 v[6:7], v[78:79], v[10:11]
	v_add_f64 v[4:5], v[196:197], v[4:5]
	v_fma_f64 v[6:7], v[76:77], v[8:9], -v[6:7]
	v_add_f64 v[4:5], v[4:5], v[6:7]
	v_mul_f64 v[6:7], v[74:75], v[14:15]
	v_fma_f64 v[6:7], v[72:73], v[12:13], -v[6:7]
	v_add_f64 v[4:5], v[4:5], v[6:7]
	v_mul_f64 v[6:7], v[70:71], v[18:19]
	;; [unrolled: 3-line block ×23, first 2 shown]
	s_waitcnt vmcnt(0) lgkmcnt(0)
	v_mul_f64 v[2:3], v[192:193], v[186:187]
	v_fmac_f64_e32 v[2:3], v[194:195], v[184:185]
	v_add_f64 v[2:3], v[248:249], v[2:3]
	scratch_load_dwordx4 v[248:251], off, off offset:464
	v_fma_f64 v[6:7], v[156:157], v[164:165], -v[6:7]
	v_add_f64 v[4:5], v[4:5], v[6:7]
	v_mul_f64 v[6:7], v[162:163], v[174:175]
	v_fma_f64 v[6:7], v[160:161], v[172:173], -v[6:7]
	v_add_f64 v[4:5], v[4:5], v[6:7]
	v_mul_f64 v[6:7], v[182:183], v[178:179]
	;; [unrolled: 3-line block ×4, first 2 shown]
	v_fma_f64 v[6:7], v[192:193], v[184:185], -v[6:7]
	v_add_f64 v[4:5], v[4:5], v[6:7]
	s_waitcnt vmcnt(0)
	v_add_f64 v[4:5], v[248:249], -v[4:5]
	v_add_f64 v[6:7], v[250:251], -v[2:3]
	scratch_store_dwordx4 off, v[4:7], off offset:464
	s_and_saveexec_b64 s[0:1], vcc
	s_cbranch_execz .LBB126_349
; %bb.348:
	scratch_load_dwordx4 v[2:5], off, s62
	v_mov_b32_e32 v6, 0
	v_mov_b32_e32 v7, v6
	;; [unrolled: 1-line block ×4, first 2 shown]
	v_accvgpr_read_b32 v1, a1
	scratch_store_dwordx4 off, v[6:9], off offset:448
	s_waitcnt vmcnt(1)
	ds_write_b128 v1, v[2:5]
.LBB126_349:
	s_or_b64 exec, exec, s[0:1]
	s_waitcnt lgkmcnt(0)
	; wave barrier
	scratch_load_dwordx4 v[184:187], off, off offset:464
	scratch_load_dwordx4 v[188:191], off, off offset:480
	;; [unrolled: 1-line block ×32, first 2 shown]
	v_mov_b32_e32 v2, 0
	ds_read_b128 v[192:195], v2 offset:1456
	ds_read_b128 v[204:207], v2 offset:1472
	;; [unrolled: 1-line block ×16, first 2 shown]
	v_cmp_lt_u32_e32 vcc, 26, v0
	s_waitcnt vmcnt(31) lgkmcnt(14)
	v_mul_f64 v[104:105], v[192:193], v[186:187]
	s_waitcnt vmcnt(30)
	v_mul_f64 v[106:107], v[204:205], v[190:191]
	v_fmac_f64_e32 v[104:105], v[194:195], v[184:185]
	s_waitcnt vmcnt(29) lgkmcnt(13)
	v_mul_f64 v[112:113], v[216:217], v[198:199]
	v_fmac_f64_e32 v[106:107], v[206:207], v[188:189]
	v_add_f64 v[104:105], v[104:105], 0
	s_waitcnt vmcnt(28) lgkmcnt(12)
	v_mul_f64 v[114:115], v[224:225], v[202:203]
	v_fmac_f64_e32 v[112:113], v[218:219], v[196:197]
	v_add_f64 v[104:105], v[104:105], v[106:107]
	;; [unrolled: 4-line block ×10, first 2 shown]
	ds_read_b128 v[152:155], v2 offset:1712
	ds_read_b128 v[156:159], v2 offset:1728
	s_waitcnt vmcnt(19) lgkmcnt(5)
	v_mul_f64 v[164:165], v[124:125], v[26:27]
	v_fmac_f64_e32 v[162:163], v[134:135], v[20:21]
	v_add_f64 v[104:105], v[104:105], v[160:161]
	s_waitcnt vmcnt(18) lgkmcnt(4)
	v_mul_f64 v[166:167], v[120:121], v[30:31]
	v_fmac_f64_e32 v[164:165], v[126:127], v[24:25]
	v_add_f64 v[104:105], v[104:105], v[162:163]
	;; [unrolled: 4-line block ×4, first 2 shown]
	v_add_f64 v[112:113], v[104:105], v[168:169]
	v_fmac_f64_e32 v[170:171], v[110:111], v[36:37]
	scratch_load_dwordx4 v[104:107], off, off offset:976
	s_waitcnt vmcnt(16) lgkmcnt(1)
	v_mul_f64 v[114:115], v[152:153], v[42:43]
	v_add_f64 v[112:113], v[112:113], v[170:171]
	v_fmac_f64_e32 v[114:115], v[154:155], v[40:41]
	v_add_f64 v[128:129], v[112:113], v[114:115]
	scratch_load_dwordx4 v[112:115], off, off offset:992
	s_waitcnt vmcnt(16) lgkmcnt(0)
	v_mul_f64 v[130:131], v[156:157], v[46:47]
	v_fmac_f64_e32 v[130:131], v[158:159], v[44:45]
	v_add_f64 v[168:169], v[128:129], v[130:131]
	scratch_load_dwordx4 v[128:131], off, off offset:1008
	ds_read_b128 v[160:163], v2 offset:1744
	ds_read_b128 v[164:167], v2 offset:1760
	v_mul_f64 v[186:187], v[194:195], v[186:187]
	v_fma_f64 v[242:243], v[192:193], v[184:185], -v[186:187]
	ds_read_b128 v[184:187], v2 offset:1840
	s_waitcnt vmcnt(16) lgkmcnt(2)
	v_mul_f64 v[170:171], v[160:161], v[50:51]
	v_fmac_f64_e32 v[170:171], v[162:163], v[48:49]
	s_waitcnt vmcnt(15) lgkmcnt(1)
	v_mul_f64 v[174:175], v[164:165], v[54:55]
	v_add_f64 v[172:173], v[168:169], v[170:171]
	ds_read_b128 v[168:171], v2 offset:1776
	v_fmac_f64_e32 v[174:175], v[166:167], v[52:53]
	v_add_f64 v[176:177], v[172:173], v[174:175]
	ds_read_b128 v[172:175], v2 offset:1792
	v_mul_f64 v[190:191], v[206:207], v[190:191]
	s_waitcnt vmcnt(14) lgkmcnt(1)
	v_mul_f64 v[178:179], v[168:169], v[58:59]
	v_fmac_f64_e32 v[178:179], v[170:171], v[56:57]
	v_add_f64 v[180:181], v[176:177], v[178:179]
	s_waitcnt vmcnt(13) lgkmcnt(0)
	v_mul_f64 v[182:183], v[172:173], v[62:63]
	ds_read_b128 v[176:179], v2 offset:1808
	v_fmac_f64_e32 v[182:183], v[174:175], v[60:61]
	v_add_f64 v[232:233], v[180:181], v[182:183]
	ds_read_b128 v[180:183], v2 offset:1824
	v_fma_f64 v[244:245], v[204:205], v[188:189], -v[190:191]
	s_waitcnt vmcnt(12) lgkmcnt(1)
	v_mul_f64 v[234:235], v[176:177], v[66:67]
	v_fmac_f64_e32 v[234:235], v[178:179], v[64:65]
	v_add_f64 v[232:233], v[232:233], v[234:235]
	s_waitcnt vmcnt(11) lgkmcnt(0)
	v_mul_f64 v[192:193], v[180:181], v[70:71]
	v_fmac_f64_e32 v[192:193], v[182:183], v[68:69]
	ds_read_b128 v[188:191], v2 offset:1856
	s_waitcnt vmcnt(10)
	v_mul_f64 v[194:195], v[184:185], v[74:75]
	v_add_f64 v[192:193], v[232:233], v[192:193]
	v_fmac_f64_e32 v[194:195], v[186:187], v[72:73]
	v_add_f64 v[204:205], v[192:193], v[194:195]
	ds_read_b128 v[192:195], v2 offset:1872
	v_mul_f64 v[198:199], v[218:219], v[198:199]
	v_fma_f64 v[240:241], v[216:217], v[196:197], -v[198:199]
	ds_read_b128 v[196:199], v2 offset:1888
	s_waitcnt vmcnt(9) lgkmcnt(2)
	v_mul_f64 v[206:207], v[188:189], v[78:79]
	v_fmac_f64_e32 v[206:207], v[190:191], v[76:77]
	v_add_f64 v[204:205], v[204:205], v[206:207]
	s_waitcnt vmcnt(8) lgkmcnt(1)
	v_mul_f64 v[206:207], v[192:193], v[82:83]
	v_fmac_f64_e32 v[206:207], v[194:195], v[80:81]
	v_mul_f64 v[202:203], v[226:227], v[202:203]
	v_add_f64 v[204:205], v[204:205], v[206:207]
	v_fma_f64 v[234:235], v[224:225], v[200:201], -v[202:203]
	ds_read_b128 v[200:203], v2 offset:1904
	s_waitcnt vmcnt(7) lgkmcnt(1)
	v_mul_f64 v[206:207], v[196:197], v[86:87]
	v_fmac_f64_e32 v[206:207], v[198:199], v[84:85]
	v_add_f64 v[216:217], v[204:205], v[206:207]
	ds_read_b128 v[204:207], v2 offset:1920
	v_mul_f64 v[210:211], v[230:231], v[210:211]
	v_fma_f64 v[236:237], v[228:229], v[208:209], -v[210:211]
	ds_read_b128 v[208:211], v2 offset:1936
	s_waitcnt vmcnt(6) lgkmcnt(2)
	v_mul_f64 v[218:219], v[200:201], v[90:91]
	v_fmac_f64_e32 v[218:219], v[202:203], v[88:89]
	v_add_f64 v[216:217], v[216:217], v[218:219]
	s_waitcnt vmcnt(5) lgkmcnt(1)
	v_mul_f64 v[218:219], v[204:205], v[94:95]
	v_fmac_f64_e32 v[218:219], v[206:207], v[92:93]
	v_mul_f64 v[214:215], v[248:249], v[214:215]
	v_fma_f64 v[238:239], v[246:247], v[212:213], -v[214:215]
	ds_read_b128 v[212:215], v2 offset:1952
	v_add_f64 v[216:217], v[216:217], v[218:219]
	s_waitcnt vmcnt(4) lgkmcnt(1)
	v_mul_f64 v[218:219], v[208:209], v[102:103]
	v_fmac_f64_e32 v[218:219], v[210:211], v[100:101]
	v_add_f64 v[224:225], v[216:217], v[218:219]
	ds_read_b128 v[216:219], v2 offset:1968
	v_mul_f64 v[222:223], v[252:253], v[222:223]
	v_fma_f64 v[246:247], v[250:251], v[220:221], -v[222:223]
	ds_read_b128 v[220:223], v2 offset:1984
	s_waitcnt vmcnt(3) lgkmcnt(2)
	v_mul_f64 v[226:227], v[212:213], v[98:99]
	v_fmac_f64_e32 v[226:227], v[214:215], v[96:97]
	v_add_f64 v[224:225], v[224:225], v[226:227]
	s_waitcnt vmcnt(2) lgkmcnt(1)
	v_mul_f64 v[226:227], v[216:217], v[106:107]
	v_fmac_f64_e32 v[226:227], v[218:219], v[104:105]
	v_add_f64 v[224:225], v[224:225], v[226:227]
	;; [unrolled: 4-line block ×3, first 2 shown]
	ds_read_b128 v[224:227], v2 offset:2000
	v_mul_f64 v[6:7], v[150:151], v[6:7]
	v_fma_f64 v[4:5], v[148:149], v[4:5], -v[6:7]
	v_mul_f64 v[6:7], v[146:147], v[10:11]
	v_fma_f64 v[6:7], v[144:145], v[8:9], -v[6:7]
	s_waitcnt vmcnt(0) lgkmcnt(0)
	v_mul_f64 v[230:231], v[224:225], v[130:131]
	v_fmac_f64_e32 v[230:231], v[226:227], v[128:129]
	v_add_f64 v[232:233], v[228:229], v[230:231]
	v_add_f64 v[228:229], v[242:243], 0
	;; [unrolled: 1-line block ×4, first 2 shown]
	scratch_load_dwordx4 v[228:231], off, off offset:448
	v_add_f64 v[234:235], v[248:249], v[234:235]
	v_add_f64 v[234:235], v[234:235], v[236:237]
	;; [unrolled: 1-line block ×6, first 2 shown]
	v_mul_f64 v[6:7], v[142:143], v[14:15]
	v_fma_f64 v[6:7], v[140:141], v[12:13], -v[6:7]
	v_add_f64 v[4:5], v[4:5], v[6:7]
	v_mul_f64 v[6:7], v[138:139], v[18:19]
	v_fma_f64 v[6:7], v[136:137], v[16:17], -v[6:7]
	v_add_f64 v[4:5], v[4:5], v[6:7]
	v_mul_f64 v[6:7], v[134:135], v[22:23]
	v_fma_f64 v[6:7], v[132:133], v[20:21], -v[6:7]
	v_add_f64 v[4:5], v[4:5], v[6:7]
	v_mul_f64 v[6:7], v[126:127], v[26:27]
	v_fma_f64 v[6:7], v[124:125], v[24:25], -v[6:7]
	v_add_f64 v[4:5], v[4:5], v[6:7]
	v_mul_f64 v[6:7], v[122:123], v[30:31]
	v_fma_f64 v[6:7], v[120:121], v[28:29], -v[6:7]
	v_add_f64 v[4:5], v[4:5], v[6:7]
	v_mul_f64 v[6:7], v[118:119], v[34:35]
	v_fma_f64 v[6:7], v[116:117], v[32:33], -v[6:7]
	v_add_f64 v[4:5], v[4:5], v[6:7]
	v_mul_f64 v[6:7], v[110:111], v[38:39]
	v_fma_f64 v[6:7], v[108:109], v[36:37], -v[6:7]
	v_add_f64 v[4:5], v[4:5], v[6:7]
	v_mul_f64 v[6:7], v[154:155], v[42:43]
	v_fma_f64 v[6:7], v[152:153], v[40:41], -v[6:7]
	v_add_f64 v[4:5], v[4:5], v[6:7]
	v_mul_f64 v[6:7], v[158:159], v[46:47]
	v_fma_f64 v[6:7], v[156:157], v[44:45], -v[6:7]
	v_add_f64 v[4:5], v[4:5], v[6:7]
	v_mul_f64 v[6:7], v[162:163], v[50:51]
	v_fma_f64 v[6:7], v[160:161], v[48:49], -v[6:7]
	v_add_f64 v[4:5], v[4:5], v[6:7]
	v_mul_f64 v[6:7], v[166:167], v[54:55]
	v_fma_f64 v[6:7], v[164:165], v[52:53], -v[6:7]
	v_add_f64 v[4:5], v[4:5], v[6:7]
	v_mul_f64 v[6:7], v[170:171], v[58:59]
	v_fma_f64 v[6:7], v[168:169], v[56:57], -v[6:7]
	v_add_f64 v[4:5], v[4:5], v[6:7]
	v_mul_f64 v[6:7], v[174:175], v[62:63]
	v_fma_f64 v[6:7], v[172:173], v[60:61], -v[6:7]
	v_add_f64 v[4:5], v[4:5], v[6:7]
	v_mul_f64 v[6:7], v[178:179], v[66:67]
	v_fma_f64 v[6:7], v[176:177], v[64:65], -v[6:7]
	v_add_f64 v[4:5], v[4:5], v[6:7]
	v_mul_f64 v[6:7], v[182:183], v[70:71]
	v_fma_f64 v[6:7], v[180:181], v[68:69], -v[6:7]
	v_add_f64 v[4:5], v[4:5], v[6:7]
	v_mul_f64 v[6:7], v[186:187], v[74:75]
	v_fma_f64 v[6:7], v[184:185], v[72:73], -v[6:7]
	v_add_f64 v[4:5], v[4:5], v[6:7]
	v_mul_f64 v[6:7], v[190:191], v[78:79]
	v_fma_f64 v[6:7], v[188:189], v[76:77], -v[6:7]
	v_add_f64 v[4:5], v[4:5], v[6:7]
	v_mul_f64 v[6:7], v[194:195], v[82:83]
	v_fma_f64 v[6:7], v[192:193], v[80:81], -v[6:7]
	v_add_f64 v[4:5], v[4:5], v[6:7]
	v_mul_f64 v[6:7], v[198:199], v[86:87]
	v_fma_f64 v[6:7], v[196:197], v[84:85], -v[6:7]
	v_add_f64 v[4:5], v[4:5], v[6:7]
	v_mul_f64 v[6:7], v[202:203], v[90:91]
	v_fma_f64 v[6:7], v[200:201], v[88:89], -v[6:7]
	v_add_f64 v[4:5], v[4:5], v[6:7]
	v_mul_f64 v[6:7], v[206:207], v[94:95]
	v_fma_f64 v[6:7], v[204:205], v[92:93], -v[6:7]
	v_add_f64 v[4:5], v[4:5], v[6:7]
	v_mul_f64 v[6:7], v[210:211], v[102:103]
	v_fma_f64 v[6:7], v[208:209], v[100:101], -v[6:7]
	v_add_f64 v[4:5], v[4:5], v[6:7]
	v_mul_f64 v[6:7], v[214:215], v[98:99]
	v_fma_f64 v[6:7], v[212:213], v[96:97], -v[6:7]
	v_add_f64 v[4:5], v[4:5], v[6:7]
	v_mul_f64 v[6:7], v[218:219], v[106:107]
	v_fma_f64 v[6:7], v[216:217], v[104:105], -v[6:7]
	v_add_f64 v[4:5], v[4:5], v[6:7]
	v_mul_f64 v[6:7], v[222:223], v[114:115]
	v_fma_f64 v[6:7], v[220:221], v[112:113], -v[6:7]
	v_add_f64 v[4:5], v[4:5], v[6:7]
	v_mul_f64 v[6:7], v[226:227], v[130:131]
	v_fma_f64 v[6:7], v[224:225], v[128:129], -v[6:7]
	v_add_f64 v[4:5], v[4:5], v[6:7]
	s_waitcnt vmcnt(0)
	v_add_f64 v[4:5], v[228:229], -v[4:5]
	v_add_f64 v[6:7], v[230:231], -v[232:233]
	scratch_store_dwordx4 off, v[4:7], off offset:448
	s_and_saveexec_b64 s[0:1], vcc
	s_cbranch_execz .LBB126_351
; %bb.350:
	scratch_load_dwordx4 v[6:9], off, s63
	v_mov_b32_e32 v3, v2
	v_mov_b32_e32 v4, v2
	;; [unrolled: 1-line block ×3, first 2 shown]
	v_accvgpr_read_b32 v1, a1
	scratch_store_dwordx4 off, v[2:5], off offset:432
	s_waitcnt vmcnt(1)
	ds_write_b128 v1, v[6:9]
.LBB126_351:
	s_or_b64 exec, exec, s[0:1]
	s_waitcnt lgkmcnt(0)
	; wave barrier
	scratch_load_dwordx4 v[140:143], off, off offset:448
	scratch_load_dwordx4 v[144:147], off, off offset:464
	scratch_load_dwordx4 v[148:151], off, off offset:480
	scratch_load_dwordx4 v[152:155], off, off offset:496
	scratch_load_dwordx4 v[156:159], off, off offset:512
	scratch_load_dwordx4 v[160:163], off, off offset:528
	scratch_load_dwordx4 v[164:167], off, off offset:544
	scratch_load_dwordx4 v[4:7], off, off offset:560
	scratch_load_dwordx4 v[8:11], off, off offset:576
	scratch_load_dwordx4 v[12:15], off, off offset:592
	scratch_load_dwordx4 v[16:19], off, off offset:608
	scratch_load_dwordx4 v[20:23], off, off offset:624
	scratch_load_dwordx4 v[24:27], off, off offset:640
	scratch_load_dwordx4 v[28:31], off, off offset:656
	scratch_load_dwordx4 v[32:35], off, off offset:672
	scratch_load_dwordx4 v[36:39], off, off offset:688
	ds_read_b128 v[208:211], v2 offset:1440
	ds_read_b128 v[200:203], v2 offset:1456
	ds_read_b128 v[188:191], v2 offset:1472
	scratch_load_dwordx4 v[40:43], off, off offset:704
	ds_read_b128 v[204:207], v2 offset:1488
	ds_read_b128 v[192:195], v2 offset:1504
	;; [unrolled: 1-line block ×3, first 2 shown]
	scratch_load_dwordx4 v[44:47], off, off offset:720
	ds_read_b128 v[196:199], v2 offset:1536
	ds_read_b128 v[64:67], v2 offset:1552
	;; [unrolled: 1-line block ×4, first 2 shown]
	scratch_load_dwordx4 v[48:51], off, off offset:736
	ds_read_b128 v[72:75], v2 offset:1600
	ds_read_b128 v[68:71], v2 offset:1616
	scratch_load_dwordx4 v[56:59], off, off offset:752
	ds_read_b128 v[92:95], v2 offset:1632
	ds_read_b128 v[88:91], v2 offset:1648
	;; [unrolled: 1-line block ×4, first 2 shown]
	scratch_load_dwordx4 v[76:79], off, off offset:768
	scratch_load_dwordx4 v[96:99], off, off offset:784
	;; [unrolled: 1-line block ×12, first 2 shown]
	ds_read_b128 v[168:171], v2 offset:1696
	v_mov_b32_e32 v254, v0
	v_cmp_lt_u32_e32 vcc, 25, v0
	s_waitcnt vmcnt(31) lgkmcnt(14)
	v_mul_f64 v[172:173], v[208:209], v[142:143]
	s_waitcnt vmcnt(30)
	v_mul_f64 v[174:175], v[200:201], v[146:147]
	v_fmac_f64_e32 v[172:173], v[210:211], v[140:141]
	s_waitcnt vmcnt(29)
	v_mul_f64 v[176:177], v[188:189], v[150:151]
	v_fmac_f64_e32 v[174:175], v[202:203], v[144:145]
	v_add_f64 v[172:173], v[172:173], 0
	s_waitcnt vmcnt(28) lgkmcnt(13)
	v_mul_f64 v[178:179], v[204:205], v[154:155]
	v_fmac_f64_e32 v[176:177], v[190:191], v[148:149]
	v_add_f64 v[172:173], v[172:173], v[174:175]
	s_waitcnt vmcnt(27) lgkmcnt(12)
	;; [unrolled: 4-line block ×10, first 2 shown]
	v_mul_f64 v[224:225], v[92:93], v[26:27]
	v_fmac_f64_e32 v[222:223], v[70:71], v[20:21]
	v_add_f64 v[172:173], v[172:173], v[220:221]
	ds_read_b128 v[212:215], v2 offset:1712
	s_waitcnt vmcnt(18) lgkmcnt(4)
	v_mul_f64 v[226:227], v[88:89], v[30:31]
	v_fmac_f64_e32 v[224:225], v[94:95], v[24:25]
	v_add_f64 v[172:173], v[172:173], v[222:223]
	ds_read_b128 v[216:219], v2 offset:1728
	ds_read_b128 v[220:223], v2 offset:1744
	s_waitcnt vmcnt(17) lgkmcnt(5)
	v_mul_f64 v[228:229], v[84:85], v[34:35]
	v_fmac_f64_e32 v[226:227], v[90:91], v[28:29]
	v_add_f64 v[172:173], v[172:173], v[224:225]
	s_waitcnt vmcnt(16) lgkmcnt(4)
	v_mul_f64 v[230:231], v[80:81], v[38:39]
	v_fmac_f64_e32 v[228:229], v[86:87], v[32:33]
	v_add_f64 v[172:173], v[172:173], v[226:227]
	v_add_f64 v[176:177], v[172:173], v[228:229]
	v_fmac_f64_e32 v[230:231], v[82:83], v[36:37]
	s_waitcnt vmcnt(15) lgkmcnt(3)
	v_mul_f64 v[178:179], v[168:169], v[42:43]
	v_add_f64 v[176:177], v[176:177], v[230:231]
	v_fmac_f64_e32 v[178:179], v[170:171], v[40:41]
	s_waitcnt vmcnt(14) lgkmcnt(2)
	v_mul_f64 v[182:183], v[212:213], v[46:47]
	;; [unrolled: 4-line block ×3, first 2 shown]
	v_add_f64 v[224:225], v[180:181], v[182:183]
	v_fmac_f64_e32 v[226:227], v[218:219], v[48:49]
	v_add_f64 v[228:229], v[224:225], v[226:227]
	ds_read_b128 v[224:227], v2 offset:1760
	s_waitcnt vmcnt(12) lgkmcnt(1)
	v_mul_f64 v[230:231], v[220:221], v[58:59]
	v_fmac_f64_e32 v[230:231], v[222:223], v[56:57]
	v_add_f64 v[232:233], v[228:229], v[230:231]
	ds_read_b128 v[228:231], v2 offset:1776
	s_waitcnt vmcnt(11) lgkmcnt(1)
	v_mul_f64 v[234:235], v[224:225], v[78:79]
	;; [unrolled: 5-line block ×4, first 2 shown]
	v_fmac_f64_e32 v[242:243], v[234:235], v[100:101]
	v_mul_f64 v[142:143], v[210:211], v[142:143]
	v_add_f64 v[240:241], v[240:241], v[242:243]
	v_fma_f64 v[242:243], v[208:209], v[140:141], -v[142:143]
	ds_read_b128 v[140:143], v2 offset:1824
	s_waitcnt vmcnt(8) lgkmcnt(1)
	v_mul_f64 v[208:209], v[236:237], v[106:107]
	v_fmac_f64_e32 v[208:209], v[238:239], v[104:105]
	v_mul_f64 v[146:147], v[202:203], v[146:147]
	v_add_f64 v[208:209], v[240:241], v[208:209]
	v_fma_f64 v[240:241], v[200:201], v[144:145], -v[146:147]
	ds_read_b128 v[144:147], v2 offset:1840
	s_waitcnt vmcnt(7) lgkmcnt(1)
	v_mul_f64 v[200:201], v[140:141], v[110:111]
	scratch_load_dwordx4 v[172:175], off, off offset:960
	scratch_load_dwordx4 v[176:179], off, off offset:976
	v_fmac_f64_e32 v[200:201], v[142:143], v[108:109]
	v_add_f64 v[208:209], v[208:209], v[200:201]
	ds_read_b128 v[200:203], v2 offset:1856
	v_mul_f64 v[150:151], v[190:191], v[150:151]
	v_fma_f64 v[244:245], v[188:189], v[148:149], -v[150:151]
	ds_read_b128 v[148:151], v2 offset:1872
	s_waitcnt vmcnt(8) lgkmcnt(2)
	v_mul_f64 v[210:211], v[144:145], v[114:115]
	v_fmac_f64_e32 v[210:211], v[146:147], v[112:113]
	s_waitcnt vmcnt(7) lgkmcnt(1)
	v_mul_f64 v[188:189], v[200:201], v[118:119]
	v_add_f64 v[208:209], v[208:209], v[210:211]
	v_fmac_f64_e32 v[188:189], v[202:203], v[116:117]
	v_mul_f64 v[154:155], v[206:207], v[154:155]
	s_waitcnt vmcnt(6) lgkmcnt(0)
	v_mul_f64 v[190:191], v[148:149], v[122:123]
	v_add_f64 v[188:189], v[208:209], v[188:189]
	v_fma_f64 v[246:247], v[204:205], v[152:153], -v[154:155]
	ds_read_b128 v[152:155], v2 offset:1888
	v_fmac_f64_e32 v[190:191], v[150:151], v[120:121]
	scratch_load_dwordx4 v[180:183], off, off offset:992
	v_add_f64 v[204:205], v[188:189], v[190:191]
	ds_read_b128 v[188:191], v2 offset:1904
	s_waitcnt vmcnt(6) lgkmcnt(1)
	v_mul_f64 v[206:207], v[152:153], v[126:127]
	v_mul_f64 v[158:159], v[194:195], v[158:159]
	v_fmac_f64_e32 v[206:207], v[154:155], v[124:125]
	v_fma_f64 v[248:249], v[192:193], v[156:157], -v[158:159]
	s_waitcnt vmcnt(5) lgkmcnt(0)
	v_mul_f64 v[192:193], v[188:189], v[130:131]
	v_add_f64 v[204:205], v[204:205], v[206:207]
	v_fmac_f64_e32 v[192:193], v[190:191], v[128:129]
	v_mul_f64 v[162:163], v[186:187], v[162:163]
	v_fma_f64 v[208:209], v[184:185], v[160:161], -v[162:163]
	v_add_f64 v[184:185], v[204:205], v[192:193]
	scratch_load_dwordx4 v[204:207], off, off offset:1008
	ds_read_b128 v[156:159], v2 offset:1920
	ds_read_b128 v[160:163], v2 offset:1936
	v_mul_f64 v[166:167], v[198:199], v[166:167]
	v_fma_f64 v[210:211], v[196:197], v[164:165], -v[166:167]
	ds_read_b128 v[164:167], v2 offset:1968
	s_waitcnt vmcnt(5) lgkmcnt(2)
	v_mul_f64 v[186:187], v[156:157], v[138:139]
	v_fmac_f64_e32 v[186:187], v[158:159], v[136:137]
	v_add_f64 v[192:193], v[184:185], v[186:187]
	ds_read_b128 v[184:187], v2 offset:1952
	s_waitcnt vmcnt(4) lgkmcnt(2)
	v_mul_f64 v[194:195], v[160:161], v[134:135]
	v_fmac_f64_e32 v[194:195], v[162:163], v[132:133]
	v_add_f64 v[192:193], v[192:193], v[194:195]
	v_add_f64 v[242:243], v[242:243], 0
	;; [unrolled: 1-line block ×7, first 2 shown]
	v_mul_f64 v[6:7], v[66:67], v[6:7]
	v_add_f64 v[208:209], v[208:209], v[210:211]
	v_fma_f64 v[4:5], v[64:65], v[4:5], -v[6:7]
	v_mul_f64 v[6:7], v[62:63], v[10:11]
	v_add_f64 v[4:5], v[208:209], v[4:5]
	v_fma_f64 v[6:7], v[60:61], v[8:9], -v[6:7]
	v_add_f64 v[4:5], v[4:5], v[6:7]
	v_mul_f64 v[6:7], v[54:55], v[14:15]
	v_fma_f64 v[6:7], v[52:53], v[12:13], -v[6:7]
	v_add_f64 v[4:5], v[4:5], v[6:7]
	v_mul_f64 v[6:7], v[74:75], v[18:19]
	;; [unrolled: 3-line block ×8, first 2 shown]
	s_waitcnt vmcnt(3) lgkmcnt(0)
	v_mul_f64 v[194:195], v[184:185], v[174:175]
	v_fmac_f64_e32 v[194:195], v[186:187], v[172:173]
	v_add_f64 v[192:193], v[192:193], v[194:195]
	s_waitcnt vmcnt(2)
	v_mul_f64 v[194:195], v[164:165], v[178:179]
	v_fmac_f64_e32 v[194:195], v[166:167], v[176:177]
	v_add_f64 v[196:197], v[192:193], v[194:195]
	ds_read_b128 v[192:195], v2 offset:1984
	v_fma_f64 v[6:7], v[168:169], v[40:41], -v[6:7]
	v_add_f64 v[4:5], v[4:5], v[6:7]
	v_mul_f64 v[6:7], v[214:215], v[46:47]
	v_fma_f64 v[6:7], v[212:213], v[44:45], -v[6:7]
	v_add_f64 v[4:5], v[4:5], v[6:7]
	v_mul_f64 v[6:7], v[218:219], v[50:51]
	;; [unrolled: 3-line block ×4, first 2 shown]
	s_waitcnt vmcnt(1) lgkmcnt(0)
	v_mul_f64 v[198:199], v[192:193], v[182:183]
	v_fmac_f64_e32 v[198:199], v[194:195], v[180:181]
	v_add_f64 v[250:251], v[196:197], v[198:199]
	ds_read_b128 v[196:199], v2 offset:2000
	v_fma_f64 v[6:7], v[224:225], v[76:77], -v[6:7]
	v_add_f64 v[4:5], v[4:5], v[6:7]
	v_mul_f64 v[6:7], v[230:231], v[98:99]
	v_fma_f64 v[6:7], v[228:229], v[96:97], -v[6:7]
	v_add_f64 v[4:5], v[4:5], v[6:7]
	v_mul_f64 v[6:7], v[234:235], v[102:103]
	;; [unrolled: 3-line block ×3, first 2 shown]
	s_waitcnt vmcnt(0) lgkmcnt(0)
	v_mul_f64 v[2:3], v[196:197], v[206:207]
	v_fmac_f64_e32 v[2:3], v[198:199], v[204:205]
	v_add_f64 v[2:3], v[250:251], v[2:3]
	scratch_load_dwordx4 v[248:251], off, off offset:432
	v_fma_f64 v[6:7], v[236:237], v[104:105], -v[6:7]
	v_add_f64 v[4:5], v[4:5], v[6:7]
	v_mul_f64 v[6:7], v[142:143], v[110:111]
	v_fma_f64 v[6:7], v[140:141], v[108:109], -v[6:7]
	v_add_f64 v[4:5], v[4:5], v[6:7]
	v_mul_f64 v[6:7], v[146:147], v[114:115]
	v_fma_f64 v[6:7], v[144:145], v[112:113], -v[6:7]
	v_add_f64 v[4:5], v[4:5], v[6:7]
	v_mul_f64 v[6:7], v[202:203], v[118:119]
	v_fma_f64 v[6:7], v[200:201], v[116:117], -v[6:7]
	v_add_f64 v[4:5], v[4:5], v[6:7]
	v_mul_f64 v[6:7], v[150:151], v[122:123]
	v_fma_f64 v[6:7], v[148:149], v[120:121], -v[6:7]
	v_add_f64 v[4:5], v[4:5], v[6:7]
	v_mul_f64 v[6:7], v[154:155], v[126:127]
	v_fma_f64 v[6:7], v[152:153], v[124:125], -v[6:7]
	v_add_f64 v[4:5], v[4:5], v[6:7]
	v_mul_f64 v[6:7], v[190:191], v[130:131]
	v_fma_f64 v[6:7], v[188:189], v[128:129], -v[6:7]
	v_add_f64 v[4:5], v[4:5], v[6:7]
	v_mul_f64 v[6:7], v[158:159], v[138:139]
	v_fma_f64 v[6:7], v[156:157], v[136:137], -v[6:7]
	v_add_f64 v[4:5], v[4:5], v[6:7]
	v_mul_f64 v[6:7], v[162:163], v[134:135]
	v_fma_f64 v[6:7], v[160:161], v[132:133], -v[6:7]
	v_add_f64 v[4:5], v[4:5], v[6:7]
	v_mul_f64 v[6:7], v[186:187], v[174:175]
	v_fma_f64 v[6:7], v[184:185], v[172:173], -v[6:7]
	v_add_f64 v[4:5], v[4:5], v[6:7]
	v_mul_f64 v[6:7], v[166:167], v[178:179]
	v_fma_f64 v[6:7], v[164:165], v[176:177], -v[6:7]
	v_add_f64 v[4:5], v[4:5], v[6:7]
	v_mul_f64 v[6:7], v[194:195], v[182:183]
	v_fma_f64 v[6:7], v[192:193], v[180:181], -v[6:7]
	v_add_f64 v[4:5], v[4:5], v[6:7]
	v_mul_f64 v[6:7], v[198:199], v[206:207]
	v_fma_f64 v[6:7], v[196:197], v[204:205], -v[6:7]
	v_add_f64 v[4:5], v[4:5], v[6:7]
	s_waitcnt vmcnt(0)
	v_add_f64 v[4:5], v[248:249], -v[4:5]
	v_add_f64 v[6:7], v[250:251], -v[2:3]
	scratch_store_dwordx4 off, v[4:7], off offset:432
	s_and_saveexec_b64 s[0:1], vcc
	s_cbranch_execz .LBB126_353
; %bb.352:
	scratch_load_dwordx4 v[2:5], off, s64
	v_mov_b32_e32 v6, 0
	v_mov_b32_e32 v7, v6
	;; [unrolled: 1-line block ×4, first 2 shown]
	v_accvgpr_read_b32 v0, a1
	scratch_store_dwordx4 off, v[6:9], off offset:416
	s_waitcnt vmcnt(1)
	ds_write_b128 v0, v[2:5]
.LBB126_353:
	s_or_b64 exec, exec, s[0:1]
	s_waitcnt lgkmcnt(0)
	; wave barrier
	scratch_load_dwordx4 v[168:171], off, off offset:432
	scratch_load_dwordx4 v[172:175], off, off offset:448
	;; [unrolled: 1-line block ×32, first 2 shown]
	v_mov_b32_e32 v2, 0
	ds_read_b128 v[176:179], v2 offset:1424
	ds_read_b128 v[188:191], v2 offset:1440
	;; [unrolled: 1-line block ×17, first 2 shown]
	v_cmp_lt_u32_e32 vcc, 24, v254
	s_waitcnt vmcnt(31) lgkmcnt(14)
	v_mul_f64 v[104:105], v[176:177], v[170:171]
	s_waitcnt vmcnt(30)
	v_mul_f64 v[106:107], v[188:189], v[174:175]
	v_fmac_f64_e32 v[104:105], v[178:179], v[168:169]
	s_waitcnt vmcnt(29)
	v_mul_f64 v[108:109], v[200:201], v[182:183]
	v_fmac_f64_e32 v[106:107], v[190:191], v[172:173]
	v_add_f64 v[104:105], v[104:105], 0
	s_waitcnt vmcnt(28) lgkmcnt(13)
	v_mul_f64 v[110:111], v[212:213], v[186:187]
	v_fmac_f64_e32 v[108:109], v[202:203], v[180:181]
	v_add_f64 v[104:105], v[104:105], v[106:107]
	s_waitcnt vmcnt(27) lgkmcnt(12)
	;; [unrolled: 4-line block ×12, first 2 shown]
	v_mul_f64 v[156:157], v[112:113], v[26:27]
	v_fmac_f64_e32 v[154:155], v[118:119], v[20:21]
	v_add_f64 v[104:105], v[104:105], v[152:153]
	v_fmac_f64_e32 v[156:157], v[114:115], v[24:25]
	v_add_f64 v[104:105], v[104:105], v[154:155]
	s_waitcnt vmcnt(16) lgkmcnt(1)
	v_mul_f64 v[106:107], v[100:101], v[30:31]
	v_add_f64 v[104:105], v[104:105], v[156:157]
	v_fmac_f64_e32 v[106:107], v[102:103], v[28:29]
	v_add_f64 v[108:109], v[104:105], v[106:107]
	ds_read_b128 v[144:147], v2 offset:1696
	ds_read_b128 v[148:151], v2 offset:1712
	scratch_load_dwordx4 v[104:107], off, off offset:944
	s_waitcnt vmcnt(16) lgkmcnt(2)
	v_mul_f64 v[110:111], v[96:97], v[34:35]
	v_fmac_f64_e32 v[110:111], v[98:99], v[32:33]
	v_add_f64 v[120:121], v[108:109], v[110:111]
	scratch_load_dwordx4 v[108:111], off, off offset:960
	s_waitcnt vmcnt(16) lgkmcnt(1)
	v_mul_f64 v[122:123], v[144:145], v[38:39]
	v_fmac_f64_e32 v[122:123], v[146:147], v[36:37]
	v_add_f64 v[132:133], v[120:121], v[122:123]
	s_waitcnt vmcnt(15) lgkmcnt(0)
	v_mul_f64 v[134:135], v[148:149], v[42:43]
	scratch_load_dwordx4 v[120:123], off, off offset:976
	v_fmac_f64_e32 v[134:135], v[150:151], v[40:41]
	v_add_f64 v[160:161], v[132:133], v[134:135]
	scratch_load_dwordx4 v[132:135], off, off offset:992
	ds_read_b128 v[152:155], v2 offset:1728
	ds_read_b128 v[156:159], v2 offset:1744
	v_mul_f64 v[170:171], v[178:179], v[170:171]
	v_fma_f64 v[240:241], v[176:177], v[168:169], -v[170:171]
	ds_read_b128 v[168:171], v2 offset:1792
	s_waitcnt vmcnt(16) lgkmcnt(2)
	v_mul_f64 v[162:163], v[152:153], v[46:47]
	v_fmac_f64_e32 v[162:163], v[154:155], v[44:45]
	s_waitcnt vmcnt(15) lgkmcnt(1)
	v_mul_f64 v[166:167], v[156:157], v[50:51]
	v_add_f64 v[164:165], v[160:161], v[162:163]
	ds_read_b128 v[160:163], v2 offset:1760
	v_fmac_f64_e32 v[166:167], v[158:159], v[48:49]
	v_add_f64 v[232:233], v[164:165], v[166:167]
	ds_read_b128 v[164:167], v2 offset:1776
	v_mul_f64 v[174:175], v[190:191], v[174:175]
	s_waitcnt vmcnt(14) lgkmcnt(1)
	v_mul_f64 v[234:235], v[160:161], v[54:55]
	v_fmac_f64_e32 v[234:235], v[162:163], v[52:53]
	v_add_f64 v[232:233], v[232:233], v[234:235]
	s_waitcnt vmcnt(13) lgkmcnt(0)
	v_mul_f64 v[176:177], v[164:165], v[58:59]
	v_fmac_f64_e32 v[176:177], v[166:167], v[56:57]
	v_fma_f64 v[242:243], v[188:189], v[172:173], -v[174:175]
	ds_read_b128 v[172:175], v2 offset:1808
	s_waitcnt vmcnt(12)
	v_mul_f64 v[178:179], v[168:169], v[62:63]
	v_add_f64 v[176:177], v[232:233], v[176:177]
	v_fmac_f64_e32 v[178:179], v[170:171], v[60:61]
	v_add_f64 v[188:189], v[176:177], v[178:179]
	ds_read_b128 v[176:179], v2 offset:1824
	v_mul_f64 v[182:183], v[202:203], v[182:183]
	v_fma_f64 v[244:245], v[200:201], v[180:181], -v[182:183]
	ds_read_b128 v[180:183], v2 offset:1840
	s_waitcnt vmcnt(11) lgkmcnt(2)
	v_mul_f64 v[190:191], v[172:173], v[66:67]
	v_fmac_f64_e32 v[190:191], v[174:175], v[64:65]
	v_add_f64 v[188:189], v[188:189], v[190:191]
	s_waitcnt vmcnt(10) lgkmcnt(1)
	v_mul_f64 v[190:191], v[176:177], v[70:71]
	v_fmac_f64_e32 v[190:191], v[178:179], v[68:69]
	v_mul_f64 v[186:187], v[214:215], v[186:187]
	v_fma_f64 v[232:233], v[212:213], v[184:185], -v[186:187]
	ds_read_b128 v[184:187], v2 offset:1856
	v_add_f64 v[188:189], v[188:189], v[190:191]
	s_waitcnt vmcnt(9) lgkmcnt(1)
	v_mul_f64 v[190:191], v[180:181], v[74:75]
	v_fmac_f64_e32 v[190:191], v[182:183], v[72:73]
	v_add_f64 v[200:201], v[188:189], v[190:191]
	ds_read_b128 v[188:191], v2 offset:1872
	v_mul_f64 v[194:195], v[222:223], v[194:195]
	v_fma_f64 v[0:1], v[220:221], v[192:193], -v[194:195]
	ds_read_b128 v[192:195], v2 offset:1888
	s_waitcnt vmcnt(8) lgkmcnt(2)
	v_mul_f64 v[202:203], v[184:185], v[78:79]
	v_fmac_f64_e32 v[202:203], v[186:187], v[76:77]
	v_add_f64 v[200:201], v[200:201], v[202:203]
	s_waitcnt vmcnt(7) lgkmcnt(1)
	v_mul_f64 v[202:203], v[188:189], v[82:83]
	v_fmac_f64_e32 v[202:203], v[190:191], v[80:81]
	v_mul_f64 v[198:199], v[226:227], v[198:199]
	v_add_f64 v[200:201], v[200:201], v[202:203]
	v_fma_f64 v[234:235], v[224:225], v[196:197], -v[198:199]
	ds_read_b128 v[196:199], v2 offset:1904
	s_waitcnt vmcnt(6) lgkmcnt(1)
	v_mul_f64 v[202:203], v[192:193], v[86:87]
	v_fmac_f64_e32 v[202:203], v[194:195], v[84:85]
	v_add_f64 v[212:213], v[200:201], v[202:203]
	ds_read_b128 v[200:203], v2 offset:1920
	v_mul_f64 v[206:207], v[230:231], v[206:207]
	v_fma_f64 v[236:237], v[228:229], v[204:205], -v[206:207]
	ds_read_b128 v[204:207], v2 offset:1936
	s_waitcnt vmcnt(5) lgkmcnt(2)
	v_mul_f64 v[214:215], v[196:197], v[94:95]
	v_fmac_f64_e32 v[214:215], v[198:199], v[92:93]
	v_add_f64 v[212:213], v[212:213], v[214:215]
	s_waitcnt vmcnt(4) lgkmcnt(1)
	v_mul_f64 v[214:215], v[200:201], v[90:91]
	v_fmac_f64_e32 v[214:215], v[202:203], v[88:89]
	v_mul_f64 v[210:211], v[248:249], v[210:211]
	v_fma_f64 v[238:239], v[246:247], v[208:209], -v[210:211]
	ds_read_b128 v[208:211], v2 offset:1952
	v_add_f64 v[212:213], v[212:213], v[214:215]
	s_waitcnt vmcnt(3) lgkmcnt(1)
	v_mul_f64 v[214:215], v[204:205], v[106:107]
	v_fmac_f64_e32 v[214:215], v[206:207], v[104:105]
	v_add_f64 v[220:221], v[212:213], v[214:215]
	ds_read_b128 v[212:215], v2 offset:1968
	v_mul_f64 v[218:219], v[252:253], v[218:219]
	v_fma_f64 v[246:247], v[250:251], v[216:217], -v[218:219]
	ds_read_b128 v[216:219], v2 offset:1984
	ds_read_b128 v[224:227], v2 offset:2000
	s_waitcnt vmcnt(2) lgkmcnt(3)
	v_mul_f64 v[222:223], v[208:209], v[110:111]
	v_fmac_f64_e32 v[222:223], v[210:211], v[108:109]
	v_add_f64 v[220:221], v[220:221], v[222:223]
	s_waitcnt vmcnt(1) lgkmcnt(2)
	v_mul_f64 v[222:223], v[212:213], v[122:123]
	v_fmac_f64_e32 v[222:223], v[214:215], v[120:121]
	v_add_f64 v[220:221], v[220:221], v[222:223]
	;; [unrolled: 4-line block ×3, first 2 shown]
	scratch_load_dwordx4 v[220:223], off, off offset:1008
	v_mul_f64 v[6:7], v[142:143], v[6:7]
	v_fma_f64 v[4:5], v[140:141], v[4:5], -v[6:7]
	s_waitcnt vmcnt(0) lgkmcnt(0)
	v_mul_f64 v[230:231], v[224:225], v[222:223]
	v_fmac_f64_e32 v[230:231], v[226:227], v[220:221]
	v_add_f64 v[250:251], v[228:229], v[230:231]
	v_add_f64 v[228:229], v[240:241], 0
	;; [unrolled: 1-line block ×6, first 2 shown]
	scratch_load_dwordx4 v[228:231], off, off offset:416
	v_add_f64 v[0:1], v[248:249], v[234:235]
	v_add_f64 v[0:1], v[0:1], v[236:237]
	;; [unrolled: 1-line block ×5, first 2 shown]
	v_mul_f64 v[4:5], v[138:139], v[10:11]
	v_fma_f64 v[4:5], v[136:137], v[8:9], -v[4:5]
	v_add_f64 v[0:1], v[0:1], v[4:5]
	v_mul_f64 v[4:5], v[130:131], v[14:15]
	v_fma_f64 v[4:5], v[128:129], v[12:13], -v[4:5]
	v_add_f64 v[0:1], v[0:1], v[4:5]
	;; [unrolled: 3-line block ×27, first 2 shown]
	s_waitcnt vmcnt(0)
	v_add_f64 v[4:5], v[228:229], -v[0:1]
	v_add_f64 v[6:7], v[230:231], -v[250:251]
	scratch_store_dwordx4 off, v[4:7], off offset:416
	s_and_saveexec_b64 s[0:1], vcc
	s_cbranch_execz .LBB126_355
; %bb.354:
	scratch_load_dwordx4 v[6:9], off, s65
	v_mov_b32_e32 v3, v2
	v_mov_b32_e32 v4, v2
	;; [unrolled: 1-line block ×3, first 2 shown]
	v_accvgpr_read_b32 v0, a1
	scratch_store_dwordx4 off, v[2:5], off offset:400
	s_waitcnt vmcnt(1)
	ds_write_b128 v0, v[6:9]
.LBB126_355:
	s_or_b64 exec, exec, s[0:1]
	s_waitcnt lgkmcnt(0)
	; wave barrier
	scratch_load_dwordx4 v[168:171], off, off offset:416
	scratch_load_dwordx4 v[172:175], off, off offset:432
	scratch_load_dwordx4 v[180:183], off, off offset:448
	scratch_load_dwordx4 v[184:187], off, off offset:464
	scratch_load_dwordx4 v[192:195], off, off offset:480
	scratch_load_dwordx4 v[196:199], off, off offset:496
	scratch_load_dwordx4 v[204:207], off, off offset:512
	scratch_load_dwordx4 v[208:211], off, off offset:528
	scratch_load_dwordx4 v[216:219], off, off offset:544
	scratch_load_dwordx4 v[4:7], off, off offset:560
	scratch_load_dwordx4 v[8:11], off, off offset:576
	scratch_load_dwordx4 v[12:15], off, off offset:592
	scratch_load_dwordx4 v[16:19], off, off offset:608
	scratch_load_dwordx4 v[20:23], off, off offset:624
	scratch_load_dwordx4 v[24:27], off, off offset:640
	scratch_load_dwordx4 v[28:31], off, off offset:656
	ds_read_b128 v[232:235], v2 offset:1408
	ds_read_b128 v[176:179], v2 offset:1424
	scratch_load_dwordx4 v[32:35], off, off offset:672
	ds_read_b128 v[236:239], v2 offset:1440
	ds_read_b128 v[188:191], v2 offset:1456
	;; [unrolled: 1-line block ×5, first 2 shown]
	scratch_load_dwordx4 v[36:39], off, off offset:688
	ds_read_b128 v[224:227], v2 offset:1520
	ds_read_b128 v[220:223], v2 offset:1536
	;; [unrolled: 1-line block ×3, first 2 shown]
	scratch_load_dwordx4 v[40:43], off, off offset:704
	ds_read_b128 v[64:67], v2 offset:1568
	ds_read_b128 v[60:63], v2 offset:1584
	;; [unrolled: 1-line block ×4, first 2 shown]
	scratch_load_dwordx4 v[48:51], off, off offset:720
	ds_read_b128 v[80:83], v2 offset:1632
	ds_read_b128 v[72:75], v2 offset:1648
	;; [unrolled: 1-line block ×3, first 2 shown]
	scratch_load_dwordx4 v[76:79], off, off offset:736
	scratch_load_dwordx4 v[84:87], off, off offset:752
	;; [unrolled: 1-line block ×12, first 2 shown]
	v_cmp_lt_u32_e32 vcc, 23, v254
	s_waitcnt vmcnt(31) lgkmcnt(14)
	v_mul_f64 v[128:129], v[232:233], v[170:171]
	s_waitcnt vmcnt(30)
	v_mul_f64 v[130:131], v[176:177], v[174:175]
	v_fmac_f64_e32 v[128:129], v[234:235], v[168:169]
	s_waitcnt vmcnt(29)
	v_mul_f64 v[132:133], v[236:237], v[182:183]
	v_fmac_f64_e32 v[130:131], v[178:179], v[172:173]
	v_add_f64 v[128:129], v[128:129], 0
	s_waitcnt vmcnt(28) lgkmcnt(13)
	v_mul_f64 v[134:135], v[188:189], v[186:187]
	v_fmac_f64_e32 v[132:133], v[238:239], v[180:181]
	v_add_f64 v[128:129], v[128:129], v[130:131]
	s_waitcnt vmcnt(27) lgkmcnt(12)
	;; [unrolled: 4-line block ×13, first 2 shown]
	v_mul_f64 v[158:159], v[72:73], v[30:31]
	v_fmac_f64_e32 v[156:157], v[82:83], v[24:25]
	v_add_f64 v[128:129], v[128:129], v[154:155]
	v_add_f64 v[128:129], v[128:129], v[156:157]
	v_fmac_f64_e32 v[158:159], v[74:75], v[28:29]
	v_add_f64 v[132:133], v[128:129], v[158:159]
	ds_read_b128 v[144:147], v2 offset:1680
	ds_read_b128 v[148:151], v2 offset:1696
	scratch_load_dwordx4 v[128:131], off, off offset:928
	s_waitcnt vmcnt(16) lgkmcnt(2)
	v_mul_f64 v[134:135], v[68:69], v[34:35]
	v_fmac_f64_e32 v[134:135], v[70:71], v[32:33]
	s_waitcnt vmcnt(15) lgkmcnt(1)
	v_mul_f64 v[138:139], v[144:145], v[38:39]
	v_add_f64 v[136:137], v[132:133], v[134:135]
	scratch_load_dwordx4 v[132:135], off, off offset:944
	v_fmac_f64_e32 v[138:139], v[146:147], v[36:37]
	v_add_f64 v[140:141], v[136:137], v[138:139]
	s_waitcnt vmcnt(15) lgkmcnt(0)
	v_mul_f64 v[142:143], v[148:149], v[42:43]
	scratch_load_dwordx4 v[136:139], off, off offset:960
	v_fmac_f64_e32 v[142:143], v[150:151], v[40:41]
	v_add_f64 v[160:161], v[140:141], v[142:143]
	scratch_load_dwordx4 v[140:143], off, off offset:976
	ds_read_b128 v[152:155], v2 offset:1712
	ds_read_b128 v[156:159], v2 offset:1728
	v_mul_f64 v[170:171], v[234:235], v[170:171]
	v_mul_f64 v[174:175], v[178:179], v[174:175]
	;; [unrolled: 1-line block ×3, first 2 shown]
	s_waitcnt vmcnt(16) lgkmcnt(1)
	v_mul_f64 v[162:163], v[152:153], v[50:51]
	v_fmac_f64_e32 v[162:163], v[154:155], v[48:49]
	v_add_f64 v[164:165], v[160:161], v[162:163]
	ds_read_b128 v[160:163], v2 offset:1744
	s_waitcnt vmcnt(15) lgkmcnt(1)
	v_mul_f64 v[166:167], v[156:157], v[78:79]
	v_fmac_f64_e32 v[166:167], v[158:159], v[76:77]
	v_add_f64 v[240:241], v[164:165], v[166:167]
	ds_read_b128 v[164:167], v2 offset:1760
	s_waitcnt vmcnt(14) lgkmcnt(1)
	v_mul_f64 v[242:243], v[160:161], v[86:87]
	v_fmac_f64_e32 v[242:243], v[162:163], v[84:85]
	v_add_f64 v[240:241], v[240:241], v[242:243]
	v_fma_f64 v[242:243], v[232:233], v[168:169], -v[170:171]
	ds_read_b128 v[168:171], v2 offset:1776
	s_waitcnt vmcnt(13) lgkmcnt(1)
	v_mul_f64 v[232:233], v[164:165], v[90:91]
	v_fmac_f64_e32 v[232:233], v[166:167], v[88:89]
	v_add_f64 v[232:233], v[240:241], v[232:233]
	v_fma_f64 v[240:241], v[176:177], v[172:173], -v[174:175]
	ds_read_b128 v[172:175], v2 offset:1792
	s_waitcnt vmcnt(12) lgkmcnt(1)
	v_mul_f64 v[176:177], v[168:169], v[94:95]
	v_fmac_f64_e32 v[176:177], v[170:171], v[92:93]
	v_add_f64 v[232:233], v[232:233], v[176:177]
	ds_read_b128 v[176:179], v2 offset:1808
	v_fma_f64 v[236:237], v[236:237], v[180:181], -v[182:183]
	ds_read_b128 v[180:183], v2 offset:1824
	s_waitcnt vmcnt(11) lgkmcnt(2)
	v_mul_f64 v[234:235], v[172:173], v[98:99]
	v_fmac_f64_e32 v[234:235], v[174:175], v[96:97]
	v_add_f64 v[232:233], v[232:233], v[234:235]
	s_waitcnt vmcnt(10) lgkmcnt(1)
	v_mul_f64 v[234:235], v[176:177], v[102:103]
	v_fmac_f64_e32 v[234:235], v[178:179], v[100:101]
	v_mul_f64 v[186:187], v[190:191], v[186:187]
	s_waitcnt vmcnt(9) lgkmcnt(0)
	v_mul_f64 v[190:191], v[180:181], v[106:107]
	v_fma_f64 v[238:239], v[188:189], v[184:185], -v[186:187]
	ds_read_b128 v[184:187], v2 offset:1840
	v_add_f64 v[188:189], v[232:233], v[234:235]
	v_fmac_f64_e32 v[190:191], v[182:183], v[104:105]
	v_add_f64 v[232:233], v[188:189], v[190:191]
	ds_read_b128 v[188:191], v2 offset:1856
	v_mul_f64 v[194:195], v[230:231], v[194:195]
	v_fma_f64 v[244:245], v[228:229], v[192:193], -v[194:195]
	ds_read_b128 v[192:195], v2 offset:1872
	s_waitcnt vmcnt(8) lgkmcnt(2)
	v_mul_f64 v[234:235], v[184:185], v[110:111]
	v_fmac_f64_e32 v[234:235], v[186:187], v[108:109]
	s_waitcnt vmcnt(7) lgkmcnt(1)
	v_mul_f64 v[228:229], v[188:189], v[114:115]
	v_mul_f64 v[198:199], v[202:203], v[198:199]
	v_add_f64 v[232:233], v[232:233], v[234:235]
	v_fmac_f64_e32 v[228:229], v[190:191], v[112:113]
	v_fma_f64 v[250:251], v[200:201], v[196:197], -v[198:199]
	ds_read_b128 v[196:199], v2 offset:1888
	s_waitcnt vmcnt(6) lgkmcnt(1)
	v_mul_f64 v[200:201], v[192:193], v[118:119]
	v_add_f64 v[228:229], v[232:233], v[228:229]
	v_fmac_f64_e32 v[200:201], v[194:195], v[116:117]
	v_add_f64 v[228:229], v[228:229], v[200:201]
	ds_read_b128 v[200:203], v2 offset:1904
	v_mul_f64 v[206:207], v[214:215], v[206:207]
	v_fma_f64 v[252:253], v[212:213], v[204:205], -v[206:207]
	ds_read_b128 v[204:207], v2 offset:1920
	s_waitcnt vmcnt(5) lgkmcnt(2)
	v_mul_f64 v[230:231], v[196:197], v[126:127]
	v_fmac_f64_e32 v[230:231], v[198:199], v[124:125]
	s_waitcnt vmcnt(4) lgkmcnt(1)
	v_mul_f64 v[212:213], v[200:201], v[122:123]
	v_add_f64 v[228:229], v[228:229], v[230:231]
	v_fmac_f64_e32 v[212:213], v[202:203], v[120:121]
	v_mul_f64 v[210:211], v[226:227], v[210:211]
	s_waitcnt vmcnt(3) lgkmcnt(0)
	v_mul_f64 v[214:215], v[204:205], v[130:131]
	v_fma_f64 v[246:247], v[224:225], v[208:209], -v[210:211]
	ds_read_b128 v[208:211], v2 offset:1936
	v_add_f64 v[212:213], v[228:229], v[212:213]
	v_fmac_f64_e32 v[214:215], v[206:207], v[128:129]
	v_add_f64 v[224:225], v[212:213], v[214:215]
	ds_read_b128 v[212:215], v2 offset:1952
	v_mul_f64 v[218:219], v[222:223], v[218:219]
	v_fma_f64 v[248:249], v[220:221], v[216:217], -v[218:219]
	ds_read_b128 v[216:219], v2 offset:1968
	s_waitcnt vmcnt(2) lgkmcnt(2)
	v_mul_f64 v[220:221], v[208:209], v[134:135]
	v_fmac_f64_e32 v[220:221], v[210:211], v[132:133]
	s_waitcnt vmcnt(1) lgkmcnt(1)
	v_mul_f64 v[222:223], v[212:213], v[138:139]
	v_add_f64 v[220:221], v[224:225], v[220:221]
	v_fmac_f64_e32 v[222:223], v[214:215], v[136:137]
	v_add_f64 v[220:221], v[220:221], v[222:223]
	ds_read_b128 v[224:227], v2 offset:1984
	s_waitcnt vmcnt(0) lgkmcnt(1)
	v_mul_f64 v[222:223], v[216:217], v[142:143]
	v_fmac_f64_e32 v[222:223], v[218:219], v[140:141]
	v_add_f64 v[228:229], v[220:221], v[222:223]
	scratch_load_dwordx4 v[220:223], off, off offset:992
	scratch_load_dwordx4 v[232:235], off, off offset:1008
	v_mul_f64 v[6:7], v[46:47], v[6:7]
	v_fma_f64 v[4:5], v[44:45], v[4:5], -v[6:7]
	s_waitcnt vmcnt(1) lgkmcnt(0)
	v_mul_f64 v[230:231], v[224:225], v[222:223]
	v_fmac_f64_e32 v[230:231], v[226:227], v[220:221]
	v_add_f64 v[0:1], v[228:229], v[230:231]
	ds_read_b128 v[228:231], v2 offset:2000
	s_waitcnt vmcnt(0) lgkmcnt(0)
	v_mul_f64 v[2:3], v[228:229], v[234:235]
	v_fmac_f64_e32 v[2:3], v[230:231], v[232:233]
	v_add_f64 v[2:3], v[0:1], v[2:3]
	v_add_f64 v[0:1], v[242:243], 0
	;; [unrolled: 1-line block ×5, first 2 shown]
	scratch_load_dwordx4 v[236:239], off, off offset:400
	v_add_f64 v[0:1], v[0:1], v[244:245]
	v_add_f64 v[0:1], v[0:1], v[250:251]
	;; [unrolled: 1-line block ×6, first 2 shown]
	v_mul_f64 v[4:5], v[66:67], v[10:11]
	v_fma_f64 v[4:5], v[64:65], v[8:9], -v[4:5]
	v_add_f64 v[0:1], v[0:1], v[4:5]
	v_mul_f64 v[4:5], v[62:63], v[14:15]
	v_fma_f64 v[4:5], v[60:61], v[12:13], -v[4:5]
	v_add_f64 v[0:1], v[0:1], v[4:5]
	;; [unrolled: 3-line block ×28, first 2 shown]
	s_waitcnt vmcnt(0)
	v_add_f64 v[4:5], v[236:237], -v[0:1]
	v_add_f64 v[6:7], v[238:239], -v[2:3]
	scratch_store_dwordx4 off, v[4:7], off offset:400
	s_and_saveexec_b64 s[0:1], vcc
	s_cbranch_execz .LBB126_357
; %bb.356:
	scratch_load_dwordx4 v[2:5], off, s66
	v_mov_b32_e32 v6, 0
	v_mov_b32_e32 v7, v6
	;; [unrolled: 1-line block ×4, first 2 shown]
	v_accvgpr_read_b32 v0, a1
	scratch_store_dwordx4 off, v[6:9], off offset:384
	s_waitcnt vmcnt(1)
	ds_write_b128 v0, v[2:5]
.LBB126_357:
	s_or_b64 exec, exec, s[0:1]
	s_waitcnt lgkmcnt(0)
	; wave barrier
	scratch_load_dwordx4 v[80:83], off, off offset:400
	scratch_load_dwordx4 v[84:87], off, off offset:416
	;; [unrolled: 1-line block ×31, first 2 shown]
	v_mov_b32_e32 v2, 0
	ds_read_b128 v[196:199], v2 offset:1392
	ds_read_b128 v[200:203], v2 offset:1408
	;; [unrolled: 1-line block ×20, first 2 shown]
	v_cmp_lt_u32_e32 vcc, 22, v254
	s_waitcnt vmcnt(30) lgkmcnt(14)
	v_mul_f64 v[0:1], v[196:197], v[82:83]
	s_waitcnt vmcnt(29)
	v_mul_f64 v[140:141], v[200:201], v[86:87]
	v_fmac_f64_e32 v[0:1], v[198:199], v[80:81]
	s_waitcnt vmcnt(28)
	v_mul_f64 v[142:143], v[204:205], v[90:91]
	v_fmac_f64_e32 v[140:141], v[202:203], v[84:85]
	v_add_f64 v[0:1], v[0:1], 0
	s_waitcnt vmcnt(27)
	v_mul_f64 v[152:153], v[208:209], v[94:95]
	v_fmac_f64_e32 v[142:143], v[206:207], v[88:89]
	v_add_f64 v[0:1], v[0:1], v[140:141]
	;; [unrolled: 4-line block ×4, first 2 shown]
	s_waitcnt vmcnt(24) lgkmcnt(13)
	v_mul_f64 v[162:163], v[220:221], v[106:107]
	v_fmac_f64_e32 v[160:161], v[218:219], v[100:101]
	v_add_f64 v[0:1], v[0:1], v[154:155]
	s_waitcnt vmcnt(23) lgkmcnt(12)
	v_mul_f64 v[164:165], v[224:225], v[110:111]
	v_fmac_f64_e32 v[162:163], v[222:223], v[104:105]
	v_add_f64 v[0:1], v[0:1], v[160:161]
	;; [unrolled: 4-line block ×9, first 2 shown]
	v_fmac_f64_e32 v[178:179], v[138:139], v[16:17]
	v_add_f64 v[0:1], v[0:1], v[176:177]
	scratch_load_dwordx4 v[140:143], off, off offset:896
	v_add_f64 v[0:1], v[0:1], v[178:179]
	ds_read_b128 v[176:179], v2 offset:1664
	s_waitcnt vmcnt(16) lgkmcnt(5)
	v_mul_f64 v[180:181], v[132:133], v[22:23]
	v_fmac_f64_e32 v[180:181], v[134:135], v[20:21]
	s_waitcnt vmcnt(15) lgkmcnt(4)
	v_mul_f64 v[152:153], v[128:129], v[26:27]
	v_add_f64 v[0:1], v[0:1], v[180:181]
	v_fmac_f64_e32 v[152:153], v[130:131], v[24:25]
	v_add_f64 v[0:1], v[0:1], v[152:153]
	ds_read_b128 v[180:183], v2 offset:1680
	s_waitcnt vmcnt(14) lgkmcnt(1)
	v_mul_f64 v[160:161], v[176:177], v[30:31]
	scratch_load_dwordx4 v[152:155], off, off offset:912
	v_fmac_f64_e32 v[160:161], v[178:179], v[28:29]
	v_add_f64 v[0:1], v[0:1], v[160:161]
	scratch_load_dwordx4 v[160:163], off, off offset:928
	s_waitcnt vmcnt(15) lgkmcnt(0)
	v_mul_f64 v[164:165], v[180:181], v[34:35]
	v_fmac_f64_e32 v[164:165], v[182:183], v[32:33]
	v_add_f64 v[0:1], v[0:1], v[164:165]
	s_waitcnt vmcnt(14)
	v_mul_f64 v[168:169], v[184:185], v[38:39]
	scratch_load_dwordx4 v[164:167], off, off offset:944
	v_fmac_f64_e32 v[168:169], v[186:187], v[36:37]
	v_add_f64 v[0:1], v[0:1], v[168:169]
	s_waitcnt vmcnt(14)
	v_mul_f64 v[168:169], v[188:189], v[42:43]
	scratch_load_dwordx4 v[172:175], off, off offset:960
	v_fmac_f64_e32 v[168:169], v[190:191], v[40:41]
	v_add_f64 v[0:1], v[0:1], v[168:169]
	scratch_load_dwordx4 v[168:171], off, off offset:976
	v_mul_f64 v[82:83], v[198:199], v[82:83]
	v_fma_f64 v[240:241], v[196:197], v[80:81], -v[82:83]
	ds_read_b128 v[196:199], v2 offset:1744
	s_waitcnt vmcnt(15)
	v_mul_f64 v[80:81], v[192:193], v[46:47]
	v_fmac_f64_e32 v[80:81], v[194:195], v[44:45]
	v_add_f64 v[0:1], v[0:1], v[80:81]
	v_mul_f64 v[80:81], v[202:203], v[86:87]
	v_fma_f64 v[242:243], v[200:201], v[84:85], -v[80:81]
	scratch_load_dwordx4 v[80:83], off, off offset:992
	ds_read_b128 v[84:87], v2 offset:1760
	v_mul_f64 v[90:91], v[206:207], v[90:91]
	v_fma_f64 v[244:245], v[204:205], v[88:89], -v[90:91]
	ds_read_b128 v[88:91], v2 offset:1776
	s_waitcnt vmcnt(15) lgkmcnt(2)
	v_mul_f64 v[200:201], v[196:197], v[50:51]
	v_fmac_f64_e32 v[200:201], v[198:199], v[48:49]
	v_add_f64 v[0:1], v[0:1], v[200:201]
	s_waitcnt vmcnt(14) lgkmcnt(1)
	v_mul_f64 v[200:201], v[84:85], v[54:55]
	v_fmac_f64_e32 v[200:201], v[86:87], v[52:53]
	v_mul_f64 v[94:95], v[210:211], v[94:95]
	v_add_f64 v[0:1], v[0:1], v[200:201]
	s_waitcnt vmcnt(13) lgkmcnt(0)
	v_mul_f64 v[200:201], v[88:89], v[58:59]
	v_fma_f64 v[232:233], v[208:209], v[92:93], -v[94:95]
	ds_read_b128 v[92:95], v2 offset:1792
	v_fmac_f64_e32 v[200:201], v[90:91], v[56:57]
	v_add_f64 v[0:1], v[0:1], v[200:201]
	ds_read_b128 v[200:203], v2 offset:1808
	v_accvgpr_write_b32 a131, v7
	s_waitcnt vmcnt(12) lgkmcnt(1)
	v_mul_f64 v[204:205], v[92:93], v[62:63]
	v_accvgpr_write_b32 a130, v6
	v_accvgpr_write_b32 a129, v5
	;; [unrolled: 1-line block ×3, first 2 shown]
	v_fmac_f64_e32 v[204:205], v[94:95], v[60:61]
	v_mul_f64 v[98:99], v[214:215], v[98:99]
	s_waitcnt vmcnt(11) lgkmcnt(0)
	v_mul_f64 v[6:7], v[200:201], v[66:67]
	v_add_f64 v[0:1], v[0:1], v[204:205]
	v_fma_f64 v[8:9], v[212:213], v[96:97], -v[98:99]
	ds_read_b128 v[96:99], v2 offset:1824
	v_fmac_f64_e32 v[6:7], v[202:203], v[64:65]
	v_add_f64 v[0:1], v[0:1], v[6:7]
	v_mul_f64 v[6:7], v[218:219], v[102:103]
	v_fma_f64 v[4:5], v[216:217], v[100:101], -v[6:7]
	ds_read_b128 v[100:103], v2 offset:1840
	s_waitcnt vmcnt(10) lgkmcnt(1)
	v_mul_f64 v[6:7], v[96:97], v[70:71]
	v_fmac_f64_e32 v[6:7], v[98:99], v[68:69]
	v_add_f64 v[0:1], v[0:1], v[6:7]
	ds_read_b128 v[204:207], v2 offset:1856
	s_waitcnt vmcnt(9) lgkmcnt(1)
	v_mul_f64 v[6:7], v[100:101], v[74:75]
	v_fmac_f64_e32 v[6:7], v[102:103], v[72:73]
	v_add_f64 v[0:1], v[0:1], v[6:7]
	v_mul_f64 v[6:7], v[222:223], v[106:107]
	v_fma_f64 v[10:11], v[220:221], v[104:105], -v[6:7]
	ds_read_b128 v[104:107], v2 offset:1872
	v_mul_f64 v[6:7], v[226:227], v[110:111]
	v_fma_f64 v[6:7], v[224:225], v[108:109], -v[6:7]
	ds_read_b128 v[108:111], v2 offset:1888
	s_waitcnt vmcnt(8) lgkmcnt(2)
	v_mul_f64 v[208:209], v[204:205], v[78:79]
	v_fmac_f64_e32 v[208:209], v[206:207], v[76:77]
	v_add_f64 v[0:1], v[0:1], v[208:209]
	s_waitcnt vmcnt(7) lgkmcnt(1)
	v_mul_f64 v[208:209], v[104:105], v[126:127]
	v_fmac_f64_e32 v[208:209], v[106:107], v[124:125]
	v_add_f64 v[0:1], v[0:1], v[208:209]
	ds_read_b128 v[208:211], v2 offset:1904
	s_waitcnt vmcnt(6) lgkmcnt(1)
	v_mul_f64 v[212:213], v[108:109], v[142:143]
	v_fmac_f64_e32 v[212:213], v[110:111], v[140:141]
	v_add_f64 v[212:213], v[0:1], v[212:213]
	v_mul_f64 v[0:1], v[230:231], v[114:115]
	v_fma_f64 v[0:1], v[228:229], v[112:113], -v[0:1]
	ds_read_b128 v[112:115], v2 offset:1920
	s_waitcnt vmcnt(5) lgkmcnt(1)
	v_mul_f64 v[214:215], v[208:209], v[154:155]
	v_fmac_f64_e32 v[214:215], v[210:211], v[152:153]
	v_mul_f64 v[118:119], v[248:249], v[118:119]
	v_add_f64 v[212:213], v[212:213], v[214:215]
	v_fma_f64 v[238:239], v[246:247], v[116:117], -v[118:119]
	ds_read_b128 v[116:119], v2 offset:1936
	s_waitcnt vmcnt(4) lgkmcnt(1)
	v_mul_f64 v[214:215], v[112:113], v[162:163]
	v_fmac_f64_e32 v[214:215], v[114:115], v[160:161]
	v_add_f64 v[216:217], v[212:213], v[214:215]
	ds_read_b128 v[212:215], v2 offset:1952
	v_mul_f64 v[122:123], v[252:253], v[122:123]
	v_fma_f64 v[246:247], v[250:251], v[120:121], -v[122:123]
	ds_read_b128 v[120:123], v2 offset:1968
	s_waitcnt vmcnt(3) lgkmcnt(2)
	v_mul_f64 v[218:219], v[116:117], v[166:167]
	v_fmac_f64_e32 v[218:219], v[118:119], v[164:165]
	v_add_f64 v[216:217], v[216:217], v[218:219]
	s_waitcnt vmcnt(2) lgkmcnt(1)
	v_mul_f64 v[218:219], v[212:213], v[174:175]
	v_fmac_f64_e32 v[218:219], v[214:215], v[172:173]
	v_add_f64 v[216:217], v[216:217], v[218:219]
	;; [unrolled: 4-line block ×3, first 2 shown]
	ds_read_b128 v[216:219], v2 offset:1984
	ds_read_b128 v[224:227], v2 offset:2000
	s_waitcnt vmcnt(0) lgkmcnt(1)
	v_mul_f64 v[222:223], v[216:217], v[82:83]
	v_fmac_f64_e32 v[222:223], v[218:219], v[80:81]
	v_add_f64 v[228:229], v[220:221], v[222:223]
	scratch_load_dwordx4 v[220:223], off, off offset:1008
	s_waitcnt vmcnt(0) lgkmcnt(0)
	v_mul_f64 v[230:231], v[224:225], v[222:223]
	v_fmac_f64_e32 v[230:231], v[226:227], v[220:221]
	v_add_f64 v[250:251], v[228:229], v[230:231]
	v_add_f64 v[228:229], v[240:241], 0
	;; [unrolled: 1-line block ×6, first 2 shown]
	scratch_load_dwordx4 v[228:231], off, off offset:384
	v_add_f64 v[4:5], v[8:9], v[4:5]
	v_add_f64 v[248:249], v[4:5], v[10:11]
	;; [unrolled: 1-line block ×3, first 2 shown]
	v_accvgpr_read_b32 v6, a128
	v_add_f64 v[0:1], v[4:5], v[0:1]
	v_accvgpr_read_b32 v8, a130
	v_accvgpr_read_b32 v9, a131
	v_add_f64 v[0:1], v[0:1], v[238:239]
	v_accvgpr_read_b32 v7, a129
	v_mul_f64 v[4:5], v[158:159], v[8:9]
	v_add_f64 v[0:1], v[0:1], v[246:247]
	v_fma_f64 v[4:5], v[156:157], v[6:7], -v[4:5]
	v_add_f64 v[0:1], v[0:1], v[4:5]
	v_mul_f64 v[4:5], v[150:151], v[236:237]
	v_fma_f64 v[4:5], v[148:149], v[234:235], -v[4:5]
	v_add_f64 v[0:1], v[0:1], v[4:5]
	v_mul_f64 v[4:5], v[146:147], v[14:15]
	;; [unrolled: 3-line block ×27, first 2 shown]
	v_fma_f64 v[4:5], v[224:225], v[220:221], -v[4:5]
	v_add_f64 v[0:1], v[0:1], v[4:5]
	s_waitcnt vmcnt(0)
	v_add_f64 v[4:5], v[228:229], -v[0:1]
	v_add_f64 v[6:7], v[230:231], -v[250:251]
	scratch_store_dwordx4 off, v[4:7], off offset:384
	s_and_saveexec_b64 s[0:1], vcc
	s_cbranch_execz .LBB126_359
; %bb.358:
	scratch_load_dwordx4 v[6:9], off, s67
	v_mov_b32_e32 v3, v2
	v_mov_b32_e32 v4, v2
	v_mov_b32_e32 v5, v2
	v_accvgpr_read_b32 v0, a1
	scratch_store_dwordx4 off, v[2:5], off offset:368
	s_waitcnt vmcnt(1)
	ds_write_b128 v0, v[6:9]
.LBB126_359:
	s_or_b64 exec, exec, s[0:1]
	s_waitcnt lgkmcnt(0)
	; wave barrier
	scratch_load_dwordx4 v[132:135], off, off offset:384
	scratch_load_dwordx4 v[160:163], off, off offset:400
	;; [unrolled: 1-line block ×16, first 2 shown]
	ds_read_b128 v[156:159], v2 offset:1376
	ds_read_b128 v[172:175], v2 offset:1392
	scratch_load_dwordx4 v[24:27], off, off offset:640
	ds_read_b128 v[232:235], v2 offset:1408
	ds_read_b128 v[228:231], v2 offset:1424
	scratch_load_dwordx4 v[28:31], off, off offset:656
	ds_read_b128 v[236:239], v2 offset:1440
	ds_read_b128 v[184:187], v2 offset:1456
	;; [unrolled: 1-line block ×5, first 2 shown]
	scratch_load_dwordx4 v[32:35], off, off offset:672
	ds_read_b128 v[220:223], v2 offset:1520
	ds_read_b128 v[216:219], v2 offset:1536
	;; [unrolled: 1-line block ×3, first 2 shown]
	scratch_load_dwordx4 v[36:39], off, off offset:688
	ds_read_b128 v[64:67], v2 offset:1568
	ds_read_b128 v[60:63], v2 offset:1584
	;; [unrolled: 1-line block ×5, first 2 shown]
	scratch_load_dwordx4 v[52:55], off, off offset:704
	scratch_load_dwordx4 v[68:71], off, off offset:720
	;; [unrolled: 1-line block ×11, first 2 shown]
	ds_read_b128 v[144:147], v2 offset:1680
	ds_read_b128 v[148:151], v2 offset:1696
	;; [unrolled: 1-line block ×3, first 2 shown]
	v_cmp_lt_u32_e32 vcc, 21, v254
	s_waitcnt vmcnt(30) lgkmcnt(14)
	v_mul_f64 v[0:1], v[156:157], v[134:135]
	s_waitcnt vmcnt(29)
	v_mul_f64 v[108:109], v[172:173], v[162:163]
	v_fmac_f64_e32 v[0:1], v[158:159], v[132:133]
	s_waitcnt vmcnt(28)
	v_mul_f64 v[110:111], v[232:233], v[166:167]
	v_fmac_f64_e32 v[108:109], v[174:175], v[160:161]
	v_add_f64 v[0:1], v[0:1], 0
	s_waitcnt vmcnt(27)
	v_mul_f64 v[112:113], v[228:229], v[170:171]
	v_fmac_f64_e32 v[110:111], v[234:235], v[164:165]
	v_add_f64 v[0:1], v[0:1], v[108:109]
	;; [unrolled: 4-line block ×4, first 2 shown]
	s_waitcnt vmcnt(24) lgkmcnt(13)
	v_mul_f64 v[118:119], v[224:225], v[190:191]
	v_fmac_f64_e32 v[116:117], v[186:187], v[180:181]
	v_add_f64 v[0:1], v[0:1], v[114:115]
	s_waitcnt vmcnt(23) lgkmcnt(12)
	v_mul_f64 v[120:121], v[196:197], v[194:195]
	v_fmac_f64_e32 v[118:119], v[226:227], v[188:189]
	v_add_f64 v[0:1], v[0:1], v[116:117]
	;; [unrolled: 4-line block ×9, first 2 shown]
	v_fmac_f64_e32 v[138:139], v[58:59], v[16:17]
	v_add_f64 v[0:1], v[0:1], v[136:137]
	v_add_f64 v[0:1], v[0:1], v[138:139]
	ds_read_b128 v[136:139], v2 offset:1648
	s_waitcnt vmcnt(15) lgkmcnt(5)
	v_mul_f64 v[140:141], v[48:49], v[22:23]
	v_fmac_f64_e32 v[140:141], v[50:51], v[20:21]
	s_waitcnt vmcnt(14) lgkmcnt(4)
	v_mul_f64 v[112:113], v[44:45], v[26:27]
	scratch_load_dwordx4 v[108:111], off, off offset:880
	v_add_f64 v[0:1], v[0:1], v[140:141]
	v_fmac_f64_e32 v[112:113], v[46:47], v[24:25]
	v_add_f64 v[0:1], v[0:1], v[112:113]
	scratch_load_dwordx4 v[112:115], off, off offset:896
	ds_read_b128 v[140:143], v2 offset:1664
	s_waitcnt vmcnt(15) lgkmcnt(1)
	v_mul_f64 v[116:117], v[136:137], v[30:31]
	v_fmac_f64_e32 v[116:117], v[138:139], v[28:29]
	v_add_f64 v[0:1], v[0:1], v[116:117]
	scratch_load_dwordx4 v[116:119], off, off offset:912
	s_waitcnt vmcnt(15) lgkmcnt(0)
	v_mul_f64 v[120:121], v[140:141], v[34:35]
	v_fmac_f64_e32 v[120:121], v[142:143], v[32:33]
	v_add_f64 v[0:1], v[0:1], v[120:121]
	s_waitcnt vmcnt(14)
	v_mul_f64 v[124:125], v[144:145], v[38:39]
	scratch_load_dwordx4 v[120:123], off, off offset:928
	v_fmac_f64_e32 v[124:125], v[146:147], v[36:37]
	v_add_f64 v[0:1], v[0:1], v[124:125]
	s_waitcnt vmcnt(14)
	v_mul_f64 v[124:125], v[148:149], v[54:55]
	scratch_load_dwordx4 v[128:131], off, off offset:944
	v_fmac_f64_e32 v[124:125], v[150:151], v[52:53]
	v_add_f64 v[0:1], v[0:1], v[124:125]
	scratch_load_dwordx4 v[124:127], off, off offset:960
	v_mul_f64 v[134:135], v[158:159], v[134:135]
	v_fma_f64 v[240:241], v[156:157], v[132:133], -v[134:135]
	ds_read_b128 v[156:159], v2 offset:1728
	s_waitcnt vmcnt(15)
	v_mul_f64 v[132:133], v[152:153], v[70:71]
	v_fmac_f64_e32 v[132:133], v[154:155], v[68:69]
	v_add_f64 v[0:1], v[0:1], v[132:133]
	v_mul_f64 v[132:133], v[174:175], v[162:163]
	v_fma_f64 v[242:243], v[172:173], v[160:161], -v[132:133]
	scratch_load_dwordx4 v[132:135], off, off offset:976
	ds_read_b128 v[160:163], v2 offset:1744
	v_mul_f64 v[166:167], v[234:235], v[166:167]
	v_fma_f64 v[244:245], v[232:233], v[164:165], -v[166:167]
	ds_read_b128 v[164:167], v2 offset:1760
	s_waitcnt vmcnt(15) lgkmcnt(2)
	v_mul_f64 v[172:173], v[156:157], v[74:75]
	v_fmac_f64_e32 v[172:173], v[158:159], v[72:73]
	v_add_f64 v[0:1], v[0:1], v[172:173]
	s_waitcnt vmcnt(14) lgkmcnt(1)
	v_mul_f64 v[172:173], v[160:161], v[78:79]
	v_fmac_f64_e32 v[172:173], v[162:163], v[76:77]
	v_mul_f64 v[170:171], v[230:231], v[170:171]
	v_fma_f64 v[250:251], v[228:229], v[168:169], -v[170:171]
	ds_read_b128 v[168:171], v2 offset:1776
	v_add_f64 v[0:1], v[0:1], v[172:173]
	s_waitcnt vmcnt(13) lgkmcnt(1)
	v_mul_f64 v[172:173], v[164:165], v[82:83]
	v_fmac_f64_e32 v[172:173], v[166:167], v[80:81]
	v_add_f64 v[0:1], v[0:1], v[172:173]
	ds_read_b128 v[172:175], v2 offset:1792
	v_mul_f64 v[178:179], v[238:239], v[178:179]
	v_fma_f64 v[236:237], v[236:237], v[176:177], -v[178:179]
	ds_read_b128 v[176:179], v2 offset:1808
	s_waitcnt vmcnt(12) lgkmcnt(2)
	v_mul_f64 v[228:229], v[168:169], v[86:87]
	v_fmac_f64_e32 v[228:229], v[170:171], v[84:85]
	v_add_f64 v[0:1], v[0:1], v[228:229]
	s_waitcnt vmcnt(11) lgkmcnt(1)
	v_mul_f64 v[228:229], v[172:173], v[90:91]
	v_mul_f64 v[182:183], v[186:187], v[182:183]
	v_fmac_f64_e32 v[228:229], v[174:175], v[88:89]
	v_fma_f64 v[238:239], v[184:185], v[180:181], -v[182:183]
	ds_read_b128 v[180:183], v2 offset:1824
	s_waitcnt vmcnt(10) lgkmcnt(1)
	v_mul_f64 v[184:185], v[176:177], v[94:95]
	v_add_f64 v[0:1], v[0:1], v[228:229]
	v_fmac_f64_e32 v[184:185], v[178:179], v[92:93]
	v_add_f64 v[0:1], v[0:1], v[184:185]
	ds_read_b128 v[184:187], v2 offset:1840
	v_mul_f64 v[190:191], v[226:227], v[190:191]
	v_fma_f64 v[252:253], v[224:225], v[188:189], -v[190:191]
	ds_read_b128 v[188:191], v2 offset:1856
	s_waitcnt vmcnt(9) lgkmcnt(2)
	v_mul_f64 v[228:229], v[180:181], v[98:99]
	v_fmac_f64_e32 v[228:229], v[182:183], v[96:97]
	s_waitcnt vmcnt(8) lgkmcnt(1)
	v_mul_f64 v[224:225], v[184:185], v[102:103]
	v_mul_f64 v[194:195], v[198:199], v[194:195]
	v_add_f64 v[0:1], v[0:1], v[228:229]
	v_fmac_f64_e32 v[224:225], v[186:187], v[100:101]
	v_fma_f64 v[246:247], v[196:197], v[192:193], -v[194:195]
	s_waitcnt vmcnt(7) lgkmcnt(0)
	v_mul_f64 v[196:197], v[188:189], v[106:107]
	ds_read_b128 v[192:195], v2 offset:1872
	v_add_f64 v[0:1], v[0:1], v[224:225]
	v_fmac_f64_e32 v[196:197], v[190:191], v[104:105]
	v_add_f64 v[0:1], v[0:1], v[196:197]
	ds_read_b128 v[196:199], v2 offset:1888
	v_accvgpr_write_b32 a131, v7
	v_mul_f64 v[202:203], v[210:211], v[202:203]
	v_accvgpr_write_b32 a130, v6
	v_accvgpr_write_b32 a129, v5
	;; [unrolled: 1-line block ×3, first 2 shown]
	v_fma_f64 v[4:5], v[208:209], v[200:201], -v[202:203]
	ds_read_b128 v[200:203], v2 offset:1904
	s_waitcnt vmcnt(6) lgkmcnt(2)
	v_mul_f64 v[224:225], v[192:193], v[110:111]
	v_fmac_f64_e32 v[224:225], v[194:195], v[108:109]
	s_waitcnt vmcnt(5) lgkmcnt(1)
	v_mul_f64 v[6:7], v[196:197], v[114:115]
	v_add_f64 v[0:1], v[0:1], v[224:225]
	v_fmac_f64_e32 v[6:7], v[198:199], v[112:113]
	v_add_f64 v[6:7], v[0:1], v[6:7]
	v_mul_f64 v[0:1], v[222:223], v[206:207]
	v_fma_f64 v[0:1], v[220:221], v[204:205], -v[0:1]
	ds_read_b128 v[204:207], v2 offset:1920
	s_waitcnt vmcnt(4) lgkmcnt(1)
	v_mul_f64 v[208:209], v[200:201], v[118:119]
	v_fmac_f64_e32 v[208:209], v[202:203], v[116:117]
	v_add_f64 v[6:7], v[6:7], v[208:209]
	ds_read_b128 v[208:211], v2 offset:1936
	v_mul_f64 v[214:215], v[218:219], v[214:215]
	v_fma_f64 v[248:249], v[216:217], v[212:213], -v[214:215]
	ds_read_b128 v[212:215], v2 offset:1952
	s_waitcnt vmcnt(3) lgkmcnt(2)
	v_mul_f64 v[216:217], v[204:205], v[122:123]
	v_fmac_f64_e32 v[216:217], v[206:207], v[120:121]
	v_add_f64 v[6:7], v[6:7], v[216:217]
	s_waitcnt vmcnt(2) lgkmcnt(1)
	v_mul_f64 v[216:217], v[208:209], v[130:131]
	v_fmac_f64_e32 v[216:217], v[210:211], v[128:129]
	v_add_f64 v[6:7], v[6:7], v[216:217]
	;; [unrolled: 4-line block ×3, first 2 shown]
	ds_read_b128 v[216:219], v2 offset:1968
	ds_read_b128 v[224:227], v2 offset:1984
	scratch_load_dwordx4 v[232:235], off, off offset:1008
	s_waitcnt vmcnt(1) lgkmcnt(1)
	v_mul_f64 v[220:221], v[216:217], v[134:135]
	v_fmac_f64_e32 v[220:221], v[218:219], v[132:133]
	v_add_f64 v[6:7], v[6:7], v[220:221]
	scratch_load_dwordx4 v[220:223], off, off offset:992
	s_waitcnt vmcnt(0) lgkmcnt(0)
	v_mul_f64 v[228:229], v[224:225], v[222:223]
	v_fmac_f64_e32 v[228:229], v[226:227], v[220:221]
	v_add_f64 v[6:7], v[6:7], v[228:229]
	ds_read_b128 v[228:231], v2 offset:2000
	s_waitcnt lgkmcnt(0)
	v_mul_f64 v[2:3], v[228:229], v[234:235]
	v_fmac_f64_e32 v[2:3], v[230:231], v[232:233]
	v_add_f64 v[2:3], v[6:7], v[2:3]
	v_add_f64 v[6:7], v[240:241], 0
	v_add_f64 v[6:7], v[6:7], v[242:243]
	v_add_f64 v[6:7], v[6:7], v[244:245]
	v_add_f64 v[6:7], v[6:7], v[250:251]
	v_add_f64 v[6:7], v[6:7], v[236:237]
	v_add_f64 v[6:7], v[6:7], v[238:239]
	scratch_load_dwordx4 v[236:239], off, off offset:368
	v_add_f64 v[6:7], v[6:7], v[252:253]
	v_add_f64 v[6:7], v[6:7], v[246:247]
	v_accvgpr_read_b32 v243, a131
	v_add_f64 v[250:251], v[6:7], v[4:5]
	v_accvgpr_read_b32 v242, a130
	;; [unrolled: 2-line block ×3, first 2 shown]
	v_accvgpr_read_b32 v240, a128
	v_mul_f64 v[4:5], v[42:43], v[242:243]
	v_add_f64 v[0:1], v[0:1], v[248:249]
	v_fma_f64 v[4:5], v[40:41], v[240:241], -v[4:5]
	v_add_f64 v[0:1], v[0:1], v[4:5]
	v_mul_f64 v[4:5], v[66:67], v[10:11]
	v_fma_f64 v[4:5], v[64:65], v[8:9], -v[4:5]
	v_add_f64 v[0:1], v[0:1], v[4:5]
	v_mul_f64 v[4:5], v[62:63], v[14:15]
	v_fma_f64 v[4:5], v[60:61], v[12:13], -v[4:5]
	v_add_f64 v[0:1], v[0:1], v[4:5]
	v_mul_f64 v[4:5], v[58:59], v[18:19]
	v_fma_f64 v[4:5], v[56:57], v[16:17], -v[4:5]
	v_add_f64 v[0:1], v[0:1], v[4:5]
	v_mul_f64 v[4:5], v[50:51], v[22:23]
	v_fma_f64 v[4:5], v[48:49], v[20:21], -v[4:5]
	v_add_f64 v[0:1], v[0:1], v[4:5]
	v_mul_f64 v[4:5], v[46:47], v[26:27]
	v_fma_f64 v[4:5], v[44:45], v[24:25], -v[4:5]
	v_add_f64 v[0:1], v[0:1], v[4:5]
	v_mul_f64 v[4:5], v[138:139], v[30:31]
	v_fma_f64 v[4:5], v[136:137], v[28:29], -v[4:5]
	v_add_f64 v[0:1], v[0:1], v[4:5]
	v_mul_f64 v[4:5], v[142:143], v[34:35]
	v_fma_f64 v[4:5], v[140:141], v[32:33], -v[4:5]
	v_add_f64 v[0:1], v[0:1], v[4:5]
	v_mul_f64 v[4:5], v[146:147], v[38:39]
	v_fma_f64 v[4:5], v[144:145], v[36:37], -v[4:5]
	v_add_f64 v[0:1], v[0:1], v[4:5]
	v_mul_f64 v[4:5], v[150:151], v[54:55]
	v_fma_f64 v[4:5], v[148:149], v[52:53], -v[4:5]
	v_add_f64 v[0:1], v[0:1], v[4:5]
	v_mul_f64 v[4:5], v[154:155], v[70:71]
	v_fma_f64 v[4:5], v[152:153], v[68:69], -v[4:5]
	v_add_f64 v[0:1], v[0:1], v[4:5]
	v_mul_f64 v[4:5], v[158:159], v[74:75]
	v_fma_f64 v[4:5], v[156:157], v[72:73], -v[4:5]
	v_add_f64 v[0:1], v[0:1], v[4:5]
	v_mul_f64 v[4:5], v[162:163], v[78:79]
	v_fma_f64 v[4:5], v[160:161], v[76:77], -v[4:5]
	v_add_f64 v[0:1], v[0:1], v[4:5]
	v_mul_f64 v[4:5], v[166:167], v[82:83]
	v_fma_f64 v[4:5], v[164:165], v[80:81], -v[4:5]
	v_add_f64 v[0:1], v[0:1], v[4:5]
	v_mul_f64 v[4:5], v[170:171], v[86:87]
	v_fma_f64 v[4:5], v[168:169], v[84:85], -v[4:5]
	v_add_f64 v[0:1], v[0:1], v[4:5]
	v_mul_f64 v[4:5], v[174:175], v[90:91]
	v_fma_f64 v[4:5], v[172:173], v[88:89], -v[4:5]
	v_add_f64 v[0:1], v[0:1], v[4:5]
	v_mul_f64 v[4:5], v[178:179], v[94:95]
	v_fma_f64 v[4:5], v[176:177], v[92:93], -v[4:5]
	v_add_f64 v[0:1], v[0:1], v[4:5]
	v_mul_f64 v[4:5], v[182:183], v[98:99]
	v_fma_f64 v[4:5], v[180:181], v[96:97], -v[4:5]
	v_add_f64 v[0:1], v[0:1], v[4:5]
	v_mul_f64 v[4:5], v[186:187], v[102:103]
	v_fma_f64 v[4:5], v[184:185], v[100:101], -v[4:5]
	v_add_f64 v[0:1], v[0:1], v[4:5]
	v_mul_f64 v[4:5], v[190:191], v[106:107]
	v_fma_f64 v[4:5], v[188:189], v[104:105], -v[4:5]
	v_add_f64 v[0:1], v[0:1], v[4:5]
	v_mul_f64 v[4:5], v[194:195], v[110:111]
	v_fma_f64 v[4:5], v[192:193], v[108:109], -v[4:5]
	v_add_f64 v[0:1], v[0:1], v[4:5]
	v_mul_f64 v[4:5], v[198:199], v[114:115]
	v_fma_f64 v[4:5], v[196:197], v[112:113], -v[4:5]
	v_add_f64 v[0:1], v[0:1], v[4:5]
	v_mul_f64 v[4:5], v[202:203], v[118:119]
	v_fma_f64 v[4:5], v[200:201], v[116:117], -v[4:5]
	v_add_f64 v[0:1], v[0:1], v[4:5]
	v_mul_f64 v[4:5], v[206:207], v[122:123]
	v_fma_f64 v[4:5], v[204:205], v[120:121], -v[4:5]
	v_add_f64 v[0:1], v[0:1], v[4:5]
	v_mul_f64 v[4:5], v[210:211], v[130:131]
	v_fma_f64 v[4:5], v[208:209], v[128:129], -v[4:5]
	v_add_f64 v[0:1], v[0:1], v[4:5]
	v_mul_f64 v[4:5], v[214:215], v[126:127]
	v_fma_f64 v[4:5], v[212:213], v[124:125], -v[4:5]
	v_add_f64 v[0:1], v[0:1], v[4:5]
	v_mul_f64 v[4:5], v[218:219], v[134:135]
	v_fma_f64 v[4:5], v[216:217], v[132:133], -v[4:5]
	v_add_f64 v[0:1], v[0:1], v[4:5]
	v_mul_f64 v[4:5], v[226:227], v[222:223]
	v_fma_f64 v[4:5], v[224:225], v[220:221], -v[4:5]
	v_add_f64 v[0:1], v[0:1], v[4:5]
	v_mul_f64 v[4:5], v[230:231], v[234:235]
	v_fma_f64 v[4:5], v[228:229], v[232:233], -v[4:5]
	v_add_f64 v[0:1], v[0:1], v[4:5]
	s_waitcnt vmcnt(0)
	v_add_f64 v[4:5], v[236:237], -v[0:1]
	v_add_f64 v[6:7], v[238:239], -v[2:3]
	scratch_store_dwordx4 off, v[4:7], off offset:368
	s_and_saveexec_b64 s[0:1], vcc
	s_cbranch_execz .LBB126_361
; %bb.360:
	scratch_load_dwordx4 v[2:5], off, s68
	v_mov_b32_e32 v6, 0
	v_mov_b32_e32 v7, v6
	;; [unrolled: 1-line block ×4, first 2 shown]
	v_accvgpr_read_b32 v0, a1
	scratch_store_dwordx4 off, v[6:9], off offset:352
	s_waitcnt vmcnt(1)
	ds_write_b128 v0, v[2:5]
.LBB126_361:
	s_or_b64 exec, exec, s[0:1]
	s_waitcnt lgkmcnt(0)
	; wave barrier
	scratch_load_dwordx4 v[112:115], off, off offset:368
	scratch_load_dwordx4 v[116:119], off, off offset:384
	;; [unrolled: 1-line block ×30, first 2 shown]
	v_mov_b32_e32 v2, 0
	ds_read_b128 v[144:147], v2 offset:1360
	ds_read_b128 v[156:159], v2 offset:1376
	;; [unrolled: 1-line block ×20, first 2 shown]
	v_cmp_lt_u32_e32 vcc, 20, v254
	s_waitcnt vmcnt(29) lgkmcnt(14)
	v_mul_f64 v[0:1], v[144:145], v[114:115]
	s_waitcnt vmcnt(28)
	v_mul_f64 v[88:89], v[156:157], v[118:119]
	v_fmac_f64_e32 v[0:1], v[146:147], v[112:113]
	s_waitcnt vmcnt(27)
	v_mul_f64 v[90:91], v[168:169], v[122:123]
	v_fmac_f64_e32 v[88:89], v[158:159], v[116:117]
	v_add_f64 v[0:1], v[0:1], 0
	s_waitcnt vmcnt(26)
	v_mul_f64 v[92:93], v[180:181], v[154:155]
	v_fmac_f64_e32 v[90:91], v[170:171], v[120:121]
	v_add_f64 v[0:1], v[0:1], v[88:89]
	s_waitcnt vmcnt(25)
	v_mul_f64 v[94:95], v[192:193], v[162:163]
	v_fmac_f64_e32 v[92:93], v[182:183], v[152:153]
	v_add_f64 v[0:1], v[0:1], v[90:91]
	s_waitcnt vmcnt(24)
	v_mul_f64 v[96:97], v[204:205], v[166:167]
	v_fmac_f64_e32 v[94:95], v[194:195], v[160:161]
	v_add_f64 v[0:1], v[0:1], v[92:93]
	s_waitcnt vmcnt(23) lgkmcnt(13)
	v_mul_f64 v[98:99], v[212:213], v[174:175]
	v_fmac_f64_e32 v[96:97], v[206:207], v[164:165]
	v_add_f64 v[0:1], v[0:1], v[94:95]
	s_waitcnt vmcnt(22) lgkmcnt(12)
	v_mul_f64 v[100:101], v[216:217], v[178:179]
	v_fmac_f64_e32 v[98:99], v[214:215], v[172:173]
	v_add_f64 v[0:1], v[0:1], v[96:97]
	;; [unrolled: 4-line block ×9, first 2 shown]
	v_fmac_f64_e32 v[126:127], v[82:83], v[8:9]
	v_add_f64 v[0:1], v[0:1], v[124:125]
	scratch_load_dwordx4 v[88:91], off, off offset:848
	s_waitcnt vmcnt(15) lgkmcnt(4)
	v_mul_f64 v[128:129], v[76:77], v[236:237]
	v_add_f64 v[0:1], v[0:1], v[126:127]
	ds_read_b128 v[124:127], v2 offset:1632
	v_fmac_f64_e32 v[128:129], v[78:79], v[234:235]
	v_add_f64 v[0:1], v[0:1], v[128:129]
	ds_read_b128 v[128:131], v2 offset:1648
	s_waitcnt vmcnt(14) lgkmcnt(5)
	v_mul_f64 v[92:93], v[72:73], v[18:19]
	v_fmac_f64_e32 v[92:93], v[74:75], v[16:17]
	v_add_f64 v[0:1], v[0:1], v[92:93]
	s_waitcnt vmcnt(13) lgkmcnt(1)
	v_mul_f64 v[96:97], v[124:125], v[22:23]
	scratch_load_dwordx4 v[92:95], off, off offset:864
	v_fmac_f64_e32 v[96:97], v[126:127], v[20:21]
	v_add_f64 v[0:1], v[0:1], v[96:97]
	s_waitcnt vmcnt(13) lgkmcnt(0)
	v_mul_f64 v[100:101], v[128:129], v[26:27]
	scratch_load_dwordx4 v[96:99], off, off offset:880
	v_fmac_f64_e32 v[100:101], v[130:131], v[24:25]
	v_add_f64 v[0:1], v[0:1], v[100:101]
	scratch_load_dwordx4 v[100:103], off, off offset:896
	s_waitcnt vmcnt(14)
	v_mul_f64 v[104:105], v[132:133], v[30:31]
	v_fmac_f64_e32 v[104:105], v[134:135], v[28:29]
	v_add_f64 v[0:1], v[0:1], v[104:105]
	s_waitcnt vmcnt(13)
	v_mul_f64 v[104:105], v[136:137], v[34:35]
	v_fmac_f64_e32 v[104:105], v[138:139], v[32:33]
	v_add_f64 v[0:1], v[0:1], v[104:105]
	scratch_load_dwordx4 v[104:107], off, off offset:912
	s_waitcnt vmcnt(13)
	v_mul_f64 v[108:109], v[140:141], v[38:39]
	v_fmac_f64_e32 v[108:109], v[142:143], v[36:37]
	v_add_f64 v[0:1], v[0:1], v[108:109]
	scratch_load_dwordx4 v[108:111], off, off offset:928
	v_mul_f64 v[114:115], v[146:147], v[114:115]
	v_fma_f64 v[240:241], v[144:145], v[112:113], -v[114:115]
	v_mul_f64 v[112:113], v[158:159], v[118:119]
	ds_read_b128 v[148:151], v2 offset:1712
	ds_read_b128 v[144:147], v2 offset:1728
	v_fma_f64 v[242:243], v[156:157], v[116:117], -v[112:113]
	scratch_load_dwordx4 v[116:119], off, off offset:944
	scratch_load_dwordx4 v[112:115], off, off offset:960
	v_mul_f64 v[122:123], v[170:171], v[122:123]
	v_fma_f64 v[244:245], v[168:169], v[120:121], -v[122:123]
	scratch_load_dwordx4 v[120:123], off, off offset:976
	s_waitcnt vmcnt(16) lgkmcnt(1)
	v_mul_f64 v[156:157], v[148:149], v[42:43]
	v_fmac_f64_e32 v[156:157], v[150:151], v[40:41]
	v_add_f64 v[0:1], v[0:1], v[156:157]
	v_mul_f64 v[154:155], v[182:183], v[154:155]
	s_waitcnt vmcnt(15) lgkmcnt(0)
	v_mul_f64 v[156:157], v[144:145], v[46:47]
	v_fma_f64 v[232:233], v[180:181], v[152:153], -v[154:155]
	ds_read_b128 v[152:155], v2 offset:1744
	v_fmac_f64_e32 v[156:157], v[146:147], v[44:45]
	v_add_f64 v[0:1], v[0:1], v[156:157]
	ds_read_b128 v[156:159], v2 offset:1760
	v_accvgpr_write_b32 a131, v7
	s_waitcnt vmcnt(14) lgkmcnt(1)
	v_mul_f64 v[168:169], v[152:153], v[50:51]
	v_mul_f64 v[162:163], v[194:195], v[162:163]
	v_accvgpr_write_b32 a130, v6
	v_accvgpr_write_b32 a129, v5
	;; [unrolled: 1-line block ×3, first 2 shown]
	v_fmac_f64_e32 v[168:169], v[154:155], v[48:49]
	v_fma_f64 v[12:13], v[192:193], v[160:161], -v[162:163]
	ds_read_b128 v[160:163], v2 offset:1776
	s_waitcnt vmcnt(13) lgkmcnt(1)
	v_mul_f64 v[6:7], v[156:157], v[54:55]
	v_add_f64 v[0:1], v[0:1], v[168:169]
	v_fmac_f64_e32 v[6:7], v[158:159], v[52:53]
	v_accvgpr_write_b32 a135, v11
	v_add_f64 v[0:1], v[0:1], v[6:7]
	v_mul_f64 v[6:7], v[206:207], v[166:167]
	v_accvgpr_write_b32 a134, v10
	v_accvgpr_write_b32 a133, v9
	;; [unrolled: 1-line block ×3, first 2 shown]
	v_fma_f64 v[8:9], v[204:205], v[164:165], -v[6:7]
	ds_read_b128 v[164:167], v2 offset:1792
	s_waitcnt vmcnt(12) lgkmcnt(1)
	v_mul_f64 v[6:7], v[160:161], v[58:59]
	ds_read_b128 v[168:171], v2 offset:1808
	v_fmac_f64_e32 v[6:7], v[162:163], v[56:57]
	v_add_f64 v[0:1], v[0:1], v[6:7]
	v_mul_f64 v[6:7], v[214:215], v[174:175]
	v_fma_f64 v[10:11], v[212:213], v[172:173], -v[6:7]
	s_waitcnt vmcnt(11) lgkmcnt(1)
	v_mul_f64 v[6:7], v[164:165], v[62:63]
	v_fmac_f64_e32 v[6:7], v[166:167], v[60:61]
	ds_read_b128 v[172:175], v2 offset:1824
	v_add_f64 v[0:1], v[0:1], v[6:7]
	s_waitcnt vmcnt(10) lgkmcnt(1)
	v_mul_f64 v[6:7], v[168:169], v[66:67]
	v_fmac_f64_e32 v[6:7], v[170:171], v[64:65]
	v_add_f64 v[0:1], v[0:1], v[6:7]
	v_mul_f64 v[6:7], v[218:219], v[178:179]
	v_fma_f64 v[4:5], v[216:217], v[176:177], -v[6:7]
	ds_read_b128 v[176:179], v2 offset:1840
	ds_read_b128 v[180:183], v2 offset:1856
	s_waitcnt vmcnt(9) lgkmcnt(2)
	v_mul_f64 v[6:7], v[172:173], v[70:71]
	v_fmac_f64_e32 v[6:7], v[174:175], v[68:69]
	v_add_f64 v[0:1], v[0:1], v[6:7]
	s_waitcnt vmcnt(8) lgkmcnt(1)
	v_mul_f64 v[6:7], v[176:177], v[90:91]
	v_fmac_f64_e32 v[6:7], v[178:179], v[88:89]
	v_add_f64 v[0:1], v[0:1], v[6:7]
	v_mul_f64 v[6:7], v[222:223], v[186:187]
	v_fma_f64 v[14:15], v[220:221], v[184:185], -v[6:7]
	ds_read_b128 v[184:187], v2 offset:1872
	v_mul_f64 v[6:7], v[226:227], v[190:191]
	v_fma_f64 v[6:7], v[224:225], v[188:189], -v[6:7]
	ds_read_b128 v[188:191], v2 offset:1888
	s_waitcnt vmcnt(7) lgkmcnt(2)
	v_mul_f64 v[192:193], v[180:181], v[94:95]
	v_fmac_f64_e32 v[192:193], v[182:183], v[92:93]
	v_add_f64 v[0:1], v[0:1], v[192:193]
	s_waitcnt vmcnt(6) lgkmcnt(1)
	v_mul_f64 v[192:193], v[184:185], v[98:99]
	v_fmac_f64_e32 v[192:193], v[186:187], v[96:97]
	v_add_f64 v[0:1], v[0:1], v[192:193]
	s_waitcnt vmcnt(5) lgkmcnt(0)
	v_mul_f64 v[204:205], v[188:189], v[102:103]
	ds_read_b128 v[192:195], v2 offset:1904
	v_fmac_f64_e32 v[204:205], v[190:191], v[100:101]
	v_add_f64 v[204:205], v[0:1], v[204:205]
	v_mul_f64 v[0:1], v[230:231], v[198:199]
	v_fma_f64 v[0:1], v[228:229], v[196:197], -v[0:1]
	ds_read_b128 v[196:199], v2 offset:1920
	v_mul_f64 v[202:203], v[248:249], v[202:203]
	s_waitcnt vmcnt(4) lgkmcnt(1)
	v_mul_f64 v[206:207], v[192:193], v[106:107]
	v_fma_f64 v[238:239], v[246:247], v[200:201], -v[202:203]
	ds_read_b128 v[200:203], v2 offset:1936
	v_fmac_f64_e32 v[206:207], v[194:195], v[104:105]
	v_add_f64 v[212:213], v[204:205], v[206:207]
	ds_read_b128 v[204:207], v2 offset:1952
	s_waitcnt vmcnt(3) lgkmcnt(2)
	v_mul_f64 v[214:215], v[196:197], v[110:111]
	v_mul_f64 v[210:211], v[252:253], v[210:211]
	v_fmac_f64_e32 v[214:215], v[198:199], v[108:109]
	v_fma_f64 v[246:247], v[250:251], v[208:209], -v[210:211]
	ds_read_b128 v[208:211], v2 offset:1968
	ds_read_b128 v[216:219], v2 offset:1984
	v_add_f64 v[212:213], v[212:213], v[214:215]
	s_waitcnt vmcnt(2) lgkmcnt(3)
	v_mul_f64 v[214:215], v[200:201], v[118:119]
	v_fmac_f64_e32 v[214:215], v[202:203], v[116:117]
	v_add_f64 v[212:213], v[212:213], v[214:215]
	s_waitcnt vmcnt(1) lgkmcnt(2)
	v_mul_f64 v[214:215], v[204:205], v[114:115]
	v_fmac_f64_e32 v[214:215], v[206:207], v[112:113]
	;; [unrolled: 4-line block ×3, first 2 shown]
	v_add_f64 v[220:221], v[212:213], v[214:215]
	scratch_load_dwordx4 v[212:215], off, off offset:992
	ds_read_b128 v[224:227], v2 offset:2000
	s_waitcnt vmcnt(0) lgkmcnt(1)
	v_mul_f64 v[222:223], v[216:217], v[214:215]
	v_fmac_f64_e32 v[222:223], v[218:219], v[212:213]
	v_add_f64 v[228:229], v[220:221], v[222:223]
	scratch_load_dwordx4 v[220:223], off, off offset:1008
	s_waitcnt vmcnt(0) lgkmcnt(0)
	v_mul_f64 v[230:231], v[224:225], v[222:223]
	v_fmac_f64_e32 v[230:231], v[226:227], v[220:221]
	v_add_f64 v[250:251], v[228:229], v[230:231]
	v_add_f64 v[228:229], v[240:241], 0
	v_add_f64 v[228:229], v[228:229], v[242:243]
	v_add_f64 v[228:229], v[228:229], v[244:245]
	v_add_f64 v[228:229], v[228:229], v[232:233]
	v_add_f64 v[12:13], v[228:229], v[12:13]
	scratch_load_dwordx4 v[228:231], off, off offset:352
	v_add_f64 v[8:9], v[12:13], v[8:9]
	v_add_f64 v[8:9], v[8:9], v[10:11]
	;; [unrolled: 1-line block ×5, first 2 shown]
	v_accvgpr_read_b32 v6, a128
	v_accvgpr_read_b32 v8, a130
	;; [unrolled: 1-line block ×3, first 2 shown]
	v_add_f64 v[0:1], v[4:5], v[0:1]
	v_accvgpr_read_b32 v7, a129
	v_mul_f64 v[4:5], v[86:87], v[8:9]
	v_add_f64 v[0:1], v[0:1], v[238:239]
	v_fma_f64 v[4:5], v[84:85], v[6:7], -v[4:5]
	v_accvgpr_read_b32 v6, a132
	v_add_f64 v[0:1], v[0:1], v[246:247]
	v_accvgpr_read_b32 v8, a134
	v_accvgpr_read_b32 v9, a135
	v_add_f64 v[0:1], v[0:1], v[4:5]
	v_accvgpr_read_b32 v7, a133
	v_mul_f64 v[4:5], v[82:83], v[8:9]
	v_fma_f64 v[4:5], v[80:81], v[6:7], -v[4:5]
	v_add_f64 v[0:1], v[0:1], v[4:5]
	v_mul_f64 v[4:5], v[78:79], v[236:237]
	v_fma_f64 v[4:5], v[76:77], v[234:235], -v[4:5]
	v_add_f64 v[0:1], v[0:1], v[4:5]
	;; [unrolled: 3-line block ×27, first 2 shown]
	s_waitcnt vmcnt(0)
	v_add_f64 v[4:5], v[228:229], -v[0:1]
	v_add_f64 v[6:7], v[230:231], -v[250:251]
	scratch_store_dwordx4 off, v[4:7], off offset:352
	s_and_saveexec_b64 s[0:1], vcc
	s_cbranch_execz .LBB126_363
; %bb.362:
	scratch_load_dwordx4 v[6:9], off, s69
	v_mov_b32_e32 v3, v2
	v_mov_b32_e32 v4, v2
	;; [unrolled: 1-line block ×3, first 2 shown]
	v_accvgpr_read_b32 v0, a1
	scratch_store_dwordx4 off, v[2:5], off offset:336
	s_waitcnt vmcnt(1)
	ds_write_b128 v0, v[6:9]
.LBB126_363:
	s_or_b64 exec, exec, s[0:1]
	s_waitcnt lgkmcnt(0)
	; wave barrier
	scratch_load_dwordx4 v[88:91], off, off offset:352
	scratch_load_dwordx4 v[92:95], off, off offset:368
	;; [unrolled: 1-line block ×17, first 2 shown]
	ds_read_b128 v[212:215], v2 offset:1344
	ds_read_b128 v[204:207], v2 offset:1360
	;; [unrolled: 1-line block ×3, first 2 shown]
	scratch_load_dwordx4 v[20:23], off, off offset:624
	ds_read_b128 v[216:219], v2 offset:1392
	ds_read_b128 v[208:211], v2 offset:1408
	ds_read_b128 v[200:203], v2 offset:1424
	ds_read_b128 v[184:187], v2 offset:1440
	ds_read_b128 v[156:159], v2 offset:1456
	scratch_load_dwordx4 v[24:27], off, off offset:640
	ds_read_b128 v[180:183], v2 offset:1472
	ds_read_b128 v[160:163], v2 offset:1488
	;; [unrolled: 1-line block ×3, first 2 shown]
	scratch_load_dwordx4 v[28:31], off, off offset:656
	ds_read_b128 v[172:175], v2 offset:1520
	ds_read_b128 v[148:151], v2 offset:1536
	;; [unrolled: 1-line block ×5, first 2 shown]
	scratch_load_dwordx4 v[36:39], off, off offset:672
	ds_read_b128 v[48:51], v2 offset:1600
	scratch_load_dwordx4 v[52:55], off, off offset:688
	scratch_load_dwordx4 v[56:59], off, off offset:704
	;; [unrolled: 1-line block ×9, first 2 shown]
	ds_read_b128 v[140:143], v2 offset:1616
	ds_read_b128 v[232:235], v2 offset:1680
	v_cmp_lt_u32_e32 vcc, 19, v254
	ds_read_b128 v[228:231], v2 offset:1664
	s_waitcnt vmcnt(29) lgkmcnt(14)
	v_mul_f64 v[0:1], v[212:213], v[90:91]
	s_waitcnt vmcnt(28)
	v_mul_f64 v[152:153], v[204:205], v[94:95]
	v_fmac_f64_e32 v[0:1], v[214:215], v[88:89]
	s_waitcnt vmcnt(27)
	v_mul_f64 v[154:155], v[196:197], v[98:99]
	v_fmac_f64_e32 v[152:153], v[206:207], v[92:93]
	v_add_f64 v[0:1], v[0:1], 0
	s_waitcnt vmcnt(26)
	v_mul_f64 v[164:165], v[216:217], v[102:103]
	v_fmac_f64_e32 v[154:155], v[198:199], v[96:97]
	v_add_f64 v[0:1], v[0:1], v[152:153]
	s_waitcnt vmcnt(25)
	v_mul_f64 v[166:167], v[208:209], v[106:107]
	v_fmac_f64_e32 v[164:165], v[218:219], v[100:101]
	v_add_f64 v[0:1], v[0:1], v[154:155]
	s_waitcnt vmcnt(24)
	v_mul_f64 v[168:169], v[200:201], v[110:111]
	v_fmac_f64_e32 v[166:167], v[210:211], v[104:105]
	v_add_f64 v[0:1], v[0:1], v[164:165]
	s_waitcnt vmcnt(23) lgkmcnt(13)
	v_mul_f64 v[170:171], v[184:185], v[114:115]
	v_fmac_f64_e32 v[168:169], v[202:203], v[108:109]
	v_add_f64 v[0:1], v[0:1], v[166:167]
	s_waitcnt vmcnt(22) lgkmcnt(12)
	v_mul_f64 v[176:177], v[156:157], v[118:119]
	v_fmac_f64_e32 v[170:171], v[186:187], v[112:113]
	v_add_f64 v[0:1], v[0:1], v[168:169]
	;; [unrolled: 4-line block ×9, first 2 shown]
	v_fmac_f64_e32 v[222:223], v[42:43], v[8:9]
	v_add_f64 v[0:1], v[0:1], v[220:221]
	s_waitcnt vmcnt(14) lgkmcnt(4)
	v_mul_f64 v[224:225], v[32:33], v[14:15]
	v_add_f64 v[0:1], v[0:1], v[222:223]
	ds_read_b128 v[220:223], v2 offset:1632
	v_fmac_f64_e32 v[224:225], v[34:35], v[12:13]
	s_waitcnt vmcnt(13) lgkmcnt(4)
	v_mul_f64 v[164:165], v[48:49], v[18:19]
	v_add_f64 v[0:1], v[0:1], v[224:225]
	scratch_load_dwordx4 v[152:155], off, off offset:832
	v_fmac_f64_e32 v[164:165], v[50:51], v[16:17]
	ds_read_b128 v[224:227], v2 offset:1648
	v_add_f64 v[0:1], v[0:1], v[164:165]
	s_waitcnt vmcnt(13) lgkmcnt(4)
	v_mul_f64 v[168:169], v[140:141], v[22:23]
	scratch_load_dwordx4 v[164:167], off, off offset:848
	v_fmac_f64_e32 v[168:169], v[142:143], v[20:21]
	v_add_f64 v[0:1], v[0:1], v[168:169]
	s_waitcnt vmcnt(13) lgkmcnt(1)
	v_mul_f64 v[176:177], v[220:221], v[26:27]
	scratch_load_dwordx4 v[168:171], off, off offset:864
	v_fmac_f64_e32 v[176:177], v[222:223], v[24:25]
	;; [unrolled: 5-line block ×3, first 2 shown]
	v_add_f64 v[0:1], v[0:1], v[188:189]
	s_waitcnt vmcnt(13)
	v_mul_f64 v[188:189], v[228:229], v[38:39]
	v_fmac_f64_e32 v[188:189], v[230:231], v[36:37]
	v_add_f64 v[0:1], v[0:1], v[188:189]
	scratch_load_dwordx4 v[188:191], off, off offset:896
	s_waitcnt vmcnt(13)
	v_mul_f64 v[192:193], v[232:233], v[54:55]
	v_fmac_f64_e32 v[192:193], v[234:235], v[52:53]
	v_add_f64 v[0:1], v[0:1], v[192:193]
	scratch_load_dwordx4 v[192:195], off, off offset:912
	v_mul_f64 v[90:91], v[214:215], v[90:91]
	v_fma_f64 v[240:241], v[212:213], v[88:89], -v[90:91]
	v_mul_f64 v[88:89], v[206:207], v[94:95]
	ds_read_b128 v[236:239], v2 offset:1696
	ds_read_b128 v[212:215], v2 offset:1712
	v_fma_f64 v[242:243], v[204:205], v[92:93], -v[88:89]
	scratch_load_dwordx4 v[92:95], off, off offset:928
	scratch_load_dwordx4 v[88:91], off, off offset:944
	v_mul_f64 v[98:99], v[198:199], v[98:99]
	v_fma_f64 v[244:245], v[196:197], v[96:97], -v[98:99]
	scratch_load_dwordx4 v[96:99], off, off offset:960
	s_waitcnt vmcnt(16) lgkmcnt(1)
	v_mul_f64 v[204:205], v[236:237], v[58:59]
	v_mul_f64 v[102:103], v[218:219], v[102:103]
	v_fmac_f64_e32 v[204:205], v[238:239], v[56:57]
	v_fma_f64 v[216:217], v[216:217], v[100:101], -v[102:103]
	ds_read_b128 v[100:103], v2 offset:1728
	s_waitcnt vmcnt(15) lgkmcnt(1)
	v_mul_f64 v[196:197], v[212:213], v[62:63]
	v_add_f64 v[0:1], v[0:1], v[204:205]
	v_fmac_f64_e32 v[196:197], v[214:215], v[60:61]
	v_add_f64 v[0:1], v[0:1], v[196:197]
	ds_read_b128 v[196:199], v2 offset:1744
	v_mul_f64 v[106:107], v[210:211], v[106:107]
	v_fma_f64 v[218:219], v[208:209], v[104:105], -v[106:107]
	ds_read_b128 v[104:107], v2 offset:1760
	s_waitcnt vmcnt(14) lgkmcnt(2)
	v_mul_f64 v[204:205], v[100:101], v[66:67]
	v_fmac_f64_e32 v[204:205], v[102:103], v[64:65]
	v_add_f64 v[0:1], v[0:1], v[204:205]
	s_waitcnt vmcnt(13) lgkmcnt(1)
	v_mul_f64 v[204:205], v[196:197], v[70:71]
	v_mul_f64 v[110:111], v[202:203], v[110:111]
	v_fmac_f64_e32 v[204:205], v[198:199], v[68:69]
	v_fma_f64 v[250:251], v[200:201], v[108:109], -v[110:111]
	ds_read_b128 v[108:111], v2 offset:1776
	s_waitcnt vmcnt(12) lgkmcnt(1)
	v_mul_f64 v[200:201], v[104:105], v[74:75]
	v_add_f64 v[0:1], v[0:1], v[204:205]
	v_fmac_f64_e32 v[200:201], v[106:107], v[72:73]
	v_add_f64 v[0:1], v[0:1], v[200:201]
	ds_read_b128 v[200:203], v2 offset:1792
	v_mul_f64 v[114:115], v[186:187], v[114:115]
	v_fma_f64 v[252:253], v[184:185], v[112:113], -v[114:115]
	ds_read_b128 v[112:115], v2 offset:1808
	s_waitcnt vmcnt(11) lgkmcnt(2)
	v_mul_f64 v[184:185], v[108:109], v[78:79]
	v_fmac_f64_e32 v[184:185], v[110:111], v[76:77]
	v_add_f64 v[0:1], v[0:1], v[184:185]
	s_waitcnt vmcnt(10) lgkmcnt(1)
	v_mul_f64 v[184:185], v[200:201], v[82:83]
	v_mul_f64 v[118:119], v[158:159], v[118:119]
	v_fmac_f64_e32 v[184:185], v[202:203], v[80:81]
	v_fma_f64 v[246:247], v[156:157], v[116:117], -v[118:119]
	s_waitcnt vmcnt(9) lgkmcnt(0)
	v_mul_f64 v[156:157], v[112:113], v[86:87]
	v_add_f64 v[0:1], v[0:1], v[184:185]
	ds_read_b128 v[116:119], v2 offset:1824
	v_fmac_f64_e32 v[156:157], v[114:115], v[84:85]
	v_add_f64 v[0:1], v[0:1], v[156:157]
	ds_read_b128 v[156:159], v2 offset:1840
	v_accvgpr_write_b32 a135, v11
	v_mul_f64 v[122:123], v[182:183], v[122:123]
	v_accvgpr_write_b32 a134, v10
	v_accvgpr_write_b32 a133, v9
	;; [unrolled: 1-line block ×3, first 2 shown]
	v_fma_f64 v[8:9], v[180:181], v[120:121], -v[122:123]
	ds_read_b128 v[120:123], v2 offset:1856
	v_mul_f64 v[126:127], v[162:163], v[126:127]
	v_accvgpr_write_b32 a131, v7
	s_waitcnt vmcnt(8) lgkmcnt(2)
	v_mul_f64 v[184:185], v[116:117], v[154:155]
	v_fma_f64 v[248:249], v[160:161], v[124:125], -v[126:127]
	ds_read_b128 v[124:127], v2 offset:1872
	v_accvgpr_write_b32 a130, v6
	v_accvgpr_write_b32 a129, v5
	;; [unrolled: 1-line block ×3, first 2 shown]
	v_fmac_f64_e32 v[184:185], v[118:119], v[152:153]
	s_waitcnt vmcnt(7) lgkmcnt(2)
	v_mul_f64 v[6:7], v[156:157], v[166:167]
	v_add_f64 v[0:1], v[0:1], v[184:185]
	v_fmac_f64_e32 v[6:7], v[158:159], v[164:165]
	v_add_f64 v[0:1], v[0:1], v[6:7]
	s_waitcnt vmcnt(6) lgkmcnt(1)
	v_mul_f64 v[6:7], v[120:121], v[170:171]
	v_fmac_f64_e32 v[6:7], v[122:123], v[168:169]
	ds_read_b128 v[160:163], v2 offset:1888
	v_add_f64 v[0:1], v[0:1], v[6:7]
	s_waitcnt vmcnt(5) lgkmcnt(1)
	v_mul_f64 v[6:7], v[124:125], v[178:179]
	v_fmac_f64_e32 v[6:7], v[126:127], v[176:177]
	v_add_f64 v[0:1], v[0:1], v[6:7]
	v_mul_f64 v[6:7], v[146:147], v[130:131]
	v_fma_f64 v[4:5], v[144:145], v[128:129], -v[6:7]
	ds_read_b128 v[128:131], v2 offset:1904
	s_waitcnt vmcnt(4) lgkmcnt(1)
	v_mul_f64 v[6:7], v[160:161], v[190:191]
	v_fmac_f64_e32 v[6:7], v[162:163], v[188:189]
	v_add_f64 v[6:7], v[0:1], v[6:7]
	v_mul_f64 v[0:1], v[174:175], v[134:135]
	v_fma_f64 v[0:1], v[172:173], v[132:133], -v[0:1]
	ds_read_b128 v[132:135], v2 offset:1920
	ds_read_b128 v[144:147], v2 offset:1936
	s_waitcnt vmcnt(3) lgkmcnt(2)
	v_mul_f64 v[10:11], v[128:129], v[194:195]
	v_fmac_f64_e32 v[10:11], v[130:131], v[192:193]
	v_add_f64 v[10:11], v[6:7], v[10:11]
	v_mul_f64 v[6:7], v[150:151], v[138:139]
	v_fma_f64 v[6:7], v[148:149], v[136:137], -v[6:7]
	ds_read_b128 v[136:139], v2 offset:1952
	ds_read_b128 v[172:175], v2 offset:1968
	s_waitcnt vmcnt(2) lgkmcnt(3)
	v_mul_f64 v[148:149], v[132:133], v[94:95]
	v_fmac_f64_e32 v[148:149], v[134:135], v[92:93]
	v_add_f64 v[10:11], v[10:11], v[148:149]
	s_waitcnt vmcnt(1) lgkmcnt(2)
	v_mul_f64 v[148:149], v[144:145], v[90:91]
	v_fmac_f64_e32 v[148:149], v[146:147], v[88:89]
	v_add_f64 v[10:11], v[10:11], v[148:149]
	scratch_load_dwordx4 v[208:211], off, off offset:1008
	s_waitcnt vmcnt(1) lgkmcnt(1)
	v_mul_f64 v[148:149], v[136:137], v[98:99]
	v_fmac_f64_e32 v[148:149], v[138:139], v[96:97]
	v_add_f64 v[10:11], v[10:11], v[148:149]
	scratch_load_dwordx4 v[148:151], off, off offset:976
	ds_read_b128 v[184:187], v2 offset:1984
	s_waitcnt vmcnt(0) lgkmcnt(1)
	v_mul_f64 v[180:181], v[172:173], v[150:151]
	v_fmac_f64_e32 v[180:181], v[174:175], v[148:149]
	v_add_f64 v[10:11], v[10:11], v[180:181]
	scratch_load_dwordx4 v[180:183], off, off offset:992
	s_waitcnt vmcnt(0) lgkmcnt(0)
	v_mul_f64 v[204:205], v[184:185], v[182:183]
	v_fmac_f64_e32 v[204:205], v[186:187], v[180:181]
	v_add_f64 v[10:11], v[10:11], v[204:205]
	ds_read_b128 v[204:207], v2 offset:2000
	s_waitcnt lgkmcnt(0)
	v_mul_f64 v[2:3], v[204:205], v[210:211]
	v_fmac_f64_e32 v[2:3], v[206:207], v[208:209]
	v_add_f64 v[2:3], v[10:11], v[2:3]
	v_add_f64 v[10:11], v[240:241], 0
	;; [unrolled: 1-line block ×6, first 2 shown]
	scratch_load_dwordx4 v[216:219], off, off offset:336
	v_add_f64 v[10:11], v[10:11], v[250:251]
	v_add_f64 v[10:11], v[10:11], v[252:253]
	;; [unrolled: 1-line block ×8, first 2 shown]
	v_accvgpr_read_b32 v6, a128
	v_accvgpr_read_b32 v8, a130
	;; [unrolled: 1-line block ×4, first 2 shown]
	v_mul_f64 v[4:5], v[46:47], v[8:9]
	v_fma_f64 v[4:5], v[44:45], v[6:7], -v[4:5]
	v_accvgpr_read_b32 v6, a132
	v_accvgpr_read_b32 v8, a134
	;; [unrolled: 1-line block ×3, first 2 shown]
	v_add_f64 v[0:1], v[0:1], v[4:5]
	v_accvgpr_read_b32 v7, a133
	v_mul_f64 v[4:5], v[42:43], v[8:9]
	v_fma_f64 v[4:5], v[40:41], v[6:7], -v[4:5]
	v_add_f64 v[0:1], v[0:1], v[4:5]
	v_mul_f64 v[4:5], v[34:35], v[14:15]
	v_fma_f64 v[4:5], v[32:33], v[12:13], -v[4:5]
	v_add_f64 v[0:1], v[0:1], v[4:5]
	;; [unrolled: 3-line block ×28, first 2 shown]
	s_waitcnt vmcnt(0)
	v_add_f64 v[4:5], v[216:217], -v[0:1]
	v_add_f64 v[6:7], v[218:219], -v[2:3]
	scratch_store_dwordx4 off, v[4:7], off offset:336
	s_and_saveexec_b64 s[0:1], vcc
	s_cbranch_execz .LBB126_365
; %bb.364:
	scratch_load_dwordx4 v[2:5], off, s70
	v_mov_b32_e32 v6, 0
	v_mov_b32_e32 v7, v6
	;; [unrolled: 1-line block ×4, first 2 shown]
	v_accvgpr_read_b32 v0, a1
	scratch_store_dwordx4 off, v[6:9], off offset:320
	s_waitcnt vmcnt(1)
	ds_write_b128 v0, v[2:5]
.LBB126_365:
	s_or_b64 exec, exec, s[0:1]
	s_waitcnt lgkmcnt(0)
	; wave barrier
	scratch_load_dwordx4 v[96:99], off, off offset:336
	scratch_load_dwordx4 v[100:103], off, off offset:352
	;; [unrolled: 1-line block ×30, first 2 shown]
	v_mov_b32_e32 v2, 0
	ds_read_b128 v[136:139], v2 offset:1328
	ds_read_b128 v[144:147], v2 offset:1344
	;; [unrolled: 1-line block ×20, first 2 shown]
	v_cmp_lt_u32_e32 vcc, 18, v254
	s_waitcnt vmcnt(29) lgkmcnt(14)
	v_mul_f64 v[0:1], v[136:137], v[98:99]
	s_waitcnt vmcnt(28)
	v_mul_f64 v[72:73], v[144:145], v[102:103]
	v_fmac_f64_e32 v[0:1], v[138:139], v[96:97]
	s_waitcnt vmcnt(27)
	v_mul_f64 v[74:75], v[148:149], v[106:107]
	v_fmac_f64_e32 v[72:73], v[146:147], v[100:101]
	v_add_f64 v[0:1], v[0:1], 0
	s_waitcnt vmcnt(26)
	v_mul_f64 v[76:77], v[164:165], v[110:111]
	v_fmac_f64_e32 v[74:75], v[150:151], v[104:105]
	v_add_f64 v[0:1], v[0:1], v[72:73]
	;; [unrolled: 4-line block ×4, first 2 shown]
	s_waitcnt vmcnt(23) lgkmcnt(13)
	v_mul_f64 v[82:83], v[200:201], v[158:159]
	v_fmac_f64_e32 v[80:81], v[190:191], v[152:153]
	v_add_f64 v[0:1], v[0:1], v[78:79]
	s_waitcnt vmcnt(22) lgkmcnt(12)
	v_mul_f64 v[84:85], v[208:209], v[162:163]
	v_fmac_f64_e32 v[82:83], v[202:203], v[156:157]
	v_add_f64 v[0:1], v[0:1], v[80:81]
	;; [unrolled: 4-line block ×9, first 2 shown]
	s_waitcnt vmcnt(14) lgkmcnt(4)
	v_mul_f64 v[120:121], v[68:69], v[6:7]
	v_fmac_f64_e32 v[118:119], v[252:253], v[204:205]
	v_accvgpr_write_b32 a131, v7
	v_add_f64 v[0:1], v[0:1], v[116:117]
	v_fmac_f64_e32 v[120:121], v[70:71], v[4:5]
	v_accvgpr_write_b32 a130, v6
	v_accvgpr_write_b32 a129, v5
	;; [unrolled: 1-line block ×3, first 2 shown]
	v_add_f64 v[0:1], v[0:1], v[118:119]
	ds_read_b128 v[116:119], v2 offset:1600
	s_waitcnt vmcnt(13)
	v_mov_b64_e32 v[4:5], v[8:9]
	v_mov_b64_e32 v[6:7], v[10:11]
	s_waitcnt lgkmcnt(4)
	v_mul_f64 v[76:77], v[64:65], v[6:7]
	scratch_load_dwordx4 v[72:75], off, off offset:816
	v_add_f64 v[0:1], v[0:1], v[120:121]
	v_fmac_f64_e32 v[76:77], v[66:67], v[4:5]
	s_waitcnt vmcnt(13)
	v_mov_b64_e32 v[4:5], v[12:13]
	v_add_f64 v[0:1], v[0:1], v[76:77]
	v_mov_b64_e32 v[6:7], v[14:15]
	scratch_load_dwordx4 v[76:79], off, off offset:832
	ds_read_b128 v[120:123], v2 offset:1616
	s_waitcnt lgkmcnt(1)
	v_mul_f64 v[80:81], v[116:117], v[6:7]
	v_fmac_f64_e32 v[80:81], v[118:119], v[4:5]
	v_add_f64 v[0:1], v[0:1], v[80:81]
	scratch_load_dwordx4 v[80:83], off, off offset:848
	s_waitcnt vmcnt(14) lgkmcnt(0)
	v_mul_f64 v[84:85], v[120:121], v[236:237]
	v_fmac_f64_e32 v[84:85], v[122:123], v[234:235]
	s_waitcnt vmcnt(13)
	v_mul_f64 v[88:89], v[124:125], v[22:23]
	v_add_f64 v[0:1], v[0:1], v[84:85]
	v_fmac_f64_e32 v[88:89], v[126:127], v[20:21]
	scratch_load_dwordx4 v[84:87], off, off offset:864
	v_add_f64 v[0:1], v[0:1], v[88:89]
	s_waitcnt vmcnt(13)
	v_mul_f64 v[88:89], v[128:129], v[26:27]
	v_fmac_f64_e32 v[88:89], v[130:131], v[24:25]
	v_add_f64 v[0:1], v[0:1], v[88:89]
	scratch_load_dwordx4 v[88:91], off, off offset:880
	s_waitcnt vmcnt(13)
	v_mul_f64 v[92:93], v[132:133], v[30:31]
	v_fmac_f64_e32 v[92:93], v[134:135], v[28:29]
	v_add_f64 v[0:1], v[0:1], v[92:93]
	scratch_load_dwordx4 v[92:95], off, off offset:896
	v_mul_f64 v[98:99], v[138:139], v[98:99]
	v_fma_f64 v[240:241], v[136:137], v[96:97], -v[98:99]
	v_mul_f64 v[96:97], v[146:147], v[102:103]
	ds_read_b128 v[140:143], v2 offset:1680
	ds_read_b128 v[136:139], v2 offset:1696
	v_fma_f64 v[242:243], v[144:145], v[100:101], -v[96:97]
	scratch_load_dwordx4 v[100:103], off, off offset:912
	scratch_load_dwordx4 v[96:99], off, off offset:928
	v_mul_f64 v[106:107], v[150:151], v[106:107]
	v_fma_f64 v[244:245], v[148:149], v[104:105], -v[106:107]
	v_mul_f64 v[104:105], v[166:167], v[110:111]
	v_fma_f64 v[232:233], v[164:165], v[108:109], -v[104:105]
	scratch_load_dwordx4 v[104:107], off, off offset:944
	v_mul_f64 v[108:109], v[178:179], v[114:115]
	v_fma_f64 v[16:17], v[176:177], v[112:113], -v[108:109]
	scratch_load_dwordx4 v[108:111], off, off offset:960
	scratch_load_dwordx4 v[112:115], off, off offset:976
	s_waitcnt vmcnt(18) lgkmcnt(1)
	v_mul_f64 v[144:145], v[140:141], v[34:35]
	v_fmac_f64_e32 v[144:145], v[142:143], v[32:33]
	v_add_f64 v[0:1], v[0:1], v[144:145]
	s_waitcnt vmcnt(17) lgkmcnt(0)
	v_mul_f64 v[144:145], v[136:137], v[38:39]
	v_fmac_f64_e32 v[144:145], v[138:139], v[36:37]
	v_add_f64 v[0:1], v[0:1], v[144:145]
	ds_read_b128 v[144:147], v2 offset:1712
	ds_read_b128 v[148:151], v2 offset:1728
	v_accvgpr_write_b32 a139, v15
	v_accvgpr_write_b32 a138, v14
	;; [unrolled: 1-line block ×3, first 2 shown]
	s_waitcnt vmcnt(16) lgkmcnt(1)
	v_mul_f64 v[6:7], v[144:145], v[42:43]
	v_fmac_f64_e32 v[6:7], v[146:147], v[40:41]
	v_add_f64 v[0:1], v[0:1], v[6:7]
	v_mul_f64 v[6:7], v[190:191], v[154:155]
	v_accvgpr_write_b32 a136, v12
	v_fma_f64 v[12:13], v[188:189], v[152:153], -v[6:7]
	ds_read_b128 v[152:155], v2 offset:1744
	s_waitcnt vmcnt(15) lgkmcnt(1)
	v_mul_f64 v[6:7], v[148:149], v[46:47]
	v_fmac_f64_e32 v[6:7], v[150:151], v[44:45]
	v_accvgpr_write_b32 a135, v11
	v_add_f64 v[0:1], v[0:1], v[6:7]
	v_mul_f64 v[6:7], v[202:203], v[158:159]
	v_accvgpr_write_b32 a134, v10
	v_accvgpr_write_b32 a133, v9
	;; [unrolled: 1-line block ×3, first 2 shown]
	v_fma_f64 v[10:11], v[200:201], v[156:157], -v[6:7]
	ds_read_b128 v[156:159], v2 offset:1760
	s_waitcnt vmcnt(14) lgkmcnt(1)
	v_mul_f64 v[6:7], v[152:153], v[50:51]
	v_fmac_f64_e32 v[6:7], v[154:155], v[48:49]
	v_add_f64 v[0:1], v[0:1], v[6:7]
	v_mul_f64 v[6:7], v[210:211], v[162:163]
	v_fma_f64 v[8:9], v[208:209], v[160:161], -v[6:7]
	ds_read_b128 v[160:163], v2 offset:1776
	ds_read_b128 v[164:167], v2 offset:1792
	s_waitcnt vmcnt(13) lgkmcnt(2)
	v_mul_f64 v[6:7], v[156:157], v[54:55]
	v_fmac_f64_e32 v[6:7], v[158:159], v[52:53]
	v_add_f64 v[0:1], v[0:1], v[6:7]
	s_waitcnt vmcnt(12) lgkmcnt(1)
	v_mul_f64 v[6:7], v[160:161], v[62:63]
	v_fmac_f64_e32 v[6:7], v[162:163], v[60:61]
	v_add_f64 v[0:1], v[0:1], v[6:7]
	v_mul_f64 v[6:7], v[214:215], v[170:171]
	v_fma_f64 v[14:15], v[212:213], v[168:169], -v[6:7]
	s_waitcnt vmcnt(11) lgkmcnt(0)
	v_mul_f64 v[6:7], v[164:165], v[58:59]
	v_fmac_f64_e32 v[6:7], v[166:167], v[56:57]
	ds_read_b128 v[168:171], v2 offset:1808
	v_add_f64 v[0:1], v[0:1], v[6:7]
	v_mul_f64 v[6:7], v[218:219], v[174:175]
	v_fma_f64 v[4:5], v[216:217], v[172:173], -v[6:7]
	ds_read_b128 v[172:175], v2 offset:1824
	s_waitcnt vmcnt(10) lgkmcnt(1)
	v_mul_f64 v[6:7], v[168:169], v[74:75]
	ds_read_b128 v[176:179], v2 offset:1840
	v_fmac_f64_e32 v[6:7], v[170:171], v[72:73]
	v_add_f64 v[0:1], v[0:1], v[6:7]
	s_waitcnt vmcnt(9) lgkmcnt(1)
	v_mul_f64 v[6:7], v[172:173], v[78:79]
	v_fmac_f64_e32 v[6:7], v[174:175], v[76:77]
	v_add_f64 v[0:1], v[0:1], v[6:7]
	v_mul_f64 v[6:7], v[222:223], v[182:183]
	v_fma_f64 v[18:19], v[220:221], v[180:181], -v[6:7]
	ds_read_b128 v[180:183], v2 offset:1856
	s_waitcnt vmcnt(8) lgkmcnt(1)
	v_mul_f64 v[6:7], v[176:177], v[82:83]
	v_fmac_f64_e32 v[6:7], v[178:179], v[80:81]
	v_add_f64 v[0:1], v[0:1], v[6:7]
	v_mul_f64 v[6:7], v[226:227], v[186:187]
	v_fma_f64 v[6:7], v[224:225], v[184:185], -v[6:7]
	ds_read_b128 v[184:187], v2 offset:1872
	s_waitcnt vmcnt(7) lgkmcnt(1)
	v_mul_f64 v[188:189], v[180:181], v[86:87]
	v_fmac_f64_e32 v[188:189], v[182:183], v[84:85]
	v_add_f64 v[0:1], v[0:1], v[188:189]
	ds_read_b128 v[188:191], v2 offset:1888
	s_waitcnt vmcnt(6) lgkmcnt(1)
	v_mul_f64 v[200:201], v[184:185], v[90:91]
	v_fmac_f64_e32 v[200:201], v[186:187], v[88:89]
	v_add_f64 v[200:201], v[0:1], v[200:201]
	v_mul_f64 v[0:1], v[230:231], v[194:195]
	v_fma_f64 v[0:1], v[228:229], v[192:193], -v[0:1]
	ds_read_b128 v[192:195], v2 offset:1904
	s_waitcnt vmcnt(5) lgkmcnt(1)
	v_mul_f64 v[202:203], v[188:189], v[94:95]
	v_fmac_f64_e32 v[202:203], v[190:191], v[92:93]
	v_mul_f64 v[198:199], v[248:249], v[198:199]
	v_fma_f64 v[238:239], v[246:247], v[196:197], -v[198:199]
	ds_read_b128 v[196:199], v2 offset:1920
	v_add_f64 v[200:201], v[200:201], v[202:203]
	s_waitcnt vmcnt(4) lgkmcnt(1)
	v_mul_f64 v[202:203], v[192:193], v[102:103]
	v_fmac_f64_e32 v[202:203], v[194:195], v[100:101]
	v_add_f64 v[208:209], v[200:201], v[202:203]
	ds_read_b128 v[200:203], v2 offset:1936
	v_mul_f64 v[206:207], v[252:253], v[206:207]
	v_fma_f64 v[246:247], v[250:251], v[204:205], -v[206:207]
	ds_read_b128 v[204:207], v2 offset:1952
	s_waitcnt vmcnt(3) lgkmcnt(2)
	v_mul_f64 v[210:211], v[196:197], v[98:99]
	v_fmac_f64_e32 v[210:211], v[198:199], v[96:97]
	v_add_f64 v[208:209], v[208:209], v[210:211]
	s_waitcnt vmcnt(2) lgkmcnt(1)
	v_mul_f64 v[210:211], v[200:201], v[106:107]
	v_fmac_f64_e32 v[210:211], v[202:203], v[104:105]
	v_add_f64 v[208:209], v[208:209], v[210:211]
	;; [unrolled: 4-line block ×3, first 2 shown]
	ds_read_b128 v[208:211], v2 offset:1968
	ds_read_b128 v[216:219], v2 offset:1984
	;; [unrolled: 1-line block ×3, first 2 shown]
	s_waitcnt vmcnt(0) lgkmcnt(2)
	v_mul_f64 v[214:215], v[208:209], v[114:115]
	v_fmac_f64_e32 v[214:215], v[210:211], v[112:113]
	v_add_f64 v[220:221], v[212:213], v[214:215]
	scratch_load_dwordx4 v[212:215], off, off offset:992
	s_waitcnt vmcnt(0) lgkmcnt(1)
	v_mul_f64 v[222:223], v[216:217], v[214:215]
	v_fmac_f64_e32 v[222:223], v[218:219], v[212:213]
	v_add_f64 v[228:229], v[220:221], v[222:223]
	scratch_load_dwordx4 v[220:223], off, off offset:1008
	s_waitcnt vmcnt(0) lgkmcnt(0)
	v_mul_f64 v[230:231], v[224:225], v[222:223]
	v_fmac_f64_e32 v[230:231], v[226:227], v[220:221]
	v_add_f64 v[250:251], v[228:229], v[230:231]
	v_add_f64 v[228:229], v[240:241], 0
	;; [unrolled: 1-line block ×6, first 2 shown]
	scratch_load_dwordx4 v[228:231], off, off offset:320
	v_add_f64 v[12:13], v[16:17], v[12:13]
	v_add_f64 v[10:11], v[12:13], v[10:11]
	;; [unrolled: 1-line block ×7, first 2 shown]
	v_accvgpr_read_b32 v6, a128
	v_accvgpr_read_b32 v8, a130
	;; [unrolled: 1-line block ×3, first 2 shown]
	v_add_f64 v[0:1], v[4:5], v[0:1]
	v_accvgpr_read_b32 v7, a129
	v_mul_f64 v[4:5], v[70:71], v[8:9]
	v_add_f64 v[0:1], v[0:1], v[238:239]
	v_fma_f64 v[4:5], v[68:69], v[6:7], -v[4:5]
	v_accvgpr_read_b32 v6, a132
	v_add_f64 v[0:1], v[0:1], v[246:247]
	v_accvgpr_read_b32 v8, a134
	v_accvgpr_read_b32 v9, a135
	v_add_f64 v[0:1], v[0:1], v[4:5]
	v_accvgpr_read_b32 v7, a133
	v_mul_f64 v[4:5], v[66:67], v[8:9]
	v_fma_f64 v[4:5], v[64:65], v[6:7], -v[4:5]
	v_accvgpr_read_b32 v6, a136
	v_accvgpr_read_b32 v8, a138
	;; [unrolled: 1-line block ×3, first 2 shown]
	v_add_f64 v[0:1], v[0:1], v[4:5]
	v_accvgpr_read_b32 v7, a137
	v_mul_f64 v[4:5], v[118:119], v[8:9]
	v_fma_f64 v[4:5], v[116:117], v[6:7], -v[4:5]
	v_add_f64 v[0:1], v[0:1], v[4:5]
	v_mul_f64 v[4:5], v[122:123], v[236:237]
	v_fma_f64 v[4:5], v[120:121], v[234:235], -v[4:5]
	v_add_f64 v[0:1], v[0:1], v[4:5]
	;; [unrolled: 3-line block ×26, first 2 shown]
	s_waitcnt vmcnt(0)
	v_add_f64 v[4:5], v[228:229], -v[0:1]
	v_add_f64 v[6:7], v[230:231], -v[250:251]
	scratch_store_dwordx4 off, v[4:7], off offset:320
	s_and_saveexec_b64 s[0:1], vcc
	s_cbranch_execz .LBB126_367
; %bb.366:
	scratch_load_dwordx4 v[6:9], off, s71
	v_mov_b32_e32 v3, v2
	v_mov_b32_e32 v4, v2
	;; [unrolled: 1-line block ×3, first 2 shown]
	v_accvgpr_read_b32 v0, a1
	scratch_store_dwordx4 off, v[2:5], off offset:304
	s_waitcnt vmcnt(1)
	ds_write_b128 v0, v[6:9]
.LBB126_367:
	s_or_b64 exec, exec, s[0:1]
	s_waitcnt lgkmcnt(0)
	; wave barrier
	scratch_load_dwordx4 v[72:75], off, off offset:320
	scratch_load_dwordx4 v[76:79], off, off offset:336
	;; [unrolled: 1-line block ×17, first 2 shown]
	ds_read_b128 v[176:179], v2 offset:1312
	ds_read_b128 v[192:195], v2 offset:1328
	;; [unrolled: 1-line block ×3, first 2 shown]
	scratch_load_dwordx4 v[62:65], off, off offset:592
	ds_read_b128 v[236:239], v2 offset:1360
	ds_read_b128 v[232:235], v2 offset:1376
	;; [unrolled: 1-line block ×5, first 2 shown]
	scratch_load_dwordx4 v[58:61], off, off offset:608
	ds_read_b128 v[224:227], v2 offset:1440
	ds_read_b128 v[212:215], v2 offset:1456
	;; [unrolled: 1-line block ×3, first 2 shown]
	scratch_load_dwordx4 v[54:57], off, off offset:624
	ds_read_b128 v[216:219], v2 offset:1488
	ds_read_b128 v[204:207], v2 offset:1504
	;; [unrolled: 1-line block ×5, first 2 shown]
	scratch_load_dwordx4 v[50:53], off, off offset:640
	ds_read_b128 v[20:23], v2 offset:1568
	scratch_load_dwordx4 v[46:49], off, off offset:656
	scratch_load_dwordx4 v[38:41], off, off offset:672
	;; [unrolled: 1-line block ×9, first 2 shown]
	ds_read_b128 v[132:135], v2 offset:1584
	ds_read_b128 v[172:175], v2 offset:1648
	s_waitcnt lgkmcnt(3)
	v_accvgpr_write_b32 a135, v19
	s_waitcnt lgkmcnt(2)
	v_accvgpr_write_b32 a163, v23
	v_accvgpr_write_b32 a162, v22
	;; [unrolled: 1-line block ×7, first 2 shown]
	v_cmp_lt_u32_e32 vcc, 17, v254
	ds_read_b128 v[168:171], v2 offset:1632
	s_waitcnt vmcnt(29)
	v_mul_f64 v[0:1], v[176:177], v[74:75]
	s_waitcnt vmcnt(28)
	v_mul_f64 v[136:137], v[192:193], v[78:79]
	v_fmac_f64_e32 v[0:1], v[178:179], v[72:73]
	s_waitcnt vmcnt(27)
	v_mul_f64 v[138:139], v[188:189], v[82:83]
	v_fmac_f64_e32 v[136:137], v[194:195], v[76:77]
	v_add_f64 v[0:1], v[0:1], 0
	s_waitcnt vmcnt(26)
	v_mul_f64 v[140:141], v[236:237], v[86:87]
	v_fmac_f64_e32 v[138:139], v[190:191], v[80:81]
	v_add_f64 v[0:1], v[0:1], v[136:137]
	;; [unrolled: 4-line block ×11, first 2 shown]
	scratch_load_dwordx4 v[136:139], off, off offset:800
	s_waitcnt vmcnt(17)
	v_mul_f64 v[160:161], v[196:197], v[126:127]
	v_fmac_f64_e32 v[158:159], v[206:207], v[120:121]
	v_add_f64 v[0:1], v[0:1], v[156:157]
	s_waitcnt vmcnt(16)
	v_mul_f64 v[162:163], v[184:185], v[130:131]
	v_fmac_f64_e32 v[160:161], v[198:199], v[124:125]
	v_add_f64 v[0:1], v[0:1], v[158:159]
	;; [unrolled: 4-line block ×3, first 2 shown]
	v_fmac_f64_e32 v[164:165], v[18:19], v[4:5]
	v_add_f64 v[0:1], v[0:1], v[162:163]
	s_waitcnt vmcnt(14)
	v_mul_f64 v[140:141], v[20:21], v[68:69]
	v_add_f64 v[0:1], v[0:1], v[164:165]
	v_fmac_f64_e32 v[140:141], v[22:23], v[66:67]
	ds_read_b128 v[160:163], v2 offset:1600
	s_waitcnt vmcnt(13) lgkmcnt(3)
	v_mul_f64 v[144:145], v[132:133], v[64:65]
	v_add_f64 v[0:1], v[0:1], v[140:141]
	v_fmac_f64_e32 v[144:145], v[134:135], v[62:63]
	scratch_load_dwordx4 v[140:143], off, off offset:816
	ds_read_b128 v[164:167], v2 offset:1616
	v_add_f64 v[0:1], v[0:1], v[144:145]
	scratch_load_dwordx4 v[144:147], off, off offset:832
	s_waitcnt vmcnt(14) lgkmcnt(1)
	v_mul_f64 v[148:149], v[160:161], v[60:61]
	v_fmac_f64_e32 v[148:149], v[162:163], v[58:59]
	s_waitcnt vmcnt(13) lgkmcnt(0)
	v_mul_f64 v[152:153], v[164:165], v[56:57]
	v_add_f64 v[0:1], v[0:1], v[148:149]
	v_fmac_f64_e32 v[152:153], v[166:167], v[54:55]
	scratch_load_dwordx4 v[148:151], off, off offset:848
	v_add_f64 v[0:1], v[0:1], v[152:153]
	s_waitcnt vmcnt(13)
	v_mul_f64 v[152:153], v[168:169], v[52:53]
	v_fmac_f64_e32 v[152:153], v[170:171], v[50:51]
	v_add_f64 v[0:1], v[0:1], v[152:153]
	scratch_load_dwordx4 v[152:155], off, off offset:864
	s_waitcnt vmcnt(13)
	v_mul_f64 v[156:157], v[172:173], v[48:49]
	v_fmac_f64_e32 v[156:157], v[174:175], v[46:47]
	v_mul_f64 v[74:75], v[178:179], v[74:75]
	v_add_f64 v[0:1], v[0:1], v[156:157]
	scratch_load_dwordx4 v[156:159], off, off offset:880
	v_fma_f64 v[240:241], v[176:177], v[72:73], -v[74:75]
	v_mul_f64 v[72:73], v[194:195], v[78:79]
	ds_read_b128 v[180:183], v2 offset:1664
	ds_read_b128 v[176:179], v2 offset:1680
	v_fma_f64 v[242:243], v[192:193], v[76:77], -v[72:73]
	scratch_load_dwordx4 v[76:79], off, off offset:896
	scratch_load_dwordx4 v[72:75], off, off offset:912
	v_mul_f64 v[82:83], v[190:191], v[82:83]
	v_fma_f64 v[244:245], v[188:189], v[80:81], -v[82:83]
	v_mul_f64 v[80:81], v[238:239], v[86:87]
	v_fma_f64 v[236:237], v[236:237], v[84:85], -v[80:81]
	scratch_load_dwordx4 v[80:83], off, off offset:928
	ds_read_b128 v[188:191], v2 offset:1696
	v_mul_f64 v[84:85], v[234:235], v[90:91]
	s_waitcnt vmcnt(16) lgkmcnt(2)
	v_mul_f64 v[192:193], v[180:181], v[40:41]
	v_fma_f64 v[238:239], v[232:233], v[88:89], -v[84:85]
	scratch_load_dwordx4 v[84:87], off, off offset:944
	v_fmac_f64_e32 v[192:193], v[182:183], v[38:39]
	v_add_f64 v[0:1], v[0:1], v[192:193]
	s_waitcnt vmcnt(16) lgkmcnt(1)
	v_mul_f64 v[192:193], v[176:177], v[44:45]
	v_fmac_f64_e32 v[192:193], v[178:179], v[42:43]
	v_add_f64 v[0:1], v[0:1], v[192:193]
	ds_read_b128 v[192:195], v2 offset:1712
	s_waitcnt vmcnt(15) lgkmcnt(1)
	v_mul_f64 v[88:89], v[188:189], v[36:37]
	v_fmac_f64_e32 v[88:89], v[190:191], v[34:35]
	v_add_f64 v[0:1], v[0:1], v[88:89]
	v_mul_f64 v[88:89], v[230:231], v[94:95]
	v_fma_f64 v[250:251], v[228:229], v[92:93], -v[88:89]
	scratch_load_dwordx4 v[88:91], off, off offset:960
	scratch_load_dwordx4 v[232:235], off, off offset:1008
	ds_read_b128 v[92:95], v2 offset:1728
	v_mul_f64 v[98:99], v[222:223], v[98:99]
	v_fma_f64 v[252:253], v[220:221], v[96:97], -v[98:99]
	ds_read_b128 v[96:99], v2 offset:1744
	v_mul_f64 v[102:103], v[210:211], v[102:103]
	s_waitcnt vmcnt(16) lgkmcnt(2)
	v_mul_f64 v[228:229], v[192:193], v[32:33]
	v_fma_f64 v[246:247], v[208:209], v[100:101], -v[102:103]
	ds_read_b128 v[100:103], v2 offset:1760
	ds_read_b128 v[208:211], v2 offset:1776
	v_fmac_f64_e32 v[228:229], v[194:195], v[30:31]
	s_waitcnt vmcnt(15) lgkmcnt(3)
	v_mul_f64 v[220:221], v[92:93], v[28:29]
	s_waitcnt vmcnt(14)
	v_accvgpr_read_b32 v22, a148
	v_add_f64 v[0:1], v[0:1], v[228:229]
	v_fmac_f64_e32 v[220:221], v[94:95], v[26:27]
	v_accvgpr_read_b32 v24, a150
	v_accvgpr_read_b32 v25, a151
	v_add_f64 v[0:1], v[0:1], v[220:221]
	v_accvgpr_read_b32 v23, a149
	s_waitcnt lgkmcnt(2)
	v_mul_f64 v[220:221], v[96:97], v[24:25]
	s_waitcnt vmcnt(13)
	v_accvgpr_read_b32 v18, a156
	v_mul_f64 v[106:107], v[226:227], v[106:107]
	v_fmac_f64_e32 v[220:221], v[98:99], v[22:23]
	v_accvgpr_read_b32 v20, a158
	v_accvgpr_read_b32 v21, a159
	v_fma_f64 v[12:13], v[224:225], v[104:105], -v[106:107]
	s_waitcnt vmcnt(12)
	v_accvgpr_read_b32 v14, a152
	ds_read_b128 v[104:107], v2 offset:1792
	v_accvgpr_write_b32 a131, v7
	v_add_f64 v[0:1], v[0:1], v[220:221]
	v_accvgpr_read_b32 v19, a157
	s_waitcnt lgkmcnt(2)
	v_mul_f64 v[220:221], v[100:101], v[20:21]
	v_accvgpr_read_b32 v16, a154
	v_accvgpr_read_b32 v17, a155
	v_accvgpr_write_b32 a130, v6
	v_accvgpr_write_b32 a129, v5
	;; [unrolled: 1-line block ×3, first 2 shown]
	v_fmac_f64_e32 v[220:221], v[102:103], v[18:19]
	v_accvgpr_read_b32 v15, a153
	s_waitcnt lgkmcnt(1)
	v_mul_f64 v[6:7], v[208:209], v[16:17]
	v_add_f64 v[0:1], v[0:1], v[220:221]
	v_fmac_f64_e32 v[6:7], v[210:211], v[14:15]
	v_add_f64 v[0:1], v[0:1], v[6:7]
	v_mul_f64 v[6:7], v[214:215], v[110:111]
	v_fma_f64 v[8:9], v[212:213], v[108:109], -v[6:7]
	ds_read_b128 v[108:111], v2 offset:1808
	s_waitcnt vmcnt(11) lgkmcnt(1)
	v_mul_f64 v[212:213], v[104:105], v[138:139]
	v_fmac_f64_e32 v[212:213], v[106:107], v[136:137]
	v_add_f64 v[0:1], v[0:1], v[212:213]
	ds_read_b128 v[212:215], v2 offset:1824
	s_waitcnt vmcnt(10) lgkmcnt(1)
	v_mul_f64 v[220:221], v[108:109], v[142:143]
	v_mul_f64 v[114:115], v[202:203], v[114:115]
	v_fmac_f64_e32 v[220:221], v[110:111], v[140:141]
	v_fma_f64 v[6:7], v[200:201], v[112:113], -v[114:115]
	ds_read_b128 v[112:115], v2 offset:1840
	s_waitcnt vmcnt(9) lgkmcnt(1)
	v_mul_f64 v[10:11], v[212:213], v[146:147]
	v_add_f64 v[0:1], v[0:1], v[220:221]
	v_fmac_f64_e32 v[10:11], v[214:215], v[144:145]
	v_add_f64 v[0:1], v[0:1], v[10:11]
	v_mul_f64 v[10:11], v[218:219], v[118:119]
	v_fma_f64 v[10:11], v[216:217], v[116:117], -v[10:11]
	ds_read_b128 v[116:119], v2 offset:1856
	s_waitcnt vmcnt(8) lgkmcnt(1)
	v_mul_f64 v[200:201], v[112:113], v[150:151]
	v_fmac_f64_e32 v[200:201], v[114:115], v[148:149]
	v_add_f64 v[0:1], v[0:1], v[200:201]
	ds_read_b128 v[200:203], v2 offset:1872
	s_waitcnt vmcnt(7) lgkmcnt(1)
	v_mul_f64 v[216:217], v[116:117], v[154:155]
	v_fmac_f64_e32 v[216:217], v[118:119], v[152:153]
	v_add_f64 v[216:217], v[0:1], v[216:217]
	v_mul_f64 v[0:1], v[206:207], v[122:123]
	v_fma_f64 v[4:5], v[204:205], v[120:121], -v[0:1]
	ds_read_b128 v[120:123], v2 offset:1888
	s_waitcnt vmcnt(6) lgkmcnt(1)
	v_mul_f64 v[204:205], v[200:201], v[158:159]
	v_mul_f64 v[126:127], v[198:199], v[126:127]
	v_fmac_f64_e32 v[204:205], v[202:203], v[156:157]
	v_fma_f64 v[70:71], v[196:197], v[124:125], -v[126:127]
	ds_read_b128 v[124:127], v2 offset:1904
	s_waitcnt vmcnt(5) lgkmcnt(1)
	v_mul_f64 v[198:199], v[120:121], v[78:79]
	v_add_f64 v[196:197], v[216:217], v[204:205]
	v_fmac_f64_e32 v[198:199], v[122:123], v[76:77]
	v_add_f64 v[204:205], v[196:197], v[198:199]
	ds_read_b128 v[196:199], v2 offset:1920
	v_mul_f64 v[130:131], v[186:187], v[130:131]
	v_fma_f64 v[248:249], v[184:185], v[128:129], -v[130:131]
	ds_read_b128 v[128:131], v2 offset:1936
	s_waitcnt vmcnt(4) lgkmcnt(2)
	v_mul_f64 v[184:185], v[124:125], v[74:75]
	v_fmac_f64_e32 v[184:185], v[126:127], v[72:73]
	s_waitcnt vmcnt(3) lgkmcnt(1)
	v_mul_f64 v[186:187], v[196:197], v[82:83]
	v_add_f64 v[184:185], v[204:205], v[184:185]
	v_fmac_f64_e32 v[186:187], v[198:199], v[80:81]
	v_add_f64 v[184:185], v[184:185], v[186:187]
	s_waitcnt vmcnt(2) lgkmcnt(0)
	v_mul_f64 v[186:187], v[128:129], v[86:87]
	v_fmac_f64_e32 v[186:187], v[130:131], v[84:85]
	v_add_f64 v[204:205], v[184:185], v[186:187]
	ds_read_b128 v[184:187], v2 offset:1952
	ds_read_b128 v[216:219], v2 offset:1968
	;; [unrolled: 1-line block ×3, first 2 shown]
	s_waitcnt vmcnt(1) lgkmcnt(2)
	v_mul_f64 v[206:207], v[184:185], v[90:91]
	v_fmac_f64_e32 v[206:207], v[186:187], v[88:89]
	v_add_f64 v[220:221], v[204:205], v[206:207]
	scratch_load_dwordx4 v[204:207], off, off offset:976
	s_waitcnt vmcnt(0) lgkmcnt(1)
	v_mul_f64 v[222:223], v[216:217], v[206:207]
	v_fmac_f64_e32 v[222:223], v[218:219], v[204:205]
	v_add_f64 v[228:229], v[220:221], v[222:223]
	scratch_load_dwordx4 v[220:223], off, off offset:992
	s_waitcnt vmcnt(0) lgkmcnt(0)
	v_mul_f64 v[230:231], v[224:225], v[222:223]
	v_fmac_f64_e32 v[230:231], v[226:227], v[220:221]
	v_add_f64 v[0:1], v[228:229], v[230:231]
	ds_read_b128 v[228:231], v2 offset:2000
	s_waitcnt lgkmcnt(0)
	v_mul_f64 v[2:3], v[228:229], v[234:235]
	v_fmac_f64_e32 v[2:3], v[230:231], v[232:233]
	v_add_f64 v[2:3], v[0:1], v[2:3]
	v_add_f64 v[0:1], v[240:241], 0
	;; [unrolled: 1-line block ×6, first 2 shown]
	scratch_load_dwordx4 v[236:239], off, off offset:304
	v_add_f64 v[0:1], v[0:1], v[250:251]
	v_add_f64 v[0:1], v[0:1], v[252:253]
	;; [unrolled: 1-line block ×7, first 2 shown]
	v_accvgpr_read_b32 v6, a128
	v_accvgpr_read_b32 v10, a132
	;; [unrolled: 1-line block ×6, first 2 shown]
	v_add_f64 v[250:251], v[0:1], v[4:5]
	v_accvgpr_read_b32 v7, a129
	v_accvgpr_read_b32 v11, a133
	v_mul_f64 v[4:5], v[12:13], v[8:9]
	v_add_f64 v[0:1], v[250:251], v[70:71]
	v_fma_f64 v[4:5], v[10:11], v[6:7], -v[4:5]
	v_accvgpr_read_b32 v6, a160
	v_add_f64 v[0:1], v[0:1], v[248:249]
	v_accvgpr_read_b32 v8, a162
	v_accvgpr_read_b32 v9, a163
	v_add_f64 v[0:1], v[0:1], v[4:5]
	v_accvgpr_read_b32 v7, a161
	v_mul_f64 v[4:5], v[8:9], v[68:69]
	v_fma_f64 v[4:5], v[6:7], v[66:67], -v[4:5]
	v_add_f64 v[0:1], v[0:1], v[4:5]
	v_mul_f64 v[4:5], v[134:135], v[64:65]
	v_fma_f64 v[4:5], v[132:133], v[62:63], -v[4:5]
	v_add_f64 v[0:1], v[0:1], v[4:5]
	;; [unrolled: 3-line block ×28, first 2 shown]
	s_waitcnt vmcnt(0)
	v_add_f64 v[4:5], v[236:237], -v[0:1]
	v_add_f64 v[6:7], v[238:239], -v[2:3]
	scratch_store_dwordx4 off, v[4:7], off offset:304
	s_and_saveexec_b64 s[0:1], vcc
	s_cbranch_execz .LBB126_369
; %bb.368:
	scratch_load_dwordx4 v[2:5], off, s72
	v_mov_b32_e32 v6, 0
	v_mov_b32_e32 v7, v6
	;; [unrolled: 1-line block ×4, first 2 shown]
	v_accvgpr_read_b32 v0, a1
	scratch_store_dwordx4 off, v[6:9], off offset:288
	s_waitcnt vmcnt(1)
	ds_write_b128 v0, v[2:5]
.LBB126_369:
	s_or_b64 exec, exec, s[0:1]
	s_waitcnt lgkmcnt(0)
	; wave barrier
	scratch_load_dwordx4 v[80:83], off, off offset:304
	scratch_load_dwordx4 v[84:87], off, off offset:320
	scratch_load_dwordx4 v[88:91], off, off offset:336
	scratch_load_dwordx4 v[92:95], off, off offset:352
	scratch_load_dwordx4 v[96:99], off, off offset:368
	scratch_load_dwordx4 v[100:103], off, off offset:384
	scratch_load_dwordx4 v[104:107], off, off offset:400
	scratch_load_dwordx4 v[144:147], off, off offset:416
	scratch_load_dwordx4 v[152:155], off, off offset:432
	scratch_load_dwordx4 v[156:159], off, off offset:448
	scratch_load_dwordx4 v[164:167], off, off offset:464
	scratch_load_dwordx4 v[168:171], off, off offset:480
	scratch_load_dwordx4 v[176:179], off, off offset:496
	scratch_load_dwordx4 v[180:183], off, off offset:512
	scratch_load_dwordx4 v[188:191], off, off offset:528
	scratch_load_dwordx4 v[192:195], off, off offset:544
	scratch_load_dwordx4 v[200:203], off, off offset:560
	scratch_load_dwordx4 v[4:7], off, off offset:576
	scratch_load_dwordx4 v[8:11], off, off offset:592
	scratch_load_dwordx4 v[12:15], off, off offset:608
	scratch_load_dwordx4 v[16:19], off, off offset:624
	scratch_load_dwordx4 v[234:237], off, off offset:640
	scratch_load_dwordx4 v[24:27], off, off offset:656
	scratch_load_dwordx4 v[28:31], off, off offset:672
	scratch_load_dwordx4 v[32:35], off, off offset:688
	scratch_load_dwordx4 v[36:39], off, off offset:704
	scratch_load_dwordx4 v[40:43], off, off offset:720
	scratch_load_dwordx4 v[44:47], off, off offset:736
	scratch_load_dwordx4 v[48:51], off, off offset:752
	v_mov_b32_e32 v2, 0
	ds_read_b128 v[132:135], v2 offset:1296
	ds_read_b128 v[136:139], v2 offset:1312
	;; [unrolled: 1-line block ×22, first 2 shown]
	v_cmp_lt_u32_e32 vcc, 16, v254
	s_waitcnt vmcnt(28) lgkmcnt(14)
	v_mul_f64 v[0:1], v[132:133], v[82:83]
	s_waitcnt vmcnt(27)
	v_mul_f64 v[56:57], v[136:137], v[86:87]
	v_fmac_f64_e32 v[0:1], v[134:135], v[80:81]
	s_waitcnt vmcnt(26)
	v_mul_f64 v[58:59], v[140:141], v[90:91]
	v_fmac_f64_e32 v[56:57], v[138:139], v[84:85]
	v_add_f64 v[0:1], v[0:1], 0
	s_waitcnt vmcnt(25)
	v_mul_f64 v[60:61], v[148:149], v[94:95]
	v_fmac_f64_e32 v[58:59], v[142:143], v[88:89]
	v_add_f64 v[0:1], v[0:1], v[56:57]
	;; [unrolled: 4-line block ×6, first 2 shown]
	s_waitcnt vmcnt(20) lgkmcnt(13)
	v_mul_f64 v[70:71], v[204:205], v[154:155]
	v_fmac_f64_e32 v[68:69], v[198:199], v[144:145]
	v_add_f64 v[0:1], v[0:1], v[66:67]
	s_waitcnt vmcnt(19) lgkmcnt(12)
	v_mul_f64 v[72:73], v[208:209], v[158:159]
	v_fmac_f64_e32 v[70:71], v[206:207], v[152:153]
	v_add_f64 v[0:1], v[0:1], v[68:69]
	;; [unrolled: 4-line block ×8, first 2 shown]
	v_fmac_f64_e32 v[112:113], v[248:249], v[192:193]
	v_add_f64 v[0:1], v[0:1], v[110:111]
	s_waitcnt vmcnt(12) lgkmcnt(5)
	v_mul_f64 v[60:61], v[250:251], v[202:203]
	scratch_load_dwordx4 v[56:59], off, off offset:768
	ds_read_b128 v[108:111], v2 offset:1584
	v_add_f64 v[0:1], v[0:1], v[112:113]
	v_fmac_f64_e32 v[60:61], v[252:253], v[200:201]
	v_add_f64 v[0:1], v[0:1], v[60:61]
	s_waitcnt vmcnt(12) lgkmcnt(5)
	v_mul_f64 v[64:65], v[52:53], v[6:7]
	scratch_load_dwordx4 v[60:63], off, off offset:784
	v_accvgpr_write_b32 a131, v7
	v_fmac_f64_e32 v[64:65], v[54:55], v[4:5]
	v_accvgpr_write_b32 a130, v6
	v_accvgpr_write_b32 a129, v5
	;; [unrolled: 1-line block ×3, first 2 shown]
	ds_read_b128 v[112:115], v2 offset:1600
	s_waitcnt vmcnt(12)
	v_mov_b64_e32 v[4:5], v[8:9]
	v_mov_b64_e32 v[6:7], v[10:11]
	s_waitcnt lgkmcnt(1)
	v_mul_f64 v[68:69], v[108:109], v[6:7]
	v_fmac_f64_e32 v[68:69], v[110:111], v[4:5]
	s_waitcnt vmcnt(11)
	v_mov_b64_e32 v[4:5], v[12:13]
	v_add_f64 v[0:1], v[0:1], v[64:65]
	v_mov_b64_e32 v[6:7], v[14:15]
	scratch_load_dwordx4 v[64:67], off, off offset:800
	v_add_f64 v[0:1], v[0:1], v[68:69]
	s_waitcnt lgkmcnt(0)
	v_mul_f64 v[68:69], v[112:113], v[6:7]
	v_fmac_f64_e32 v[68:69], v[114:115], v[4:5]
	s_waitcnt vmcnt(11)
	v_mov_b64_e32 v[4:5], v[16:17]
	v_add_f64 v[0:1], v[0:1], v[68:69]
	scratch_load_dwordx4 v[68:71], off, off offset:816
	v_mov_b64_e32 v[6:7], v[18:19]
	v_mul_f64 v[76:77], v[116:117], v[6:7]
	scratch_load_dwordx4 v[72:75], off, off offset:832
	v_fmac_f64_e32 v[76:77], v[118:119], v[4:5]
	v_add_f64 v[0:1], v[0:1], v[76:77]
	s_waitcnt vmcnt(12)
	v_mul_f64 v[76:77], v[120:121], v[236:237]
	v_fmac_f64_e32 v[76:77], v[122:123], v[234:235]
	v_add_f64 v[0:1], v[0:1], v[76:77]
	scratch_load_dwordx4 v[76:79], off, off offset:848
	v_mul_f64 v[82:83], v[134:135], v[82:83]
	v_fma_f64 v[240:241], v[132:133], v[80:81], -v[82:83]
	scratch_load_dwordx4 v[80:83], off, off offset:864
	v_mul_f64 v[86:87], v[138:139], v[86:87]
	v_fma_f64 v[242:243], v[136:137], v[84:85], -v[86:87]
	scratch_load_dwordx4 v[84:87], off, off offset:880
	v_mul_f64 v[90:91], v[142:143], v[90:91]
	s_waitcnt vmcnt(14)
	v_mul_f64 v[132:133], v[124:125], v[26:27]
	v_fma_f64 v[244:245], v[140:141], v[88:89], -v[90:91]
	scratch_load_dwordx4 v[88:91], off, off offset:896
	v_fmac_f64_e32 v[132:133], v[126:127], v[24:25]
	s_waitcnt vmcnt(14)
	v_mul_f64 v[136:137], v[128:129], v[30:31]
	v_mul_f64 v[94:95], v[150:151], v[94:95]
	v_add_f64 v[0:1], v[0:1], v[132:133]
	v_fmac_f64_e32 v[136:137], v[130:131], v[28:29]
	v_fma_f64 v[232:233], v[148:149], v[92:93], -v[94:95]
	v_mul_f64 v[92:93], v[162:163], v[98:99]
	ds_read_b128 v[132:135], v2 offset:1680
	v_add_f64 v[0:1], v[0:1], v[136:137]
	ds_read_b128 v[136:139], v2 offset:1696
	v_fma_f64 v[20:21], v[160:161], v[96:97], -v[92:93]
	scratch_load_dwordx4 v[96:99], off, off offset:912
	scratch_load_dwordx4 v[92:95], off, off offset:928
	v_accvgpr_write_b32 a135, v11
	v_accvgpr_write_b32 a143, v19
	v_mul_f64 v[102:103], v[174:175], v[102:103]
	v_accvgpr_write_b32 a134, v10
	v_accvgpr_write_b32 a133, v9
	;; [unrolled: 1-line block ×7, first 2 shown]
	v_fma_f64 v[16:17], v[172:173], v[100:101], -v[102:103]
	scratch_load_dwordx4 v[100:103], off, off offset:944
	v_mul_f64 v[10:11], v[186:187], v[106:107]
	v_accvgpr_write_b32 a138, v14
	v_accvgpr_write_b32 a137, v13
	;; [unrolled: 1-line block ×3, first 2 shown]
	v_fma_f64 v[12:13], v[184:185], v[104:105], -v[10:11]
	v_mul_f64 v[104:105], v[198:199], v[146:147]
	v_fma_f64 v[10:11], v[196:197], v[144:145], -v[104:105]
	scratch_load_dwordx4 v[104:107], off, off offset:960
	s_waitcnt vmcnt(17) lgkmcnt(1)
	v_mul_f64 v[140:141], v[132:133], v[34:35]
	v_fmac_f64_e32 v[140:141], v[134:135], v[32:33]
	v_add_f64 v[0:1], v[0:1], v[140:141]
	ds_read_b128 v[140:143], v2 offset:1712
	ds_read_b128 v[144:147], v2 offset:1728
	s_waitcnt vmcnt(16) lgkmcnt(2)
	v_mul_f64 v[6:7], v[136:137], v[38:39]
	v_fmac_f64_e32 v[6:7], v[138:139], v[36:37]
	v_add_f64 v[0:1], v[0:1], v[6:7]
	s_waitcnt vmcnt(15) lgkmcnt(1)
	v_mul_f64 v[6:7], v[140:141], v[42:43]
	ds_read_b128 v[148:151], v2 offset:1744
	v_fmac_f64_e32 v[6:7], v[142:143], v[40:41]
	v_add_f64 v[0:1], v[0:1], v[6:7]
	s_waitcnt vmcnt(14) lgkmcnt(1)
	v_mul_f64 v[6:7], v[144:145], v[46:47]
	v_fmac_f64_e32 v[6:7], v[146:147], v[44:45]
	v_add_f64 v[0:1], v[0:1], v[6:7]
	v_mul_f64 v[6:7], v[206:207], v[154:155]
	v_fma_f64 v[14:15], v[204:205], v[152:153], -v[6:7]
	ds_read_b128 v[152:155], v2 offset:1760
	s_waitcnt vmcnt(13) lgkmcnt(1)
	v_mul_f64 v[6:7], v[148:149], v[50:51]
	v_fmac_f64_e32 v[6:7], v[150:151], v[48:49]
	v_add_f64 v[0:1], v[0:1], v[6:7]
	v_mul_f64 v[6:7], v[210:211], v[158:159]
	v_fma_f64 v[8:9], v[208:209], v[156:157], -v[6:7]
	ds_read_b128 v[156:159], v2 offset:1776
	ds_read_b128 v[160:163], v2 offset:1792
	s_waitcnt vmcnt(12) lgkmcnt(2)
	v_mul_f64 v[6:7], v[152:153], v[58:59]
	v_fmac_f64_e32 v[6:7], v[154:155], v[56:57]
	v_add_f64 v[0:1], v[0:1], v[6:7]
	s_waitcnt vmcnt(11) lgkmcnt(1)
	v_mul_f64 v[6:7], v[156:157], v[62:63]
	v_fmac_f64_e32 v[6:7], v[158:159], v[60:61]
	v_add_f64 v[0:1], v[0:1], v[6:7]
	v_mul_f64 v[6:7], v[214:215], v[166:167]
	v_fma_f64 v[18:19], v[212:213], v[164:165], -v[6:7]
	ds_read_b128 v[164:167], v2 offset:1808
	v_mul_f64 v[170:171], v[218:219], v[170:171]
	v_fma_f64 v[4:5], v[216:217], v[168:169], -v[170:171]
	ds_read_b128 v[168:171], v2 offset:1824
	s_waitcnt vmcnt(10) lgkmcnt(2)
	v_mul_f64 v[6:7], v[160:161], v[66:67]
	v_fmac_f64_e32 v[6:7], v[162:163], v[64:65]
	v_add_f64 v[0:1], v[0:1], v[6:7]
	s_waitcnt vmcnt(9) lgkmcnt(1)
	v_mul_f64 v[6:7], v[164:165], v[70:71]
	ds_read_b128 v[172:175], v2 offset:1840
	v_fmac_f64_e32 v[6:7], v[166:167], v[68:69]
	v_add_f64 v[0:1], v[0:1], v[6:7]
	s_waitcnt vmcnt(8) lgkmcnt(1)
	v_mul_f64 v[6:7], v[168:169], v[74:75]
	v_fmac_f64_e32 v[6:7], v[170:171], v[72:73]
	v_add_f64 v[0:1], v[0:1], v[6:7]
	v_mul_f64 v[6:7], v[222:223], v[178:179]
	v_fma_f64 v[22:23], v[220:221], v[176:177], -v[6:7]
	ds_read_b128 v[176:179], v2 offset:1856
	s_waitcnt vmcnt(7) lgkmcnt(1)
	v_mul_f64 v[6:7], v[172:173], v[78:79]
	v_fmac_f64_e32 v[6:7], v[174:175], v[76:77]
	v_add_f64 v[0:1], v[0:1], v[6:7]
	v_mul_f64 v[6:7], v[226:227], v[182:183]
	v_fma_f64 v[6:7], v[224:225], v[180:181], -v[6:7]
	ds_read_b128 v[180:183], v2 offset:1872
	s_waitcnt vmcnt(6) lgkmcnt(1)
	v_mul_f64 v[184:185], v[176:177], v[82:83]
	v_fmac_f64_e32 v[184:185], v[178:179], v[80:81]
	v_add_f64 v[0:1], v[0:1], v[184:185]
	ds_read_b128 v[184:187], v2 offset:1888
	s_waitcnt vmcnt(5) lgkmcnt(1)
	v_mul_f64 v[196:197], v[180:181], v[86:87]
	v_fmac_f64_e32 v[196:197], v[182:183], v[84:85]
	v_add_f64 v[196:197], v[0:1], v[196:197]
	v_mul_f64 v[0:1], v[230:231], v[190:191]
	v_fma_f64 v[0:1], v[228:229], v[188:189], -v[0:1]
	ds_read_b128 v[188:191], v2 offset:1904
	s_waitcnt vmcnt(4) lgkmcnt(1)
	v_mul_f64 v[198:199], v[184:185], v[90:91]
	v_fmac_f64_e32 v[198:199], v[186:187], v[88:89]
	v_mul_f64 v[194:195], v[248:249], v[194:195]
	v_fma_f64 v[238:239], v[246:247], v[192:193], -v[194:195]
	ds_read_b128 v[192:195], v2 offset:1920
	v_add_f64 v[196:197], v[196:197], v[198:199]
	s_waitcnt vmcnt(3) lgkmcnt(1)
	v_mul_f64 v[198:199], v[188:189], v[98:99]
	v_fmac_f64_e32 v[198:199], v[190:191], v[96:97]
	v_add_f64 v[204:205], v[196:197], v[198:199]
	ds_read_b128 v[196:199], v2 offset:1936
	v_mul_f64 v[202:203], v[252:253], v[202:203]
	v_fma_f64 v[246:247], v[250:251], v[200:201], -v[202:203]
	ds_read_b128 v[200:203], v2 offset:1952
	s_waitcnt vmcnt(2) lgkmcnt(2)
	v_mul_f64 v[206:207], v[192:193], v[94:95]
	v_fmac_f64_e32 v[206:207], v[194:195], v[92:93]
	v_add_f64 v[204:205], v[204:205], v[206:207]
	s_waitcnt vmcnt(1) lgkmcnt(1)
	v_mul_f64 v[206:207], v[196:197], v[102:103]
	v_fmac_f64_e32 v[206:207], v[198:199], v[100:101]
	v_add_f64 v[204:205], v[204:205], v[206:207]
	;; [unrolled: 4-line block ×3, first 2 shown]
	scratch_load_dwordx4 v[204:207], off, off offset:976
	ds_read_b128 v[208:211], v2 offset:1968
	ds_read_b128 v[216:219], v2 offset:1984
	;; [unrolled: 1-line block ×3, first 2 shown]
	s_waitcnt vmcnt(0) lgkmcnt(2)
	v_mul_f64 v[214:215], v[208:209], v[206:207]
	v_fmac_f64_e32 v[214:215], v[210:211], v[204:205]
	v_add_f64 v[220:221], v[212:213], v[214:215]
	scratch_load_dwordx4 v[212:215], off, off offset:992
	s_waitcnt vmcnt(0) lgkmcnt(1)
	v_mul_f64 v[222:223], v[216:217], v[214:215]
	v_fmac_f64_e32 v[222:223], v[218:219], v[212:213]
	v_add_f64 v[228:229], v[220:221], v[222:223]
	scratch_load_dwordx4 v[220:223], off, off offset:1008
	s_waitcnt vmcnt(0) lgkmcnt(0)
	v_mul_f64 v[230:231], v[224:225], v[222:223]
	v_fmac_f64_e32 v[230:231], v[226:227], v[220:221]
	v_add_f64 v[250:251], v[228:229], v[230:231]
	v_add_f64 v[228:229], v[240:241], 0
	;; [unrolled: 1-line block ×6, first 2 shown]
	scratch_load_dwordx4 v[228:231], off, off offset:288
	v_add_f64 v[16:17], v[20:21], v[16:17]
	v_add_f64 v[12:13], v[16:17], v[12:13]
	;; [unrolled: 1-line block ×9, first 2 shown]
	v_accvgpr_read_b32 v6, a128
	v_accvgpr_read_b32 v8, a130
	;; [unrolled: 1-line block ×3, first 2 shown]
	v_add_f64 v[0:1], v[4:5], v[0:1]
	v_accvgpr_read_b32 v7, a129
	v_mul_f64 v[4:5], v[54:55], v[8:9]
	v_add_f64 v[0:1], v[0:1], v[238:239]
	v_fma_f64 v[4:5], v[52:53], v[6:7], -v[4:5]
	v_accvgpr_read_b32 v6, a132
	v_add_f64 v[0:1], v[0:1], v[246:247]
	v_accvgpr_read_b32 v8, a134
	v_accvgpr_read_b32 v9, a135
	v_add_f64 v[0:1], v[0:1], v[4:5]
	v_accvgpr_read_b32 v7, a133
	v_mul_f64 v[4:5], v[110:111], v[8:9]
	v_fma_f64 v[4:5], v[108:109], v[6:7], -v[4:5]
	v_accvgpr_read_b32 v6, a136
	v_accvgpr_read_b32 v8, a138
	;; [unrolled: 1-line block ×3, first 2 shown]
	v_add_f64 v[0:1], v[0:1], v[4:5]
	v_accvgpr_read_b32 v7, a137
	v_mul_f64 v[4:5], v[114:115], v[8:9]
	v_fma_f64 v[4:5], v[112:113], v[6:7], -v[4:5]
	v_accvgpr_read_b32 v6, a140
	v_accvgpr_read_b32 v8, a142
	v_accvgpr_read_b32 v9, a143
	v_add_f64 v[0:1], v[0:1], v[4:5]
	v_accvgpr_read_b32 v7, a141
	v_mul_f64 v[4:5], v[118:119], v[8:9]
	v_fma_f64 v[4:5], v[116:117], v[6:7], -v[4:5]
	v_add_f64 v[0:1], v[0:1], v[4:5]
	v_mul_f64 v[4:5], v[122:123], v[236:237]
	v_fma_f64 v[4:5], v[120:121], v[234:235], -v[4:5]
	v_add_f64 v[0:1], v[0:1], v[4:5]
	;; [unrolled: 3-line block ×25, first 2 shown]
	s_waitcnt vmcnt(0)
	v_add_f64 v[4:5], v[228:229], -v[0:1]
	v_add_f64 v[6:7], v[230:231], -v[250:251]
	scratch_store_dwordx4 off, v[4:7], off offset:288
	s_and_saveexec_b64 s[0:1], vcc
	s_cbranch_execz .LBB126_371
; %bb.370:
	scratch_load_dwordx4 v[6:9], off, s73
	v_mov_b32_e32 v3, v2
	v_mov_b32_e32 v4, v2
	;; [unrolled: 1-line block ×3, first 2 shown]
	v_accvgpr_read_b32 v0, a1
	scratch_store_dwordx4 off, v[2:5], off offset:272
	s_waitcnt vmcnt(1)
	ds_write_b128 v0, v[6:9]
.LBB126_371:
	s_or_b64 exec, exec, s[0:1]
	s_waitcnt lgkmcnt(0)
	; wave barrier
	scratch_load_dwordx4 v[80:83], off, off offset:288
	scratch_load_dwordx4 v[84:87], off, off offset:304
	;; [unrolled: 1-line block ×17, first 2 shown]
	ds_read_b128 v[136:139], v2 offset:1280
	ds_read_b128 v[132:135], v2 offset:1296
	scratch_load_dwordx4 v[4:7], off, off offset:560
	ds_read_b128 v[236:239], v2 offset:1312
	ds_read_b128 v[228:231], v2 offset:1328
	;; [unrolled: 1-line block ×5, first 2 shown]
	scratch_load_dwordx4 v[8:11], off, off offset:576
	ds_read_b128 v[232:235], v2 offset:1392
	ds_read_b128 v[216:219], v2 offset:1408
	;; [unrolled: 1-line block ×3, first 2 shown]
	scratch_load_dwordx4 v[12:15], off, off offset:592
	ds_read_b128 v[220:223], v2 offset:1440
	ds_read_b128 v[172:175], v2 offset:1456
	;; [unrolled: 1-line block ×5, first 2 shown]
	scratch_load_dwordx4 v[16:19], off, off offset:608
	ds_read_b128 v[208:211], v2 offset:1520
	ds_read_b128 v[204:207], v2 offset:1536
	;; [unrolled: 1-line block ×3, first 2 shown]
	scratch_load_dwordx4 v[24:27], off, off offset:624
	scratch_load_dwordx4 v[28:31], off, off offset:640
	;; [unrolled: 1-line block ×8, first 2 shown]
	ds_read_b128 v[116:119], v2 offset:1600
	ds_read_b128 v[120:123], v2 offset:1616
	;; [unrolled: 1-line block ×4, first 2 shown]
	v_cmp_lt_u32_e32 vcc, 15, v254
	s_waitcnt vmcnt(28) lgkmcnt(14)
	v_mul_f64 v[0:1], v[136:137], v[82:83]
	s_waitcnt vmcnt(27)
	v_mul_f64 v[56:57], v[132:133], v[86:87]
	v_fmac_f64_e32 v[0:1], v[138:139], v[80:81]
	s_waitcnt vmcnt(26)
	v_mul_f64 v[58:59], v[236:237], v[90:91]
	v_fmac_f64_e32 v[56:57], v[134:135], v[84:85]
	v_add_f64 v[0:1], v[0:1], 0
	s_waitcnt vmcnt(25)
	v_mul_f64 v[60:61], v[228:229], v[94:95]
	v_fmac_f64_e32 v[58:59], v[238:239], v[88:89]
	v_add_f64 v[0:1], v[0:1], v[56:57]
	s_waitcnt vmcnt(24)
	v_mul_f64 v[62:63], v[224:225], v[98:99]
	v_fmac_f64_e32 v[60:61], v[230:231], v[92:93]
	v_add_f64 v[0:1], v[0:1], v[58:59]
	s_waitcnt vmcnt(23)
	v_mul_f64 v[64:65], v[148:149], v[102:103]
	v_fmac_f64_e32 v[62:63], v[226:227], v[96:97]
	v_add_f64 v[0:1], v[0:1], v[60:61]
	s_waitcnt vmcnt(22)
	v_mul_f64 v[66:67], v[140:141], v[106:107]
	v_fmac_f64_e32 v[64:65], v[150:151], v[100:101]
	v_add_f64 v[0:1], v[0:1], v[62:63]
	s_waitcnt vmcnt(21)
	v_mul_f64 v[68:69], v[232:233], v[146:147]
	v_fmac_f64_e32 v[66:67], v[142:143], v[104:105]
	v_add_f64 v[0:1], v[0:1], v[64:65]
	s_waitcnt vmcnt(20) lgkmcnt(13)
	v_mul_f64 v[70:71], v[216:217], v[154:155]
	v_fmac_f64_e32 v[68:69], v[234:235], v[144:145]
	v_add_f64 v[0:1], v[0:1], v[66:67]
	s_waitcnt vmcnt(19) lgkmcnt(12)
	v_mul_f64 v[72:73], v[160:161], v[158:159]
	v_fmac_f64_e32 v[70:71], v[218:219], v[152:153]
	v_add_f64 v[0:1], v[0:1], v[68:69]
	;; [unrolled: 4-line block ×7, first 2 shown]
	v_fmac_f64_e32 v[110:111], v[198:199], v[188:189]
	v_add_f64 v[0:1], v[0:1], v[108:109]
	s_waitcnt vmcnt(13) lgkmcnt(6)
	v_mul_f64 v[112:113], v[208:209], v[194:195]
	v_add_f64 v[0:1], v[0:1], v[110:111]
	ds_read_b128 v[108:111], v2 offset:1568
	s_waitcnt vmcnt(12) lgkmcnt(6)
	v_mul_f64 v[114:115], v[204:205], v[202:203]
	v_fmac_f64_e32 v[112:113], v[210:211], v[192:193]
	scratch_load_dwordx4 v[56:59], off, off offset:752
	scratch_load_dwordx4 v[60:63], off, off offset:768
	v_add_f64 v[0:1], v[0:1], v[112:113]
	v_fmac_f64_e32 v[114:115], v[206:207], v[200:201]
	s_waitcnt vmcnt(13) lgkmcnt(5)
	v_mul_f64 v[64:65], v[20:21], v[6:7]
	v_accvgpr_write_b32 a131, v7
	v_add_f64 v[0:1], v[0:1], v[114:115]
	v_fmac_f64_e32 v[64:65], v[22:23], v[4:5]
	v_accvgpr_write_b32 a130, v6
	v_accvgpr_write_b32 a129, v5
	;; [unrolled: 1-line block ×3, first 2 shown]
	ds_read_b128 v[112:115], v2 offset:1584
	s_waitcnt vmcnt(12)
	v_mov_b64_e32 v[4:5], v[8:9]
	v_mov_b64_e32 v[6:7], v[10:11]
	s_waitcnt lgkmcnt(1)
	v_mul_f64 v[68:69], v[108:109], v[6:7]
	v_fmac_f64_e32 v[68:69], v[110:111], v[4:5]
	s_waitcnt vmcnt(11)
	v_mov_b64_e32 v[4:5], v[12:13]
	v_add_f64 v[0:1], v[0:1], v[64:65]
	v_mov_b64_e32 v[6:7], v[14:15]
	scratch_load_dwordx4 v[64:67], off, off offset:784
	v_add_f64 v[0:1], v[0:1], v[68:69]
	s_waitcnt lgkmcnt(0)
	v_mul_f64 v[68:69], v[112:113], v[6:7]
	v_fmac_f64_e32 v[68:69], v[114:115], v[4:5]
	s_waitcnt vmcnt(11)
	v_mov_b64_e32 v[4:5], v[16:17]
	v_add_f64 v[0:1], v[0:1], v[68:69]
	scratch_load_dwordx4 v[68:71], off, off offset:800
	v_mov_b64_e32 v[6:7], v[18:19]
	v_mul_f64 v[76:77], v[116:117], v[6:7]
	scratch_load_dwordx4 v[72:75], off, off offset:816
	v_fmac_f64_e32 v[76:77], v[118:119], v[4:5]
	v_add_f64 v[0:1], v[0:1], v[76:77]
	s_waitcnt vmcnt(12)
	v_mul_f64 v[76:77], v[120:121], v[26:27]
	v_fmac_f64_e32 v[76:77], v[122:123], v[24:25]
	v_add_f64 v[0:1], v[0:1], v[76:77]
	scratch_load_dwordx4 v[76:79], off, off offset:832
	v_mul_f64 v[82:83], v[138:139], v[82:83]
	v_fma_f64 v[240:241], v[136:137], v[80:81], -v[82:83]
	scratch_load_dwordx4 v[80:83], off, off offset:848
	v_mul_f64 v[86:87], v[134:135], v[86:87]
	v_fma_f64 v[242:243], v[132:133], v[84:85], -v[86:87]
	scratch_load_dwordx4 v[84:87], off, off offset:864
	s_waitcnt vmcnt(14)
	v_mul_f64 v[136:137], v[124:125], v[30:31]
	v_mul_f64 v[90:91], v[238:239], v[90:91]
	v_fmac_f64_e32 v[136:137], v[126:127], v[28:29]
	v_fma_f64 v[236:237], v[236:237], v[88:89], -v[90:91]
	scratch_load_dwordx4 v[88:91], off, off offset:880
	v_add_f64 v[0:1], v[0:1], v[136:137]
	s_waitcnt vmcnt(14)
	v_mul_f64 v[136:137], v[128:129], v[34:35]
	v_mul_f64 v[94:95], v[230:231], v[94:95]
	v_fmac_f64_e32 v[136:137], v[130:131], v[32:33]
	v_fma_f64 v[238:239], v[228:229], v[92:93], -v[94:95]
	v_mul_f64 v[92:93], v[226:227], v[98:99]
	ds_read_b128 v[132:135], v2 offset:1664
	v_add_f64 v[0:1], v[0:1], v[136:137]
	ds_read_b128 v[136:139], v2 offset:1680
	v_fma_f64 v[244:245], v[224:225], v[96:97], -v[92:93]
	scratch_load_dwordx4 v[96:99], off, off offset:896
	scratch_load_dwordx4 v[92:95], off, off offset:912
	v_mul_f64 v[102:103], v[150:151], v[102:103]
	v_fma_f64 v[250:251], v[148:149], v[100:101], -v[102:103]
	scratch_load_dwordx4 v[100:103], off, off offset:928
	v_mul_f64 v[106:107], v[142:143], v[106:107]
	v_fma_f64 v[252:253], v[140:141], v[104:105], -v[106:107]
	v_mul_f64 v[104:105], v[234:235], v[146:147]
	v_fma_f64 v[246:247], v[232:233], v[144:145], -v[104:105]
	scratch_load_dwordx4 v[104:107], off, off offset:944
	ds_read_b128 v[140:143], v2 offset:1696
	ds_read_b128 v[144:147], v2 offset:1712
	s_waitcnt vmcnt(17) lgkmcnt(3)
	v_mul_f64 v[228:229], v[132:133], v[38:39]
	v_fmac_f64_e32 v[228:229], v[134:135], v[36:37]
	s_waitcnt vmcnt(16) lgkmcnt(2)
	v_mul_f64 v[224:225], v[136:137], v[42:43]
	v_add_f64 v[0:1], v[0:1], v[228:229]
	v_fmac_f64_e32 v[224:225], v[138:139], v[40:41]
	s_waitcnt vmcnt(15) lgkmcnt(1)
	v_mul_f64 v[148:149], v[140:141], v[46:47]
	v_add_f64 v[0:1], v[0:1], v[224:225]
	v_fmac_f64_e32 v[148:149], v[142:143], v[44:45]
	v_add_f64 v[0:1], v[0:1], v[148:149]
	ds_read_b128 v[148:151], v2 offset:1728
	v_accvgpr_write_b32 a143, v19
	v_mul_f64 v[154:155], v[218:219], v[154:155]
	v_accvgpr_write_b32 a142, v18
	v_accvgpr_write_b32 a141, v17
	;; [unrolled: 1-line block ×3, first 2 shown]
	v_fma_f64 v[16:17], v[216:217], v[152:153], -v[154:155]
	ds_read_b128 v[152:155], v2 offset:1744
	s_waitcnt vmcnt(14) lgkmcnt(2)
	v_mul_f64 v[224:225], v[144:145], v[50:51]
	v_fmac_f64_e32 v[224:225], v[146:147], v[48:49]
	s_waitcnt vmcnt(13) lgkmcnt(1)
	v_mul_f64 v[6:7], v[148:149], v[54:55]
	v_add_f64 v[0:1], v[0:1], v[224:225]
	v_fmac_f64_e32 v[6:7], v[150:151], v[52:53]
	v_accvgpr_write_b32 a139, v15
	v_add_f64 v[0:1], v[0:1], v[6:7]
	v_mul_f64 v[6:7], v[162:163], v[158:159]
	v_accvgpr_write_b32 a138, v14
	v_accvgpr_write_b32 a137, v13
	;; [unrolled: 1-line block ×3, first 2 shown]
	v_fma_f64 v[12:13], v[160:161], v[156:157], -v[6:7]
	s_waitcnt vmcnt(12) lgkmcnt(0)
	v_mul_f64 v[160:161], v[152:153], v[58:59]
	ds_read_b128 v[156:159], v2 offset:1760
	v_fmac_f64_e32 v[160:161], v[154:155], v[56:57]
	v_add_f64 v[0:1], v[0:1], v[160:161]
	ds_read_b128 v[160:163], v2 offset:1776
	v_accvgpr_write_b32 a135, v11
	v_mul_f64 v[166:167], v[222:223], v[166:167]
	v_accvgpr_write_b32 a134, v10
	v_accvgpr_write_b32 a133, v9
	;; [unrolled: 1-line block ×3, first 2 shown]
	v_fma_f64 v[8:9], v[220:221], v[164:165], -v[166:167]
	ds_read_b128 v[164:167], v2 offset:1792
	v_mul_f64 v[170:171], v[174:175], v[170:171]
	s_waitcnt vmcnt(11) lgkmcnt(2)
	v_mul_f64 v[216:217], v[156:157], v[62:63]
	v_fma_f64 v[248:249], v[172:173], v[168:169], -v[170:171]
	ds_read_b128 v[168:171], v2 offset:1808
	v_fmac_f64_e32 v[216:217], v[158:159], v[60:61]
	s_waitcnt vmcnt(10) lgkmcnt(2)
	v_mul_f64 v[10:11], v[160:161], v[66:67]
	v_add_f64 v[0:1], v[0:1], v[216:217]
	v_fmac_f64_e32 v[10:11], v[162:163], v[64:65]
	v_add_f64 v[0:1], v[0:1], v[10:11]
	s_waitcnt vmcnt(9) lgkmcnt(1)
	v_mul_f64 v[10:11], v[164:165], v[70:71]
	ds_read_b128 v[172:175], v2 offset:1824
	v_fmac_f64_e32 v[10:11], v[166:167], v[68:69]
	v_add_f64 v[0:1], v[0:1], v[10:11]
	s_waitcnt vmcnt(8) lgkmcnt(1)
	v_mul_f64 v[10:11], v[168:169], v[74:75]
	v_fmac_f64_e32 v[10:11], v[170:171], v[72:73]
	v_add_f64 v[0:1], v[0:1], v[10:11]
	v_mul_f64 v[10:11], v[214:215], v[178:179]
	v_fma_f64 v[6:7], v[212:213], v[176:177], -v[10:11]
	ds_read_b128 v[176:179], v2 offset:1840
	s_waitcnt vmcnt(7) lgkmcnt(1)
	v_mul_f64 v[10:11], v[172:173], v[78:79]
	v_fmac_f64_e32 v[10:11], v[174:175], v[76:77]
	v_add_f64 v[0:1], v[0:1], v[10:11]
	v_mul_f64 v[10:11], v[186:187], v[182:183]
	v_fma_f64 v[14:15], v[184:185], v[180:181], -v[10:11]
	ds_read_b128 v[180:183], v2 offset:1856
	ds_read_b128 v[184:187], v2 offset:1872
	s_waitcnt vmcnt(6) lgkmcnt(2)
	v_mul_f64 v[10:11], v[176:177], v[82:83]
	v_fmac_f64_e32 v[10:11], v[178:179], v[80:81]
	v_add_f64 v[0:1], v[0:1], v[10:11]
	s_waitcnt vmcnt(5) lgkmcnt(1)
	v_mul_f64 v[10:11], v[180:181], v[86:87]
	v_fmac_f64_e32 v[10:11], v[182:183], v[84:85]
	v_add_f64 v[10:11], v[0:1], v[10:11]
	v_mul_f64 v[0:1], v[198:199], v[190:191]
	v_fma_f64 v[4:5], v[196:197], v[188:189], -v[0:1]
	ds_read_b128 v[188:191], v2 offset:1888
	s_waitcnt vmcnt(4) lgkmcnt(1)
	v_mul_f64 v[196:197], v[184:185], v[90:91]
	v_fmac_f64_e32 v[196:197], v[186:187], v[88:89]
	v_mul_f64 v[194:195], v[210:211], v[194:195]
	v_fma_f64 v[18:19], v[208:209], v[192:193], -v[194:195]
	ds_read_b128 v[192:195], v2 offset:1904
	v_add_f64 v[10:11], v[10:11], v[196:197]
	s_waitcnt vmcnt(3) lgkmcnt(1)
	v_mul_f64 v[196:197], v[188:189], v[98:99]
	v_fmac_f64_e32 v[196:197], v[190:191], v[96:97]
	v_add_f64 v[208:209], v[10:11], v[196:197]
	ds_read_b128 v[196:199], v2 offset:1920
	v_mul_f64 v[10:11], v[206:207], v[202:203]
	v_fma_f64 v[10:11], v[204:205], v[200:201], -v[10:11]
	ds_read_b128 v[200:203], v2 offset:1936
	s_waitcnt vmcnt(2) lgkmcnt(2)
	v_mul_f64 v[204:205], v[192:193], v[94:95]
	v_fmac_f64_e32 v[204:205], v[194:195], v[92:93]
	s_waitcnt vmcnt(1) lgkmcnt(1)
	v_mul_f64 v[206:207], v[196:197], v[102:103]
	v_add_f64 v[204:205], v[208:209], v[204:205]
	v_fmac_f64_e32 v[206:207], v[198:199], v[100:101]
	v_add_f64 v[204:205], v[204:205], v[206:207]
	s_waitcnt vmcnt(0) lgkmcnt(0)
	v_mul_f64 v[206:207], v[200:201], v[106:107]
	v_fmac_f64_e32 v[206:207], v[202:203], v[104:105]
	v_add_f64 v[212:213], v[204:205], v[206:207]
	scratch_load_dwordx4 v[204:207], off, off offset:960
	scratch_load_dwordx4 v[232:235], off, off offset:1008
	ds_read_b128 v[208:211], v2 offset:1952
	ds_read_b128 v[216:219], v2 offset:1968
	;; [unrolled: 1-line block ×3, first 2 shown]
	s_waitcnt vmcnt(1) lgkmcnt(2)
	v_mul_f64 v[214:215], v[208:209], v[206:207]
	v_fmac_f64_e32 v[214:215], v[210:211], v[204:205]
	v_add_f64 v[220:221], v[212:213], v[214:215]
	scratch_load_dwordx4 v[212:215], off, off offset:976
	s_waitcnt vmcnt(0) lgkmcnt(1)
	v_mul_f64 v[222:223], v[216:217], v[214:215]
	v_fmac_f64_e32 v[222:223], v[218:219], v[212:213]
	v_add_f64 v[228:229], v[220:221], v[222:223]
	scratch_load_dwordx4 v[220:223], off, off offset:992
	s_waitcnt vmcnt(0) lgkmcnt(0)
	v_mul_f64 v[230:231], v[224:225], v[222:223]
	v_fmac_f64_e32 v[230:231], v[226:227], v[220:221]
	v_add_f64 v[0:1], v[228:229], v[230:231]
	ds_read_b128 v[228:231], v2 offset:2000
	s_waitcnt lgkmcnt(0)
	v_mul_f64 v[2:3], v[228:229], v[234:235]
	v_fmac_f64_e32 v[2:3], v[230:231], v[232:233]
	v_add_f64 v[2:3], v[0:1], v[2:3]
	v_add_f64 v[0:1], v[240:241], 0
	;; [unrolled: 1-line block ×5, first 2 shown]
	scratch_load_dwordx4 v[236:239], off, off offset:272
	v_add_f64 v[0:1], v[0:1], v[244:245]
	v_add_f64 v[0:1], v[0:1], v[250:251]
	;; [unrolled: 1-line block ×9, first 2 shown]
	v_accvgpr_read_b32 v6, a128
	v_add_f64 v[0:1], v[0:1], v[14:15]
	v_accvgpr_read_b32 v8, a130
	v_accvgpr_read_b32 v9, a131
	v_add_f64 v[250:251], v[0:1], v[4:5]
	v_accvgpr_read_b32 v7, a129
	v_mul_f64 v[4:5], v[22:23], v[8:9]
	v_add_f64 v[0:1], v[250:251], v[18:19]
	v_fma_f64 v[4:5], v[20:21], v[6:7], -v[4:5]
	v_accvgpr_read_b32 v6, a132
	v_add_f64 v[0:1], v[0:1], v[10:11]
	v_accvgpr_read_b32 v8, a134
	v_accvgpr_read_b32 v9, a135
	v_add_f64 v[0:1], v[0:1], v[4:5]
	v_accvgpr_read_b32 v7, a133
	v_mul_f64 v[4:5], v[110:111], v[8:9]
	v_fma_f64 v[4:5], v[108:109], v[6:7], -v[4:5]
	v_accvgpr_read_b32 v6, a136
	v_accvgpr_read_b32 v8, a138
	;; [unrolled: 1-line block ×3, first 2 shown]
	v_add_f64 v[0:1], v[0:1], v[4:5]
	v_accvgpr_read_b32 v7, a137
	v_mul_f64 v[4:5], v[114:115], v[8:9]
	v_fma_f64 v[4:5], v[112:113], v[6:7], -v[4:5]
	v_accvgpr_read_b32 v6, a140
	v_accvgpr_read_b32 v8, a142
	;; [unrolled: 1-line block ×3, first 2 shown]
	v_add_f64 v[0:1], v[0:1], v[4:5]
	v_accvgpr_read_b32 v7, a141
	v_mul_f64 v[4:5], v[118:119], v[8:9]
	v_fma_f64 v[4:5], v[116:117], v[6:7], -v[4:5]
	v_add_f64 v[0:1], v[0:1], v[4:5]
	v_mul_f64 v[4:5], v[122:123], v[26:27]
	v_fma_f64 v[4:5], v[120:121], v[24:25], -v[4:5]
	v_add_f64 v[0:1], v[0:1], v[4:5]
	;; [unrolled: 3-line block ×26, first 2 shown]
	s_waitcnt vmcnt(0)
	v_add_f64 v[4:5], v[236:237], -v[0:1]
	v_add_f64 v[6:7], v[238:239], -v[2:3]
	scratch_store_dwordx4 off, v[4:7], off offset:272
	s_and_saveexec_b64 s[0:1], vcc
	s_cbranch_execz .LBB126_373
; %bb.372:
	scratch_load_dwordx4 v[2:5], off, s74
	v_mov_b32_e32 v6, 0
	v_mov_b32_e32 v7, v6
	;; [unrolled: 1-line block ×4, first 2 shown]
	v_accvgpr_read_b32 v0, a1
	scratch_store_dwordx4 off, v[6:9], off offset:256
	s_waitcnt vmcnt(1)
	ds_write_b128 v0, v[2:5]
.LBB126_373:
	s_or_b64 exec, exec, s[0:1]
	s_waitcnt lgkmcnt(0)
	; wave barrier
	scratch_load_dwordx4 v[68:71], off, off offset:272
	scratch_load_dwordx4 v[72:75], off, off offset:288
	scratch_load_dwordx4 v[76:79], off, off offset:304
	scratch_load_dwordx4 v[80:83], off, off offset:320
	scratch_load_dwordx4 v[84:87], off, off offset:336
	scratch_load_dwordx4 v[88:91], off, off offset:352
	scratch_load_dwordx4 v[92:95], off, off offset:368
	scratch_load_dwordx4 v[96:99], off, off offset:384
	scratch_load_dwordx4 v[112:115], off, off offset:400
	scratch_load_dwordx4 v[144:147], off, off offset:416
	scratch_load_dwordx4 v[148:151], off, off offset:432
	scratch_load_dwordx4 v[152:155], off, off offset:448
	scratch_load_dwordx4 v[160:163], off, off offset:464
	scratch_load_dwordx4 v[164:167], off, off offset:480
	scratch_load_dwordx4 v[172:175], off, off offset:496
	scratch_load_dwordx4 v[176:179], off, off offset:512
	scratch_load_dwordx4 v[184:187], off, off offset:528
	scratch_load_dwordx4 v[188:191], off, off offset:544
	scratch_load_dwordx4 v[196:199], off, off offset:560
	scratch_load_dwordx4 v[4:7], off, off offset:576
	scratch_load_dwordx4 v[8:11], off, off offset:592
	scratch_load_dwordx4 v[12:15], off, off offset:608
	scratch_load_dwordx4 v[16:19], off, off offset:624
	scratch_load_dwordx4 v[20:23], off, off offset:640
	scratch_load_dwordx4 v[234:237], off, off offset:656
	scratch_load_dwordx4 v[28:31], off, off offset:672
	scratch_load_dwordx4 v[32:35], off, off offset:688
	scratch_load_dwordx4 v[36:39], off, off offset:704
	v_mov_b32_e32 v2, 0
	ds_read_b128 v[124:127], v2 offset:1264
	ds_read_b128 v[128:131], v2 offset:1280
	;; [unrolled: 1-line block ×23, first 2 shown]
	v_cmp_lt_u32_e32 vcc, 14, v254
	s_waitcnt vmcnt(27) lgkmcnt(14)
	v_mul_f64 v[0:1], v[124:125], v[70:71]
	s_waitcnt vmcnt(26)
	v_mul_f64 v[40:41], v[128:129], v[74:75]
	v_fmac_f64_e32 v[0:1], v[126:127], v[68:69]
	s_waitcnt vmcnt(25)
	v_mul_f64 v[42:43], v[132:133], v[78:79]
	v_fmac_f64_e32 v[40:41], v[130:131], v[72:73]
	v_add_f64 v[0:1], v[0:1], 0
	s_waitcnt vmcnt(24)
	v_mul_f64 v[44:45], v[136:137], v[82:83]
	v_fmac_f64_e32 v[42:43], v[134:135], v[76:77]
	v_add_f64 v[0:1], v[0:1], v[40:41]
	s_waitcnt vmcnt(23)
	v_mul_f64 v[46:47], v[140:141], v[86:87]
	v_fmac_f64_e32 v[44:45], v[138:139], v[80:81]
	v_add_f64 v[0:1], v[0:1], v[42:43]
	s_waitcnt vmcnt(22)
	v_mul_f64 v[48:49], v[156:157], v[90:91]
	v_fmac_f64_e32 v[46:47], v[142:143], v[84:85]
	v_add_f64 v[0:1], v[0:1], v[44:45]
	s_waitcnt vmcnt(21)
	v_mul_f64 v[50:51], v[168:169], v[94:95]
	v_fmac_f64_e32 v[48:49], v[158:159], v[88:89]
	v_add_f64 v[0:1], v[0:1], v[46:47]
	s_waitcnt vmcnt(20)
	v_mul_f64 v[52:53], v[180:181], v[98:99]
	v_fmac_f64_e32 v[50:51], v[170:171], v[92:93]
	v_add_f64 v[0:1], v[0:1], v[48:49]
	s_waitcnt vmcnt(19)
	v_mul_f64 v[54:55], v[192:193], v[114:115]
	v_fmac_f64_e32 v[52:53], v[182:183], v[96:97]
	v_add_f64 v[0:1], v[0:1], v[50:51]
	s_waitcnt vmcnt(18) lgkmcnt(13)
	v_mul_f64 v[56:57], v[200:201], v[146:147]
	v_fmac_f64_e32 v[54:55], v[194:195], v[112:113]
	v_add_f64 v[0:1], v[0:1], v[52:53]
	s_waitcnt vmcnt(17) lgkmcnt(12)
	v_mul_f64 v[58:59], v[204:205], v[150:151]
	v_fmac_f64_e32 v[56:57], v[202:203], v[144:145]
	v_add_f64 v[0:1], v[0:1], v[54:55]
	;; [unrolled: 4-line block ×7, first 2 shown]
	scratch_load_dwordx4 v[40:43], off, off offset:720
	scratch_load_dwordx4 v[44:47], off, off offset:736
	s_waitcnt vmcnt(13) lgkmcnt(6)
	v_mul_f64 v[102:103], v[228:229], v[186:187]
	v_fmac_f64_e32 v[100:101], v[226:227], v[176:177]
	v_add_f64 v[0:1], v[0:1], v[66:67]
	v_add_f64 v[0:1], v[0:1], v[100:101]
	v_fmac_f64_e32 v[102:103], v[230:231], v[184:185]
	v_add_f64 v[0:1], v[0:1], v[102:103]
	ds_read_b128 v[100:103], v2 offset:1568
	s_waitcnt vmcnt(12) lgkmcnt(6)
	v_mul_f64 v[48:49], v[246:247], v[190:191]
	v_fmac_f64_e32 v[48:49], v[248:249], v[188:189]
	v_add_f64 v[0:1], v[0:1], v[48:49]
	s_waitcnt vmcnt(11) lgkmcnt(5)
	v_mul_f64 v[48:49], v[250:251], v[198:199]
	v_fmac_f64_e32 v[48:49], v[252:253], v[196:197]
	v_add_f64 v[0:1], v[0:1], v[48:49]
	scratch_load_dwordx4 v[48:51], off, off offset:752
	scratch_load_dwordx4 v[52:55], off, off offset:768
	s_waitcnt vmcnt(12) lgkmcnt(0)
	v_mul_f64 v[56:57], v[100:101], v[6:7]
	v_accvgpr_write_b32 a131, v7
	v_fmac_f64_e32 v[56:57], v[102:103], v[4:5]
	v_accvgpr_write_b32 a130, v6
	v_accvgpr_write_b32 a129, v5
	;; [unrolled: 1-line block ×3, first 2 shown]
	s_waitcnt vmcnt(11)
	v_mov_b64_e32 v[4:5], v[8:9]
	v_mov_b64_e32 v[6:7], v[10:11]
	v_add_f64 v[0:1], v[0:1], v[56:57]
	v_mul_f64 v[56:57], v[104:105], v[6:7]
	v_fmac_f64_e32 v[56:57], v[106:107], v[4:5]
	v_add_f64 v[0:1], v[0:1], v[56:57]
	scratch_load_dwordx4 v[56:59], off, off offset:784
	s_waitcnt vmcnt(11)
	v_mov_b64_e32 v[4:5], v[12:13]
	v_mov_b64_e32 v[6:7], v[14:15]
	v_mul_f64 v[60:61], v[108:109], v[6:7]
	v_fmac_f64_e32 v[60:61], v[110:111], v[4:5]
	s_waitcnt vmcnt(10)
	v_mov_b64_e32 v[4:5], v[16:17]
	v_mov_b64_e32 v[6:7], v[18:19]
	v_add_f64 v[0:1], v[0:1], v[60:61]
	scratch_load_dwordx4 v[60:63], off, off offset:800
	v_mul_f64 v[64:65], v[116:117], v[6:7]
	v_fmac_f64_e32 v[64:65], v[118:119], v[4:5]
	v_add_f64 v[0:1], v[0:1], v[64:65]
	scratch_load_dwordx4 v[64:67], off, off offset:816
	s_waitcnt vmcnt(11)
	v_mov_b64_e32 v[4:5], v[20:21]
	v_mul_f64 v[70:71], v[126:127], v[70:71]
	v_mov_b64_e32 v[6:7], v[22:23]
	v_fma_f64 v[240:241], v[124:125], v[68:69], -v[70:71]
	v_mul_f64 v[124:125], v[120:121], v[6:7]
	scratch_load_dwordx4 v[68:71], off, off offset:832
	v_fmac_f64_e32 v[124:125], v[122:123], v[4:5]
	v_mul_f64 v[74:75], v[130:131], v[74:75]
	v_mul_f64 v[78:79], v[134:135], v[78:79]
	v_add_f64 v[0:1], v[0:1], v[124:125]
	v_fma_f64 v[242:243], v[128:129], v[72:73], -v[74:75]
	ds_read_b128 v[124:127], v2 offset:1648
	ds_read_b128 v[128:131], v2 offset:1664
	scratch_load_dwordx4 v[72:75], off, off offset:848
	v_fma_f64 v[244:245], v[132:133], v[76:77], -v[78:79]
	v_mul_f64 v[76:77], v[138:139], v[82:83]
	v_fma_f64 v[232:233], v[136:137], v[80:81], -v[76:77]
	scratch_load_dwordx4 v[76:79], off, off offset:864
	s_waitcnt vmcnt(13) lgkmcnt(1)
	v_mul_f64 v[132:133], v[124:125], v[236:237]
	v_fmac_f64_e32 v[132:133], v[126:127], v[234:235]
	v_add_f64 v[0:1], v[0:1], v[132:133]
	s_waitcnt vmcnt(12) lgkmcnt(0)
	v_mul_f64 v[132:133], v[128:129], v[30:31]
	scratch_load_dwordx4 v[80:83], off, off offset:880
	v_fmac_f64_e32 v[132:133], v[130:131], v[28:29]
	v_accvgpr_write_b32 a147, v23
	v_add_f64 v[0:1], v[0:1], v[132:133]
	v_mul_f64 v[86:87], v[142:143], v[86:87]
	ds_read_b128 v[132:135], v2 offset:1680
	v_mul_f64 v[6:7], v[158:159], v[90:91]
	v_accvgpr_write_b32 a146, v22
	v_accvgpr_write_b32 a145, v21
	;; [unrolled: 1-line block ×3, first 2 shown]
	v_fma_f64 v[24:25], v[140:141], v[84:85], -v[86:87]
	v_fma_f64 v[20:21], v[156:157], v[88:89], -v[6:7]
	scratch_load_dwordx4 v[88:91], off, off offset:896
	scratch_load_dwordx4 v[84:87], off, off offset:912
	v_accvgpr_write_b32 a143, v19
	v_mul_f64 v[6:7], v[170:171], v[94:95]
	v_accvgpr_write_b32 a142, v18
	v_accvgpr_write_b32 a141, v17
	v_accvgpr_write_b32 a140, v16
	v_fma_f64 v[16:17], v[168:169], v[92:93], -v[6:7]
	s_waitcnt vmcnt(14) lgkmcnt(0)
	v_mul_f64 v[6:7], v[132:133], v[34:35]
	v_fmac_f64_e32 v[6:7], v[134:135], v[32:33]
	v_accvgpr_write_b32 a139, v15
	v_add_f64 v[0:1], v[0:1], v[6:7]
	v_mul_f64 v[6:7], v[182:183], v[98:99]
	v_accvgpr_write_b32 a138, v14
	v_accvgpr_write_b32 a137, v13
	;; [unrolled: 1-line block ×3, first 2 shown]
	ds_read_b128 v[136:139], v2 offset:1696
	v_fma_f64 v[12:13], v[180:181], v[96:97], -v[6:7]
	scratch_load_dwordx4 v[96:99], off, off offset:928
	scratch_load_dwordx4 v[92:95], off, off offset:944
	v_mul_f64 v[6:7], v[194:195], v[114:115]
	v_fma_f64 v[14:15], v[192:193], v[112:113], -v[6:7]
	scratch_load_dwordx4 v[112:115], off, off offset:960
	ds_read_b128 v[140:143], v2 offset:1712
	s_waitcnt vmcnt(16) lgkmcnt(1)
	v_mul_f64 v[6:7], v[136:137], v[38:39]
	v_fmac_f64_e32 v[6:7], v[138:139], v[36:37]
	v_accvgpr_write_b32 a135, v11
	v_add_f64 v[0:1], v[0:1], v[6:7]
	v_mul_f64 v[6:7], v[202:203], v[146:147]
	v_accvgpr_write_b32 a134, v10
	v_accvgpr_write_b32 a133, v9
	;; [unrolled: 1-line block ×3, first 2 shown]
	v_fma_f64 v[10:11], v[200:201], v[144:145], -v[6:7]
	ds_read_b128 v[144:147], v2 offset:1728
	s_waitcnt vmcnt(15) lgkmcnt(1)
	v_mul_f64 v[6:7], v[140:141], v[42:43]
	v_fmac_f64_e32 v[6:7], v[142:143], v[40:41]
	v_add_f64 v[0:1], v[0:1], v[6:7]
	v_mul_f64 v[6:7], v[206:207], v[150:151]
	v_fma_f64 v[18:19], v[204:205], v[148:149], -v[6:7]
	ds_read_b128 v[148:151], v2 offset:1744
	v_mul_f64 v[154:155], v[210:211], v[154:155]
	v_fma_f64 v[8:9], v[208:209], v[152:153], -v[154:155]
	ds_read_b128 v[152:155], v2 offset:1760
	s_waitcnt vmcnt(14) lgkmcnt(2)
	v_mul_f64 v[6:7], v[144:145], v[46:47]
	v_fmac_f64_e32 v[6:7], v[146:147], v[44:45]
	v_add_f64 v[0:1], v[0:1], v[6:7]
	s_waitcnt vmcnt(13) lgkmcnt(1)
	v_mul_f64 v[6:7], v[148:149], v[50:51]
	ds_read_b128 v[156:159], v2 offset:1776
	v_fmac_f64_e32 v[6:7], v[150:151], v[48:49]
	v_add_f64 v[0:1], v[0:1], v[6:7]
	s_waitcnt vmcnt(12) lgkmcnt(1)
	v_mul_f64 v[6:7], v[152:153], v[54:55]
	v_fmac_f64_e32 v[6:7], v[154:155], v[52:53]
	v_add_f64 v[0:1], v[0:1], v[6:7]
	v_mul_f64 v[6:7], v[214:215], v[162:163]
	v_fma_f64 v[22:23], v[212:213], v[160:161], -v[6:7]
	ds_read_b128 v[160:163], v2 offset:1792
	s_waitcnt vmcnt(11) lgkmcnt(1)
	v_mul_f64 v[6:7], v[156:157], v[58:59]
	v_fmac_f64_e32 v[6:7], v[158:159], v[56:57]
	v_add_f64 v[0:1], v[0:1], v[6:7]
	v_mul_f64 v[6:7], v[218:219], v[166:167]
	v_fma_f64 v[4:5], v[216:217], v[164:165], -v[6:7]
	ds_read_b128 v[164:167], v2 offset:1808
	ds_read_b128 v[168:171], v2 offset:1824
	s_waitcnt vmcnt(10) lgkmcnt(2)
	v_mul_f64 v[6:7], v[160:161], v[62:63]
	v_fmac_f64_e32 v[6:7], v[162:163], v[60:61]
	v_add_f64 v[0:1], v[0:1], v[6:7]
	s_waitcnt vmcnt(9) lgkmcnt(1)
	v_mul_f64 v[6:7], v[164:165], v[66:67]
	v_fmac_f64_e32 v[6:7], v[166:167], v[64:65]
	v_add_f64 v[0:1], v[0:1], v[6:7]
	v_mul_f64 v[6:7], v[222:223], v[174:175]
	v_fma_f64 v[26:27], v[220:221], v[172:173], -v[6:7]
	ds_read_b128 v[172:175], v2 offset:1840
	v_mul_f64 v[6:7], v[226:227], v[178:179]
	v_fma_f64 v[6:7], v[224:225], v[176:177], -v[6:7]
	ds_read_b128 v[176:179], v2 offset:1856
	s_waitcnt vmcnt(8) lgkmcnt(2)
	v_mul_f64 v[180:181], v[168:169], v[70:71]
	v_fmac_f64_e32 v[180:181], v[170:171], v[68:69]
	v_add_f64 v[0:1], v[0:1], v[180:181]
	s_waitcnt vmcnt(7) lgkmcnt(1)
	v_mul_f64 v[180:181], v[172:173], v[74:75]
	v_fmac_f64_e32 v[180:181], v[174:175], v[72:73]
	s_waitcnt vmcnt(6) lgkmcnt(0)
	v_mul_f64 v[192:193], v[176:177], v[78:79]
	v_add_f64 v[0:1], v[0:1], v[180:181]
	v_fmac_f64_e32 v[192:193], v[178:179], v[76:77]
	ds_read_b128 v[180:183], v2 offset:1872
	v_add_f64 v[192:193], v[0:1], v[192:193]
	v_mul_f64 v[0:1], v[230:231], v[186:187]
	v_fma_f64 v[0:1], v[228:229], v[184:185], -v[0:1]
	ds_read_b128 v[184:187], v2 offset:1888
	s_waitcnt vmcnt(5) lgkmcnt(1)
	v_mul_f64 v[194:195], v[180:181], v[82:83]
	v_fmac_f64_e32 v[194:195], v[182:183], v[80:81]
	v_mul_f64 v[190:191], v[248:249], v[190:191]
	v_add_f64 v[192:193], v[192:193], v[194:195]
	v_fma_f64 v[238:239], v[246:247], v[188:189], -v[190:191]
	ds_read_b128 v[188:191], v2 offset:1904
	s_waitcnt vmcnt(4) lgkmcnt(1)
	v_mul_f64 v[194:195], v[184:185], v[90:91]
	v_fmac_f64_e32 v[194:195], v[186:187], v[88:89]
	v_add_f64 v[200:201], v[192:193], v[194:195]
	ds_read_b128 v[192:195], v2 offset:1920
	v_mul_f64 v[198:199], v[252:253], v[198:199]
	v_fma_f64 v[246:247], v[250:251], v[196:197], -v[198:199]
	ds_read_b128 v[196:199], v2 offset:1936
	ds_read_b128 v[208:211], v2 offset:1968
	s_waitcnt vmcnt(3) lgkmcnt(3)
	v_mul_f64 v[202:203], v[188:189], v[86:87]
	v_fmac_f64_e32 v[202:203], v[190:191], v[84:85]
	v_add_f64 v[200:201], v[200:201], v[202:203]
	s_waitcnt vmcnt(2) lgkmcnt(2)
	v_mul_f64 v[202:203], v[192:193], v[98:99]
	v_fmac_f64_e32 v[202:203], v[194:195], v[96:97]
	v_add_f64 v[200:201], v[200:201], v[202:203]
	;; [unrolled: 4-line block ×3, first 2 shown]
	ds_read_b128 v[200:203], v2 offset:1952
	ds_read_b128 v[216:219], v2 offset:1984
	;; [unrolled: 1-line block ×3, first 2 shown]
	s_waitcnt vmcnt(0) lgkmcnt(2)
	v_mul_f64 v[206:207], v[200:201], v[114:115]
	v_fmac_f64_e32 v[206:207], v[202:203], v[112:113]
	v_add_f64 v[212:213], v[204:205], v[206:207]
	scratch_load_dwordx4 v[204:207], off, off offset:976
	s_waitcnt vmcnt(0)
	v_mul_f64 v[214:215], v[208:209], v[206:207]
	v_fmac_f64_e32 v[214:215], v[210:211], v[204:205]
	v_add_f64 v[220:221], v[212:213], v[214:215]
	scratch_load_dwordx4 v[212:215], off, off offset:992
	s_waitcnt vmcnt(0) lgkmcnt(1)
	v_mul_f64 v[222:223], v[216:217], v[214:215]
	v_fmac_f64_e32 v[222:223], v[218:219], v[212:213]
	v_add_f64 v[228:229], v[220:221], v[222:223]
	scratch_load_dwordx4 v[220:223], off, off offset:1008
	s_waitcnt vmcnt(0) lgkmcnt(0)
	v_mul_f64 v[230:231], v[224:225], v[222:223]
	v_fmac_f64_e32 v[230:231], v[226:227], v[220:221]
	v_add_f64 v[250:251], v[228:229], v[230:231]
	v_add_f64 v[228:229], v[240:241], 0
	;; [unrolled: 1-line block ×6, first 2 shown]
	scratch_load_dwordx4 v[228:231], off, off offset:256
	v_add_f64 v[20:21], v[24:25], v[20:21]
	v_add_f64 v[16:17], v[20:21], v[16:17]
	;; [unrolled: 1-line block ×11, first 2 shown]
	v_accvgpr_read_b32 v6, a128
	v_accvgpr_read_b32 v8, a130
	v_accvgpr_read_b32 v9, a131
	v_add_f64 v[0:1], v[4:5], v[0:1]
	v_accvgpr_read_b32 v7, a129
	v_mul_f64 v[4:5], v[102:103], v[8:9]
	v_add_f64 v[0:1], v[0:1], v[238:239]
	v_fma_f64 v[4:5], v[100:101], v[6:7], -v[4:5]
	v_accvgpr_read_b32 v6, a132
	v_add_f64 v[0:1], v[0:1], v[246:247]
	v_accvgpr_read_b32 v8, a134
	v_accvgpr_read_b32 v9, a135
	v_add_f64 v[0:1], v[0:1], v[4:5]
	v_accvgpr_read_b32 v7, a133
	v_mul_f64 v[4:5], v[106:107], v[8:9]
	v_fma_f64 v[4:5], v[104:105], v[6:7], -v[4:5]
	v_accvgpr_read_b32 v6, a136
	v_accvgpr_read_b32 v8, a138
	v_accvgpr_read_b32 v9, a139
	v_add_f64 v[0:1], v[0:1], v[4:5]
	v_accvgpr_read_b32 v7, a137
	v_mul_f64 v[4:5], v[110:111], v[8:9]
	v_fma_f64 v[4:5], v[108:109], v[6:7], -v[4:5]
	v_accvgpr_read_b32 v6, a140
	;; [unrolled: 7-line block ×3, first 2 shown]
	v_accvgpr_read_b32 v8, a146
	v_accvgpr_read_b32 v9, a147
	v_add_f64 v[0:1], v[0:1], v[4:5]
	v_accvgpr_read_b32 v7, a145
	v_mul_f64 v[4:5], v[122:123], v[8:9]
	v_fma_f64 v[4:5], v[120:121], v[6:7], -v[4:5]
	v_add_f64 v[0:1], v[0:1], v[4:5]
	v_mul_f64 v[4:5], v[126:127], v[236:237]
	v_fma_f64 v[4:5], v[124:125], v[234:235], -v[4:5]
	v_add_f64 v[0:1], v[0:1], v[4:5]
	;; [unrolled: 3-line block ×24, first 2 shown]
	s_waitcnt vmcnt(0)
	v_add_f64 v[4:5], v[228:229], -v[0:1]
	v_add_f64 v[6:7], v[230:231], -v[250:251]
	scratch_store_dwordx4 off, v[4:7], off offset:256
	s_and_saveexec_b64 s[0:1], vcc
	s_cbranch_execz .LBB126_375
; %bb.374:
	scratch_load_dwordx4 v[6:9], off, s75
	v_mov_b32_e32 v3, v2
	v_mov_b32_e32 v4, v2
	;; [unrolled: 1-line block ×3, first 2 shown]
	v_accvgpr_read_b32 v0, a1
	scratch_store_dwordx4 off, v[2:5], off offset:240
	s_waitcnt vmcnt(1)
	ds_write_b128 v0, v[6:9]
.LBB126_375:
	s_or_b64 exec, exec, s[0:1]
	s_waitcnt lgkmcnt(0)
	; wave barrier
	scratch_load_dwordx4 v[40:43], off, off offset:256
	scratch_load_dwordx4 v[44:47], off, off offset:272
	;; [unrolled: 1-line block ×18, first 2 shown]
	ds_read_b128 v[164:167], v2 offset:1248
	ds_read_b128 v[232:235], v2 offset:1264
	;; [unrolled: 1-line block ×6, first 2 shown]
	scratch_load_dwordx4 v[140:143], off, off offset:544
	ds_read_b128 v[224:227], v2 offset:1344
	ds_read_b128 v[212:215], v2 offset:1360
	;; [unrolled: 1-line block ×3, first 2 shown]
	scratch_load_dwordx4 v[4:7], off, off offset:560
	ds_read_b128 v[228:231], v2 offset:1392
	ds_read_b128 v[216:219], v2 offset:1408
	;; [unrolled: 1-line block ×5, first 2 shown]
	scratch_load_dwordx4 v[8:11], off, off offset:576
	ds_read_b128 v[208:211], v2 offset:1472
	ds_read_b128 v[196:199], v2 offset:1488
	;; [unrolled: 1-line block ×3, first 2 shown]
	scratch_load_dwordx4 v[12:15], off, off offset:592
	ds_read_b128 v[200:203], v2 offset:1520
	scratch_load_dwordx4 v[16:19], off, off offset:608
	scratch_load_dwordx4 v[20:23], off, off offset:624
	;; [unrolled: 1-line block ×7, first 2 shown]
	ds_read_b128 v[236:239], v2 offset:1536
	ds_read_b128 v[156:159], v2 offset:1600
	;; [unrolled: 1-line block ×3, first 2 shown]
	v_cmp_lt_u32_e32 vcc, 13, v254
	ds_read_b128 v[152:155], v2 offset:1584
	s_waitcnt vmcnt(28) lgkmcnt(14)
	v_mul_f64 v[0:1], v[164:165], v[42:43]
	s_waitcnt vmcnt(27)
	v_mul_f64 v[108:109], v[232:233], v[46:47]
	v_fmac_f64_e32 v[0:1], v[166:167], v[40:41]
	s_waitcnt vmcnt(26)
	v_mul_f64 v[110:111], v[168:169], v[50:51]
	v_fmac_f64_e32 v[108:109], v[234:235], v[44:45]
	v_add_f64 v[0:1], v[0:1], 0
	s_waitcnt vmcnt(25)
	v_mul_f64 v[116:117], v[220:221], v[54:55]
	v_fmac_f64_e32 v[110:111], v[170:171], v[48:49]
	v_add_f64 v[0:1], v[0:1], v[108:109]
	;; [unrolled: 4-line block ×6, first 2 shown]
	s_waitcnt vmcnt(20) lgkmcnt(13)
	v_mul_f64 v[126:127], v[180:181], v[78:79]
	v_fmac_f64_e32 v[124:125], v[214:215], v[68:69]
	v_add_f64 v[0:1], v[0:1], v[122:123]
	s_waitcnt vmcnt(19) lgkmcnt(12)
	v_mul_f64 v[128:129], v[228:229], v[82:83]
	v_fmac_f64_e32 v[126:127], v[182:183], v[76:77]
	v_add_f64 v[0:1], v[0:1], v[124:125]
	;; [unrolled: 4-line block ×9, first 2 shown]
	v_add_f64 v[0:1], v[0:1], v[148:149]
	v_fmac_f64_e32 v[150:151], v[186:187], v[112:113]
	s_waitcnt vmcnt(11) lgkmcnt(4)
	v_mul_f64 v[116:117], v[200:201], v[138:139]
	ds_read_b128 v[144:147], v2 offset:1552
	v_add_f64 v[0:1], v[0:1], v[150:151]
	v_fmac_f64_e32 v[116:117], v[202:203], v[136:137]
	scratch_load_dwordx4 v[108:111], off, off offset:720
	v_add_f64 v[0:1], v[0:1], v[116:117]
	s_waitcnt vmcnt(11) lgkmcnt(4)
	v_mul_f64 v[116:117], v[236:237], v[142:143]
	ds_read_b128 v[148:151], v2 offset:1568
	v_fmac_f64_e32 v[116:117], v[238:239], v[140:141]
	v_add_f64 v[0:1], v[0:1], v[116:117]
	scratch_load_dwordx4 v[116:119], off, off offset:736
	s_waitcnt vmcnt(11) lgkmcnt(1)
	v_mul_f64 v[124:125], v[144:145], v[6:7]
	scratch_load_dwordx4 v[120:123], off, off offset:752
	v_fmac_f64_e32 v[124:125], v[146:147], v[4:5]
	v_add_f64 v[0:1], v[0:1], v[124:125]
	s_waitcnt vmcnt(11) lgkmcnt(0)
	v_mul_f64 v[124:125], v[148:149], v[10:11]
	v_fmac_f64_e32 v[124:125], v[150:151], v[8:9]
	v_add_f64 v[0:1], v[0:1], v[124:125]
	scratch_load_dwordx4 v[124:127], off, off offset:768
	s_waitcnt vmcnt(11)
	v_mul_f64 v[128:129], v[152:153], v[14:15]
	v_fmac_f64_e32 v[128:129], v[154:155], v[12:13]
	v_add_f64 v[0:1], v[0:1], v[128:129]
	scratch_load_dwordx4 v[128:131], off, off offset:784
	s_waitcnt vmcnt(11)
	v_mul_f64 v[132:133], v[156:157], v[18:19]
	v_fmac_f64_e32 v[132:133], v[158:159], v[16:17]
	v_add_f64 v[0:1], v[0:1], v[132:133]
	scratch_load_dwordx4 v[132:135], off, off offset:800
	v_mul_f64 v[42:43], v[166:167], v[42:43]
	v_fma_f64 v[240:241], v[164:165], v[40:41], -v[42:43]
	scratch_load_dwordx4 v[40:43], off, off offset:816
	v_mul_f64 v[46:47], v[234:235], v[46:47]
	v_fma_f64 v[242:243], v[232:233], v[44:45], -v[46:47]
	scratch_load_dwordx4 v[44:47], off, off offset:832
	v_mul_f64 v[50:51], v[170:171], v[50:51]
	v_fma_f64 v[244:245], v[168:169], v[48:49], -v[50:51]
	v_mul_f64 v[48:49], v[222:223], v[54:55]
	v_fma_f64 v[250:251], v[220:221], v[52:53], -v[48:49]
	scratch_load_dwordx4 v[48:51], off, off offset:848
	scratch_load_dwordx4 v[52:55], off, off offset:864
	s_waitcnt vmcnt(15)
	v_mul_f64 v[164:165], v[160:161], v[22:23]
	v_fmac_f64_e32 v[164:165], v[162:163], v[20:21]
	v_add_f64 v[0:1], v[0:1], v[164:165]
	ds_read_b128 v[164:167], v2 offset:1632
	ds_read_b128 v[168:171], v2 offset:1648
	v_mul_f64 v[58:59], v[174:175], v[58:59]
	v_fma_f64 v[252:253], v[172:173], v[56:57], -v[58:59]
	ds_read_b128 v[172:175], v2 offset:1664
	v_mul_f64 v[56:57], v[178:179], v[62:63]
	v_fma_f64 v[246:247], v[176:177], v[60:61], -v[56:57]
	scratch_load_dwordx4 v[60:63], off, off offset:880
	scratch_load_dwordx4 v[56:59], off, off offset:896
	s_waitcnt vmcnt(16) lgkmcnt(2)
	v_mul_f64 v[232:233], v[164:165], v[38:39]
	s_waitcnt vmcnt(15) lgkmcnt(1)
	v_mul_f64 v[220:221], v[168:169], v[34:35]
	v_accvgpr_write_b32 a155, v35
	v_accvgpr_write_b32 a135, v7
	v_fmac_f64_e32 v[232:233], v[166:167], v[36:37]
	v_fmac_f64_e32 v[220:221], v[170:171], v[32:33]
	v_accvgpr_write_b32 a154, v34
	v_accvgpr_write_b32 a153, v33
	;; [unrolled: 1-line block ×3, first 2 shown]
	s_waitcnt vmcnt(14)
	v_mov_b64_e32 v[34:35], v[30:31]
	v_accvgpr_write_b32 a134, v6
	v_accvgpr_write_b32 a133, v5
	;; [unrolled: 1-line block ×3, first 2 shown]
	v_add_f64 v[0:1], v[0:1], v[232:233]
	v_mov_b64_e32 v[32:33], v[28:29]
	s_waitcnt lgkmcnt(0)
	v_mul_f64 v[6:7], v[172:173], v[34:35]
	v_add_f64 v[0:1], v[0:1], v[220:221]
	v_fmac_f64_e32 v[6:7], v[174:175], v[32:33]
	v_accvgpr_write_b32 a151, v23
	v_mul_f64 v[66:67], v[226:227], v[66:67]
	v_add_f64 v[0:1], v[0:1], v[6:7]
	v_mul_f64 v[6:7], v[214:215], v[70:71]
	v_accvgpr_write_b32 a150, v22
	v_accvgpr_write_b32 a149, v21
	;; [unrolled: 1-line block ×3, first 2 shown]
	v_fma_f64 v[24:25], v[224:225], v[64:65], -v[66:67]
	ds_read_b128 v[176:179], v2 offset:1680
	v_fma_f64 v[20:21], v[212:213], v[68:69], -v[6:7]
	scratch_load_dwordx4 v[68:71], off, off offset:912
	scratch_load_dwordx4 v[64:67], off, off offset:928
	v_accvgpr_write_b32 a147, v19
	v_mul_f64 v[78:79], v[182:183], v[78:79]
	v_accvgpr_write_b32 a146, v18
	v_accvgpr_write_b32 a145, v17
	;; [unrolled: 1-line block ×3, first 2 shown]
	v_fma_f64 v[16:17], v[180:181], v[76:77], -v[78:79]
	scratch_load_dwordx4 v[76:79], off, off offset:944
	s_waitcnt vmcnt(16)
	v_accvgpr_read_b32 v28, a128
	v_accvgpr_write_b32 a139, v11
	v_accvgpr_read_b32 v30, a130
	v_accvgpr_read_b32 v31, a131
	v_accvgpr_write_b32 a138, v10
	v_accvgpr_write_b32 a137, v9
	;; [unrolled: 1-line block ×3, first 2 shown]
	v_accvgpr_read_b32 v29, a129
	s_waitcnt lgkmcnt(0)
	v_mul_f64 v[10:11], v[176:177], v[30:31]
	v_fmac_f64_e32 v[10:11], v[178:179], v[28:29]
	v_accvgpr_write_b32 a143, v15
	ds_read_b128 v[180:183], v2 offset:1696
	v_add_f64 v[0:1], v[0:1], v[10:11]
	v_mul_f64 v[10:11], v[230:231], v[82:83]
	v_accvgpr_write_b32 a142, v14
	v_accvgpr_write_b32 a141, v13
	;; [unrolled: 1-line block ×3, first 2 shown]
	v_fma_f64 v[12:13], v[228:229], v[80:81], -v[10:11]
	ds_read_b128 v[80:83], v2 offset:1712
	v_mul_f64 v[86:87], v[218:219], v[86:87]
	v_fma_f64 v[10:11], v[216:217], v[84:85], -v[86:87]
	ds_read_b128 v[84:87], v2 offset:1728
	v_mul_f64 v[90:91], v[190:191], v[90:91]
	s_waitcnt vmcnt(15) lgkmcnt(2)
	v_mul_f64 v[212:213], v[180:181], v[74:75]
	v_fma_f64 v[248:249], v[188:189], v[88:89], -v[90:91]
	ds_read_b128 v[88:91], v2 offset:1744
	v_fmac_f64_e32 v[212:213], v[182:183], v[72:73]
	s_waitcnt vmcnt(14) lgkmcnt(2)
	v_mul_f64 v[14:15], v[80:81], v[110:111]
	v_add_f64 v[0:1], v[0:1], v[212:213]
	v_fmac_f64_e32 v[14:15], v[82:83], v[108:109]
	v_add_f64 v[0:1], v[0:1], v[14:15]
	s_waitcnt vmcnt(13) lgkmcnt(1)
	v_mul_f64 v[14:15], v[84:85], v[118:119]
	ds_read_b128 v[188:191], v2 offset:1760
	v_fmac_f64_e32 v[14:15], v[86:87], v[116:117]
	v_add_f64 v[0:1], v[0:1], v[14:15]
	s_waitcnt vmcnt(12) lgkmcnt(1)
	v_mul_f64 v[14:15], v[88:89], v[122:123]
	v_fmac_f64_e32 v[14:15], v[90:91], v[120:121]
	v_add_f64 v[0:1], v[0:1], v[14:15]
	v_mul_f64 v[14:15], v[206:207], v[94:95]
	v_fma_f64 v[8:9], v[204:205], v[92:93], -v[14:15]
	ds_read_b128 v[92:95], v2 offset:1776
	s_waitcnt vmcnt(11) lgkmcnt(1)
	v_mul_f64 v[14:15], v[188:189], v[126:127]
	v_fmac_f64_e32 v[14:15], v[190:191], v[124:125]
	v_add_f64 v[0:1], v[0:1], v[14:15]
	v_mul_f64 v[14:15], v[194:195], v[98:99]
	v_fma_f64 v[18:19], v[192:193], v[96:97], -v[14:15]
	ds_read_b128 v[96:99], v2 offset:1792
	ds_read_b128 v[192:195], v2 offset:1808
	s_waitcnt vmcnt(10) lgkmcnt(2)
	v_mul_f64 v[14:15], v[92:93], v[130:131]
	v_fmac_f64_e32 v[14:15], v[94:95], v[128:129]
	v_add_f64 v[0:1], v[0:1], v[14:15]
	s_waitcnt vmcnt(9) lgkmcnt(1)
	v_mul_f64 v[14:15], v[96:97], v[134:135]
	v_fmac_f64_e32 v[14:15], v[98:99], v[132:133]
	v_add_f64 v[0:1], v[0:1], v[14:15]
	v_mul_f64 v[14:15], v[210:211], v[102:103]
	v_fma_f64 v[6:7], v[208:209], v[100:101], -v[14:15]
	ds_read_b128 v[100:103], v2 offset:1824
	v_mul_f64 v[22:23], v[198:199], v[106:107]
	v_fma_f64 v[22:23], v[196:197], v[104:105], -v[22:23]
	ds_read_b128 v[104:107], v2 offset:1840
	s_waitcnt vmcnt(8) lgkmcnt(2)
	v_mul_f64 v[14:15], v[192:193], v[42:43]
	v_fmac_f64_e32 v[14:15], v[194:195], v[40:41]
	v_add_f64 v[0:1], v[0:1], v[14:15]
	s_waitcnt vmcnt(7) lgkmcnt(1)
	v_mul_f64 v[14:15], v[100:101], v[46:47]
	v_fmac_f64_e32 v[14:15], v[102:103], v[44:45]
	ds_read_b128 v[196:199], v2 offset:1856
	v_add_f64 v[0:1], v[0:1], v[14:15]
	s_waitcnt vmcnt(6) lgkmcnt(1)
	v_mul_f64 v[14:15], v[104:105], v[50:51]
	v_fmac_f64_e32 v[14:15], v[106:107], v[48:49]
	v_add_f64 v[0:1], v[0:1], v[14:15]
	v_mul_f64 v[14:15], v[186:187], v[114:115]
	v_fma_f64 v[4:5], v[184:185], v[112:113], -v[14:15]
	ds_read_b128 v[112:115], v2 offset:1872
	s_waitcnt vmcnt(5) lgkmcnt(1)
	v_mul_f64 v[14:15], v[196:197], v[54:55]
	v_fmac_f64_e32 v[14:15], v[198:199], v[52:53]
	v_add_f64 v[14:15], v[0:1], v[14:15]
	v_mul_f64 v[0:1], v[202:203], v[138:139]
	v_fma_f64 v[0:1], v[200:201], v[136:137], -v[0:1]
	ds_read_b128 v[136:139], v2 offset:1888
	ds_read_b128 v[184:187], v2 offset:1904
	s_waitcnt vmcnt(4) lgkmcnt(2)
	v_mul_f64 v[26:27], v[112:113], v[62:63]
	v_fmac_f64_e32 v[26:27], v[114:115], v[60:61]
	v_add_f64 v[26:27], v[14:15], v[26:27]
	v_mul_f64 v[14:15], v[238:239], v[142:143]
	v_fma_f64 v[14:15], v[236:237], v[140:141], -v[14:15]
	ds_read_b128 v[140:143], v2 offset:1920
	ds_read_b128 v[208:211], v2 offset:1952
	s_waitcnt vmcnt(3) lgkmcnt(3)
	v_mul_f64 v[200:201], v[136:137], v[58:59]
	v_fmac_f64_e32 v[200:201], v[138:139], v[56:57]
	v_add_f64 v[26:27], v[26:27], v[200:201]
	s_waitcnt vmcnt(2) lgkmcnt(2)
	v_mul_f64 v[200:201], v[184:185], v[70:71]
	v_fmac_f64_e32 v[200:201], v[186:187], v[68:69]
	v_add_f64 v[26:27], v[26:27], v[200:201]
	;; [unrolled: 4-line block ×3, first 2 shown]
	ds_read_b128 v[200:203], v2 offset:1936
	ds_read_b128 v[216:219], v2 offset:1968
	scratch_load_dwordx4 v[236:239], off, off offset:240
	scratch_load_dwordx4 v[232:235], off, off offset:1008
	ds_read_b128 v[224:227], v2 offset:1984
	s_waitcnt vmcnt(2) lgkmcnt(2)
	v_mul_f64 v[204:205], v[200:201], v[78:79]
	v_fmac_f64_e32 v[204:205], v[202:203], v[76:77]
	v_add_f64 v[26:27], v[26:27], v[204:205]
	scratch_load_dwordx4 v[204:207], off, off offset:960
	s_waitcnt vmcnt(0)
	v_mul_f64 v[212:213], v[208:209], v[206:207]
	v_fmac_f64_e32 v[212:213], v[210:211], v[204:205]
	v_add_f64 v[26:27], v[26:27], v[212:213]
	scratch_load_dwordx4 v[212:215], off, off offset:976
	s_waitcnt vmcnt(0) lgkmcnt(1)
	v_mul_f64 v[220:221], v[216:217], v[214:215]
	v_fmac_f64_e32 v[220:221], v[218:219], v[212:213]
	v_add_f64 v[26:27], v[26:27], v[220:221]
	scratch_load_dwordx4 v[220:223], off, off offset:992
	s_waitcnt vmcnt(0) lgkmcnt(0)
	v_mul_f64 v[228:229], v[224:225], v[222:223]
	v_fmac_f64_e32 v[228:229], v[226:227], v[220:221]
	v_add_f64 v[26:27], v[26:27], v[228:229]
	ds_read_b128 v[228:231], v2 offset:2000
	s_waitcnt lgkmcnt(0)
	v_mul_f64 v[2:3], v[228:229], v[234:235]
	v_fmac_f64_e32 v[2:3], v[230:231], v[232:233]
	v_add_f64 v[2:3], v[26:27], v[2:3]
	v_add_f64 v[26:27], v[240:241], 0
	;; [unrolled: 1-line block ×18, first 2 shown]
	v_accvgpr_read_b32 v6, a132
	v_accvgpr_read_b32 v8, a134
	;; [unrolled: 1-line block ×4, first 2 shown]
	v_mul_f64 v[4:5], v[146:147], v[8:9]
	v_add_f64 v[0:1], v[250:251], v[0:1]
	v_fma_f64 v[4:5], v[144:145], v[6:7], -v[4:5]
	v_accvgpr_read_b32 v6, a136
	v_add_f64 v[0:1], v[0:1], v[14:15]
	v_accvgpr_read_b32 v8, a138
	v_accvgpr_read_b32 v9, a139
	v_add_f64 v[0:1], v[0:1], v[4:5]
	v_accvgpr_read_b32 v7, a137
	v_mul_f64 v[4:5], v[150:151], v[8:9]
	v_fma_f64 v[4:5], v[148:149], v[6:7], -v[4:5]
	v_accvgpr_read_b32 v6, a140
	v_accvgpr_read_b32 v8, a142
	v_accvgpr_read_b32 v9, a143
	v_add_f64 v[0:1], v[0:1], v[4:5]
	v_accvgpr_read_b32 v7, a141
	v_mul_f64 v[4:5], v[154:155], v[8:9]
	v_fma_f64 v[4:5], v[152:153], v[6:7], -v[4:5]
	v_accvgpr_read_b32 v6, a144
	v_accvgpr_read_b32 v8, a146
	v_accvgpr_read_b32 v9, a147
	v_add_f64 v[0:1], v[0:1], v[4:5]
	v_accvgpr_read_b32 v7, a145
	v_mul_f64 v[4:5], v[158:159], v[8:9]
	v_fma_f64 v[4:5], v[156:157], v[6:7], -v[4:5]
	v_accvgpr_read_b32 v6, a148
	v_accvgpr_read_b32 v8, a150
	v_accvgpr_read_b32 v9, a151
	v_add_f64 v[0:1], v[0:1], v[4:5]
	v_accvgpr_read_b32 v7, a149
	v_mul_f64 v[4:5], v[162:163], v[8:9]
	v_fma_f64 v[4:5], v[160:161], v[6:7], -v[4:5]
	v_add_f64 v[0:1], v[0:1], v[4:5]
	v_mul_f64 v[4:5], v[166:167], v[38:39]
	v_accvgpr_read_b32 v6, a152
	v_fma_f64 v[4:5], v[164:165], v[36:37], -v[4:5]
	v_accvgpr_read_b32 v8, a154
	v_accvgpr_read_b32 v9, a155
	v_add_f64 v[0:1], v[0:1], v[4:5]
	v_accvgpr_read_b32 v7, a153
	v_mul_f64 v[4:5], v[170:171], v[8:9]
	v_fma_f64 v[4:5], v[168:169], v[6:7], -v[4:5]
	v_add_f64 v[0:1], v[0:1], v[4:5]
	v_mul_f64 v[4:5], v[174:175], v[34:35]
	v_fma_f64 v[4:5], v[172:173], v[32:33], -v[4:5]
	v_add_f64 v[0:1], v[0:1], v[4:5]
	;; [unrolled: 3-line block ×23, first 2 shown]
	v_add_f64 v[4:5], v[236:237], -v[0:1]
	v_add_f64 v[6:7], v[238:239], -v[2:3]
	scratch_store_dwordx4 off, v[4:7], off offset:240
	s_and_saveexec_b64 s[0:1], vcc
	s_cbranch_execz .LBB126_377
; %bb.376:
	scratch_load_dwordx4 v[2:5], off, s76
	v_mov_b32_e32 v6, 0
	v_mov_b32_e32 v7, v6
	;; [unrolled: 1-line block ×4, first 2 shown]
	v_accvgpr_read_b32 v0, a1
	scratch_store_dwordx4 off, v[6:9], off offset:224
	s_waitcnt vmcnt(1)
	ds_write_b128 v0, v[2:5]
.LBB126_377:
	s_or_b64 exec, exec, s[0:1]
	s_waitcnt lgkmcnt(0)
	; wave barrier
	scratch_load_dwordx4 v[56:59], off, off offset:240
	scratch_load_dwordx4 v[60:63], off, off offset:256
	;; [unrolled: 1-line block ×28, first 2 shown]
	v_mov_b32_e32 v2, 0
	ds_read_b128 v[116:119], v2 offset:1232
	ds_read_b128 v[120:123], v2 offset:1248
	;; [unrolled: 1-line block ×21, first 2 shown]
	v_cmp_lt_u32_e32 vcc, 12, v254
	ds_read_b128 v[108:111], v2 offset:1600
	s_waitcnt vmcnt(27) lgkmcnt(14)
	v_mul_f64 v[0:1], v[116:117], v[58:59]
	s_waitcnt vmcnt(26)
	v_mul_f64 v[32:33], v[120:121], v[62:63]
	v_fmac_f64_e32 v[0:1], v[118:119], v[56:57]
	s_waitcnt vmcnt(25)
	v_mul_f64 v[34:35], v[124:125], v[66:67]
	v_fmac_f64_e32 v[32:33], v[122:123], v[60:61]
	v_add_f64 v[0:1], v[0:1], 0
	v_fmac_f64_e32 v[34:35], v[126:127], v[64:65]
	v_add_f64 v[0:1], v[0:1], v[32:33]
	v_add_f64 v[0:1], v[0:1], v[34:35]
	scratch_load_dwordx4 v[32:35], off, off offset:688
	s_waitcnt vmcnt(25)
	v_mul_f64 v[36:37], v[128:129], v[70:71]
	s_waitcnt vmcnt(24)
	v_mul_f64 v[38:39], v[132:133], v[74:75]
	v_fmac_f64_e32 v[36:37], v[130:131], v[68:69]
	s_waitcnt vmcnt(23)
	v_mul_f64 v[40:41], v[140:141], v[78:79]
	v_fmac_f64_e32 v[38:39], v[134:135], v[72:73]
	v_add_f64 v[0:1], v[0:1], v[36:37]
	s_waitcnt vmcnt(22)
	v_mul_f64 v[42:43], v[152:153], v[82:83]
	v_fmac_f64_e32 v[40:41], v[142:143], v[76:77]
	v_add_f64 v[0:1], v[0:1], v[38:39]
	;; [unrolled: 4-line block ×3, first 2 shown]
	s_waitcnt vmcnt(20) lgkmcnt(13)
	v_mul_f64 v[46:47], v[176:177], v[94:95]
	v_fmac_f64_e32 v[44:45], v[166:167], v[84:85]
	v_add_f64 v[0:1], v[0:1], v[42:43]
	s_waitcnt vmcnt(19) lgkmcnt(12)
	v_mul_f64 v[48:49], v[188:189], v[98:99]
	v_fmac_f64_e32 v[46:47], v[178:179], v[92:93]
	v_add_f64 v[0:1], v[0:1], v[44:45]
	s_waitcnt vmcnt(18) lgkmcnt(11)
	v_mul_f64 v[50:51], v[196:197], v[102:103]
	v_fmac_f64_e32 v[48:49], v[190:191], v[96:97]
	v_add_f64 v[0:1], v[0:1], v[46:47]
	s_waitcnt vmcnt(17) lgkmcnt(10)
	v_mul_f64 v[52:53], v[200:201], v[138:139]
	v_fmac_f64_e32 v[50:51], v[198:199], v[100:101]
	v_add_f64 v[0:1], v[0:1], v[48:49]
	s_waitcnt vmcnt(16) lgkmcnt(9)
	v_mul_f64 v[54:55], v[204:205], v[146:147]
	v_fmac_f64_e32 v[52:53], v[202:203], v[136:137]
	v_add_f64 v[0:1], v[0:1], v[50:51]
	s_waitcnt vmcnt(15) lgkmcnt(8)
	v_mul_f64 v[88:89], v[208:209], v[150:151]
	v_fmac_f64_e32 v[54:55], v[206:207], v[144:145]
	v_add_f64 v[0:1], v[0:1], v[52:53]
	s_waitcnt vmcnt(14) lgkmcnt(7)
	v_mul_f64 v[90:91], v[212:213], v[158:159]
	v_fmac_f64_e32 v[88:89], v[210:211], v[148:149]
	v_add_f64 v[0:1], v[0:1], v[54:55]
	s_waitcnt vmcnt(13) lgkmcnt(6)
	v_mul_f64 v[104:105], v[216:217], v[162:163]
	v_fmac_f64_e32 v[90:91], v[214:215], v[156:157]
	v_add_f64 v[0:1], v[0:1], v[88:89]
	s_waitcnt vmcnt(12) lgkmcnt(5)
	v_mul_f64 v[106:107], v[220:221], v[170:171]
	v_fmac_f64_e32 v[104:105], v[218:219], v[160:161]
	v_add_f64 v[0:1], v[0:1], v[90:91]
	v_add_f64 v[0:1], v[0:1], v[104:105]
	v_fmac_f64_e32 v[106:107], v[222:223], v[168:169]
	s_waitcnt vmcnt(11) lgkmcnt(4)
	v_mul_f64 v[40:41], v[224:225], v[174:175]
	v_add_f64 v[0:1], v[0:1], v[106:107]
	v_fmac_f64_e32 v[40:41], v[226:227], v[172:173]
	scratch_load_dwordx4 v[36:39], off, off offset:704
	v_add_f64 v[0:1], v[0:1], v[40:41]
	s_waitcnt vmcnt(11) lgkmcnt(3)
	v_mul_f64 v[40:41], v[228:229], v[182:183]
	v_fmac_f64_e32 v[40:41], v[230:231], v[180:181]
	s_waitcnt vmcnt(10) lgkmcnt(2)
	v_mul_f64 v[44:45], v[246:247], v[186:187]
	v_add_f64 v[0:1], v[0:1], v[40:41]
	v_fmac_f64_e32 v[44:45], v[248:249], v[184:185]
	scratch_load_dwordx4 v[40:43], off, off offset:720
	ds_read_b128 v[88:91], v2 offset:1568
	v_add_f64 v[0:1], v[0:1], v[44:45]
	s_waitcnt vmcnt(10) lgkmcnt(2)
	v_mul_f64 v[44:45], v[250:251], v[194:195]
	v_fmac_f64_e32 v[44:45], v[252:253], v[192:193]
	v_add_f64 v[0:1], v[0:1], v[44:45]
	scratch_load_dwordx4 v[44:47], off, off offset:736
	ds_read_b128 v[104:107], v2 offset:1584
	s_waitcnt vmcnt(10) lgkmcnt(1)
	v_mul_f64 v[48:49], v[88:89], v[6:7]
	v_accvgpr_write_b32 a135, v7
	v_fmac_f64_e32 v[48:49], v[90:91], v[4:5]
	v_accvgpr_write_b32 a134, v6
	v_accvgpr_write_b32 a133, v5
	;; [unrolled: 1-line block ×3, first 2 shown]
	s_waitcnt vmcnt(9)
	v_mov_b64_e32 v[4:5], v[8:9]
	v_add_f64 v[0:1], v[0:1], v[48:49]
	scratch_load_dwordx4 v[48:51], off, off offset:752
	v_mov_b64_e32 v[6:7], v[10:11]
	s_waitcnt lgkmcnt(0)
	v_mul_f64 v[52:53], v[104:105], v[6:7]
	v_fmac_f64_e32 v[52:53], v[106:107], v[4:5]
	v_add_f64 v[0:1], v[0:1], v[52:53]
	scratch_load_dwordx4 v[52:55], off, off offset:768
	v_mul_f64 v[58:59], v[118:119], v[58:59]
	s_waitcnt vmcnt(10)
	v_mov_b64_e32 v[4:5], v[12:13]
	v_fma_f64 v[240:241], v[116:117], v[56:57], -v[58:59]
	scratch_load_dwordx4 v[56:59], off, off offset:784
	v_mov_b64_e32 v[6:7], v[14:15]
	v_mul_f64 v[112:113], v[108:109], v[6:7]
	v_fmac_f64_e32 v[112:113], v[110:111], v[4:5]
	v_add_f64 v[0:1], v[0:1], v[112:113]
	ds_read_b128 v[112:115], v2 offset:1616
	ds_read_b128 v[116:119], v2 offset:1632
	v_mul_f64 v[62:63], v[122:123], v[62:63]
	v_fma_f64 v[242:243], v[120:121], v[60:61], -v[62:63]
	scratch_load_dwordx4 v[60:63], off, off offset:800
	s_waitcnt vmcnt(11)
	v_mov_b64_e32 v[4:5], v[16:17]
	v_mul_f64 v[66:67], v[126:127], v[66:67]
	v_mov_b64_e32 v[6:7], v[18:19]
	v_fma_f64 v[244:245], v[124:125], v[64:65], -v[66:67]
	scratch_load_dwordx4 v[64:67], off, off offset:816
	s_waitcnt lgkmcnt(1)
	v_mul_f64 v[120:121], v[112:113], v[6:7]
	v_fmac_f64_e32 v[120:121], v[114:115], v[4:5]
	s_waitcnt vmcnt(11)
	v_mov_b64_e32 v[4:5], v[20:21]
	v_mov_b64_e32 v[6:7], v[22:23]
	v_add_f64 v[0:1], v[0:1], v[120:121]
	s_waitcnt lgkmcnt(0)
	v_mul_f64 v[120:121], v[116:117], v[6:7]
	v_fmac_f64_e32 v[120:121], v[118:119], v[4:5]
	v_mul_f64 v[70:71], v[130:131], v[70:71]
	v_add_f64 v[0:1], v[0:1], v[120:121]
	v_fma_f64 v[232:233], v[128:129], v[68:69], -v[70:71]
	scratch_load_dwordx4 v[68:71], off, off offset:832
	ds_read_b128 v[120:123], v2 offset:1648
	ds_read_b128 v[124:127], v2 offset:1664
	v_mul_f64 v[74:75], v[134:135], v[74:75]
	v_accvgpr_write_b32 a139, v11
	v_fma_f64 v[28:29], v[132:133], v[72:73], -v[74:75]
	scratch_load_dwordx4 v[72:75], off, off offset:848
	v_accvgpr_write_b32 a138, v10
	v_accvgpr_write_b32 a137, v9
	;; [unrolled: 1-line block ×3, first 2 shown]
	v_mul_f64 v[6:7], v[142:143], v[78:79]
	s_waitcnt vmcnt(12)
	v_accvgpr_read_b32 v8, a128
	v_fma_f64 v[24:25], v[140:141], v[76:77], -v[6:7]
	v_accvgpr_read_b32 v10, a130
	v_accvgpr_read_b32 v11, a131
	scratch_load_dwordx4 v[76:79], off, off offset:864
	v_accvgpr_read_b32 v9, a129
	s_waitcnt lgkmcnt(1)
	v_mul_f64 v[6:7], v[120:121], v[10:11]
	v_fmac_f64_e32 v[6:7], v[122:123], v[8:9]
	v_accvgpr_write_b32 a151, v23
	v_add_f64 v[0:1], v[0:1], v[6:7]
	v_mul_f64 v[6:7], v[154:155], v[82:83]
	v_accvgpr_write_b32 a150, v22
	v_accvgpr_write_b32 a149, v21
	;; [unrolled: 1-line block ×3, first 2 shown]
	v_fma_f64 v[20:21], v[152:153], v[80:81], -v[6:7]
	s_waitcnt vmcnt(12) lgkmcnt(0)
	v_mul_f64 v[6:7], v[124:125], v[236:237]
	v_fmac_f64_e32 v[6:7], v[126:127], v[234:235]
	scratch_load_dwordx4 v[80:83], off, off offset:880
	v_accvgpr_write_b32 a147, v19
	v_add_f64 v[0:1], v[0:1], v[6:7]
	v_mul_f64 v[6:7], v[166:167], v[86:87]
	v_accvgpr_write_b32 a146, v18
	v_accvgpr_write_b32 a145, v17
	;; [unrolled: 1-line block ×3, first 2 shown]
	v_fma_f64 v[16:17], v[164:165], v[84:85], -v[6:7]
	scratch_load_dwordx4 v[84:87], off, off offset:896
	ds_read_b128 v[132:135], v2 offset:1680
	ds_read_b128 v[128:131], v2 offset:1696
	v_accvgpr_write_b32 a143, v15
	v_mul_f64 v[6:7], v[178:179], v[94:95]
	v_accvgpr_write_b32 a142, v14
	v_accvgpr_write_b32 a141, v13
	;; [unrolled: 1-line block ×3, first 2 shown]
	v_fma_f64 v[14:15], v[176:177], v[92:93], -v[6:7]
	v_mul_f64 v[6:7], v[190:191], v[98:99]
	v_fma_f64 v[12:13], v[188:189], v[96:97], -v[6:7]
	scratch_load_dwordx4 v[96:99], off, off offset:912
	scratch_load_dwordx4 v[92:95], off, off offset:928
	s_waitcnt vmcnt(15) lgkmcnt(1)
	v_mul_f64 v[6:7], v[132:133], v[34:35]
	v_fmac_f64_e32 v[6:7], v[134:135], v[32:33]
	v_add_f64 v[0:1], v[0:1], v[6:7]
	v_mul_f64 v[6:7], v[198:199], v[102:103]
	v_fma_f64 v[18:19], v[196:197], v[100:101], -v[6:7]
	scratch_load_dwordx4 v[100:103], off, off offset:944
	v_mul_f64 v[6:7], v[202:203], v[138:139]
	v_fma_f64 v[10:11], v[200:201], v[136:137], -v[6:7]
	ds_read_b128 v[136:139], v2 offset:1712
	ds_read_b128 v[140:143], v2 offset:1728
	s_waitcnt vmcnt(15) lgkmcnt(2)
	v_mul_f64 v[6:7], v[128:129], v[38:39]
	v_fmac_f64_e32 v[6:7], v[130:131], v[36:37]
	v_add_f64 v[0:1], v[0:1], v[6:7]
	s_waitcnt vmcnt(14) lgkmcnt(1)
	v_mul_f64 v[6:7], v[136:137], v[42:43]
	v_fmac_f64_e32 v[6:7], v[138:139], v[40:41]
	v_add_f64 v[0:1], v[0:1], v[6:7]
	v_mul_f64 v[6:7], v[206:207], v[146:147]
	v_fma_f64 v[22:23], v[204:205], v[144:145], -v[6:7]
	ds_read_b128 v[144:147], v2 offset:1744
	s_waitcnt vmcnt(13) lgkmcnt(1)
	v_mul_f64 v[6:7], v[140:141], v[46:47]
	v_fmac_f64_e32 v[6:7], v[142:143], v[44:45]
	v_add_f64 v[0:1], v[0:1], v[6:7]
	v_mul_f64 v[6:7], v[210:211], v[150:151]
	v_fma_f64 v[8:9], v[208:209], v[148:149], -v[6:7]
	ds_read_b128 v[148:151], v2 offset:1760
	s_waitcnt vmcnt(12) lgkmcnt(1)
	v_mul_f64 v[6:7], v[144:145], v[50:51]
	ds_read_b128 v[152:155], v2 offset:1776
	v_fmac_f64_e32 v[6:7], v[146:147], v[48:49]
	v_add_f64 v[0:1], v[0:1], v[6:7]
	v_mul_f64 v[6:7], v[214:215], v[158:159]
	v_fma_f64 v[26:27], v[212:213], v[156:157], -v[6:7]
	s_waitcnt vmcnt(11) lgkmcnt(1)
	v_mul_f64 v[6:7], v[148:149], v[54:55]
	v_fmac_f64_e32 v[6:7], v[150:151], v[52:53]
	ds_read_b128 v[156:159], v2 offset:1792
	v_add_f64 v[0:1], v[0:1], v[6:7]
	s_waitcnt vmcnt(10) lgkmcnt(1)
	v_mul_f64 v[6:7], v[152:153], v[58:59]
	v_fmac_f64_e32 v[6:7], v[154:155], v[56:57]
	v_add_f64 v[0:1], v[0:1], v[6:7]
	v_mul_f64 v[6:7], v[218:219], v[162:163]
	v_fma_f64 v[4:5], v[216:217], v[160:161], -v[6:7]
	ds_read_b128 v[160:163], v2 offset:1808
	ds_read_b128 v[164:167], v2 offset:1824
	s_waitcnt vmcnt(9) lgkmcnt(2)
	v_mul_f64 v[6:7], v[156:157], v[62:63]
	v_fmac_f64_e32 v[6:7], v[158:159], v[60:61]
	v_add_f64 v[0:1], v[0:1], v[6:7]
	s_waitcnt vmcnt(8) lgkmcnt(1)
	v_mul_f64 v[6:7], v[160:161], v[66:67]
	v_fmac_f64_e32 v[6:7], v[162:163], v[64:65]
	v_add_f64 v[0:1], v[0:1], v[6:7]
	v_mul_f64 v[6:7], v[222:223], v[170:171]
	v_fma_f64 v[30:31], v[220:221], v[168:169], -v[6:7]
	ds_read_b128 v[168:171], v2 offset:1840
	v_mul_f64 v[6:7], v[226:227], v[174:175]
	v_fma_f64 v[6:7], v[224:225], v[172:173], -v[6:7]
	ds_read_b128 v[172:175], v2 offset:1856
	s_waitcnt vmcnt(7) lgkmcnt(2)
	v_mul_f64 v[176:177], v[164:165], v[70:71]
	v_fmac_f64_e32 v[176:177], v[166:167], v[68:69]
	v_add_f64 v[0:1], v[0:1], v[176:177]
	s_waitcnt vmcnt(6) lgkmcnt(1)
	v_mul_f64 v[176:177], v[168:169], v[74:75]
	v_fmac_f64_e32 v[176:177], v[170:171], v[72:73]
	v_add_f64 v[0:1], v[0:1], v[176:177]
	s_waitcnt vmcnt(5) lgkmcnt(0)
	v_mul_f64 v[188:189], v[172:173], v[78:79]
	ds_read_b128 v[176:179], v2 offset:1872
	v_fmac_f64_e32 v[188:189], v[174:175], v[76:77]
	v_add_f64 v[188:189], v[0:1], v[188:189]
	v_mul_f64 v[0:1], v[230:231], v[182:183]
	v_fma_f64 v[0:1], v[228:229], v[180:181], -v[0:1]
	ds_read_b128 v[180:183], v2 offset:1888
	v_mul_f64 v[186:187], v[248:249], v[186:187]
	s_waitcnt vmcnt(4) lgkmcnt(1)
	v_mul_f64 v[190:191], v[176:177], v[82:83]
	v_fma_f64 v[238:239], v[246:247], v[184:185], -v[186:187]
	ds_read_b128 v[184:187], v2 offset:1904
	v_fmac_f64_e32 v[190:191], v[178:179], v[80:81]
	v_add_f64 v[196:197], v[188:189], v[190:191]
	ds_read_b128 v[188:191], v2 offset:1920
	s_waitcnt vmcnt(3) lgkmcnt(2)
	v_mul_f64 v[198:199], v[180:181], v[86:87]
	v_mul_f64 v[194:195], v[252:253], v[194:195]
	v_fmac_f64_e32 v[198:199], v[182:183], v[84:85]
	v_fma_f64 v[246:247], v[250:251], v[192:193], -v[194:195]
	ds_read_b128 v[192:195], v2 offset:1936
	ds_read_b128 v[200:203], v2 offset:1952
	v_add_f64 v[196:197], v[196:197], v[198:199]
	s_waitcnt vmcnt(2) lgkmcnt(3)
	v_mul_f64 v[198:199], v[184:185], v[98:99]
	v_fmac_f64_e32 v[198:199], v[186:187], v[96:97]
	v_add_f64 v[196:197], v[196:197], v[198:199]
	s_waitcnt vmcnt(1) lgkmcnt(2)
	v_mul_f64 v[198:199], v[188:189], v[94:95]
	v_fmac_f64_e32 v[198:199], v[190:191], v[92:93]
	;; [unrolled: 4-line block ×3, first 2 shown]
	v_add_f64 v[204:205], v[196:197], v[198:199]
	scratch_load_dwordx4 v[196:199], off, off offset:960
	ds_read_b128 v[208:211], v2 offset:1968
	ds_read_b128 v[216:219], v2 offset:1984
	;; [unrolled: 1-line block ×3, first 2 shown]
	s_waitcnt vmcnt(0) lgkmcnt(3)
	v_mul_f64 v[206:207], v[200:201], v[198:199]
	v_fmac_f64_e32 v[206:207], v[202:203], v[196:197]
	v_add_f64 v[212:213], v[204:205], v[206:207]
	scratch_load_dwordx4 v[204:207], off, off offset:976
	s_waitcnt vmcnt(0) lgkmcnt(2)
	v_mul_f64 v[214:215], v[208:209], v[206:207]
	v_fmac_f64_e32 v[214:215], v[210:211], v[204:205]
	v_add_f64 v[220:221], v[212:213], v[214:215]
	scratch_load_dwordx4 v[212:215], off, off offset:992
	;; [unrolled: 5-line block ×3, first 2 shown]
	s_waitcnt vmcnt(0) lgkmcnt(0)
	v_mul_f64 v[230:231], v[224:225], v[222:223]
	v_fmac_f64_e32 v[230:231], v[226:227], v[220:221]
	v_add_f64 v[250:251], v[228:229], v[230:231]
	v_add_f64 v[228:229], v[240:241], 0
	;; [unrolled: 1-line block ×6, first 2 shown]
	scratch_load_dwordx4 v[228:231], off, off offset:224
	v_add_f64 v[24:25], v[28:29], v[24:25]
	v_add_f64 v[20:21], v[24:25], v[20:21]
	;; [unrolled: 1-line block ×13, first 2 shown]
	v_accvgpr_read_b32 v6, a132
	v_accvgpr_read_b32 v8, a134
	;; [unrolled: 1-line block ×3, first 2 shown]
	v_add_f64 v[0:1], v[4:5], v[0:1]
	v_accvgpr_read_b32 v7, a133
	v_mul_f64 v[4:5], v[90:91], v[8:9]
	v_add_f64 v[0:1], v[0:1], v[238:239]
	v_fma_f64 v[4:5], v[88:89], v[6:7], -v[4:5]
	v_accvgpr_read_b32 v6, a136
	v_add_f64 v[0:1], v[0:1], v[246:247]
	v_accvgpr_read_b32 v8, a138
	v_accvgpr_read_b32 v9, a139
	v_add_f64 v[0:1], v[0:1], v[4:5]
	v_accvgpr_read_b32 v7, a137
	v_mul_f64 v[4:5], v[106:107], v[8:9]
	v_fma_f64 v[4:5], v[104:105], v[6:7], -v[4:5]
	v_accvgpr_read_b32 v6, a140
	v_accvgpr_read_b32 v8, a142
	v_accvgpr_read_b32 v9, a143
	v_add_f64 v[0:1], v[0:1], v[4:5]
	v_accvgpr_read_b32 v7, a141
	v_mul_f64 v[4:5], v[110:111], v[8:9]
	v_fma_f64 v[4:5], v[108:109], v[6:7], -v[4:5]
	v_accvgpr_read_b32 v6, a144
	;; [unrolled: 7-line block ×4, first 2 shown]
	v_accvgpr_read_b32 v8, a130
	v_accvgpr_read_b32 v9, a131
	v_add_f64 v[0:1], v[0:1], v[4:5]
	v_accvgpr_read_b32 v7, a129
	v_mul_f64 v[4:5], v[122:123], v[8:9]
	v_fma_f64 v[4:5], v[120:121], v[6:7], -v[4:5]
	v_add_f64 v[0:1], v[0:1], v[4:5]
	v_mul_f64 v[4:5], v[126:127], v[236:237]
	v_fma_f64 v[4:5], v[124:125], v[234:235], -v[4:5]
	v_add_f64 v[0:1], v[0:1], v[4:5]
	;; [unrolled: 3-line block ×23, first 2 shown]
	s_waitcnt vmcnt(0)
	v_add_f64 v[4:5], v[228:229], -v[0:1]
	v_add_f64 v[6:7], v[230:231], -v[250:251]
	scratch_store_dwordx4 off, v[4:7], off offset:224
	s_and_saveexec_b64 s[0:1], vcc
	s_cbranch_execz .LBB126_379
; %bb.378:
	scratch_load_dwordx4 v[6:9], off, s77
	v_mov_b32_e32 v3, v2
	v_mov_b32_e32 v4, v2
	;; [unrolled: 1-line block ×3, first 2 shown]
	v_accvgpr_read_b32 v0, a1
	scratch_store_dwordx4 off, v[2:5], off offset:208
	s_waitcnt vmcnt(1)
	ds_write_b128 v0, v[6:9]
.LBB126_379:
	s_or_b64 exec, exec, s[0:1]
	s_waitcnt lgkmcnt(0)
	; wave barrier
	scratch_load_dwordx4 v[56:59], off, off offset:224
	scratch_load_dwordx4 v[60:63], off, off offset:240
	;; [unrolled: 1-line block ×18, first 2 shown]
	ds_read_b128 v[116:119], v2 offset:1216
	ds_read_b128 v[224:227], v2 offset:1232
	;; [unrolled: 1-line block ×6, first 2 shown]
	scratch_load_dwordx4 v[180:183], off, off offset:512
	ds_read_b128 v[204:207], v2 offset:1312
	ds_read_b128 v[132:135], v2 offset:1328
	scratch_load_dwordx4 v[184:187], off, off offset:528
	ds_read_b128 v[220:223], v2 offset:1344
	ds_read_b128 v[216:219], v2 offset:1360
	;; [unrolled: 1-line block ×5, first 2 shown]
	scratch_load_dwordx4 v[192:195], off, off offset:544
	ds_read_b128 v[200:203], v2 offset:1424
	ds_read_b128 v[164:167], v2 offset:1440
	scratch_load_dwordx4 v[4:7], off, off offset:560
	ds_read_b128 v[212:215], v2 offset:1456
	ds_read_b128 v[188:191], v2 offset:1472
	ds_read_b128 v[176:179], v2 offset:1488
	scratch_load_dwordx4 v[8:11], off, off offset:576
	scratch_load_dwordx4 v[12:15], off, off offset:592
	;; [unrolled: 1-line block ×6, first 2 shown]
	ds_read_b128 v[228:231], v2 offset:1504
	ds_read_b128 v[232:235], v2 offset:1520
	;; [unrolled: 1-line block ×3, first 2 shown]
	v_cmp_lt_u32_e32 vcc, 11, v254
	ds_read_b128 v[108:111], v2 offset:1584
	s_waitcnt vmcnt(27) lgkmcnt(14)
	v_mul_f64 v[0:1], v[116:117], v[58:59]
	s_waitcnt vmcnt(26)
	v_mul_f64 v[32:33], v[224:225], v[62:63]
	v_fmac_f64_e32 v[0:1], v[118:119], v[56:57]
	s_waitcnt vmcnt(25)
	v_mul_f64 v[34:35], v[208:209], v[66:67]
	v_fmac_f64_e32 v[32:33], v[226:227], v[60:61]
	v_add_f64 v[0:1], v[0:1], 0
	s_waitcnt vmcnt(24)
	v_mul_f64 v[36:37], v[120:121], v[70:71]
	v_fmac_f64_e32 v[34:35], v[210:211], v[64:65]
	v_add_f64 v[0:1], v[0:1], v[32:33]
	;; [unrolled: 4-line block ×6, first 2 shown]
	s_waitcnt vmcnt(19) lgkmcnt(13)
	v_mul_f64 v[46:47], v[220:221], v[94:95]
	v_fmac_f64_e32 v[44:45], v[134:135], v[84:85]
	v_add_f64 v[0:1], v[0:1], v[42:43]
	s_waitcnt vmcnt(18) lgkmcnt(12)
	v_mul_f64 v[48:49], v[216:217], v[98:99]
	v_fmac_f64_e32 v[46:47], v[222:223], v[92:93]
	v_add_f64 v[0:1], v[0:1], v[44:45]
	;; [unrolled: 4-line block ×9, first 2 shown]
	scratch_load_dwordx4 v[32:35], off, off offset:672
	scratch_load_dwordx4 v[36:39], off, off offset:688
	v_fmac_f64_e32 v[106:107], v[190:191], v[168:169]
	v_add_f64 v[0:1], v[0:1], v[104:105]
	s_waitcnt vmcnt(12) lgkmcnt(4)
	v_mul_f64 v[40:41], v[176:177], v[174:175]
	v_add_f64 v[0:1], v[0:1], v[106:107]
	v_fmac_f64_e32 v[40:41], v[178:179], v[172:173]
	v_add_f64 v[0:1], v[0:1], v[40:41]
	s_waitcnt vmcnt(11) lgkmcnt(3)
	v_mul_f64 v[40:41], v[228:229], v[182:183]
	v_fmac_f64_e32 v[40:41], v[230:231], v[180:181]
	s_waitcnt vmcnt(10) lgkmcnt(2)
	v_mul_f64 v[44:45], v[232:233], v[186:187]
	ds_read_b128 v[88:91], v2 offset:1552
	v_add_f64 v[0:1], v[0:1], v[40:41]
	v_fmac_f64_e32 v[44:45], v[234:235], v[184:185]
	v_add_f64 v[0:1], v[0:1], v[44:45]
	s_waitcnt vmcnt(9) lgkmcnt(2)
	v_mul_f64 v[44:45], v[236:237], v[194:195]
	scratch_load_dwordx4 v[40:43], off, off offset:704
	v_fmac_f64_e32 v[44:45], v[238:239], v[192:193]
	v_add_f64 v[0:1], v[0:1], v[44:45]
	scratch_load_dwordx4 v[44:47], off, off offset:720
	s_waitcnt vmcnt(10) lgkmcnt(0)
	v_mul_f64 v[48:49], v[88:89], v[6:7]
	ds_read_b128 v[104:107], v2 offset:1568
	v_fmac_f64_e32 v[48:49], v[90:91], v[4:5]
	v_accvgpr_write_b32 a135, v7
	v_add_f64 v[0:1], v[0:1], v[48:49]
	scratch_load_dwordx4 v[48:51], off, off offset:736
	v_accvgpr_write_b32 a134, v6
	v_accvgpr_write_b32 a133, v5
	;; [unrolled: 1-line block ×3, first 2 shown]
	s_waitcnt vmcnt(10)
	v_mov_b64_e32 v[4:5], v[8:9]
	v_mov_b64_e32 v[6:7], v[10:11]
	s_waitcnt lgkmcnt(0)
	v_mul_f64 v[52:53], v[104:105], v[6:7]
	v_fmac_f64_e32 v[52:53], v[106:107], v[4:5]
	v_add_f64 v[0:1], v[0:1], v[52:53]
	scratch_load_dwordx4 v[52:55], off, off offset:752
	v_mul_f64 v[58:59], v[118:119], v[58:59]
	v_fma_f64 v[240:241], v[116:117], v[56:57], -v[58:59]
	scratch_load_dwordx4 v[56:59], off, off offset:768
	v_mul_f64 v[62:63], v[226:227], v[62:63]
	s_waitcnt vmcnt(11)
	v_mov_b64_e32 v[4:5], v[12:13]
	v_fma_f64 v[242:243], v[224:225], v[60:61], -v[62:63]
	scratch_load_dwordx4 v[60:63], off, off offset:784
	v_mov_b64_e32 v[6:7], v[14:15]
	v_mul_f64 v[112:113], v[108:109], v[6:7]
	v_fmac_f64_e32 v[112:113], v[110:111], v[4:5]
	v_add_f64 v[0:1], v[0:1], v[112:113]
	ds_read_b128 v[112:115], v2 offset:1600
	ds_read_b128 v[116:119], v2 offset:1616
	v_mul_f64 v[66:67], v[210:211], v[66:67]
	v_fma_f64 v[244:245], v[208:209], v[64:65], -v[66:67]
	scratch_load_dwordx4 v[64:67], off, off offset:800
	v_mul_f64 v[70:71], v[122:123], v[70:71]
	s_waitcnt vmcnt(12)
	v_mov_b64_e32 v[4:5], v[16:17]
	v_fma_f64 v[250:251], v[120:121], v[68:69], -v[70:71]
	scratch_load_dwordx4 v[68:71], off, off offset:816
	v_mov_b64_e32 v[6:7], v[18:19]
	v_mul_f64 v[74:75], v[130:131], v[74:75]
	s_waitcnt lgkmcnt(1)
	v_mul_f64 v[224:225], v[112:113], v[6:7]
	v_fma_f64 v[252:253], v[128:129], v[72:73], -v[74:75]
	scratch_load_dwordx4 v[72:75], off, off offset:832
	v_fmac_f64_e32 v[224:225], v[114:115], v[4:5]
	s_waitcnt vmcnt(13)
	v_mov_b64_e32 v[4:5], v[20:21]
	ds_read_b128 v[120:123], v2 offset:1632
	v_mul_f64 v[78:79], v[126:127], v[78:79]
	v_mov_b64_e32 v[6:7], v[22:23]
	v_fma_f64 v[246:247], v[124:125], v[76:77], -v[78:79]
	ds_read_b128 v[124:127], v2 offset:1648
	scratch_load_dwordx4 v[76:79], off, off offset:848
	s_waitcnt lgkmcnt(2)
	v_mul_f64 v[208:209], v[116:117], v[6:7]
	v_accvgpr_write_b32 a139, v11
	v_fmac_f64_e32 v[208:209], v[118:119], v[4:5]
	s_waitcnt vmcnt(13)
	v_mov_b64_e32 v[4:5], v[24:25]
	v_accvgpr_write_b32 a138, v10
	v_accvgpr_write_b32 a137, v9
	;; [unrolled: 1-line block ×3, first 2 shown]
	v_mov_b64_e32 v[6:7], v[26:27]
	v_mul_f64 v[82:83], v[206:207], v[82:83]
	s_waitcnt vmcnt(12)
	v_accvgpr_read_b32 v8, a128
	v_add_f64 v[0:1], v[0:1], v[224:225]
	s_waitcnt lgkmcnt(1)
	v_mul_f64 v[128:129], v[120:121], v[6:7]
	v_fma_f64 v[28:29], v[204:205], v[80:81], -v[82:83]
	v_accvgpr_read_b32 v10, a130
	v_accvgpr_read_b32 v11, a131
	scratch_load_dwordx4 v[80:83], off, off offset:864
	v_add_f64 v[0:1], v[0:1], v[208:209]
	v_fmac_f64_e32 v[128:129], v[122:123], v[4:5]
	v_accvgpr_read_b32 v9, a129
	s_waitcnt lgkmcnt(0)
	v_mul_f64 v[6:7], v[124:125], v[10:11]
	v_add_f64 v[0:1], v[0:1], v[128:129]
	v_fmac_f64_e32 v[6:7], v[126:127], v[8:9]
	v_accvgpr_write_b32 a155, v27
	v_add_f64 v[0:1], v[0:1], v[6:7]
	v_mul_f64 v[6:7], v[134:135], v[86:87]
	v_accvgpr_write_b32 a154, v26
	v_accvgpr_write_b32 a153, v25
	;; [unrolled: 1-line block ×3, first 2 shown]
	v_fma_f64 v[24:25], v[132:133], v[84:85], -v[6:7]
	scratch_load_dwordx4 v[84:87], off, off offset:880
	v_accvgpr_write_b32 a147, v19
	v_mul_f64 v[10:11], v[218:219], v[98:99]
	v_accvgpr_write_b32 a146, v18
	v_accvgpr_write_b32 a145, v17
	;; [unrolled: 1-line block ×3, first 2 shown]
	ds_read_b128 v[132:135], v2 offset:1664
	ds_read_b128 v[128:131], v2 offset:1680
	v_fma_f64 v[16:17], v[216:217], v[96:97], -v[10:11]
	scratch_load_dwordx4 v[96:99], off, off offset:896
	v_accvgpr_write_b32 a151, v23
	v_mul_f64 v[94:95], v[222:223], v[94:95]
	v_accvgpr_write_b32 a150, v22
	v_accvgpr_write_b32 a149, v21
	;; [unrolled: 1-line block ×3, first 2 shown]
	v_fma_f64 v[20:21], v[220:221], v[92:93], -v[94:95]
	scratch_load_dwordx4 v[92:95], off, off offset:912
	v_accvgpr_write_b32 a143, v15
	v_mul_f64 v[102:103], v[198:199], v[102:103]
	v_accvgpr_write_b32 a142, v14
	v_accvgpr_write_b32 a141, v13
	;; [unrolled: 1-line block ×3, first 2 shown]
	v_fma_f64 v[12:13], v[196:197], v[100:101], -v[102:103]
	scratch_load_dwordx4 v[100:103], off, off offset:928
	s_waitcnt vmcnt(16) lgkmcnt(1)
	v_mul_f64 v[204:205], v[132:133], v[34:35]
	v_mul_f64 v[14:15], v[142:143], v[138:139]
	v_fmac_f64_e32 v[204:205], v[134:135], v[32:33]
	v_fma_f64 v[14:15], v[140:141], v[136:137], -v[14:15]
	s_waitcnt vmcnt(15) lgkmcnt(0)
	v_mul_f64 v[140:141], v[128:129], v[38:39]
	v_add_f64 v[0:1], v[0:1], v[204:205]
	ds_read_b128 v[136:139], v2 offset:1696
	v_fmac_f64_e32 v[140:141], v[130:131], v[36:37]
	v_add_f64 v[0:1], v[0:1], v[140:141]
	ds_read_b128 v[140:143], v2 offset:1712
	v_mul_f64 v[146:147], v[154:155], v[146:147]
	v_fma_f64 v[10:11], v[152:153], v[144:145], -v[146:147]
	ds_read_b128 v[144:147], v2 offset:1728
	s_waitcnt vmcnt(14) lgkmcnt(2)
	v_mul_f64 v[196:197], v[136:137], v[42:43]
	v_fmac_f64_e32 v[196:197], v[138:139], v[40:41]
	s_waitcnt vmcnt(13) lgkmcnt(1)
	v_mul_f64 v[18:19], v[140:141], v[46:47]
	v_add_f64 v[0:1], v[0:1], v[196:197]
	v_fmac_f64_e32 v[18:19], v[142:143], v[44:45]
	v_add_f64 v[0:1], v[0:1], v[18:19]
	v_mul_f64 v[18:19], v[202:203], v[150:151]
	v_fma_f64 v[18:19], v[200:201], v[148:149], -v[18:19]
	ds_read_b128 v[148:151], v2 offset:1744
	s_waitcnt vmcnt(12) lgkmcnt(1)
	v_mul_f64 v[152:153], v[144:145], v[50:51]
	v_fmac_f64_e32 v[152:153], v[146:147], v[48:49]
	v_add_f64 v[0:1], v[0:1], v[152:153]
	ds_read_b128 v[152:155], v2 offset:1760
	v_mul_f64 v[158:159], v[166:167], v[158:159]
	v_fma_f64 v[8:9], v[164:165], v[156:157], -v[158:159]
	ds_read_b128 v[156:159], v2 offset:1776
	s_waitcnt vmcnt(11) lgkmcnt(2)
	v_mul_f64 v[22:23], v[148:149], v[54:55]
	v_fmac_f64_e32 v[22:23], v[150:151], v[52:53]
	v_add_f64 v[0:1], v[0:1], v[22:23]
	s_waitcnt vmcnt(10) lgkmcnt(1)
	v_mul_f64 v[22:23], v[152:153], v[58:59]
	v_fmac_f64_e32 v[22:23], v[154:155], v[56:57]
	v_add_f64 v[0:1], v[0:1], v[22:23]
	v_mul_f64 v[22:23], v[214:215], v[162:163]
	s_waitcnt vmcnt(9) lgkmcnt(0)
	v_mul_f64 v[164:165], v[156:157], v[62:63]
	v_fma_f64 v[22:23], v[212:213], v[160:161], -v[22:23]
	ds_read_b128 v[160:163], v2 offset:1792
	v_fmac_f64_e32 v[164:165], v[158:159], v[60:61]
	v_add_f64 v[0:1], v[0:1], v[164:165]
	ds_read_b128 v[164:167], v2 offset:1808
	v_mul_f64 v[170:171], v[190:191], v[170:171]
	v_fma_f64 v[6:7], v[188:189], v[168:169], -v[170:171]
	ds_read_b128 v[168:171], v2 offset:1824
	v_mul_f64 v[174:175], v[178:179], v[174:175]
	s_waitcnt vmcnt(8) lgkmcnt(2)
	v_mul_f64 v[196:197], v[160:161], v[66:67]
	v_fma_f64 v[248:249], v[176:177], v[172:173], -v[174:175]
	ds_read_b128 v[172:175], v2 offset:1840
	v_fmac_f64_e32 v[196:197], v[162:163], v[64:65]
	s_waitcnt vmcnt(7) lgkmcnt(2)
	v_mul_f64 v[26:27], v[164:165], v[70:71]
	v_add_f64 v[0:1], v[0:1], v[196:197]
	v_fmac_f64_e32 v[26:27], v[166:167], v[68:69]
	v_add_f64 v[0:1], v[0:1], v[26:27]
	s_waitcnt vmcnt(6) lgkmcnt(1)
	v_mul_f64 v[26:27], v[168:169], v[74:75]
	v_fmac_f64_e32 v[26:27], v[170:171], v[72:73]
	ds_read_b128 v[176:179], v2 offset:1856
	v_add_f64 v[0:1], v[0:1], v[26:27]
	s_waitcnt vmcnt(5) lgkmcnt(1)
	v_mul_f64 v[26:27], v[172:173], v[78:79]
	v_fmac_f64_e32 v[26:27], v[174:175], v[76:77]
	v_add_f64 v[0:1], v[0:1], v[26:27]
	v_mul_f64 v[26:27], v[230:231], v[182:183]
	v_fma_f64 v[4:5], v[228:229], v[180:181], -v[26:27]
	ds_read_b128 v[180:183], v2 offset:1872
	s_waitcnt vmcnt(4) lgkmcnt(1)
	v_mul_f64 v[26:27], v[176:177], v[82:83]
	v_fmac_f64_e32 v[26:27], v[178:179], v[80:81]
	v_add_f64 v[26:27], v[0:1], v[26:27]
	v_mul_f64 v[0:1], v[234:235], v[186:187]
	v_fma_f64 v[0:1], v[232:233], v[184:185], -v[0:1]
	ds_read_b128 v[184:187], v2 offset:1888
	ds_read_b128 v[188:191], v2 offset:1904
	s_waitcnt vmcnt(3) lgkmcnt(2)
	v_mul_f64 v[30:31], v[180:181], v[86:87]
	v_fmac_f64_e32 v[30:31], v[182:183], v[84:85]
	v_add_f64 v[30:31], v[26:27], v[30:31]
	v_mul_f64 v[26:27], v[238:239], v[194:195]
	v_fma_f64 v[26:27], v[236:237], v[192:193], -v[26:27]
	ds_read_b128 v[192:195], v2 offset:1920
	ds_read_b128 v[200:203], v2 offset:1936
	scratch_load_dwordx4 v[236:239], off, off offset:208
	s_waitcnt vmcnt(3) lgkmcnt(3)
	v_mul_f64 v[196:197], v[184:185], v[98:99]
	v_fmac_f64_e32 v[196:197], v[186:187], v[96:97]
	v_add_f64 v[30:31], v[30:31], v[196:197]
	s_waitcnt vmcnt(2) lgkmcnt(2)
	v_mul_f64 v[196:197], v[188:189], v[94:95]
	v_fmac_f64_e32 v[196:197], v[190:191], v[92:93]
	v_add_f64 v[30:31], v[30:31], v[196:197]
	;; [unrolled: 4-line block ×3, first 2 shown]
	scratch_load_dwordx4 v[196:199], off, off offset:944
	scratch_load_dwordx4 v[232:235], off, off offset:1008
	ds_read_b128 v[208:211], v2 offset:1952
	ds_read_b128 v[216:219], v2 offset:1968
	;; [unrolled: 1-line block ×3, first 2 shown]
	s_waitcnt vmcnt(1) lgkmcnt(3)
	v_mul_f64 v[204:205], v[200:201], v[198:199]
	v_fmac_f64_e32 v[204:205], v[202:203], v[196:197]
	v_add_f64 v[30:31], v[30:31], v[204:205]
	scratch_load_dwordx4 v[204:207], off, off offset:960
	s_waitcnt vmcnt(0) lgkmcnt(2)
	v_mul_f64 v[212:213], v[208:209], v[206:207]
	v_fmac_f64_e32 v[212:213], v[210:211], v[204:205]
	v_add_f64 v[30:31], v[30:31], v[212:213]
	scratch_load_dwordx4 v[212:215], off, off offset:976
	;; [unrolled: 5-line block ×3, first 2 shown]
	s_waitcnt vmcnt(0) lgkmcnt(0)
	v_mul_f64 v[228:229], v[224:225], v[222:223]
	v_fmac_f64_e32 v[228:229], v[226:227], v[220:221]
	v_add_f64 v[30:31], v[30:31], v[228:229]
	ds_read_b128 v[228:231], v2 offset:2000
	s_waitcnt lgkmcnt(0)
	v_mul_f64 v[2:3], v[228:229], v[234:235]
	v_fmac_f64_e32 v[2:3], v[230:231], v[232:233]
	v_add_f64 v[2:3], v[30:31], v[2:3]
	v_add_f64 v[30:31], v[240:241], 0
	;; [unrolled: 1-line block ×20, first 2 shown]
	v_accvgpr_read_b32 v6, a132
	v_accvgpr_read_b32 v8, a134
	;; [unrolled: 1-line block ×4, first 2 shown]
	v_mul_f64 v[4:5], v[90:91], v[8:9]
	v_add_f64 v[0:1], v[250:251], v[0:1]
	v_fma_f64 v[4:5], v[88:89], v[6:7], -v[4:5]
	v_accvgpr_read_b32 v6, a136
	v_add_f64 v[0:1], v[0:1], v[26:27]
	v_accvgpr_read_b32 v8, a138
	v_accvgpr_read_b32 v9, a139
	v_add_f64 v[0:1], v[0:1], v[4:5]
	v_accvgpr_read_b32 v7, a137
	v_mul_f64 v[4:5], v[106:107], v[8:9]
	v_fma_f64 v[4:5], v[104:105], v[6:7], -v[4:5]
	v_accvgpr_read_b32 v6, a140
	v_accvgpr_read_b32 v8, a142
	v_accvgpr_read_b32 v9, a143
	v_add_f64 v[0:1], v[0:1], v[4:5]
	v_accvgpr_read_b32 v7, a141
	v_mul_f64 v[4:5], v[110:111], v[8:9]
	v_fma_f64 v[4:5], v[108:109], v[6:7], -v[4:5]
	v_accvgpr_read_b32 v6, a144
	;; [unrolled: 7-line block ×5, first 2 shown]
	v_accvgpr_read_b32 v8, a130
	v_accvgpr_read_b32 v9, a131
	v_add_f64 v[0:1], v[0:1], v[4:5]
	v_accvgpr_read_b32 v7, a129
	v_mul_f64 v[4:5], v[126:127], v[8:9]
	v_fma_f64 v[4:5], v[124:125], v[6:7], -v[4:5]
	v_add_f64 v[0:1], v[0:1], v[4:5]
	v_mul_f64 v[4:5], v[134:135], v[34:35]
	v_fma_f64 v[4:5], v[132:133], v[32:33], -v[4:5]
	v_add_f64 v[0:1], v[0:1], v[4:5]
	;; [unrolled: 3-line block ×23, first 2 shown]
	v_add_f64 v[4:5], v[236:237], -v[0:1]
	v_add_f64 v[6:7], v[238:239], -v[2:3]
	scratch_store_dwordx4 off, v[4:7], off offset:208
	s_and_saveexec_b64 s[0:1], vcc
	s_cbranch_execz .LBB126_381
; %bb.380:
	scratch_load_dwordx4 v[2:5], off, s78
	v_mov_b32_e32 v6, 0
	v_mov_b32_e32 v7, v6
	;; [unrolled: 1-line block ×4, first 2 shown]
	v_accvgpr_read_b32 v0, a1
	scratch_store_dwordx4 off, v[6:9], off offset:192
	s_waitcnt vmcnt(1)
	ds_write_b128 v0, v[2:5]
.LBB126_381:
	s_or_b64 exec, exec, s[0:1]
	s_waitcnt lgkmcnt(0)
	; wave barrier
	scratch_load_dwordx4 v[48:51], off, off offset:208
	scratch_load_dwordx4 v[52:55], off, off offset:224
	;; [unrolled: 1-line block ×28, first 2 shown]
	v_mov_b32_e32 v2, 0
	ds_read_b128 v[104:107], v2 offset:1200
	ds_read_b128 v[112:115], v2 offset:1216
	;; [unrolled: 1-line block ×18, first 2 shown]
	scratch_load_dwordx4 a[128:131], off, off offset:656
	scratch_load_dwordx4 a[132:135], off, off offset:672
	ds_read_b128 v[220:223], v2 offset:1488
	ds_read_b128 v[224:227], v2 offset:1504
	;; [unrolled: 1-line block ×4, first 2 shown]
	scratch_load_dwordx4 v[234:237], off, off offset:688
	ds_read_b128 v[250:253], v2 offset:1552
	v_cmp_lt_u32_e32 vcc, 10, v254
	s_waitcnt vmcnt(30) lgkmcnt(14)
	v_mul_f64 v[0:1], v[104:105], v[50:51]
	s_waitcnt vmcnt(29)
	v_mul_f64 v[24:25], v[112:113], v[54:55]
	v_fmac_f64_e32 v[0:1], v[106:107], v[48:49]
	s_waitcnt vmcnt(28)
	v_mul_f64 v[26:27], v[116:117], v[58:59]
	v_fmac_f64_e32 v[24:25], v[114:115], v[52:53]
	v_add_f64 v[0:1], v[0:1], 0
	s_waitcnt vmcnt(27)
	v_mul_f64 v[28:29], v[120:121], v[62:63]
	v_fmac_f64_e32 v[26:27], v[118:119], v[56:57]
	v_add_f64 v[0:1], v[0:1], v[24:25]
	;; [unrolled: 4-line block ×7, first 2 shown]
	s_waitcnt vmcnt(21) lgkmcnt(13)
	v_mul_f64 v[40:41], v[172:173], v[86:87]
	v_fmac_f64_e32 v[38:39], v[162:163], v[80:81]
	v_add_f64 v[0:1], v[0:1], v[36:37]
	s_waitcnt vmcnt(20) lgkmcnt(12)
	v_mul_f64 v[42:43], v[184:185], v[94:95]
	v_fmac_f64_e32 v[40:41], v[174:175], v[84:85]
	v_add_f64 v[0:1], v[0:1], v[38:39]
	;; [unrolled: 4-line block ×8, first 2 shown]
	v_add_f64 v[0:1], v[0:1], v[96:97]
	v_fmac_f64_e32 v[98:99], v[214:215], v[152:153]
	s_waitcnt vmcnt(13) lgkmcnt(5)
	v_mul_f64 v[32:33], v[216:217], v[158:159]
	v_add_f64 v[0:1], v[0:1], v[98:99]
	v_fmac_f64_e32 v[32:33], v[218:219], v[156:157]
	v_add_f64 v[0:1], v[0:1], v[32:33]
	s_waitcnt vmcnt(12) lgkmcnt(4)
	v_mul_f64 v[32:33], v[220:221], v[166:167]
	v_fmac_f64_e32 v[32:33], v[222:223], v[164:165]
	s_waitcnt vmcnt(11) lgkmcnt(3)
	v_mul_f64 v[36:37], v[224:225], v[170:171]
	v_add_f64 v[0:1], v[0:1], v[32:33]
	v_fmac_f64_e32 v[36:37], v[226:227], v[168:169]
	v_add_f64 v[0:1], v[0:1], v[36:37]
	s_waitcnt vmcnt(10) lgkmcnt(2)
	v_mul_f64 v[36:37], v[228:229], v[178:179]
	v_fmac_f64_e32 v[36:37], v[230:231], v[176:177]
	v_add_f64 v[0:1], v[0:1], v[36:37]
	scratch_load_dwordx4 v[36:39], off, off offset:704
	s_waitcnt vmcnt(10) lgkmcnt(1)
	v_mul_f64 v[40:41], v[246:247], v[182:183]
	v_fmac_f64_e32 v[40:41], v[248:249], v[180:181]
	v_add_f64 v[0:1], v[0:1], v[40:41]
	scratch_load_dwordx4 v[40:43], off, off offset:720
	ds_read_b128 v[88:91], v2 offset:1568
	s_waitcnt vmcnt(10) lgkmcnt(1)
	v_mul_f64 v[44:45], v[250:251], v[190:191]
	v_fmac_f64_e32 v[44:45], v[252:253], v[188:189]
	v_add_f64 v[0:1], v[0:1], v[44:45]
	scratch_load_dwordx4 v[44:47], off, off offset:736
	v_mul_f64 v[50:51], v[106:107], v[50:51]
	v_fma_f64 v[240:241], v[104:105], v[48:49], -v[50:51]
	scratch_load_dwordx4 v[48:51], off, off offset:752
	s_waitcnt vmcnt(11) lgkmcnt(0)
	v_mul_f64 v[96:97], v[88:89], v[6:7]
	v_mul_f64 v[54:55], v[114:115], v[54:55]
	v_fmac_f64_e32 v[96:97], v[90:91], v[4:5]
	v_fma_f64 v[242:243], v[112:113], v[52:53], -v[54:55]
	scratch_load_dwordx4 v[52:55], off, off offset:768
	v_add_f64 v[0:1], v[0:1], v[96:97]
	ds_read_b128 v[96:99], v2 offset:1584
	ds_read_b128 v[104:107], v2 offset:1600
	v_accvgpr_write_b32 a139, v7
	v_accvgpr_write_b32 a138, v6
	v_accvgpr_write_b32 a137, v5
	v_accvgpr_write_b32 a136, v4
	s_waitcnt vmcnt(11)
	v_mov_b64_e32 v[4:5], v[8:9]
	v_mov_b64_e32 v[6:7], v[10:11]
	v_mul_f64 v[58:59], v[118:119], v[58:59]
	s_waitcnt lgkmcnt(1)
	v_mul_f64 v[112:113], v[96:97], v[6:7]
	v_fma_f64 v[244:245], v[116:117], v[56:57], -v[58:59]
	scratch_load_dwordx4 v[56:59], off, off offset:784
	v_fmac_f64_e32 v[112:113], v[98:99], v[4:5]
	s_waitcnt vmcnt(11)
	v_mov_b64_e32 v[4:5], v[12:13]
	v_mul_f64 v[62:63], v[122:123], v[62:63]
	v_mov_b64_e32 v[6:7], v[14:15]
	v_fma_f64 v[232:233], v[120:121], v[60:61], -v[62:63]
	scratch_load_dwordx4 v[60:63], off, off offset:800
	v_add_f64 v[0:1], v[0:1], v[112:113]
	s_waitcnt lgkmcnt(0)
	v_mul_f64 v[112:113], v[104:105], v[6:7]
	v_fmac_f64_e32 v[112:113], v[106:107], v[4:5]
	v_mul_f64 v[66:67], v[126:127], v[66:67]
	v_add_f64 v[0:1], v[0:1], v[112:113]
	ds_read_b128 v[112:115], v2 offset:1616
	ds_read_b128 v[116:119], v2 offset:1632
	v_fma_f64 v[32:33], v[124:125], v[64:65], -v[66:67]
	scratch_load_dwordx4 v[64:67], off, off offset:816
	v_accvgpr_write_b32 a143, v11
	v_accvgpr_write_b32 a142, v10
	;; [unrolled: 1-line block ×4, first 2 shown]
	s_waitcnt vmcnt(12)
	v_mov_b64_e32 v[8:9], v[16:17]
	v_mul_f64 v[6:7], v[130:131], v[70:71]
	v_mov_b64_e32 v[10:11], v[18:19]
	v_fma_f64 v[28:29], v[128:129], v[68:69], -v[6:7]
	s_waitcnt lgkmcnt(1)
	v_mul_f64 v[6:7], v[112:113], v[10:11]
	scratch_load_dwordx4 v[68:71], off, off offset:832
	v_fmac_f64_e32 v[6:7], v[114:115], v[8:9]
	v_add_f64 v[0:1], v[0:1], v[6:7]
	v_mul_f64 v[6:7], v[134:135], v[74:75]
	v_fma_f64 v[24:25], v[132:133], v[72:73], -v[6:7]
	s_waitcnt vmcnt(12)
	v_mov_b64_e32 v[8:9], v[20:21]
	scratch_load_dwordx4 v[72:75], off, off offset:848
	v_mov_b64_e32 v[10:11], v[22:23]
	s_waitcnt lgkmcnt(0)
	v_mul_f64 v[6:7], v[116:117], v[10:11]
	v_fmac_f64_e32 v[6:7], v[118:119], v[8:9]
	v_accvgpr_write_b32 a155, v23
	v_add_f64 v[0:1], v[0:1], v[6:7]
	v_mul_f64 v[6:7], v[150:151], v[78:79]
	v_accvgpr_write_b32 a154, v22
	v_accvgpr_write_b32 a153, v21
	;; [unrolled: 1-line block ×3, first 2 shown]
	v_fma_f64 v[20:21], v[148:149], v[76:77], -v[6:7]
	scratch_load_dwordx4 v[76:79], off, off offset:864
	ds_read_b128 v[124:127], v2 offset:1648
	ds_read_b128 v[120:123], v2 offset:1664
	v_accvgpr_write_b32 a151, v19
	v_mul_f64 v[6:7], v[162:163], v[82:83]
	v_accvgpr_write_b32 a147, v15
	v_accvgpr_write_b32 a150, v18
	;; [unrolled: 1-line block ×4, first 2 shown]
	v_fma_f64 v[16:17], v[160:161], v[80:81], -v[6:7]
	v_mul_f64 v[6:7], v[174:175], v[86:87]
	s_waitcnt vmcnt(13)
	v_accvgpr_read_b32 v8, a128
	v_accvgpr_write_b32 a146, v14
	v_accvgpr_write_b32 a145, v13
	;; [unrolled: 1-line block ×3, first 2 shown]
	v_fma_f64 v[14:15], v[172:173], v[84:85], -v[6:7]
	scratch_load_dwordx4 v[84:87], off, off offset:880
	scratch_load_dwordx4 v[80:83], off, off offset:896
	v_accvgpr_read_b32 v10, a130
	v_accvgpr_read_b32 v11, a131
	;; [unrolled: 1-line block ×3, first 2 shown]
	s_waitcnt lgkmcnt(1)
	v_mul_f64 v[6:7], v[124:125], v[10:11]
	v_fmac_f64_e32 v[6:7], v[126:127], v[8:9]
	s_waitcnt vmcnt(14)
	v_accvgpr_read_b32 v8, a132
	v_accvgpr_read_b32 v10, a134
	;; [unrolled: 1-line block ×3, first 2 shown]
	v_add_f64 v[0:1], v[0:1], v[6:7]
	v_accvgpr_read_b32 v9, a133
	s_waitcnt lgkmcnt(0)
	v_mul_f64 v[6:7], v[120:121], v[10:11]
	v_fmac_f64_e32 v[6:7], v[122:123], v[8:9]
	v_add_f64 v[0:1], v[0:1], v[6:7]
	v_mul_f64 v[6:7], v[186:187], v[94:95]
	v_fma_f64 v[18:19], v[184:185], v[92:93], -v[6:7]
	scratch_load_dwordx4 v[92:95], off, off offset:912
	v_mul_f64 v[6:7], v[194:195], v[102:103]
	v_fma_f64 v[12:13], v[192:193], v[100:101], -v[6:7]
	scratch_load_dwordx4 v[100:103], off, off offset:928
	;; [unrolled: 3-line block ×3, first 2 shown]
	ds_read_b128 v[128:131], v2 offset:1680
	ds_read_b128 v[132:135], v2 offset:1696
	ds_read_b128 v[148:151], v2 offset:1760
	ds_read_b128 v[160:163], v2 offset:1808
	v_mul_f64 v[182:183], v[248:249], v[182:183]
	s_waitcnt vmcnt(16) lgkmcnt(3)
	v_mul_f64 v[6:7], v[128:129], v[236:237]
	v_fmac_f64_e32 v[6:7], v[130:131], v[234:235]
	v_add_f64 v[0:1], v[0:1], v[6:7]
	v_mul_f64 v[6:7], v[202:203], v[138:139]
	v_fma_f64 v[10:11], v[200:201], v[136:137], -v[6:7]
	ds_read_b128 v[136:139], v2 offset:1712
	s_waitcnt vmcnt(15) lgkmcnt(3)
	v_mul_f64 v[6:7], v[132:133], v[38:39]
	v_fmac_f64_e32 v[6:7], v[134:135], v[36:37]
	v_add_f64 v[0:1], v[0:1], v[6:7]
	v_mul_f64 v[6:7], v[206:207], v[142:143]
	v_fma_f64 v[26:27], v[204:205], v[140:141], -v[6:7]
	ds_read_b128 v[140:143], v2 offset:1728
	s_waitcnt vmcnt(14) lgkmcnt(1)
	v_mul_f64 v[6:7], v[136:137], v[42:43]
	v_fmac_f64_e32 v[6:7], v[138:139], v[40:41]
	v_add_f64 v[0:1], v[0:1], v[6:7]
	v_mul_f64 v[6:7], v[210:211], v[146:147]
	v_fma_f64 v[8:9], v[208:209], v[144:145], -v[6:7]
	ds_read_b128 v[144:147], v2 offset:1744
	s_waitcnt vmcnt(13) lgkmcnt(1)
	v_mul_f64 v[6:7], v[140:141], v[46:47]
	v_fmac_f64_e32 v[6:7], v[142:143], v[44:45]
	v_add_f64 v[0:1], v[0:1], v[6:7]
	v_fma_f64 v[238:239], v[246:247], v[180:181], -v[182:183]
	s_waitcnt vmcnt(12) lgkmcnt(0)
	v_mul_f64 v[6:7], v[144:145], v[50:51]
	v_fmac_f64_e32 v[6:7], v[146:147], v[48:49]
	v_add_f64 v[0:1], v[0:1], v[6:7]
	v_mul_f64 v[6:7], v[214:215], v[154:155]
	v_fma_f64 v[30:31], v[212:213], v[152:153], -v[6:7]
	s_waitcnt vmcnt(11)
	v_mul_f64 v[6:7], v[148:149], v[54:55]
	v_fmac_f64_e32 v[6:7], v[150:151], v[52:53]
	ds_read_b128 v[152:155], v2 offset:1776
	v_add_f64 v[0:1], v[0:1], v[6:7]
	v_mul_f64 v[6:7], v[218:219], v[158:159]
	v_fma_f64 v[4:5], v[216:217], v[156:157], -v[6:7]
	ds_read_b128 v[156:159], v2 offset:1792
	s_waitcnt vmcnt(10) lgkmcnt(1)
	v_mul_f64 v[6:7], v[152:153], v[58:59]
	v_fmac_f64_e32 v[6:7], v[154:155], v[56:57]
	v_add_f64 v[0:1], v[0:1], v[6:7]
	ds_read_b128 v[180:183], v2 offset:1888
	s_waitcnt vmcnt(9) lgkmcnt(1)
	v_mul_f64 v[6:7], v[156:157], v[62:63]
	v_fmac_f64_e32 v[6:7], v[158:159], v[60:61]
	v_add_f64 v[0:1], v[0:1], v[6:7]
	v_mul_f64 v[6:7], v[222:223], v[166:167]
	v_fma_f64 v[34:35], v[220:221], v[164:165], -v[6:7]
	ds_read_b128 v[164:167], v2 offset:1824
	s_waitcnt vmcnt(8)
	v_mul_f64 v[6:7], v[160:161], v[66:67]
	v_fmac_f64_e32 v[6:7], v[162:163], v[64:65]
	v_add_f64 v[0:1], v[0:1], v[6:7]
	v_mul_f64 v[6:7], v[226:227], v[170:171]
	v_fma_f64 v[6:7], v[224:225], v[168:169], -v[6:7]
	ds_read_b128 v[168:171], v2 offset:1840
	s_waitcnt vmcnt(7) lgkmcnt(1)
	v_mul_f64 v[172:173], v[164:165], v[70:71]
	v_fmac_f64_e32 v[172:173], v[166:167], v[68:69]
	v_add_f64 v[0:1], v[0:1], v[172:173]
	ds_read_b128 v[172:175], v2 offset:1856
	s_waitcnt vmcnt(6) lgkmcnt(1)
	v_mul_f64 v[184:185], v[168:169], v[74:75]
	v_fmac_f64_e32 v[184:185], v[170:171], v[72:73]
	v_add_f64 v[184:185], v[0:1], v[184:185]
	v_mul_f64 v[0:1], v[230:231], v[178:179]
	v_fma_f64 v[0:1], v[228:229], v[176:177], -v[0:1]
	ds_read_b128 v[176:179], v2 offset:1872
	s_waitcnt vmcnt(5) lgkmcnt(1)
	v_mul_f64 v[186:187], v[172:173], v[78:79]
	v_fmac_f64_e32 v[186:187], v[174:175], v[76:77]
	v_add_f64 v[184:185], v[184:185], v[186:187]
	v_mul_f64 v[190:191], v[252:253], v[190:191]
	s_waitcnt vmcnt(4) lgkmcnt(0)
	v_mul_f64 v[186:187], v[176:177], v[86:87]
	v_fmac_f64_e32 v[186:187], v[178:179], v[84:85]
	v_add_f64 v[192:193], v[184:185], v[186:187]
	ds_read_b128 v[184:187], v2 offset:1904
	v_fma_f64 v[246:247], v[250:251], v[188:189], -v[190:191]
	ds_read_b128 v[188:191], v2 offset:1920
	s_waitcnt vmcnt(3)
	v_mul_f64 v[194:195], v[180:181], v[82:83]
	v_fmac_f64_e32 v[194:195], v[182:183], v[80:81]
	v_add_f64 v[192:193], v[192:193], v[194:195]
	s_waitcnt vmcnt(2) lgkmcnt(1)
	v_mul_f64 v[194:195], v[184:185], v[94:95]
	v_fmac_f64_e32 v[194:195], v[186:187], v[92:93]
	v_add_f64 v[192:193], v[192:193], v[194:195]
	s_waitcnt vmcnt(1) lgkmcnt(0)
	v_mul_f64 v[194:195], v[188:189], v[102:103]
	v_fmac_f64_e32 v[194:195], v[190:191], v[100:101]
	v_add_f64 v[196:197], v[192:193], v[194:195]
	ds_read_b128 v[192:195], v2 offset:1936
	ds_read_b128 v[200:203], v2 offset:1952
	;; [unrolled: 1-line block ×5, first 2 shown]
	s_waitcnt vmcnt(0) lgkmcnt(4)
	v_mul_f64 v[198:199], v[192:193], v[110:111]
	v_fmac_f64_e32 v[198:199], v[194:195], v[108:109]
	v_add_f64 v[204:205], v[196:197], v[198:199]
	scratch_load_dwordx4 v[196:199], off, off offset:960
	s_waitcnt vmcnt(0) lgkmcnt(3)
	v_mul_f64 v[206:207], v[200:201], v[198:199]
	v_fmac_f64_e32 v[206:207], v[202:203], v[196:197]
	v_add_f64 v[212:213], v[204:205], v[206:207]
	scratch_load_dwordx4 v[204:207], off, off offset:976
	;; [unrolled: 5-line block ×4, first 2 shown]
	s_waitcnt vmcnt(0) lgkmcnt(0)
	v_mul_f64 v[230:231], v[224:225], v[222:223]
	v_fmac_f64_e32 v[230:231], v[226:227], v[220:221]
	v_add_f64 v[250:251], v[228:229], v[230:231]
	v_add_f64 v[228:229], v[240:241], 0
	;; [unrolled: 1-line block ×6, first 2 shown]
	scratch_load_dwordx4 v[228:231], off, off offset:192
	v_add_f64 v[28:29], v[32:33], v[28:29]
	v_add_f64 v[24:25], v[28:29], v[24:25]
	;; [unrolled: 1-line block ×15, first 2 shown]
	v_accvgpr_read_b32 v6, a136
	v_accvgpr_read_b32 v8, a138
	;; [unrolled: 1-line block ×3, first 2 shown]
	v_add_f64 v[0:1], v[4:5], v[0:1]
	v_accvgpr_read_b32 v7, a137
	v_mul_f64 v[4:5], v[90:91], v[8:9]
	v_add_f64 v[0:1], v[0:1], v[238:239]
	v_fma_f64 v[4:5], v[88:89], v[6:7], -v[4:5]
	v_accvgpr_read_b32 v6, a140
	v_add_f64 v[0:1], v[0:1], v[246:247]
	v_accvgpr_read_b32 v8, a142
	v_accvgpr_read_b32 v9, a143
	v_add_f64 v[0:1], v[0:1], v[4:5]
	v_accvgpr_read_b32 v7, a141
	v_mul_f64 v[4:5], v[98:99], v[8:9]
	v_fma_f64 v[4:5], v[96:97], v[6:7], -v[4:5]
	v_accvgpr_read_b32 v6, a144
	v_accvgpr_read_b32 v8, a146
	v_accvgpr_read_b32 v9, a147
	v_add_f64 v[0:1], v[0:1], v[4:5]
	v_accvgpr_read_b32 v7, a145
	v_mul_f64 v[4:5], v[106:107], v[8:9]
	v_fma_f64 v[4:5], v[104:105], v[6:7], -v[4:5]
	v_accvgpr_read_b32 v6, a148
	;; [unrolled: 7-line block ×5, first 2 shown]
	v_accvgpr_read_b32 v8, a134
	v_accvgpr_read_b32 v9, a135
	v_add_f64 v[0:1], v[0:1], v[4:5]
	v_accvgpr_read_b32 v7, a133
	v_mul_f64 v[4:5], v[122:123], v[8:9]
	v_fma_f64 v[4:5], v[120:121], v[6:7], -v[4:5]
	v_add_f64 v[0:1], v[0:1], v[4:5]
	v_mul_f64 v[4:5], v[130:131], v[236:237]
	v_fma_f64 v[4:5], v[128:129], v[234:235], -v[4:5]
	v_add_f64 v[0:1], v[0:1], v[4:5]
	;; [unrolled: 3-line block ×22, first 2 shown]
	s_waitcnt vmcnt(0)
	v_add_f64 v[4:5], v[228:229], -v[0:1]
	v_add_f64 v[6:7], v[230:231], -v[250:251]
	scratch_store_dwordx4 off, v[4:7], off offset:192
	s_and_saveexec_b64 s[0:1], vcc
	s_cbranch_execz .LBB126_383
; %bb.382:
	scratch_load_dwordx4 v[6:9], off, s79
	v_mov_b32_e32 v3, v2
	v_mov_b32_e32 v4, v2
	;; [unrolled: 1-line block ×3, first 2 shown]
	v_accvgpr_read_b32 v0, a1
	scratch_store_dwordx4 off, v[2:5], off offset:176
	s_waitcnt vmcnt(1)
	ds_write_b128 v0, v[6:9]
.LBB126_383:
	s_or_b64 exec, exec, s[0:1]
	s_waitcnt lgkmcnt(0)
	; wave barrier
	scratch_load_dwordx4 v[48:51], off, off offset:192
	scratch_load_dwordx4 v[52:55], off, off offset:208
	;; [unrolled: 1-line block ×18, first 2 shown]
	ds_read_b128 v[104:107], v2 offset:1184
	ds_read_b128 v[212:215], v2 offset:1200
	;; [unrolled: 1-line block ×6, first 2 shown]
	scratch_load_dwordx4 v[164:167], off, off offset:480
	ds_read_b128 v[192:195], v2 offset:1280
	ds_read_b128 v[124:127], v2 offset:1296
	scratch_load_dwordx4 v[168:171], off, off offset:496
	ds_read_b128 v[208:211], v2 offset:1312
	ds_read_b128 v[204:207], v2 offset:1328
	;; [unrolled: 1-line block ×5, first 2 shown]
	scratch_load_dwordx4 v[176:179], off, off offset:512
	ds_read_b128 v[200:203], v2 offset:1392
	ds_read_b128 v[172:175], v2 offset:1408
	scratch_load_dwordx4 v[180:183], off, off offset:528
	ds_read_b128 v[216:219], v2 offset:1424
	ds_read_b128 v[184:187], v2 offset:1440
	;; [unrolled: 1-line block ×3, first 2 shown]
	scratch_load_dwordx4 v[188:191], off, off offset:544
	scratch_load_dwordx4 v[4:7], off, off offset:560
	scratch_load_dwordx4 v[8:11], off, off offset:576
	scratch_load_dwordx4 v[12:15], off, off offset:592
	scratch_load_dwordx4 v[16:19], off, off offset:608
	scratch_load_dwordx4 v[20:23], off, off offset:624
	ds_read_b128 v[220:223], v2 offset:1472
	ds_read_b128 v[224:227], v2 offset:1488
	scratch_load_dwordx4 a[128:131], off, off offset:640
	scratch_load_dwordx4 a[132:135], off, off offset:656
	ds_read_b128 v[228:231], v2 offset:1504
	ds_read_b128 v[232:235], v2 offset:1520
	;; [unrolled: 1-line block ×3, first 2 shown]
	v_cmp_lt_u32_e32 vcc, 9, v254
	s_waitcnt vmcnt(29) lgkmcnt(14)
	v_mul_f64 v[0:1], v[104:105], v[50:51]
	s_waitcnt vmcnt(28)
	v_mul_f64 v[24:25], v[212:213], v[54:55]
	v_fmac_f64_e32 v[0:1], v[106:107], v[48:49]
	s_waitcnt vmcnt(27)
	v_mul_f64 v[26:27], v[196:197], v[58:59]
	v_fmac_f64_e32 v[24:25], v[214:215], v[52:53]
	v_add_f64 v[0:1], v[0:1], 0
	s_waitcnt vmcnt(26)
	v_mul_f64 v[28:29], v[112:113], v[62:63]
	v_fmac_f64_e32 v[26:27], v[198:199], v[56:57]
	v_add_f64 v[0:1], v[0:1], v[24:25]
	;; [unrolled: 4-line block ×7, first 2 shown]
	s_waitcnt vmcnt(20) lgkmcnt(13)
	v_mul_f64 v[40:41], v[204:205], v[86:87]
	v_fmac_f64_e32 v[38:39], v[210:211], v[80:81]
	v_add_f64 v[0:1], v[0:1], v[36:37]
	s_waitcnt vmcnt(19) lgkmcnt(12)
	v_mul_f64 v[42:43], v[128:129], v[94:95]
	v_fmac_f64_e32 v[40:41], v[206:207], v[84:85]
	v_add_f64 v[0:1], v[0:1], v[38:39]
	;; [unrolled: 4-line block ×8, first 2 shown]
	v_fmac_f64_e32 v[98:99], v[186:187], v[152:153]
	v_add_f64 v[0:1], v[0:1], v[96:97]
	s_waitcnt vmcnt(12) lgkmcnt(5)
	v_mul_f64 v[32:33], v[160:161], v[158:159]
	v_add_f64 v[0:1], v[0:1], v[98:99]
	v_fmac_f64_e32 v[32:33], v[162:163], v[156:157]
	v_add_f64 v[0:1], v[0:1], v[32:33]
	s_waitcnt vmcnt(11) lgkmcnt(4)
	v_mul_f64 v[32:33], v[220:221], v[166:167]
	v_fmac_f64_e32 v[32:33], v[222:223], v[164:165]
	v_add_f64 v[0:1], v[0:1], v[32:33]
	scratch_load_dwordx4 v[32:35], off, off offset:672
	s_waitcnt vmcnt(11) lgkmcnt(3)
	v_mul_f64 v[36:37], v[224:225], v[170:171]
	v_fmac_f64_e32 v[36:37], v[226:227], v[168:169]
	v_add_f64 v[0:1], v[0:1], v[36:37]
	s_waitcnt vmcnt(10) lgkmcnt(2)
	v_mul_f64 v[36:37], v[228:229], v[178:179]
	v_fmac_f64_e32 v[36:37], v[230:231], v[176:177]
	s_waitcnt vmcnt(9) lgkmcnt(1)
	v_mul_f64 v[40:41], v[232:233], v[182:183]
	v_add_f64 v[0:1], v[0:1], v[36:37]
	scratch_load_dwordx4 v[36:39], off, off offset:688
	v_fmac_f64_e32 v[40:41], v[234:235], v[180:181]
	v_add_f64 v[0:1], v[0:1], v[40:41]
	scratch_load_dwordx4 v[40:43], off, off offset:704
	ds_read_b128 v[88:91], v2 offset:1552
	s_waitcnt vmcnt(10) lgkmcnt(1)
	v_mul_f64 v[44:45], v[236:237], v[190:191]
	v_fmac_f64_e32 v[44:45], v[238:239], v[188:189]
	v_add_f64 v[0:1], v[0:1], v[44:45]
	scratch_load_dwordx4 v[44:47], off, off offset:720
	v_mul_f64 v[50:51], v[106:107], v[50:51]
	v_fma_f64 v[240:241], v[104:105], v[48:49], -v[50:51]
	scratch_load_dwordx4 v[48:51], off, off offset:736
	v_mul_f64 v[54:55], v[214:215], v[54:55]
	v_fma_f64 v[242:243], v[212:213], v[52:53], -v[54:55]
	;; [unrolled: 3-line block ×3, first 2 shown]
	scratch_load_dwordx4 v[56:59], off, off offset:768
	s_waitcnt vmcnt(13) lgkmcnt(0)
	v_mul_f64 v[96:97], v[88:89], v[6:7]
	v_fmac_f64_e32 v[96:97], v[90:91], v[4:5]
	v_mul_f64 v[62:63], v[114:115], v[62:63]
	v_add_f64 v[0:1], v[0:1], v[96:97]
	ds_read_b128 v[96:99], v2 offset:1568
	ds_read_b128 v[104:107], v2 offset:1584
	v_fma_f64 v[250:251], v[112:113], v[60:61], -v[62:63]
	scratch_load_dwordx4 v[60:63], off, off offset:784
	v_mul_f64 v[66:67], v[122:123], v[66:67]
	v_fma_f64 v[252:253], v[120:121], v[64:65], -v[66:67]
	scratch_load_dwordx4 v[64:67], off, off offset:800
	v_accvgpr_write_b32 a139, v7
	v_accvgpr_write_b32 a138, v6
	;; [unrolled: 1-line block ×4, first 2 shown]
	s_waitcnt vmcnt(14)
	v_mov_b64_e32 v[4:5], v[8:9]
	v_mov_b64_e32 v[6:7], v[10:11]
	s_waitcnt lgkmcnt(1)
	v_mul_f64 v[212:213], v[96:97], v[6:7]
	v_fmac_f64_e32 v[212:213], v[98:99], v[4:5]
	s_waitcnt vmcnt(13)
	v_mov_b64_e32 v[4:5], v[12:13]
	ds_read_b128 v[112:115], v2 offset:1600
	v_mul_f64 v[70:71], v[118:119], v[70:71]
	v_mov_b64_e32 v[6:7], v[14:15]
	v_fma_f64 v[246:247], v[116:117], v[68:69], -v[70:71]
	ds_read_b128 v[116:119], v2 offset:1616
	scratch_load_dwordx4 v[68:71], off, off offset:816
	s_waitcnt lgkmcnt(2)
	v_mul_f64 v[196:197], v[104:105], v[6:7]
	v_mul_f64 v[74:75], v[194:195], v[74:75]
	v_accvgpr_write_b32 a143, v11
	v_fmac_f64_e32 v[196:197], v[106:107], v[4:5]
	s_waitcnt vmcnt(13)
	v_mov_b64_e32 v[4:5], v[16:17]
	v_fma_f64 v[28:29], v[192:193], v[72:73], -v[74:75]
	scratch_load_dwordx4 v[72:75], off, off offset:832
	v_accvgpr_write_b32 a142, v10
	v_accvgpr_write_b32 a141, v9
	;; [unrolled: 1-line block ×3, first 2 shown]
	v_mov_b64_e32 v[6:7], v[18:19]
	s_waitcnt vmcnt(13)
	v_mov_b64_e32 v[8:9], v[20:21]
	v_add_f64 v[0:1], v[0:1], v[212:213]
	s_waitcnt lgkmcnt(1)
	v_mul_f64 v[120:121], v[112:113], v[6:7]
	v_mov_b64_e32 v[10:11], v[22:23]
	v_add_f64 v[0:1], v[0:1], v[196:197]
	v_fmac_f64_e32 v[120:121], v[114:115], v[4:5]
	s_waitcnt lgkmcnt(0)
	v_mul_f64 v[6:7], v[116:117], v[10:11]
	v_add_f64 v[0:1], v[0:1], v[120:121]
	v_fmac_f64_e32 v[6:7], v[118:119], v[8:9]
	v_add_f64 v[0:1], v[0:1], v[6:7]
	v_mul_f64 v[6:7], v[126:127], v[78:79]
	v_fma_f64 v[24:25], v[124:125], v[76:77], -v[6:7]
	scratch_load_dwordx4 v[76:79], off, off offset:848
	v_accvgpr_write_b32 a151, v19
	v_mul_f64 v[10:11], v[206:207], v[86:87]
	v_accvgpr_write_b32 a150, v18
	v_accvgpr_write_b32 a149, v17
	;; [unrolled: 1-line block ×3, first 2 shown]
	ds_read_b128 v[124:127], v2 offset:1632
	ds_read_b128 v[120:123], v2 offset:1648
	v_fma_f64 v[16:17], v[204:205], v[84:85], -v[10:11]
	scratch_load_dwordx4 v[84:87], off, off offset:864
	v_accvgpr_write_b32 a155, v23
	v_mul_f64 v[82:83], v[210:211], v[82:83]
	v_accvgpr_write_b32 a154, v22
	v_accvgpr_write_b32 a153, v21
	;; [unrolled: 1-line block ×3, first 2 shown]
	v_fma_f64 v[20:21], v[208:209], v[80:81], -v[82:83]
	scratch_load_dwordx4 v[80:83], off, off offset:880
	v_accvgpr_write_b32 a147, v15
	v_mul_f64 v[94:95], v[130:131], v[94:95]
	v_accvgpr_write_b32 a146, v14
	v_accvgpr_write_b32 a145, v13
	;; [unrolled: 1-line block ×3, first 2 shown]
	v_fma_f64 v[12:13], v[128:129], v[92:93], -v[94:95]
	v_mul_f64 v[14:15], v[134:135], v[102:103]
	scratch_load_dwordx4 v[92:95], off, off offset:896
	v_fma_f64 v[14:15], v[132:133], v[100:101], -v[14:15]
	v_mul_f64 v[100:101], v[150:151], v[110:111]
	v_fma_f64 v[10:11], v[148:149], v[108:109], -v[100:101]
	scratch_load_dwordx4 v[100:103], off, off offset:912
	scratch_load_dwordx4 v[108:111], off, off offset:928
	s_waitcnt vmcnt(18)
	v_accvgpr_read_b32 v4, a128
	v_accvgpr_read_b32 v6, a130
	;; [unrolled: 1-line block ×3, first 2 shown]
	ds_read_b128 v[128:131], v2 offset:1664
	ds_read_b128 v[132:135], v2 offset:1680
	v_accvgpr_read_b32 v5, a129
	s_waitcnt lgkmcnt(3)
	v_mul_f64 v[192:193], v[124:125], v[6:7]
	v_fmac_f64_e32 v[192:193], v[126:127], v[4:5]
	s_waitcnt vmcnt(17)
	v_accvgpr_read_b32 v4, a132
	v_accvgpr_read_b32 v6, a134
	;; [unrolled: 1-line block ×3, first 2 shown]
	v_add_f64 v[0:1], v[0:1], v[192:193]
	v_accvgpr_read_b32 v5, a133
	s_waitcnt lgkmcnt(2)
	v_mul_f64 v[192:193], v[120:121], v[6:7]
	v_fmac_f64_e32 v[192:193], v[122:123], v[4:5]
	s_waitcnt vmcnt(16) lgkmcnt(1)
	v_mul_f64 v[18:19], v[128:129], v[34:35]
	v_add_f64 v[0:1], v[0:1], v[192:193]
	v_fmac_f64_e32 v[18:19], v[130:131], v[32:33]
	v_add_f64 v[0:1], v[0:1], v[18:19]
	v_mul_f64 v[18:19], v[202:203], v[138:139]
	v_fma_f64 v[18:19], v[200:201], v[136:137], -v[18:19]
	ds_read_b128 v[136:139], v2 offset:1696
	s_waitcnt vmcnt(15) lgkmcnt(1)
	v_mul_f64 v[148:149], v[132:133], v[38:39]
	v_mul_f64 v[142:143], v[174:175], v[142:143]
	v_fmac_f64_e32 v[148:149], v[134:135], v[36:37]
	v_fma_f64 v[8:9], v[172:173], v[140:141], -v[142:143]
	ds_read_b128 v[140:143], v2 offset:1712
	s_waitcnt vmcnt(14) lgkmcnt(1)
	v_mul_f64 v[22:23], v[136:137], v[42:43]
	v_add_f64 v[0:1], v[0:1], v[148:149]
	v_fmac_f64_e32 v[22:23], v[138:139], v[40:41]
	v_add_f64 v[0:1], v[0:1], v[22:23]
	v_mul_f64 v[22:23], v[218:219], v[146:147]
	v_fma_f64 v[22:23], v[216:217], v[144:145], -v[22:23]
	ds_read_b128 v[144:147], v2 offset:1728
	ds_read_b128 v[148:151], v2 offset:1744
	s_waitcnt vmcnt(13) lgkmcnt(2)
	v_mul_f64 v[172:173], v[140:141], v[46:47]
	v_mul_f64 v[154:155], v[186:187], v[154:155]
	v_fmac_f64_e32 v[172:173], v[142:143], v[44:45]
	v_fma_f64 v[6:7], v[184:185], v[152:153], -v[154:155]
	ds_read_b128 v[152:155], v2 offset:1760
	v_add_f64 v[0:1], v[0:1], v[172:173]
	s_waitcnt vmcnt(12) lgkmcnt(2)
	v_mul_f64 v[172:173], v[144:145], v[50:51]
	v_fmac_f64_e32 v[172:173], v[146:147], v[48:49]
	s_waitcnt vmcnt(11) lgkmcnt(1)
	v_mul_f64 v[26:27], v[148:149], v[54:55]
	v_add_f64 v[0:1], v[0:1], v[172:173]
	v_fmac_f64_e32 v[26:27], v[150:151], v[52:53]
	v_add_f64 v[0:1], v[0:1], v[26:27]
	v_mul_f64 v[26:27], v[162:163], v[158:159]
	v_fma_f64 v[26:27], v[160:161], v[156:157], -v[26:27]
	ds_read_b128 v[156:159], v2 offset:1776
	s_waitcnt vmcnt(10) lgkmcnt(1)
	v_mul_f64 v[160:161], v[152:153], v[58:59]
	v_fmac_f64_e32 v[160:161], v[154:155], v[56:57]
	v_add_f64 v[0:1], v[0:1], v[160:161]
	ds_read_b128 v[160:163], v2 offset:1792
	s_waitcnt vmcnt(9) lgkmcnt(1)
	v_mul_f64 v[172:173], v[156:157], v[62:63]
	v_mul_f64 v[166:167], v[222:223], v[166:167]
	v_fmac_f64_e32 v[172:173], v[158:159], v[60:61]
	v_fma_f64 v[4:5], v[220:221], v[164:165], -v[166:167]
	ds_read_b128 v[164:167], v2 offset:1808
	s_waitcnt vmcnt(8) lgkmcnt(1)
	v_mul_f64 v[30:31], v[160:161], v[66:67]
	v_add_f64 v[0:1], v[0:1], v[172:173]
	v_fmac_f64_e32 v[30:31], v[162:163], v[64:65]
	v_add_f64 v[0:1], v[0:1], v[30:31]
	v_mul_f64 v[30:31], v[226:227], v[170:171]
	v_fma_f64 v[30:31], v[224:225], v[168:169], -v[30:31]
	ds_read_b128 v[168:171], v2 offset:1824
	s_waitcnt vmcnt(7) lgkmcnt(1)
	v_mul_f64 v[172:173], v[164:165], v[70:71]
	v_fmac_f64_e32 v[172:173], v[166:167], v[68:69]
	v_add_f64 v[0:1], v[0:1], v[172:173]
	ds_read_b128 v[172:175], v2 offset:1840
	s_waitcnt vmcnt(6) lgkmcnt(1)
	v_mul_f64 v[184:185], v[168:169], v[74:75]
	v_fmac_f64_e32 v[184:185], v[170:171], v[72:73]
	v_add_f64 v[184:185], v[0:1], v[184:185]
	v_mul_f64 v[0:1], v[230:231], v[178:179]
	v_fma_f64 v[0:1], v[228:229], v[176:177], -v[0:1]
	ds_read_b128 v[176:179], v2 offset:1856
	v_mul_f64 v[182:183], v[234:235], v[182:183]
	s_waitcnt vmcnt(5) lgkmcnt(1)
	v_mul_f64 v[186:187], v[172:173], v[78:79]
	v_fma_f64 v[180:181], v[232:233], v[180:181], -v[182:183]
	v_fmac_f64_e32 v[186:187], v[174:175], v[76:77]
	v_accvgpr_write_b32 a156, v180
	v_accvgpr_write_b32 a157, v181
	ds_read_b128 v[180:183], v2 offset:1872
	v_add_f64 v[184:185], v[184:185], v[186:187]
	s_waitcnt vmcnt(4) lgkmcnt(1)
	v_mul_f64 v[186:187], v[176:177], v[86:87]
	v_fmac_f64_e32 v[186:187], v[178:179], v[84:85]
	v_add_f64 v[192:193], v[184:185], v[186:187]
	ds_read_b128 v[184:187], v2 offset:1888
	v_mul_f64 v[190:191], v[238:239], v[190:191]
	v_fma_f64 v[248:249], v[236:237], v[188:189], -v[190:191]
	ds_read_b128 v[188:191], v2 offset:1904
	s_waitcnt vmcnt(3) lgkmcnt(2)
	v_mul_f64 v[194:195], v[180:181], v[82:83]
	v_fmac_f64_e32 v[194:195], v[182:183], v[80:81]
	v_add_f64 v[192:193], v[192:193], v[194:195]
	s_waitcnt vmcnt(2) lgkmcnt(1)
	v_mul_f64 v[194:195], v[184:185], v[94:95]
	v_fmac_f64_e32 v[194:195], v[186:187], v[92:93]
	v_add_f64 v[192:193], v[192:193], v[194:195]
	;; [unrolled: 4-line block ×3, first 2 shown]
	ds_read_b128 v[192:195], v2 offset:1920
	ds_read_b128 v[200:203], v2 offset:1936
	scratch_load_dwordx4 v[232:235], off, off offset:1008
	ds_read_b128 v[208:211], v2 offset:1952
	ds_read_b128 v[216:219], v2 offset:1968
	s_waitcnt vmcnt(1) lgkmcnt(3)
	v_mul_f64 v[198:199], v[192:193], v[110:111]
	v_fmac_f64_e32 v[198:199], v[194:195], v[108:109]
	v_add_f64 v[204:205], v[196:197], v[198:199]
	scratch_load_dwordx4 v[196:199], off, off offset:944
	ds_read_b128 v[224:227], v2 offset:1984
	s_waitcnt vmcnt(0) lgkmcnt(3)
	v_mul_f64 v[206:207], v[200:201], v[198:199]
	v_fmac_f64_e32 v[206:207], v[202:203], v[196:197]
	v_add_f64 v[212:213], v[204:205], v[206:207]
	scratch_load_dwordx4 v[204:207], off, off offset:960
	s_waitcnt vmcnt(0) lgkmcnt(2)
	v_mul_f64 v[214:215], v[208:209], v[206:207]
	v_fmac_f64_e32 v[214:215], v[210:211], v[204:205]
	v_add_f64 v[220:221], v[212:213], v[214:215]
	scratch_load_dwordx4 v[212:215], off, off offset:976
	;; [unrolled: 5-line block ×3, first 2 shown]
	s_waitcnt vmcnt(0) lgkmcnt(0)
	v_mul_f64 v[230:231], v[224:225], v[222:223]
	v_fmac_f64_e32 v[230:231], v[226:227], v[220:221]
	v_add_f64 v[236:237], v[228:229], v[230:231]
	ds_read_b128 v[228:231], v2 offset:2000
	s_waitcnt lgkmcnt(0)
	v_mul_f64 v[2:3], v[228:229], v[234:235]
	v_fmac_f64_e32 v[2:3], v[230:231], v[232:233]
	v_add_f64 v[2:3], v[236:237], v[2:3]
	v_add_f64 v[236:237], v[240:241], 0
	;; [unrolled: 1-line block ×8, first 2 shown]
	scratch_load_dwordx4 v[236:239], off, off offset:176
	v_add_f64 v[24:25], v[28:29], v[24:25]
	v_add_f64 v[20:21], v[24:25], v[20:21]
	v_add_f64 v[16:17], v[20:21], v[16:17]
	v_add_f64 v[12:13], v[16:17], v[12:13]
	v_add_f64 v[12:13], v[12:13], v[14:15]
	v_add_f64 v[10:11], v[12:13], v[10:11]
	v_add_f64 v[10:11], v[10:11], v[18:19]
	v_add_f64 v[8:9], v[10:11], v[8:9]
	v_add_f64 v[8:9], v[8:9], v[22:23]
	v_add_f64 v[6:7], v[8:9], v[6:7]
	v_add_f64 v[6:7], v[6:7], v[26:27]
	v_add_f64 v[4:5], v[6:7], v[4:5]
	v_add_f64 v[4:5], v[4:5], v[30:31]
	v_accvgpr_read_b32 v6, a136
	v_add_f64 v[250:251], v[4:5], v[0:1]
	v_accvgpr_read_b32 v0, a156
	v_accvgpr_read_b32 v8, a138
	;; [unrolled: 1-line block ×5, first 2 shown]
	v_mul_f64 v[4:5], v[90:91], v[8:9]
	v_add_f64 v[0:1], v[250:251], v[0:1]
	v_fma_f64 v[4:5], v[88:89], v[6:7], -v[4:5]
	v_accvgpr_read_b32 v6, a140
	v_add_f64 v[0:1], v[0:1], v[248:249]
	v_accvgpr_read_b32 v8, a142
	v_accvgpr_read_b32 v9, a143
	v_add_f64 v[0:1], v[0:1], v[4:5]
	v_accvgpr_read_b32 v7, a141
	v_mul_f64 v[4:5], v[98:99], v[8:9]
	v_fma_f64 v[4:5], v[96:97], v[6:7], -v[4:5]
	v_accvgpr_read_b32 v6, a144
	v_accvgpr_read_b32 v8, a146
	v_accvgpr_read_b32 v9, a147
	v_add_f64 v[0:1], v[0:1], v[4:5]
	v_accvgpr_read_b32 v7, a145
	v_mul_f64 v[4:5], v[106:107], v[8:9]
	v_fma_f64 v[4:5], v[104:105], v[6:7], -v[4:5]
	v_accvgpr_read_b32 v6, a148
	;; [unrolled: 7-line block ×5, first 2 shown]
	v_accvgpr_read_b32 v8, a134
	v_accvgpr_read_b32 v9, a135
	v_add_f64 v[0:1], v[0:1], v[4:5]
	v_accvgpr_read_b32 v7, a133
	v_mul_f64 v[4:5], v[122:123], v[8:9]
	v_fma_f64 v[4:5], v[120:121], v[6:7], -v[4:5]
	v_add_f64 v[0:1], v[0:1], v[4:5]
	v_mul_f64 v[4:5], v[130:131], v[34:35]
	v_fma_f64 v[4:5], v[128:129], v[32:33], -v[4:5]
	v_add_f64 v[0:1], v[0:1], v[4:5]
	;; [unrolled: 3-line block ×23, first 2 shown]
	s_waitcnt vmcnt(0)
	v_add_f64 v[4:5], v[236:237], -v[0:1]
	v_add_f64 v[6:7], v[238:239], -v[2:3]
	scratch_store_dwordx4 off, v[4:7], off offset:176
	s_and_saveexec_b64 s[0:1], vcc
	s_cbranch_execz .LBB126_385
; %bb.384:
	scratch_load_dwordx4 v[2:5], off, s80
	v_mov_b32_e32 v6, 0
	v_mov_b32_e32 v7, v6
	;; [unrolled: 1-line block ×4, first 2 shown]
	v_accvgpr_read_b32 v0, a1
	scratch_store_dwordx4 off, v[6:9], off offset:160
	s_waitcnt vmcnt(1)
	ds_write_b128 v0, v[2:5]
.LBB126_385:
	s_or_b64 exec, exec, s[0:1]
	s_waitcnt lgkmcnt(0)
	; wave barrier
	scratch_load_dwordx4 v[40:43], off, off offset:176
	scratch_load_dwordx4 v[44:47], off, off offset:192
	;; [unrolled: 1-line block ×29, first 2 shown]
	v_mov_b32_e32 v2, 0
	ds_read_b128 v[80:83], v2 offset:1168
	ds_read_b128 v[100:103], v2 offset:1184
	;; [unrolled: 1-line block ×18, first 2 shown]
	scratch_load_dwordx4 a[128:131], off, off offset:640
	scratch_load_dwordx4 a[132:135], off, off offset:656
	;; [unrolled: 1-line block ×4, first 2 shown]
	ds_read_b128 v[228:231], v2 offset:1520
	ds_read_b128 v[246:249], v2 offset:1536
	;; [unrolled: 1-line block ×3, first 2 shown]
	scratch_load_dwordx4 a[140:143], off, off offset:704
	v_cmp_lt_u32_e32 vcc, 8, v254
	ds_read_b128 v[224:227], v2 offset:1504
	s_waitcnt vmcnt(33) lgkmcnt(14)
	v_mul_f64 v[0:1], v[80:81], v[42:43]
	s_waitcnt vmcnt(32)
	v_mul_f64 v[20:21], v[100:101], v[46:47]
	v_fmac_f64_e32 v[0:1], v[82:83], v[40:41]
	s_waitcnt vmcnt(31)
	v_mul_f64 v[22:23], v[104:105], v[50:51]
	v_fmac_f64_e32 v[20:21], v[102:103], v[44:45]
	v_add_f64 v[0:1], v[0:1], 0
	s_waitcnt vmcnt(30)
	v_mul_f64 v[24:25], v[108:109], v[54:55]
	v_fmac_f64_e32 v[22:23], v[106:107], v[48:49]
	v_add_f64 v[0:1], v[0:1], v[20:21]
	;; [unrolled: 4-line block ×6, first 2 shown]
	s_waitcnt vmcnt(25) lgkmcnt(13)
	v_mul_f64 v[34:35], v[144:145], v[74:75]
	v_fmac_f64_e32 v[32:33], v[134:135], v[68:69]
	v_add_f64 v[0:1], v[0:1], v[30:31]
	s_waitcnt vmcnt(24) lgkmcnt(12)
	v_mul_f64 v[36:37], v[156:157], v[78:79]
	v_fmac_f64_e32 v[34:35], v[146:147], v[72:73]
	v_add_f64 v[0:1], v[0:1], v[32:33]
	;; [unrolled: 4-line block ×7, first 2 shown]
	v_fmac_f64_e32 v[218:219], v[198:199], v[124:125]
	v_add_f64 v[0:1], v[0:1], v[216:217]
	ds_read_b128 v[212:215], v2 offset:1456
	s_waitcnt vmcnt(18) lgkmcnt(7)
	v_mul_f64 v[220:221], v[200:201], v[130:131]
	v_add_f64 v[0:1], v[0:1], v[218:219]
	ds_read_b128 v[216:219], v2 offset:1472
	v_fmac_f64_e32 v[220:221], v[202:203], v[128:129]
	s_waitcnt vmcnt(17) lgkmcnt(7)
	v_mul_f64 v[20:21], v[204:205], v[138:139]
	v_add_f64 v[0:1], v[0:1], v[220:221]
	v_fmac_f64_e32 v[20:21], v[206:207], v[136:137]
	s_waitcnt vmcnt(16) lgkmcnt(6)
	v_mul_f64 v[24:25], v[208:209], v[142:143]
	ds_read_b128 v[220:223], v2 offset:1488
	v_add_f64 v[0:1], v[0:1], v[20:21]
	v_fmac_f64_e32 v[24:25], v[210:211], v[140:141]
	v_add_f64 v[0:1], v[0:1], v[24:25]
	s_waitcnt vmcnt(15) lgkmcnt(2)
	v_mul_f64 v[24:25], v[212:213], v[150:151]
	v_fmac_f64_e32 v[24:25], v[214:215], v[148:149]
	s_waitcnt vmcnt(14) lgkmcnt(1)
	v_mul_f64 v[28:29], v[216:217], v[154:155]
	v_add_f64 v[0:1], v[0:1], v[24:25]
	v_fmac_f64_e32 v[28:29], v[218:219], v[152:153]
	v_add_f64 v[0:1], v[0:1], v[28:29]
	s_waitcnt vmcnt(13) lgkmcnt(0)
	v_mul_f64 v[28:29], v[220:221], v[162:163]
	v_fmac_f64_e32 v[28:29], v[222:223], v[160:161]
	s_waitcnt vmcnt(12)
	v_mul_f64 v[32:33], v[224:225], v[166:167]
	v_add_f64 v[0:1], v[0:1], v[28:29]
	v_fmac_f64_e32 v[32:33], v[226:227], v[164:165]
	v_add_f64 v[0:1], v[0:1], v[32:33]
	s_waitcnt vmcnt(11)
	v_mul_f64 v[32:33], v[228:229], v[174:175]
	v_fmac_f64_e32 v[32:33], v[230:231], v[172:173]
	s_waitcnt vmcnt(10)
	v_mul_f64 v[36:37], v[246:247], v[178:179]
	v_mul_f64 v[42:43], v[82:83], v[42:43]
	v_add_f64 v[0:1], v[0:1], v[32:33]
	v_fmac_f64_e32 v[36:37], v[248:249], v[176:177]
	v_fma_f64 v[240:241], v[80:81], v[40:41], -v[42:43]
	ds_read_b128 v[80:83], v2 offset:1568
	s_waitcnt vmcnt(9)
	v_mul_f64 v[40:41], v[250:251], v[186:187]
	v_add_f64 v[0:1], v[0:1], v[36:37]
	v_fmac_f64_e32 v[40:41], v[252:253], v[184:185]
	v_add_f64 v[0:1], v[0:1], v[40:41]
	v_mul_f64 v[40:41], v[102:103], v[46:47]
	v_fma_f64 v[242:243], v[100:101], v[44:45], -v[40:41]
	scratch_load_dwordx4 v[40:43], off, off offset:720
	s_waitcnt vmcnt(9) lgkmcnt(0)
	v_mul_f64 v[44:45], v[80:81], v[6:7]
	v_fmac_f64_e32 v[44:45], v[82:83], v[4:5]
	v_add_f64 v[0:1], v[0:1], v[44:45]
	scratch_load_dwordx4 v[44:47], off, off offset:736
	v_mul_f64 v[50:51], v[106:107], v[50:51]
	v_fma_f64 v[244:245], v[104:105], v[48:49], -v[50:51]
	v_mul_f64 v[48:49], v[110:111], v[54:55]
	ds_read_b128 v[100:103], v2 offset:1584
	v_fma_f64 v[232:233], v[108:109], v[52:53], -v[48:49]
	scratch_load_dwordx4 v[52:55], off, off offset:752
	scratch_load_dwordx4 v[48:51], off, off offset:768
	ds_read_b128 v[104:107], v2 offset:1600
	ds_read_b128 v[108:111], v2 offset:1616
	v_accvgpr_write_b32 a147, v7
	v_accvgpr_write_b32 a146, v6
	;; [unrolled: 1-line block ×4, first 2 shown]
	v_mul_f64 v[58:59], v[114:115], v[58:59]
	s_waitcnt vmcnt(11) lgkmcnt(2)
	v_mul_f64 v[6:7], v[100:101], v[10:11]
	v_accvgpr_write_b32 a151, v11
	v_fma_f64 v[36:37], v[112:113], v[56:57], -v[58:59]
	v_fmac_f64_e32 v[6:7], v[102:103], v[8:9]
	v_accvgpr_write_b32 a150, v10
	v_accvgpr_write_b32 a149, v9
	;; [unrolled: 1-line block ×3, first 2 shown]
	scratch_load_dwordx4 v[56:59], off, off offset:784
	s_waitcnt vmcnt(11)
	v_mov_b64_e32 v[8:9], v[12:13]
	v_add_f64 v[0:1], v[0:1], v[6:7]
	v_mul_f64 v[6:7], v[118:119], v[62:63]
	v_mov_b64_e32 v[10:11], v[14:15]
	v_fma_f64 v[32:33], v[116:117], v[60:61], -v[6:7]
	s_waitcnt lgkmcnt(1)
	v_mul_f64 v[6:7], v[104:105], v[10:11]
	scratch_load_dwordx4 v[60:63], off, off offset:800
	v_fmac_f64_e32 v[6:7], v[106:107], v[8:9]
	v_add_f64 v[0:1], v[0:1], v[6:7]
	v_mul_f64 v[6:7], v[122:123], v[66:67]
	v_fma_f64 v[28:29], v[120:121], v[64:65], -v[6:7]
	scratch_load_dwordx4 v[64:67], off, off offset:816
	v_mul_f64 v[6:7], v[134:135], v[70:71]
	v_fma_f64 v[24:25], v[132:133], v[68:69], -v[6:7]
	scratch_load_dwordx4 v[68:71], off, off offset:832
	;; [unrolled: 3-line block ×3, first 2 shown]
	ds_read_b128 v[112:115], v2 offset:1632
	ds_read_b128 v[116:119], v2 offset:1648
	s_waitcnt vmcnt(14)
	v_mov_b64_e32 v[8:9], v[16:17]
	v_mov_b64_e32 v[10:11], v[18:19]
	s_waitcnt lgkmcnt(2)
	v_mul_f64 v[6:7], v[108:109], v[10:11]
	v_fmac_f64_e32 v[6:7], v[110:111], v[8:9]
	s_waitcnt vmcnt(13)
	v_accvgpr_read_b32 v8, a128
	v_accvgpr_write_b32 a159, v19
	v_add_f64 v[0:1], v[0:1], v[6:7]
	v_mul_f64 v[6:7], v[158:159], v[78:79]
	v_accvgpr_read_b32 v10, a130
	v_accvgpr_read_b32 v11, a131
	v_accvgpr_write_b32 a158, v18
	v_accvgpr_write_b32 a157, v17
	;; [unrolled: 1-line block ×3, first 2 shown]
	v_fma_f64 v[16:17], v[156:157], v[76:77], -v[6:7]
	v_accvgpr_read_b32 v9, a129
	s_waitcnt lgkmcnt(1)
	v_mul_f64 v[6:7], v[112:113], v[10:11]
	scratch_load_dwordx4 v[76:79], off, off offset:864
	v_fmac_f64_e32 v[6:7], v[114:115], v[8:9]
	v_accvgpr_write_b32 a155, v15
	v_mul_f64 v[18:19], v[170:171], v[86:87]
	v_add_f64 v[0:1], v[0:1], v[6:7]
	v_mul_f64 v[6:7], v[182:183], v[90:91]
	v_accvgpr_write_b32 a154, v14
	v_accvgpr_write_b32 a153, v13
	;; [unrolled: 1-line block ×3, first 2 shown]
	v_fma_f64 v[18:19], v[168:169], v[84:85], -v[18:19]
	v_fma_f64 v[14:15], v[180:181], v[88:89], -v[6:7]
	ds_read_b128 v[120:123], v2 offset:1664
	scratch_load_dwordx4 v[88:91], off, off offset:880
	scratch_load_dwordx4 v[84:87], off, off offset:896
	s_waitcnt vmcnt(15)
	v_accvgpr_read_b32 v8, a132
	v_accvgpr_read_b32 v10, a134
	;; [unrolled: 1-line block ×3, first 2 shown]
	v_mul_f64 v[22:23], v[190:191], v[94:95]
	v_accvgpr_read_b32 v9, a133
	s_waitcnt lgkmcnt(1)
	v_mul_f64 v[6:7], v[116:117], v[10:11]
	v_fma_f64 v[22:23], v[188:189], v[92:93], -v[22:23]
	v_mul_f64 v[92:93], v[194:195], v[98:99]
	v_fmac_f64_e32 v[6:7], v[118:119], v[8:9]
	s_waitcnt vmcnt(14)
	v_accvgpr_read_b32 v8, a136
	v_fma_f64 v[12:13], v[192:193], v[96:97], -v[92:93]
	scratch_load_dwordx4 v[92:95], off, off offset:912
	v_accvgpr_read_b32 v10, a138
	v_accvgpr_read_b32 v11, a139
	v_mul_f64 v[96:97], v[202:203], v[130:131]
	v_add_f64 v[0:1], v[0:1], v[6:7]
	s_waitcnt lgkmcnt(0)
	v_mul_f64 v[6:7], v[120:121], v[10:11]
	v_fma_f64 v[10:11], v[200:201], v[128:129], -v[96:97]
	scratch_load_dwordx4 v[96:99], off, off offset:928
	v_mul_f64 v[26:27], v[198:199], v[126:127]
	v_fma_f64 v[26:27], v[196:197], v[124:125], -v[26:27]
	ds_read_b128 v[124:127], v2 offset:1680
	ds_read_b128 v[128:131], v2 offset:1696
	v_accvgpr_read_b32 v9, a137
	v_fmac_f64_e32 v[6:7], v[122:123], v[8:9]
	v_add_f64 v[0:1], v[0:1], v[6:7]
	s_waitcnt vmcnt(15) lgkmcnt(1)
	v_mul_f64 v[6:7], v[124:125], v[236:237]
	s_waitcnt vmcnt(14)
	v_accvgpr_read_b32 v132, a140
	v_fmac_f64_e32 v[6:7], v[126:127], v[234:235]
	v_accvgpr_read_b32 v134, a142
	v_accvgpr_read_b32 v135, a143
	v_add_f64 v[0:1], v[0:1], v[6:7]
	v_accvgpr_read_b32 v133, a141
	s_waitcnt lgkmcnt(0)
	v_mul_f64 v[6:7], v[128:129], v[134:135]
	v_fmac_f64_e32 v[6:7], v[130:131], v[132:133]
	ds_read_b128 v[132:135], v2 offset:1712
	v_add_f64 v[0:1], v[0:1], v[6:7]
	v_mul_f64 v[6:7], v[206:207], v[138:139]
	v_fma_f64 v[30:31], v[204:205], v[136:137], -v[6:7]
	ds_read_b128 v[136:139], v2 offset:1728
	s_waitcnt vmcnt(13) lgkmcnt(1)
	v_mul_f64 v[6:7], v[132:133], v[42:43]
	v_fmac_f64_e32 v[6:7], v[134:135], v[40:41]
	v_add_f64 v[0:1], v[0:1], v[6:7]
	v_mul_f64 v[6:7], v[210:211], v[142:143]
	v_fma_f64 v[8:9], v[208:209], v[140:141], -v[6:7]
	ds_read_b128 v[140:143], v2 offset:1744
	ds_read_b128 v[144:147], v2 offset:1760
	s_waitcnt vmcnt(12) lgkmcnt(2)
	v_mul_f64 v[6:7], v[136:137], v[46:47]
	v_fmac_f64_e32 v[6:7], v[138:139], v[44:45]
	v_add_f64 v[0:1], v[0:1], v[6:7]
	s_waitcnt vmcnt(11) lgkmcnt(1)
	v_mul_f64 v[6:7], v[140:141], v[54:55]
	v_fmac_f64_e32 v[6:7], v[142:143], v[52:53]
	v_add_f64 v[0:1], v[0:1], v[6:7]
	v_mul_f64 v[6:7], v[214:215], v[150:151]
	v_fma_f64 v[34:35], v[212:213], v[148:149], -v[6:7]
	ds_read_b128 v[148:151], v2 offset:1776
	v_mul_f64 v[154:155], v[218:219], v[154:155]
	v_fma_f64 v[4:5], v[216:217], v[152:153], -v[154:155]
	ds_read_b128 v[152:155], v2 offset:1792
	s_waitcnt vmcnt(10) lgkmcnt(2)
	v_mul_f64 v[6:7], v[144:145], v[50:51]
	v_fmac_f64_e32 v[6:7], v[146:147], v[48:49]
	v_add_f64 v[0:1], v[0:1], v[6:7]
	s_waitcnt vmcnt(9) lgkmcnt(1)
	v_mul_f64 v[6:7], v[148:149], v[58:59]
	ds_read_b128 v[156:159], v2 offset:1808
	v_fmac_f64_e32 v[6:7], v[150:151], v[56:57]
	v_add_f64 v[0:1], v[0:1], v[6:7]
	s_waitcnt vmcnt(8) lgkmcnt(1)
	v_mul_f64 v[6:7], v[152:153], v[62:63]
	v_fmac_f64_e32 v[6:7], v[154:155], v[60:61]
	v_add_f64 v[0:1], v[0:1], v[6:7]
	v_mul_f64 v[6:7], v[222:223], v[162:163]
	v_fma_f64 v[38:39], v[220:221], v[160:161], -v[6:7]
	ds_read_b128 v[160:163], v2 offset:1824
	s_waitcnt vmcnt(7) lgkmcnt(1)
	v_mul_f64 v[6:7], v[156:157], v[66:67]
	v_fmac_f64_e32 v[6:7], v[158:159], v[64:65]
	v_add_f64 v[0:1], v[0:1], v[6:7]
	v_mul_f64 v[6:7], v[226:227], v[166:167]
	v_fma_f64 v[6:7], v[224:225], v[164:165], -v[6:7]
	ds_read_b128 v[164:167], v2 offset:1840
	s_waitcnt vmcnt(6) lgkmcnt(1)
	v_mul_f64 v[168:169], v[160:161], v[70:71]
	v_fmac_f64_e32 v[168:169], v[162:163], v[68:69]
	v_add_f64 v[0:1], v[0:1], v[168:169]
	ds_read_b128 v[168:171], v2 offset:1856
	s_waitcnt vmcnt(5) lgkmcnt(1)
	v_mul_f64 v[180:181], v[164:165], v[74:75]
	v_fmac_f64_e32 v[180:181], v[166:167], v[72:73]
	v_add_f64 v[180:181], v[0:1], v[180:181]
	v_mul_f64 v[0:1], v[230:231], v[174:175]
	v_fma_f64 v[0:1], v[228:229], v[172:173], -v[0:1]
	ds_read_b128 v[172:175], v2 offset:1872
	s_waitcnt vmcnt(4) lgkmcnt(1)
	v_mul_f64 v[182:183], v[168:169], v[78:79]
	v_fmac_f64_e32 v[182:183], v[170:171], v[76:77]
	v_mul_f64 v[178:179], v[248:249], v[178:179]
	v_fma_f64 v[238:239], v[246:247], v[176:177], -v[178:179]
	ds_read_b128 v[176:179], v2 offset:1888
	v_add_f64 v[180:181], v[180:181], v[182:183]
	s_waitcnt vmcnt(3) lgkmcnt(1)
	v_mul_f64 v[182:183], v[172:173], v[90:91]
	v_fmac_f64_e32 v[182:183], v[174:175], v[88:89]
	v_add_f64 v[188:189], v[180:181], v[182:183]
	ds_read_b128 v[180:183], v2 offset:1904
	v_mul_f64 v[186:187], v[252:253], v[186:187]
	v_fma_f64 v[246:247], v[250:251], v[184:185], -v[186:187]
	ds_read_b128 v[184:187], v2 offset:1920
	s_waitcnt vmcnt(2) lgkmcnt(2)
	v_mul_f64 v[190:191], v[176:177], v[86:87]
	v_fmac_f64_e32 v[190:191], v[178:179], v[84:85]
	v_add_f64 v[188:189], v[188:189], v[190:191]
	s_waitcnt vmcnt(1) lgkmcnt(1)
	v_mul_f64 v[190:191], v[180:181], v[94:95]
	v_fmac_f64_e32 v[190:191], v[182:183], v[92:93]
	v_add_f64 v[188:189], v[188:189], v[190:191]
	;; [unrolled: 4-line block ×3, first 2 shown]
	scratch_load_dwordx4 v[188:191], off, off offset:944
	ds_read_b128 v[192:195], v2 offset:1936
	ds_read_b128 v[200:203], v2 offset:1952
	;; [unrolled: 1-line block ×5, first 2 shown]
	s_waitcnt vmcnt(0) lgkmcnt(4)
	v_mul_f64 v[198:199], v[192:193], v[190:191]
	v_fmac_f64_e32 v[198:199], v[194:195], v[188:189]
	v_add_f64 v[204:205], v[196:197], v[198:199]
	scratch_load_dwordx4 v[196:199], off, off offset:960
	s_waitcnt vmcnt(0) lgkmcnt(3)
	v_mul_f64 v[206:207], v[200:201], v[198:199]
	v_fmac_f64_e32 v[206:207], v[202:203], v[196:197]
	v_add_f64 v[212:213], v[204:205], v[206:207]
	scratch_load_dwordx4 v[204:207], off, off offset:976
	;; [unrolled: 5-line block ×4, first 2 shown]
	s_waitcnt vmcnt(0) lgkmcnt(0)
	v_mul_f64 v[230:231], v[224:225], v[222:223]
	v_fmac_f64_e32 v[230:231], v[226:227], v[220:221]
	v_add_f64 v[250:251], v[228:229], v[230:231]
	v_add_f64 v[228:229], v[240:241], 0
	;; [unrolled: 1-line block ×8, first 2 shown]
	scratch_load_dwordx4 v[228:231], off, off offset:160
	v_add_f64 v[24:25], v[28:29], v[24:25]
	v_add_f64 v[20:21], v[24:25], v[20:21]
	;; [unrolled: 1-line block ×15, first 2 shown]
	v_accvgpr_read_b32 v6, a144
	v_accvgpr_read_b32 v8, a146
	;; [unrolled: 1-line block ×3, first 2 shown]
	v_add_f64 v[0:1], v[4:5], v[0:1]
	v_accvgpr_read_b32 v7, a145
	v_mul_f64 v[4:5], v[82:83], v[8:9]
	v_add_f64 v[0:1], v[0:1], v[238:239]
	v_fma_f64 v[4:5], v[80:81], v[6:7], -v[4:5]
	v_accvgpr_read_b32 v6, a148
	v_add_f64 v[0:1], v[0:1], v[246:247]
	v_accvgpr_read_b32 v8, a150
	v_accvgpr_read_b32 v9, a151
	v_add_f64 v[0:1], v[0:1], v[4:5]
	v_accvgpr_read_b32 v7, a149
	v_mul_f64 v[4:5], v[102:103], v[8:9]
	v_fma_f64 v[4:5], v[100:101], v[6:7], -v[4:5]
	v_accvgpr_read_b32 v6, a152
	v_accvgpr_read_b32 v8, a154
	v_accvgpr_read_b32 v9, a155
	v_add_f64 v[0:1], v[0:1], v[4:5]
	v_accvgpr_read_b32 v7, a153
	v_mul_f64 v[4:5], v[106:107], v[8:9]
	v_fma_f64 v[4:5], v[104:105], v[6:7], -v[4:5]
	v_accvgpr_read_b32 v6, a156
	;; [unrolled: 7-line block ×5, first 2 shown]
	v_accvgpr_read_b32 v8, a138
	v_accvgpr_read_b32 v9, a139
	v_add_f64 v[0:1], v[0:1], v[4:5]
	v_accvgpr_read_b32 v7, a137
	v_mul_f64 v[4:5], v[122:123], v[8:9]
	v_fma_f64 v[4:5], v[120:121], v[6:7], -v[4:5]
	v_add_f64 v[0:1], v[0:1], v[4:5]
	v_mul_f64 v[4:5], v[126:127], v[236:237]
	v_accvgpr_read_b32 v6, a140
	v_fma_f64 v[4:5], v[124:125], v[234:235], -v[4:5]
	v_accvgpr_read_b32 v8, a142
	v_accvgpr_read_b32 v9, a143
	v_add_f64 v[0:1], v[0:1], v[4:5]
	v_accvgpr_read_b32 v7, a141
	v_mul_f64 v[4:5], v[130:131], v[8:9]
	v_fma_f64 v[4:5], v[128:129], v[6:7], -v[4:5]
	v_add_f64 v[0:1], v[0:1], v[4:5]
	v_mul_f64 v[4:5], v[134:135], v[42:43]
	v_fma_f64 v[4:5], v[132:133], v[40:41], -v[4:5]
	v_add_f64 v[0:1], v[0:1], v[4:5]
	;; [unrolled: 3-line block ×20, first 2 shown]
	s_waitcnt vmcnt(0)
	v_add_f64 v[4:5], v[228:229], -v[0:1]
	v_add_f64 v[6:7], v[230:231], -v[250:251]
	scratch_store_dwordx4 off, v[4:7], off offset:160
	s_and_saveexec_b64 s[0:1], vcc
	s_cbranch_execz .LBB126_387
; %bb.386:
	scratch_load_dwordx4 v[6:9], off, s81
	v_mov_b32_e32 v3, v2
	v_mov_b32_e32 v4, v2
	;; [unrolled: 1-line block ×3, first 2 shown]
	v_accvgpr_read_b32 v0, a1
	scratch_store_dwordx4 off, v[2:5], off offset:144
	s_waitcnt vmcnt(1)
	ds_write_b128 v0, v[6:9]
.LBB126_387:
	s_or_b64 exec, exec, s[0:1]
	s_waitcnt lgkmcnt(0)
	; wave barrier
	scratch_load_dwordx4 v[40:43], off, off offset:160
	scratch_load_dwordx4 v[44:47], off, off offset:176
	;; [unrolled: 1-line block ×18, first 2 shown]
	ds_read_b128 v[80:83], v2 offset:1152
	ds_read_b128 v[204:207], v2 offset:1168
	;; [unrolled: 1-line block ×6, first 2 shown]
	scratch_load_dwordx4 v[148:151], off, off offset:448
	ds_read_b128 v[180:183], v2 offset:1248
	ds_read_b128 v[112:115], v2 offset:1264
	scratch_load_dwordx4 v[152:155], off, off offset:464
	ds_read_b128 v[208:211], v2 offset:1280
	ds_read_b128 v[200:203], v2 offset:1296
	;; [unrolled: 1-line block ×5, first 2 shown]
	scratch_load_dwordx4 v[160:163], off, off offset:480
	ds_read_b128 v[196:199], v2 offset:1360
	ds_read_b128 v[192:195], v2 offset:1376
	;; [unrolled: 1-line block ×4, first 2 shown]
	scratch_load_dwordx4 v[164:167], off, off offset:496
	ds_read_b128 v[168:171], v2 offset:1424
	scratch_load_dwordx4 v[172:175], off, off offset:512
	scratch_load_dwordx4 v[176:179], off, off offset:528
	;; [unrolled: 1-line block ×9, first 2 shown]
	ds_read_b128 v[228:231], v2 offset:1504
	ds_read_b128 v[232:235], v2 offset:1520
	scratch_load_dwordx4 a[136:139], off, off offset:656
	scratch_load_dwordx4 a[140:143], off, off offset:672
	ds_read_b128 v[236:239], v2 offset:1536
	v_cmp_lt_u32_e32 vcc, 7, v254
	ds_read_b128 v[224:227], v2 offset:1488
	s_waitcnt vmcnt(32) lgkmcnt(14)
	v_mul_f64 v[0:1], v[80:81], v[42:43]
	s_waitcnt vmcnt(31)
	v_mul_f64 v[20:21], v[204:205], v[46:47]
	v_fmac_f64_e32 v[0:1], v[82:83], v[40:41]
	s_waitcnt vmcnt(30)
	v_mul_f64 v[22:23], v[100:101], v[50:51]
	v_fmac_f64_e32 v[20:21], v[206:207], v[44:45]
	v_add_f64 v[0:1], v[0:1], 0
	s_waitcnt vmcnt(29)
	v_mul_f64 v[24:25], v[116:117], v[54:55]
	v_fmac_f64_e32 v[22:23], v[102:103], v[48:49]
	v_add_f64 v[0:1], v[0:1], v[20:21]
	;; [unrolled: 4-line block ×6, first 2 shown]
	s_waitcnt vmcnt(24) lgkmcnt(13)
	v_mul_f64 v[34:35], v[208:209], v[74:75]
	v_fmac_f64_e32 v[32:33], v[114:115], v[68:69]
	v_add_f64 v[0:1], v[0:1], v[30:31]
	s_waitcnt vmcnt(23) lgkmcnt(12)
	v_mul_f64 v[36:37], v[200:201], v[78:79]
	v_fmac_f64_e32 v[34:35], v[210:211], v[72:73]
	v_add_f64 v[0:1], v[0:1], v[32:33]
	s_waitcnt vmcnt(22) lgkmcnt(11)
	v_mul_f64 v[38:39], v[188:189], v[86:87]
	v_fmac_f64_e32 v[36:37], v[202:203], v[76:77]
	v_add_f64 v[0:1], v[0:1], v[34:35]
	s_waitcnt vmcnt(21) lgkmcnt(10)
	v_mul_f64 v[212:213], v[120:121], v[90:91]
	v_fmac_f64_e32 v[38:39], v[190:191], v[84:85]
	v_add_f64 v[0:1], v[0:1], v[36:37]
	s_waitcnt vmcnt(20) lgkmcnt(9)
	v_mul_f64 v[214:215], v[132:133], v[94:95]
	v_fmac_f64_e32 v[212:213], v[122:123], v[88:89]
	v_add_f64 v[0:1], v[0:1], v[38:39]
	s_waitcnt vmcnt(19) lgkmcnt(8)
	v_mul_f64 v[216:217], v[196:197], v[98:99]
	v_fmac_f64_e32 v[214:215], v[134:135], v[92:93]
	v_add_f64 v[0:1], v[0:1], v[212:213]
	s_waitcnt vmcnt(18) lgkmcnt(7)
	v_mul_f64 v[218:219], v[192:193], v[126:127]
	v_fmac_f64_e32 v[216:217], v[198:199], v[96:97]
	v_add_f64 v[0:1], v[0:1], v[214:215]
	s_waitcnt vmcnt(17) lgkmcnt(6)
	v_mul_f64 v[220:221], v[156:157], v[130:131]
	v_fmac_f64_e32 v[218:219], v[194:195], v[124:125]
	v_add_f64 v[0:1], v[0:1], v[216:217]
	ds_read_b128 v[212:215], v2 offset:1440
	s_waitcnt vmcnt(16) lgkmcnt(6)
	v_mul_f64 v[222:223], v[144:145], v[138:139]
	v_fmac_f64_e32 v[220:221], v[158:159], v[128:129]
	v_add_f64 v[0:1], v[0:1], v[218:219]
	ds_read_b128 v[216:219], v2 offset:1456
	v_add_f64 v[0:1], v[0:1], v[220:221]
	v_fmac_f64_e32 v[222:223], v[146:147], v[136:137]
	v_add_f64 v[0:1], v[0:1], v[222:223]
	s_waitcnt vmcnt(15) lgkmcnt(6)
	v_mul_f64 v[24:25], v[168:169], v[142:143]
	ds_read_b128 v[220:223], v2 offset:1472
	v_fmac_f64_e32 v[24:25], v[170:171], v[140:141]
	v_add_f64 v[0:1], v[0:1], v[24:25]
	s_waitcnt vmcnt(14) lgkmcnt(2)
	v_mul_f64 v[24:25], v[212:213], v[150:151]
	v_fmac_f64_e32 v[24:25], v[214:215], v[148:149]
	s_waitcnt vmcnt(13) lgkmcnt(1)
	v_mul_f64 v[28:29], v[216:217], v[154:155]
	v_add_f64 v[0:1], v[0:1], v[24:25]
	v_fmac_f64_e32 v[28:29], v[218:219], v[152:153]
	v_add_f64 v[0:1], v[0:1], v[28:29]
	s_waitcnt vmcnt(12) lgkmcnt(0)
	v_mul_f64 v[28:29], v[220:221], v[162:163]
	v_fmac_f64_e32 v[28:29], v[222:223], v[160:161]
	s_waitcnt vmcnt(11)
	v_mul_f64 v[32:33], v[224:225], v[166:167]
	v_add_f64 v[0:1], v[0:1], v[28:29]
	v_fmac_f64_e32 v[32:33], v[226:227], v[164:165]
	v_add_f64 v[0:1], v[0:1], v[32:33]
	s_waitcnt vmcnt(10)
	v_mul_f64 v[32:33], v[228:229], v[174:175]
	v_fmac_f64_e32 v[32:33], v[230:231], v[172:173]
	s_waitcnt vmcnt(9)
	v_mul_f64 v[36:37], v[232:233], v[178:179]
	v_add_f64 v[0:1], v[0:1], v[32:33]
	v_fmac_f64_e32 v[36:37], v[234:235], v[176:177]
	v_mul_f64 v[42:43], v[82:83], v[42:43]
	v_add_f64 v[0:1], v[0:1], v[36:37]
	scratch_load_dwordx4 v[36:39], off, off offset:688
	v_fma_f64 v[240:241], v[80:81], v[40:41], -v[42:43]
	ds_read_b128 v[80:83], v2 offset:1552
	s_waitcnt vmcnt(9)
	v_mul_f64 v[40:41], v[236:237], v[186:187]
	v_fmac_f64_e32 v[40:41], v[238:239], v[184:185]
	v_add_f64 v[0:1], v[0:1], v[40:41]
	v_mul_f64 v[40:41], v[206:207], v[46:47]
	v_fma_f64 v[242:243], v[204:205], v[44:45], -v[40:41]
	scratch_load_dwordx4 v[40:43], off, off offset:704
	s_waitcnt vmcnt(9) lgkmcnt(0)
	v_mul_f64 v[44:45], v[80:81], v[6:7]
	v_fmac_f64_e32 v[44:45], v[82:83], v[4:5]
	v_add_f64 v[0:1], v[0:1], v[44:45]
	scratch_load_dwordx4 v[44:47], off, off offset:720
	v_mul_f64 v[50:51], v[102:103], v[50:51]
	v_fma_f64 v[244:245], v[100:101], v[48:49], -v[50:51]
	ds_read_b128 v[100:103], v2 offset:1568
	v_mul_f64 v[48:49], v[118:119], v[54:55]
	v_fma_f64 v[250:251], v[116:117], v[52:53], -v[48:49]
	scratch_load_dwordx4 v[52:55], off, off offset:736
	scratch_load_dwordx4 v[48:51], off, off offset:752
	v_accvgpr_write_b32 a147, v7
	v_accvgpr_write_b32 a146, v6
	;; [unrolled: 1-line block ×4, first 2 shown]
	s_waitcnt vmcnt(11)
	v_mov_b64_e32 v[4:5], v[8:9]
	v_mul_f64 v[58:59], v[106:107], v[58:59]
	v_mov_b64_e32 v[6:7], v[10:11]
	v_fma_f64 v[252:253], v[104:105], v[56:57], -v[58:59]
	s_waitcnt lgkmcnt(0)
	v_mul_f64 v[56:57], v[100:101], v[6:7]
	v_fmac_f64_e32 v[56:57], v[102:103], v[4:5]
	v_add_f64 v[0:1], v[0:1], v[56:57]
	v_mul_f64 v[56:57], v[110:111], v[62:63]
	v_fma_f64 v[246:247], v[108:109], v[60:61], -v[56:57]
	scratch_load_dwordx4 v[56:59], off, off offset:768
	scratch_load_dwordx4 v[60:63], off, off offset:784
	ds_read_b128 v[104:107], v2 offset:1584
	ds_read_b128 v[116:119], v2 offset:1632
	v_mul_f64 v[66:67], v[182:183], v[66:67]
	v_fma_f64 v[32:33], v[180:181], v[64:65], -v[66:67]
	scratch_load_dwordx4 v[64:67], off, off offset:800
	s_waitcnt vmcnt(13)
	v_mov_b64_e32 v[4:5], v[12:13]
	v_mov_b64_e32 v[6:7], v[14:15]
	s_waitcnt lgkmcnt(1)
	v_mul_f64 v[108:109], v[104:105], v[6:7]
	v_fmac_f64_e32 v[108:109], v[106:107], v[4:5]
	v_mul_f64 v[6:7], v[114:115], v[70:71]
	v_add_f64 v[0:1], v[0:1], v[108:109]
	ds_read_b128 v[108:111], v2 offset:1600
	v_fma_f64 v[28:29], v[112:113], v[68:69], -v[6:7]
	v_mul_f64 v[68:69], v[210:211], v[74:75]
	v_fma_f64 v[24:25], v[208:209], v[72:73], -v[68:69]
	scratch_load_dwordx4 v[68:71], off, off offset:816
	s_waitcnt vmcnt(13)
	v_mov_b64_e32 v[4:5], v[16:17]
	scratch_load_dwordx4 v[72:75], off, off offset:832
	v_accvgpr_write_b32 a151, v11
	v_mov_b64_e32 v[6:7], v[18:19]
	v_accvgpr_write_b32 a150, v10
	v_accvgpr_write_b32 a149, v9
	;; [unrolled: 1-line block ×3, first 2 shown]
	ds_read_b128 v[112:115], v2 offset:1616
	s_waitcnt lgkmcnt(1)
	v_mul_f64 v[10:11], v[108:109], v[6:7]
	v_fmac_f64_e32 v[10:11], v[110:111], v[4:5]
	v_add_f64 v[0:1], v[0:1], v[10:11]
	v_mul_f64 v[10:11], v[202:203], v[78:79]
	v_accvgpr_write_b32 a159, v19
	v_fma_f64 v[20:21], v[200:201], v[76:77], -v[10:11]
	v_mul_f64 v[76:77], v[190:191], v[86:87]
	v_accvgpr_write_b32 a158, v18
	v_accvgpr_write_b32 a157, v17
	;; [unrolled: 1-line block ×3, first 2 shown]
	v_fma_f64 v[16:17], v[188:189], v[84:85], -v[76:77]
	scratch_load_dwordx4 v[76:79], off, off offset:848
	v_accvgpr_write_b32 a155, v15
	v_accvgpr_write_b32 a154, v14
	;; [unrolled: 1-line block ×4, first 2 shown]
	v_mul_f64 v[14:15], v[122:123], v[90:91]
	v_mul_f64 v[84:85], v[134:135], v[94:95]
	v_fma_f64 v[14:15], v[120:121], v[88:89], -v[14:15]
	ds_read_b128 v[120:123], v2 offset:1648
	v_fma_f64 v[12:13], v[132:133], v[92:93], -v[84:85]
	scratch_load_dwordx4 v[88:91], off, off offset:864
	scratch_load_dwordx4 v[84:87], off, off offset:880
	v_mul_f64 v[92:93], v[198:199], v[98:99]
	v_fma_f64 v[248:249], v[196:197], v[96:97], -v[92:93]
	scratch_load_dwordx4 v[92:95], off, off offset:896
	v_mul_f64 v[96:97], v[194:195], v[126:127]
	v_fma_f64 v[10:11], v[192:193], v[124:125], -v[96:97]
	scratch_load_dwordx4 v[96:99], off, off offset:912
	s_waitcnt vmcnt(18)
	v_accvgpr_read_b32 v4, a128
	v_accvgpr_read_b32 v6, a130
	;; [unrolled: 1-line block ×4, first 2 shown]
	s_waitcnt lgkmcnt(1)
	v_mul_f64 v[180:181], v[112:113], v[6:7]
	v_fmac_f64_e32 v[180:181], v[114:115], v[4:5]
	s_waitcnt vmcnt(17)
	v_accvgpr_read_b32 v4, a132
	v_accvgpr_read_b32 v6, a134
	;; [unrolled: 1-line block ×3, first 2 shown]
	v_add_f64 v[0:1], v[0:1], v[180:181]
	v_accvgpr_read_b32 v5, a133
	v_mul_f64 v[180:181], v[116:117], v[6:7]
	v_fmac_f64_e32 v[180:181], v[118:119], v[4:5]
	s_waitcnt vmcnt(16)
	v_accvgpr_read_b32 v4, a136
	ds_read_b128 v[124:127], v2 offset:1664
	v_accvgpr_read_b32 v6, a138
	v_accvgpr_read_b32 v7, a139
	v_mul_f64 v[22:23], v[158:159], v[130:131]
	v_accvgpr_read_b32 v5, a137
	s_waitcnt lgkmcnt(1)
	v_mul_f64 v[18:19], v[120:121], v[6:7]
	v_fma_f64 v[22:23], v[156:157], v[128:129], -v[22:23]
	ds_read_b128 v[128:131], v2 offset:1680
	v_fmac_f64_e32 v[18:19], v[122:123], v[4:5]
	s_waitcnt vmcnt(15)
	v_accvgpr_read_b32 v4, a140
	v_add_f64 v[0:1], v[0:1], v[180:181]
	v_accvgpr_read_b32 v6, a142
	v_accvgpr_read_b32 v7, a143
	v_add_f64 v[0:1], v[0:1], v[18:19]
	v_accvgpr_read_b32 v5, a141
	s_waitcnt lgkmcnt(1)
	v_mul_f64 v[18:19], v[124:125], v[6:7]
	ds_read_b128 v[132:135], v2 offset:1696
	v_fmac_f64_e32 v[18:19], v[126:127], v[4:5]
	v_add_f64 v[0:1], v[0:1], v[18:19]
	s_waitcnt vmcnt(14) lgkmcnt(1)
	v_mul_f64 v[18:19], v[128:129], v[38:39]
	v_fmac_f64_e32 v[18:19], v[130:131], v[36:37]
	v_add_f64 v[0:1], v[0:1], v[18:19]
	v_mul_f64 v[18:19], v[146:147], v[138:139]
	v_fma_f64 v[8:9], v[144:145], v[136:137], -v[18:19]
	ds_read_b128 v[136:139], v2 offset:1712
	s_waitcnt vmcnt(13) lgkmcnt(1)
	v_mul_f64 v[18:19], v[132:133], v[42:43]
	v_fmac_f64_e32 v[18:19], v[134:135], v[40:41]
	v_add_f64 v[0:1], v[0:1], v[18:19]
	v_mul_f64 v[18:19], v[170:171], v[142:143]
	v_fma_f64 v[26:27], v[168:169], v[140:141], -v[18:19]
	ds_read_b128 v[140:143], v2 offset:1728
	ds_read_b128 v[144:147], v2 offset:1744
	s_waitcnt vmcnt(12) lgkmcnt(2)
	v_mul_f64 v[18:19], v[136:137], v[46:47]
	v_fmac_f64_e32 v[18:19], v[138:139], v[44:45]
	v_add_f64 v[0:1], v[0:1], v[18:19]
	s_waitcnt vmcnt(11) lgkmcnt(1)
	v_mul_f64 v[18:19], v[140:141], v[54:55]
	v_fmac_f64_e32 v[18:19], v[142:143], v[52:53]
	v_add_f64 v[0:1], v[0:1], v[18:19]
	v_mul_f64 v[18:19], v[214:215], v[150:151]
	v_fma_f64 v[6:7], v[212:213], v[148:149], -v[18:19]
	ds_read_b128 v[148:151], v2 offset:1760
	v_mul_f64 v[30:31], v[218:219], v[154:155]
	v_fma_f64 v[30:31], v[216:217], v[152:153], -v[30:31]
	ds_read_b128 v[152:155], v2 offset:1776
	s_waitcnt vmcnt(10) lgkmcnt(2)
	v_mul_f64 v[18:19], v[144:145], v[50:51]
	v_fmac_f64_e32 v[18:19], v[146:147], v[48:49]
	v_add_f64 v[0:1], v[0:1], v[18:19]
	s_waitcnt vmcnt(9) lgkmcnt(1)
	v_mul_f64 v[18:19], v[148:149], v[58:59]
	ds_read_b128 v[156:159], v2 offset:1792
	v_fmac_f64_e32 v[18:19], v[150:151], v[56:57]
	v_add_f64 v[0:1], v[0:1], v[18:19]
	s_waitcnt vmcnt(8) lgkmcnt(1)
	v_mul_f64 v[18:19], v[152:153], v[62:63]
	v_fmac_f64_e32 v[18:19], v[154:155], v[60:61]
	v_add_f64 v[0:1], v[0:1], v[18:19]
	v_mul_f64 v[18:19], v[222:223], v[162:163]
	v_fma_f64 v[4:5], v[220:221], v[160:161], -v[18:19]
	ds_read_b128 v[160:163], v2 offset:1808
	s_waitcnt vmcnt(7) lgkmcnt(1)
	v_mul_f64 v[18:19], v[156:157], v[66:67]
	v_fmac_f64_e32 v[18:19], v[158:159], v[64:65]
	v_add_f64 v[0:1], v[0:1], v[18:19]
	v_mul_f64 v[18:19], v[226:227], v[166:167]
	v_fma_f64 v[34:35], v[224:225], v[164:165], -v[18:19]
	ds_read_b128 v[164:167], v2 offset:1824
	ds_read_b128 v[168:171], v2 offset:1840
	s_waitcnt vmcnt(6) lgkmcnt(2)
	v_mul_f64 v[18:19], v[160:161], v[70:71]
	v_fmac_f64_e32 v[18:19], v[162:163], v[68:69]
	v_add_f64 v[0:1], v[0:1], v[18:19]
	s_waitcnt vmcnt(5) lgkmcnt(1)
	v_mul_f64 v[18:19], v[164:165], v[74:75]
	v_fmac_f64_e32 v[18:19], v[166:167], v[72:73]
	v_add_f64 v[18:19], v[0:1], v[18:19]
	v_mul_f64 v[0:1], v[230:231], v[174:175]
	v_fma_f64 v[0:1], v[228:229], v[172:173], -v[0:1]
	ds_read_b128 v[172:175], v2 offset:1856
	v_mul_f64 v[178:179], v[234:235], v[178:179]
	s_waitcnt vmcnt(4) lgkmcnt(1)
	v_mul_f64 v[180:181], v[168:169], v[78:79]
	v_fma_f64 v[176:177], v[232:233], v[176:177], -v[178:179]
	v_fmac_f64_e32 v[180:181], v[170:171], v[76:77]
	v_accvgpr_write_b32 a160, v176
	v_accvgpr_write_b32 a161, v177
	ds_read_b128 v[176:179], v2 offset:1872
	v_add_f64 v[18:19], v[18:19], v[180:181]
	s_waitcnt vmcnt(3) lgkmcnt(1)
	v_mul_f64 v[180:181], v[172:173], v[90:91]
	v_fmac_f64_e32 v[180:181], v[174:175], v[88:89]
	v_add_f64 v[188:189], v[18:19], v[180:181]
	ds_read_b128 v[180:183], v2 offset:1888
	v_mul_f64 v[18:19], v[238:239], v[186:187]
	v_fma_f64 v[18:19], v[236:237], v[184:185], -v[18:19]
	ds_read_b128 v[184:187], v2 offset:1904
	s_waitcnt vmcnt(2) lgkmcnt(2)
	v_mul_f64 v[190:191], v[176:177], v[86:87]
	v_fmac_f64_e32 v[190:191], v[178:179], v[84:85]
	v_add_f64 v[188:189], v[188:189], v[190:191]
	s_waitcnt vmcnt(1) lgkmcnt(1)
	v_mul_f64 v[190:191], v[180:181], v[94:95]
	v_fmac_f64_e32 v[190:191], v[182:183], v[92:93]
	v_add_f64 v[188:189], v[188:189], v[190:191]
	;; [unrolled: 4-line block ×3, first 2 shown]
	scratch_load_dwordx4 v[188:191], off, off offset:928
	scratch_load_dwordx4 v[232:235], off, off offset:1008
	ds_read_b128 v[192:195], v2 offset:1920
	ds_read_b128 v[200:203], v2 offset:1936
	;; [unrolled: 1-line block ×5, first 2 shown]
	s_waitcnt vmcnt(1) lgkmcnt(4)
	v_mul_f64 v[198:199], v[192:193], v[190:191]
	v_fmac_f64_e32 v[198:199], v[194:195], v[188:189]
	v_add_f64 v[204:205], v[196:197], v[198:199]
	scratch_load_dwordx4 v[196:199], off, off offset:944
	s_waitcnt vmcnt(0) lgkmcnt(3)
	v_mul_f64 v[206:207], v[200:201], v[198:199]
	v_fmac_f64_e32 v[206:207], v[202:203], v[196:197]
	v_add_f64 v[212:213], v[204:205], v[206:207]
	scratch_load_dwordx4 v[204:207], off, off offset:960
	;; [unrolled: 5-line block ×4, first 2 shown]
	s_waitcnt vmcnt(0) lgkmcnt(0)
	v_mul_f64 v[230:231], v[224:225], v[222:223]
	v_fmac_f64_e32 v[230:231], v[226:227], v[220:221]
	v_add_f64 v[236:237], v[228:229], v[230:231]
	ds_read_b128 v[228:231], v2 offset:2000
	s_waitcnt lgkmcnt(0)
	v_mul_f64 v[2:3], v[228:229], v[234:235]
	v_fmac_f64_e32 v[2:3], v[230:231], v[232:233]
	v_add_f64 v[2:3], v[236:237], v[2:3]
	v_add_f64 v[236:237], v[240:241], 0
	;; [unrolled: 1-line block ×11, first 2 shown]
	scratch_load_dwordx4 v[236:239], off, off offset:144
	v_add_f64 v[16:17], v[20:21], v[16:17]
	v_add_f64 v[14:15], v[16:17], v[14:15]
	;; [unrolled: 1-line block ×12, first 2 shown]
	v_accvgpr_read_b32 v6, a144
	v_add_f64 v[250:251], v[4:5], v[0:1]
	v_accvgpr_read_b32 v0, a160
	v_accvgpr_read_b32 v8, a146
	v_accvgpr_read_b32 v9, a147
	v_accvgpr_read_b32 v1, a161
	v_accvgpr_read_b32 v7, a145
	v_mul_f64 v[4:5], v[82:83], v[8:9]
	v_add_f64 v[0:1], v[250:251], v[0:1]
	v_fma_f64 v[4:5], v[80:81], v[6:7], -v[4:5]
	v_accvgpr_read_b32 v6, a148
	v_add_f64 v[0:1], v[0:1], v[18:19]
	v_accvgpr_read_b32 v8, a150
	v_accvgpr_read_b32 v9, a151
	v_add_f64 v[0:1], v[0:1], v[4:5]
	v_accvgpr_read_b32 v7, a149
	v_mul_f64 v[4:5], v[102:103], v[8:9]
	v_fma_f64 v[4:5], v[100:101], v[6:7], -v[4:5]
	v_accvgpr_read_b32 v6, a152
	v_accvgpr_read_b32 v8, a154
	v_accvgpr_read_b32 v9, a155
	v_add_f64 v[0:1], v[0:1], v[4:5]
	v_accvgpr_read_b32 v7, a153
	v_mul_f64 v[4:5], v[106:107], v[8:9]
	v_fma_f64 v[4:5], v[104:105], v[6:7], -v[4:5]
	v_accvgpr_read_b32 v6, a156
	;; [unrolled: 7-line block ×6, first 2 shown]
	v_accvgpr_read_b32 v8, a142
	v_accvgpr_read_b32 v9, a143
	v_add_f64 v[0:1], v[0:1], v[4:5]
	v_accvgpr_read_b32 v7, a141
	v_mul_f64 v[4:5], v[126:127], v[8:9]
	v_fma_f64 v[4:5], v[124:125], v[6:7], -v[4:5]
	v_add_f64 v[0:1], v[0:1], v[4:5]
	v_mul_f64 v[4:5], v[130:131], v[38:39]
	v_fma_f64 v[4:5], v[128:129], v[36:37], -v[4:5]
	v_add_f64 v[0:1], v[0:1], v[4:5]
	v_mul_f64 v[4:5], v[134:135], v[42:43]
	v_fma_f64 v[4:5], v[132:133], v[40:41], -v[4:5]
	v_add_f64 v[0:1], v[0:1], v[4:5]
	v_mul_f64 v[4:5], v[138:139], v[46:47]
	v_fma_f64 v[4:5], v[136:137], v[44:45], -v[4:5]
	v_add_f64 v[0:1], v[0:1], v[4:5]
	v_mul_f64 v[4:5], v[142:143], v[54:55]
	v_fma_f64 v[4:5], v[140:141], v[52:53], -v[4:5]
	v_add_f64 v[0:1], v[0:1], v[4:5]
	v_mul_f64 v[4:5], v[146:147], v[50:51]
	v_fma_f64 v[4:5], v[144:145], v[48:49], -v[4:5]
	v_add_f64 v[0:1], v[0:1], v[4:5]
	v_mul_f64 v[4:5], v[150:151], v[58:59]
	v_fma_f64 v[4:5], v[148:149], v[56:57], -v[4:5]
	v_add_f64 v[0:1], v[0:1], v[4:5]
	v_mul_f64 v[4:5], v[154:155], v[62:63]
	v_fma_f64 v[4:5], v[152:153], v[60:61], -v[4:5]
	v_add_f64 v[0:1], v[0:1], v[4:5]
	v_mul_f64 v[4:5], v[158:159], v[66:67]
	v_fma_f64 v[4:5], v[156:157], v[64:65], -v[4:5]
	v_add_f64 v[0:1], v[0:1], v[4:5]
	v_mul_f64 v[4:5], v[162:163], v[70:71]
	v_fma_f64 v[4:5], v[160:161], v[68:69], -v[4:5]
	v_add_f64 v[0:1], v[0:1], v[4:5]
	v_mul_f64 v[4:5], v[166:167], v[74:75]
	v_fma_f64 v[4:5], v[164:165], v[72:73], -v[4:5]
	v_add_f64 v[0:1], v[0:1], v[4:5]
	v_mul_f64 v[4:5], v[170:171], v[78:79]
	v_fma_f64 v[4:5], v[168:169], v[76:77], -v[4:5]
	v_add_f64 v[0:1], v[0:1], v[4:5]
	v_mul_f64 v[4:5], v[174:175], v[90:91]
	v_fma_f64 v[4:5], v[172:173], v[88:89], -v[4:5]
	v_add_f64 v[0:1], v[0:1], v[4:5]
	v_mul_f64 v[4:5], v[178:179], v[86:87]
	v_fma_f64 v[4:5], v[176:177], v[84:85], -v[4:5]
	v_add_f64 v[0:1], v[0:1], v[4:5]
	v_mul_f64 v[4:5], v[182:183], v[94:95]
	v_fma_f64 v[4:5], v[180:181], v[92:93], -v[4:5]
	v_add_f64 v[0:1], v[0:1], v[4:5]
	v_mul_f64 v[4:5], v[186:187], v[98:99]
	v_fma_f64 v[4:5], v[184:185], v[96:97], -v[4:5]
	v_add_f64 v[0:1], v[0:1], v[4:5]
	v_mul_f64 v[4:5], v[194:195], v[190:191]
	v_fma_f64 v[4:5], v[192:193], v[188:189], -v[4:5]
	v_add_f64 v[0:1], v[0:1], v[4:5]
	v_mul_f64 v[4:5], v[202:203], v[198:199]
	v_fma_f64 v[4:5], v[200:201], v[196:197], -v[4:5]
	v_add_f64 v[0:1], v[0:1], v[4:5]
	v_mul_f64 v[4:5], v[210:211], v[206:207]
	v_fma_f64 v[4:5], v[208:209], v[204:205], -v[4:5]
	v_add_f64 v[0:1], v[0:1], v[4:5]
	v_mul_f64 v[4:5], v[218:219], v[214:215]
	v_fma_f64 v[4:5], v[216:217], v[212:213], -v[4:5]
	v_add_f64 v[0:1], v[0:1], v[4:5]
	v_mul_f64 v[4:5], v[226:227], v[222:223]
	v_fma_f64 v[4:5], v[224:225], v[220:221], -v[4:5]
	v_add_f64 v[0:1], v[0:1], v[4:5]
	v_mul_f64 v[4:5], v[230:231], v[234:235]
	v_fma_f64 v[4:5], v[228:229], v[232:233], -v[4:5]
	v_add_f64 v[0:1], v[0:1], v[4:5]
	s_waitcnt vmcnt(0)
	v_add_f64 v[4:5], v[236:237], -v[0:1]
	v_add_f64 v[6:7], v[238:239], -v[2:3]
	scratch_store_dwordx4 off, v[4:7], off offset:144
	s_and_saveexec_b64 s[0:1], vcc
	s_cbranch_execz .LBB126_389
; %bb.388:
	scratch_load_dwordx4 v[2:5], off, s82
	v_mov_b32_e32 v6, 0
	v_mov_b32_e32 v7, v6
	;; [unrolled: 1-line block ×4, first 2 shown]
	v_accvgpr_read_b32 v0, a1
	scratch_store_dwordx4 off, v[6:9], off offset:128
	s_waitcnt vmcnt(1)
	ds_write_b128 v0, v[2:5]
.LBB126_389:
	s_or_b64 exec, exec, s[0:1]
	s_waitcnt lgkmcnt(0)
	; wave barrier
	scratch_load_dwordx4 v[16:19], off, off offset:144
	scratch_load_dwordx4 v[20:23], off, off offset:160
	;; [unrolled: 1-line block ×30, first 2 shown]
	v_mov_b32_e32 v2, 0
	ds_read_b128 v[84:87], v2 offset:1136
	ds_read_b128 v[96:99], v2 offset:1152
	;; [unrolled: 1-line block ×17, first 2 shown]
	scratch_load_dwordx4 a[136:139], off, off offset:624
	scratch_load_dwordx4 a[140:143], off, off offset:640
	;; [unrolled: 1-line block ×6, first 2 shown]
	ds_read_b128 v[228:231], v2 offset:1504
	ds_read_b128 v[236:239], v2 offset:1520
	;; [unrolled: 1-line block ×4, first 2 shown]
	v_cmp_lt_u32_e32 vcc, 6, v254
	ds_read_b128 v[224:227], v2 offset:1488
	s_waitcnt vmcnt(35) lgkmcnt(14)
	v_mul_f64 v[0:1], v[84:85], v[18:19]
	s_waitcnt vmcnt(34)
	v_mul_f64 v[40:41], v[96:97], v[22:23]
	v_fmac_f64_e32 v[0:1], v[86:87], v[16:17]
	s_waitcnt vmcnt(33)
	v_mul_f64 v[42:43], v[104:105], v[26:27]
	v_fmac_f64_e32 v[40:41], v[98:99], v[20:21]
	v_add_f64 v[0:1], v[0:1], 0
	s_waitcnt vmcnt(32)
	v_mul_f64 v[48:49], v[108:109], v[30:31]
	v_fmac_f64_e32 v[42:43], v[106:107], v[24:25]
	v_add_f64 v[0:1], v[0:1], v[40:41]
	;; [unrolled: 4-line block ×6, first 2 shown]
	s_waitcnt vmcnt(27) lgkmcnt(13)
	v_mul_f64 v[206:207], v[140:141], v[62:63]
	v_fmac_f64_e32 v[204:205], v[126:127], v[52:53]
	v_add_f64 v[0:1], v[0:1], v[58:59]
	s_waitcnt vmcnt(26) lgkmcnt(12)
	v_mul_f64 v[208:209], v[152:153], v[66:67]
	v_fmac_f64_e32 v[206:207], v[142:143], v[60:61]
	v_add_f64 v[0:1], v[0:1], v[204:205]
	;; [unrolled: 4-line block ×6, first 2 shown]
	ds_read_b128 v[204:207], v2 offset:1408
	ds_read_b128 v[208:211], v2 offset:1424
	s_waitcnt vmcnt(21) lgkmcnt(9)
	v_mul_f64 v[218:219], v[192:193], v[90:91]
	v_fmac_f64_e32 v[216:217], v[190:191], v[80:81]
	v_add_f64 v[0:1], v[0:1], v[214:215]
	s_waitcnt vmcnt(20) lgkmcnt(8)
	v_mul_f64 v[220:221], v[196:197], v[94:95]
	v_fmac_f64_e32 v[218:219], v[194:195], v[88:89]
	v_add_f64 v[0:1], v[0:1], v[216:217]
	v_fmac_f64_e32 v[220:221], v[198:199], v[92:93]
	v_add_f64 v[0:1], v[0:1], v[218:219]
	s_waitcnt vmcnt(19) lgkmcnt(7)
	v_mul_f64 v[40:41], v[200:201], v[102:103]
	ds_read_b128 v[212:215], v2 offset:1440
	ds_read_b128 v[216:219], v2 offset:1456
	v_add_f64 v[0:1], v[0:1], v[220:221]
	v_fmac_f64_e32 v[40:41], v[202:203], v[100:101]
	v_add_f64 v[0:1], v[0:1], v[40:41]
	s_waitcnt vmcnt(18) lgkmcnt(3)
	v_mul_f64 v[40:41], v[204:205], v[130:131]
	v_fmac_f64_e32 v[40:41], v[206:207], v[128:129]
	ds_read_b128 v[220:223], v2 offset:1472
	v_add_f64 v[0:1], v[0:1], v[40:41]
	s_waitcnt vmcnt(17) lgkmcnt(3)
	v_mul_f64 v[40:41], v[208:209], v[134:135]
	v_fmac_f64_e32 v[40:41], v[210:211], v[132:133]
	s_waitcnt vmcnt(16) lgkmcnt(2)
	v_mul_f64 v[48:49], v[212:213], v[138:139]
	v_add_f64 v[0:1], v[0:1], v[40:41]
	v_fmac_f64_e32 v[48:49], v[214:215], v[136:137]
	s_waitcnt vmcnt(15) lgkmcnt(1)
	v_mul_f64 v[56:57], v[216:217], v[146:147]
	v_add_f64 v[0:1], v[0:1], v[48:49]
	v_fmac_f64_e32 v[56:57], v[218:219], v[144:145]
	v_add_f64 v[0:1], v[0:1], v[56:57]
	s_waitcnt vmcnt(14) lgkmcnt(0)
	v_mul_f64 v[56:57], v[220:221], v[150:151]
	v_fmac_f64_e32 v[56:57], v[222:223], v[148:149]
	v_add_f64 v[0:1], v[0:1], v[56:57]
	s_waitcnt vmcnt(13)
	v_mul_f64 v[56:57], v[224:225], v[158:159]
	v_fmac_f64_e32 v[56:57], v[226:227], v[156:157]
	v_add_f64 v[0:1], v[0:1], v[56:57]
	scratch_load_dwordx4 v[56:59], off, off offset:720
	scratch_load_dwordx4 v[48:51], off, off offset:736
	scratch_load_dwordx4 v[38:41], off, off offset:752
	s_waitcnt vmcnt(15)
	v_mul_f64 v[232:233], v[228:229], v[162:163]
	v_fmac_f64_e32 v[232:233], v[230:231], v[160:161]
	v_add_f64 v[0:1], v[0:1], v[232:233]
	s_waitcnt vmcnt(14)
	v_mul_f64 v[232:233], v[236:237], v[170:171]
	v_mul_f64 v[18:19], v[86:87], v[18:19]
	v_fmac_f64_e32 v[232:233], v[238:239], v[168:169]
	v_fma_f64 v[240:241], v[84:85], v[16:17], -v[18:19]
	s_waitcnt vmcnt(13)
	v_mul_f64 v[84:85], v[246:247], v[174:175]
	v_add_f64 v[0:1], v[0:1], v[232:233]
	v_fmac_f64_e32 v[84:85], v[248:249], v[172:173]
	v_add_f64 v[0:1], v[0:1], v[84:85]
	ds_read_b128 v[84:87], v2 offset:1568
	v_mul_f64 v[30:31], v[110:111], v[30:31]
	v_mul_f64 v[22:23], v[98:99], v[22:23]
	v_fma_f64 v[232:233], v[108:109], v[28:29], -v[30:31]
	s_waitcnt vmcnt(12)
	v_mul_f64 v[28:29], v[250:251], v[182:183]
	v_fma_f64 v[242:243], v[96:97], v[20:21], -v[22:23]
	v_fmac_f64_e32 v[28:29], v[252:253], v[180:181]
	ds_read_b128 v[96:99], v2 offset:1584
	s_waitcnt vmcnt(11) lgkmcnt(1)
	v_mul_f64 v[6:7], v[84:85], v[14:15]
	v_add_f64 v[0:1], v[0:1], v[28:29]
	v_fmac_f64_e32 v[6:7], v[86:87], v[12:13]
	v_mul_f64 v[26:27], v[106:107], v[26:27]
	v_mul_f64 v[34:35], v[114:115], v[34:35]
	v_add_f64 v[0:1], v[0:1], v[6:7]
	v_mul_f64 v[6:7], v[118:119], v[10:11]
	v_mul_f64 v[46:47], v[122:123], v[46:47]
	v_fma_f64 v[244:245], v[104:105], v[24:25], -v[26:27]
	v_fma_f64 v[36:37], v[112:113], v[32:33], -v[34:35]
	;; [unrolled: 1-line block ×4, first 2 shown]
	ds_read_b128 v[104:107], v2 offset:1600
	ds_read_b128 v[108:111], v2 offset:1616
	s_waitcnt vmcnt(10)
	v_accvgpr_read_b32 v4, a128
	v_mul_f64 v[44:45], v[126:127], v[54:55]
	v_accvgpr_read_b32 v6, a130
	v_accvgpr_read_b32 v7, a131
	v_fma_f64 v[234:235], v[124:125], v[52:53], -v[44:45]
	scratch_load_dwordx4 v[52:55], off, off offset:768
	v_accvgpr_read_b32 v5, a129
	s_waitcnt lgkmcnt(2)
	v_mul_f64 v[10:11], v[96:97], v[6:7]
	v_fmac_f64_e32 v[10:11], v[98:99], v[4:5]
	scratch_load_dwordx4 v[44:47], off, off offset:784
	s_waitcnt vmcnt(11)
	v_accvgpr_read_b32 v4, a132
	v_add_f64 v[0:1], v[0:1], v[10:11]
	v_mul_f64 v[10:11], v[142:143], v[62:63]
	v_accvgpr_read_b32 v6, a134
	v_accvgpr_read_b32 v7, a135
	v_fma_f64 v[24:25], v[140:141], v[60:61], -v[10:11]
	v_accvgpr_read_b32 v5, a133
	s_waitcnt lgkmcnt(1)
	v_mul_f64 v[10:11], v[104:105], v[6:7]
	v_fmac_f64_e32 v[10:11], v[106:107], v[4:5]
	v_add_f64 v[0:1], v[0:1], v[10:11]
	v_mul_f64 v[10:11], v[154:155], v[66:67]
	ds_read_b128 v[112:115], v2 offset:1632
	ds_read_b128 v[116:119], v2 offset:1648
	s_waitcnt vmcnt(10)
	v_accvgpr_read_b32 v4, a136
	v_fma_f64 v[20:21], v[152:153], v[64:65], -v[10:11]
	v_mul_f64 v[10:11], v[166:167], v[70:71]
	v_accvgpr_read_b32 v6, a138
	v_accvgpr_read_b32 v7, a139
	scratch_load_dwordx4 v[60:63], off, off offset:800
	v_fma_f64 v[16:17], v[164:165], v[68:69], -v[10:11]
	v_accvgpr_read_b32 v5, a137
	s_waitcnt lgkmcnt(2)
	v_mul_f64 v[10:11], v[108:109], v[6:7]
	v_fmac_f64_e32 v[10:11], v[110:111], v[4:5]
	s_waitcnt vmcnt(10)
	v_accvgpr_read_b32 v4, a140
	scratch_load_dwordx4 v[64:67], off, off offset:816
	scratch_load_dwordx4 v[68:71], off, off offset:832
	v_accvgpr_read_b32 v6, a142
	v_accvgpr_read_b32 v7, a143
	v_add_f64 v[0:1], v[0:1], v[10:11]
	v_accvgpr_read_b32 v5, a141
	s_waitcnt lgkmcnt(1)
	v_mul_f64 v[10:11], v[112:113], v[6:7]
	v_fmac_f64_e32 v[10:11], v[114:115], v[4:5]
	v_add_f64 v[0:1], v[0:1], v[10:11]
	v_mul_f64 v[10:11], v[186:187], v[78:79]
	v_fma_f64 v[184:185], v[184:185], v[76:77], -v[10:11]
	v_mul_f64 v[10:11], v[190:191], v[82:83]
	s_waitcnt vmcnt(11)
	v_accvgpr_read_b32 v4, a144
	v_accvgpr_write_b32 a163, v15
	v_mul_f64 v[18:19], v[178:179], v[74:75]
	v_fma_f64 v[186:187], v[188:189], v[80:81], -v[10:11]
	v_mul_f64 v[10:11], v[194:195], v[90:91]
	v_accvgpr_read_b32 v6, a146
	v_accvgpr_read_b32 v7, a147
	v_accvgpr_write_b32 a162, v14
	v_accvgpr_write_b32 a161, v13
	;; [unrolled: 1-line block ×3, first 2 shown]
	v_fma_f64 v[18:19], v[176:177], v[72:73], -v[18:19]
	scratch_load_dwordx4 v[72:75], off, off offset:848
	scratch_load_dwordx4 v[80:83], off, off offset:864
	;; [unrolled: 1-line block ×3, first 2 shown]
	v_fma_f64 v[14:15], v[192:193], v[88:89], -v[10:11]
	ds_read_b128 v[120:123], v2 offset:1664
	v_accvgpr_read_b32 v5, a145
	s_waitcnt lgkmcnt(1)
	v_mul_f64 v[10:11], v[116:117], v[6:7]
	v_fmac_f64_e32 v[10:11], v[118:119], v[4:5]
	v_add_f64 v[0:1], v[0:1], v[10:11]
	v_mul_f64 v[10:11], v[198:199], v[94:95]
	v_fma_f64 v[22:23], v[196:197], v[92:93], -v[10:11]
	scratch_load_dwordx4 v[92:95], off, off offset:896
	scratch_load_dwordx4 v[88:91], off, off offset:912
	ds_read_b128 v[124:127], v2 offset:1680
	s_waitcnt vmcnt(15)
	v_accvgpr_read_b32 v4, a148
	v_mul_f64 v[10:11], v[202:203], v[102:103]
	v_accvgpr_read_b32 v6, a150
	v_accvgpr_read_b32 v7, a151
	v_fma_f64 v[12:13], v[200:201], v[100:101], -v[10:11]
	v_accvgpr_read_b32 v5, a149
	s_waitcnt lgkmcnt(1)
	v_mul_f64 v[10:11], v[120:121], v[6:7]
	v_fmac_f64_e32 v[10:11], v[122:123], v[4:5]
	s_waitcnt vmcnt(14)
	v_accvgpr_read_b32 v4, a152
	v_add_f64 v[0:1], v[0:1], v[10:11]
	v_mul_f64 v[10:11], v[206:207], v[130:131]
	v_accvgpr_read_b32 v6, a154
	v_accvgpr_read_b32 v7, a155
	v_fma_f64 v[26:27], v[204:205], v[128:129], -v[10:11]
	ds_read_b128 v[128:131], v2 offset:1696
	v_accvgpr_read_b32 v5, a153
	s_waitcnt lgkmcnt(1)
	v_mul_f64 v[10:11], v[124:125], v[6:7]
	v_fmac_f64_e32 v[10:11], v[126:127], v[4:5]
	v_add_f64 v[0:1], v[0:1], v[10:11]
	v_mul_f64 v[10:11], v[210:211], v[134:135]
	v_fma_f64 v[8:9], v[208:209], v[132:133], -v[10:11]
	ds_read_b128 v[132:135], v2 offset:1712
	s_waitcnt vmcnt(13)
	v_accvgpr_read_b32 v4, a156
	v_mul_f64 v[30:31], v[214:215], v[138:139]
	v_accvgpr_read_b32 v6, a158
	v_accvgpr_read_b32 v7, a159
	v_fma_f64 v[30:31], v[212:213], v[136:137], -v[30:31]
	ds_read_b128 v[136:139], v2 offset:1728
	scratch_load_dwordx4 v[100:103], off, off offset:928
	v_accvgpr_read_b32 v5, a157
	s_waitcnt lgkmcnt(2)
	v_mul_f64 v[10:11], v[128:129], v[6:7]
	v_fmac_f64_e32 v[10:11], v[130:131], v[4:5]
	v_add_f64 v[0:1], v[0:1], v[10:11]
	s_waitcnt vmcnt(13) lgkmcnt(1)
	v_mul_f64 v[10:11], v[132:133], v[58:59]
	ds_read_b128 v[140:143], v2 offset:1744
	scratch_load_dwordx4 v[188:191], off, off offset:944
	scratch_load_dwordx4 v[196:199], off, off offset:960
	v_fmac_f64_e32 v[10:11], v[134:135], v[56:57]
	v_add_f64 v[0:1], v[0:1], v[10:11]
	s_waitcnt vmcnt(14) lgkmcnt(1)
	v_mul_f64 v[10:11], v[136:137], v[50:51]
	v_fmac_f64_e32 v[10:11], v[138:139], v[48:49]
	v_add_f64 v[0:1], v[0:1], v[10:11]
	v_mul_f64 v[10:11], v[218:219], v[146:147]
	scratch_load_dwordx4 v[204:207], off, off offset:976
	scratch_load_dwordx4 v[212:215], off, off offset:992
	v_fma_f64 v[6:7], v[216:217], v[144:145], -v[10:11]
	ds_read_b128 v[144:147], v2 offset:1760
	s_waitcnt vmcnt(15) lgkmcnt(1)
	v_mul_f64 v[10:11], v[140:141], v[40:41]
	v_fmac_f64_e32 v[10:11], v[142:143], v[38:39]
	v_add_f64 v[0:1], v[0:1], v[10:11]
	v_mul_f64 v[10:11], v[222:223], v[150:151]
	v_fma_f64 v[34:35], v[220:221], v[148:149], -v[10:11]
	scratch_load_dwordx4 v[220:223], off, off offset:1008
	ds_read_b128 v[148:151], v2 offset:1776
	ds_read_b128 v[152:155], v2 offset:1792
	s_waitcnt vmcnt(15) lgkmcnt(2)
	v_mul_f64 v[10:11], v[144:145], v[54:55]
	v_fmac_f64_e32 v[10:11], v[146:147], v[52:53]
	v_add_f64 v[0:1], v[0:1], v[10:11]
	s_waitcnt vmcnt(14) lgkmcnt(1)
	v_mul_f64 v[10:11], v[148:149], v[46:47]
	v_fmac_f64_e32 v[10:11], v[150:151], v[44:45]
	v_add_f64 v[0:1], v[0:1], v[10:11]
	v_mul_f64 v[10:11], v[226:227], v[158:159]
	v_fma_f64 v[4:5], v[224:225], v[156:157], -v[10:11]
	ds_read_b128 v[156:159], v2 offset:1808
	v_mul_f64 v[10:11], v[230:231], v[162:163]
	v_fma_f64 v[10:11], v[228:229], v[160:161], -v[10:11]
	ds_read_b128 v[160:163], v2 offset:1824
	s_waitcnt vmcnt(13) lgkmcnt(2)
	v_mul_f64 v[42:43], v[152:153], v[62:63]
	v_fmac_f64_e32 v[42:43], v[154:155], v[60:61]
	v_add_f64 v[0:1], v[0:1], v[42:43]
	s_waitcnt vmcnt(12) lgkmcnt(1)
	v_mul_f64 v[42:43], v[156:157], v[66:67]
	v_fmac_f64_e32 v[42:43], v[158:159], v[64:65]
	ds_read_b128 v[164:167], v2 offset:1840
	v_add_f64 v[0:1], v[0:1], v[42:43]
	s_waitcnt vmcnt(11) lgkmcnt(1)
	v_mul_f64 v[42:43], v[160:161], v[70:71]
	v_fmac_f64_e32 v[42:43], v[162:163], v[68:69]
	v_add_f64 v[0:1], v[0:1], v[42:43]
	v_mul_f64 v[42:43], v[238:239], v[170:171]
	v_fma_f64 v[236:237], v[236:237], v[168:169], -v[42:43]
	ds_read_b128 v[168:171], v2 offset:1856
	s_waitcnt vmcnt(10) lgkmcnt(1)
	v_mul_f64 v[42:43], v[164:165], v[74:75]
	v_fmac_f64_e32 v[42:43], v[166:167], v[72:73]
	v_add_f64 v[0:1], v[0:1], v[42:43]
	v_mul_f64 v[42:43], v[248:249], v[174:175]
	v_fma_f64 v[238:239], v[246:247], v[172:173], -v[42:43]
	ds_read_b128 v[172:175], v2 offset:1872
	ds_read_b128 v[176:179], v2 offset:1888
	s_waitcnt vmcnt(9) lgkmcnt(2)
	v_mul_f64 v[42:43], v[168:169], v[82:83]
	v_fmac_f64_e32 v[42:43], v[170:171], v[80:81]
	v_add_f64 v[0:1], v[0:1], v[42:43]
	v_mul_f64 v[42:43], v[252:253], v[182:183]
	v_fma_f64 v[246:247], v[250:251], v[180:181], -v[42:43]
	ds_read_b128 v[180:183], v2 offset:1904
	ds_read_b128 v[250:253], v2 offset:1920
	s_waitcnt vmcnt(8) lgkmcnt(3)
	v_mul_f64 v[42:43], v[172:173], v[78:79]
	v_fmac_f64_e32 v[42:43], v[174:175], v[76:77]
	v_add_f64 v[0:1], v[0:1], v[42:43]
	s_waitcnt vmcnt(7) lgkmcnt(2)
	v_mul_f64 v[42:43], v[176:177], v[94:95]
	v_fmac_f64_e32 v[42:43], v[178:179], v[92:93]
	ds_read_b128 v[192:195], v2 offset:1936
	ds_read_b128 v[200:203], v2 offset:1952
	v_add_f64 v[0:1], v[0:1], v[42:43]
	s_waitcnt vmcnt(6) lgkmcnt(3)
	v_mul_f64 v[42:43], v[180:181], v[90:91]
	v_fmac_f64_e32 v[42:43], v[182:183], v[88:89]
	v_add_f64 v[0:1], v[0:1], v[42:43]
	scratch_load_dwordx4 v[228:231], off, off offset:128
	ds_read_b128 v[208:211], v2 offset:1968
	ds_read_b128 v[216:219], v2 offset:1984
	s_waitcnt vmcnt(6) lgkmcnt(4)
	v_mul_f64 v[42:43], v[250:251], v[102:103]
	v_fmac_f64_e32 v[42:43], v[252:253], v[100:101]
	v_add_f64 v[0:1], v[0:1], v[42:43]
	ds_read_b128 v[224:227], v2 offset:2000
	s_waitcnt vmcnt(5) lgkmcnt(4)
	v_mul_f64 v[42:43], v[192:193], v[190:191]
	v_fmac_f64_e32 v[42:43], v[194:195], v[188:189]
	v_add_f64 v[0:1], v[0:1], v[42:43]
	s_waitcnt vmcnt(4) lgkmcnt(3)
	v_mul_f64 v[42:43], v[200:201], v[198:199]
	v_fmac_f64_e32 v[42:43], v[202:203], v[196:197]
	v_add_f64 v[0:1], v[0:1], v[42:43]
	s_waitcnt vmcnt(3) lgkmcnt(2)
	v_mul_f64 v[42:43], v[208:209], v[206:207]
	v_fmac_f64_e32 v[42:43], v[210:211], v[204:205]
	v_add_f64 v[0:1], v[0:1], v[42:43]
	s_waitcnt vmcnt(2) lgkmcnt(1)
	v_mul_f64 v[42:43], v[216:217], v[214:215]
	v_fmac_f64_e32 v[42:43], v[218:219], v[212:213]
	v_add_f64 v[0:1], v[0:1], v[42:43]
	s_waitcnt vmcnt(1) lgkmcnt(0)
	v_mul_f64 v[42:43], v[224:225], v[222:223]
	v_fmac_f64_e32 v[42:43], v[226:227], v[220:221]
	v_add_f64 v[0:1], v[0:1], v[42:43]
	v_add_f64 v[42:43], v[240:241], 0
	v_add_f64 v[42:43], v[42:43], v[242:243]
	;; [unrolled: 1-line block ×24, first 2 shown]
	v_accvgpr_read_b32 v8, a160
	v_accvgpr_read_b32 v10, a162
	;; [unrolled: 1-line block ×3, first 2 shown]
	v_add_f64 v[4:5], v[4:5], v[236:237]
	v_accvgpr_read_b32 v9, a161
	v_mul_f64 v[6:7], v[86:87], v[10:11]
	v_add_f64 v[4:5], v[4:5], v[238:239]
	v_fma_f64 v[6:7], v[84:85], v[8:9], -v[6:7]
	v_accvgpr_read_b32 v8, a128
	v_add_f64 v[4:5], v[4:5], v[246:247]
	v_accvgpr_read_b32 v10, a130
	v_accvgpr_read_b32 v11, a131
	v_add_f64 v[4:5], v[4:5], v[6:7]
	v_accvgpr_read_b32 v9, a129
	v_mul_f64 v[6:7], v[98:99], v[10:11]
	v_fma_f64 v[6:7], v[96:97], v[8:9], -v[6:7]
	v_accvgpr_read_b32 v8, a132
	v_accvgpr_read_b32 v10, a134
	v_accvgpr_read_b32 v11, a135
	v_add_f64 v[4:5], v[4:5], v[6:7]
	v_accvgpr_read_b32 v9, a133
	v_mul_f64 v[6:7], v[106:107], v[10:11]
	v_fma_f64 v[6:7], v[104:105], v[8:9], -v[6:7]
	v_accvgpr_read_b32 v8, a136
	;; [unrolled: 7-line block ×7, first 2 shown]
	v_accvgpr_read_b32 v10, a158
	v_accvgpr_read_b32 v11, a159
	v_add_f64 v[4:5], v[4:5], v[6:7]
	v_accvgpr_read_b32 v9, a157
	v_mul_f64 v[6:7], v[130:131], v[10:11]
	v_fma_f64 v[6:7], v[128:129], v[8:9], -v[6:7]
	v_add_f64 v[4:5], v[4:5], v[6:7]
	v_mul_f64 v[6:7], v[134:135], v[58:59]
	v_fma_f64 v[6:7], v[132:133], v[56:57], -v[6:7]
	v_add_f64 v[4:5], v[4:5], v[6:7]
	;; [unrolled: 3-line block ×20, first 2 shown]
	s_waitcnt vmcnt(0)
	v_add_f64 v[4:5], v[228:229], -v[4:5]
	v_add_f64 v[6:7], v[230:231], -v[0:1]
	scratch_store_dwordx4 off, v[4:7], off offset:128
	s_and_saveexec_b64 s[0:1], vcc
	s_cbranch_execz .LBB126_391
; %bb.390:
	scratch_load_dwordx4 v[6:9], off, s83
	v_mov_b32_e32 v3, v2
	v_mov_b32_e32 v4, v2
	v_mov_b32_e32 v5, v2
	v_accvgpr_read_b32 v0, a1
	scratch_store_dwordx4 off, v[2:5], off offset:112
	s_waitcnt vmcnt(1)
	ds_write_b128 v0, v[6:9]
.LBB126_391:
	s_or_b64 exec, exec, s[0:1]
	s_waitcnt lgkmcnt(0)
	; wave barrier
	scratch_load_dwordx4 v[16:19], off, off offset:128
	scratch_load_dwordx4 v[20:23], off, off offset:144
	;; [unrolled: 1-line block ×17, first 2 shown]
	ds_read_b128 v[112:115], v2 offset:1120
	ds_read_b128 v[96:99], v2 offset:1136
	ds_read_b128 v[84:87], v2 offset:1152
	scratch_load_dwordx4 v[120:123], off, off offset:400
	ds_read_b128 v[184:187], v2 offset:1168
	ds_read_b128 v[140:143], v2 offset:1184
	ds_read_b128 v[104:107], v2 offset:1200
	scratch_load_dwordx4 v[132:135], off, off offset:416
	ds_read_b128 v[188:191], v2 offset:1216
	ds_read_b128 v[164:167], v2 offset:1232
	ds_read_b128 v[108:111], v2 offset:1248
	scratch_load_dwordx4 v[136:139], off, off offset:432
	ds_read_b128 v[200:203], v2 offset:1264
	ds_read_b128 v[192:195], v2 offset:1280
	ds_read_b128 v[176:179], v2 offset:1296
	ds_read_b128 v[116:119], v2 offset:1312
	ds_read_b128 v[124:127], v2 offset:1328
	scratch_load_dwordx4 v[144:147], off, off offset:448
	ds_read_b128 v[180:183], v2 offset:1344
	ds_read_b128 v[152:155], v2 offset:1360
	;; [unrolled: 1-line block ×3, first 2 shown]
	scratch_load_dwordx4 v[148:151], off, off offset:464
	scratch_load_dwordx4 v[156:159], off, off offset:480
	scratch_load_dwordx4 v[160:163], off, off offset:496
	scratch_load_dwordx4 v[168:171], off, off offset:512
	scratch_load_dwordx4 v[172:175], off, off offset:528
	scratch_load_dwordx4 v[196:199], off, off offset:544
	scratch_load_dwordx4 v[4:7], off, off offset:560
	scratch_load_dwordx4 v[12:15], off, off offset:576
	scratch_load_dwordx4 a[128:131], off, off offset:592
	scratch_load_dwordx4 a[132:135], off, off offset:608
	scratch_load_dwordx4 a[136:139], off, off offset:624
	scratch_load_dwordx4 a[140:143], off, off offset:640
	scratch_load_dwordx4 a[144:147], off, off offset:656
	ds_read_b128 v[204:207], v2 offset:1392
	scratch_load_dwordx4 a[148:151], off, off offset:672
	scratch_load_dwordx4 a[152:155], off, off offset:688
	ds_read_b128 v[228:231], v2 offset:1488
	ds_read_b128 v[232:235], v2 offset:1504
	;; [unrolled: 1-line block ×4, first 2 shown]
	v_cmp_lt_u32_e32 vcc, 5, v254
	s_waitcnt vmcnt(35) lgkmcnt(14)
	v_mul_f64 v[0:1], v[112:113], v[18:19]
	s_waitcnt vmcnt(34)
	v_mul_f64 v[48:49], v[96:97], v[22:23]
	v_fmac_f64_e32 v[0:1], v[114:115], v[16:17]
	s_waitcnt vmcnt(33)
	v_mul_f64 v[50:51], v[84:85], v[26:27]
	v_fmac_f64_e32 v[48:49], v[98:99], v[20:21]
	v_add_f64 v[0:1], v[0:1], 0
	s_waitcnt vmcnt(32)
	v_mul_f64 v[56:57], v[184:185], v[30:31]
	v_fmac_f64_e32 v[50:51], v[86:87], v[24:25]
	v_add_f64 v[0:1], v[0:1], v[48:49]
	;; [unrolled: 4-line block ×6, first 2 shown]
	s_waitcnt vmcnt(27) lgkmcnt(13)
	v_mul_f64 v[210:211], v[108:109], v[54:55]
	v_fmac_f64_e32 v[208:209], v[166:167], v[8:9]
	v_add_f64 v[0:1], v[0:1], v[66:67]
	s_waitcnt vmcnt(26) lgkmcnt(12)
	v_mul_f64 v[212:213], v[200:201], v[62:63]
	v_fmac_f64_e32 v[210:211], v[110:111], v[52:53]
	v_add_f64 v[0:1], v[0:1], v[208:209]
	;; [unrolled: 4-line block ×8, first 2 shown]
	ds_read_b128 v[208:211], v2 offset:1408
	v_fmac_f64_e32 v[224:225], v[154:155], v[92:93]
	v_add_f64 v[0:1], v[0:1], v[222:223]
	s_waitcnt vmcnt(19) lgkmcnt(6)
	v_mul_f64 v[48:49], v[128:129], v[102:103]
	ds_read_b128 v[212:215], v2 offset:1424
	ds_read_b128 v[216:219], v2 offset:1440
	v_add_f64 v[0:1], v[0:1], v[224:225]
	v_fmac_f64_e32 v[48:49], v[130:131], v[100:101]
	v_add_f64 v[0:1], v[0:1], v[48:49]
	s_waitcnt vmcnt(18) lgkmcnt(7)
	v_mul_f64 v[48:49], v[204:205], v[122:123]
	v_fmac_f64_e32 v[48:49], v[206:207], v[120:121]
	ds_read_b128 v[220:223], v2 offset:1456
	ds_read_b128 v[224:227], v2 offset:1472
	v_add_f64 v[0:1], v[0:1], v[48:49]
	s_waitcnt vmcnt(17) lgkmcnt(4)
	v_mul_f64 v[48:49], v[208:209], v[134:135]
	v_fmac_f64_e32 v[48:49], v[210:211], v[132:133]
	s_waitcnt vmcnt(16) lgkmcnt(3)
	v_mul_f64 v[56:57], v[212:213], v[138:139]
	v_add_f64 v[0:1], v[0:1], v[48:49]
	v_fmac_f64_e32 v[56:57], v[214:215], v[136:137]
	s_waitcnt vmcnt(15) lgkmcnt(2)
	v_mul_f64 v[64:65], v[216:217], v[146:147]
	v_add_f64 v[0:1], v[0:1], v[56:57]
	v_fmac_f64_e32 v[64:65], v[218:219], v[144:145]
	v_add_f64 v[0:1], v[0:1], v[64:65]
	s_waitcnt vmcnt(14) lgkmcnt(1)
	v_mul_f64 v[64:65], v[220:221], v[150:151]
	v_fmac_f64_e32 v[64:65], v[222:223], v[148:149]
	v_add_f64 v[0:1], v[0:1], v[64:65]
	s_waitcnt vmcnt(13) lgkmcnt(0)
	v_mul_f64 v[64:65], v[224:225], v[158:159]
	v_fmac_f64_e32 v[64:65], v[226:227], v[156:157]
	s_waitcnt vmcnt(12)
	v_mul_f64 v[240:241], v[228:229], v[162:163]
	v_mul_f64 v[26:27], v[86:87], v[26:27]
	v_add_f64 v[0:1], v[0:1], v[64:65]
	v_fmac_f64_e32 v[240:241], v[230:231], v[160:161]
	v_fma_f64 v[244:245], v[84:85], v[24:25], -v[26:27]
	ds_read_b128 v[84:87], v2 offset:1552
	v_add_f64 v[0:1], v[0:1], v[240:241]
	s_waitcnt vmcnt(11)
	v_mul_f64 v[240:241], v[232:233], v[170:171]
	v_mul_f64 v[30:31], v[186:187], v[30:31]
	v_fmac_f64_e32 v[240:241], v[234:235], v[168:169]
	v_mul_f64 v[18:19], v[114:115], v[18:19]
	v_fma_f64 v[252:253], v[184:185], v[28:29], -v[30:31]
	scratch_load_dwordx4 v[64:67], off, off offset:704
	scratch_load_dwordx4 v[184:187], off, off offset:720
	v_add_f64 v[0:1], v[0:1], v[240:241]
	v_fma_f64 v[240:241], v[112:113], v[16:17], -v[18:19]
	s_waitcnt vmcnt(12)
	v_mul_f64 v[112:113], v[236:237], v[174:175]
	v_fmac_f64_e32 v[112:113], v[238:239], v[172:173]
	v_mul_f64 v[22:23], v[98:99], v[22:23]
	s_waitcnt vmcnt(11)
	v_mul_f64 v[28:29], v[248:249], v[198:199]
	v_mul_f64 v[38:39], v[106:107], v[38:39]
	v_add_f64 v[0:1], v[0:1], v[112:113]
	v_fma_f64 v[242:243], v[96:97], v[20:21], -v[22:23]
	v_fmac_f64_e32 v[28:29], v[250:251], v[196:197]
	v_fma_f64 v[44:45], v[104:105], v[36:37], -v[38:39]
	ds_read_b128 v[104:107], v2 offset:1584
	s_waitcnt vmcnt(10) lgkmcnt(1)
	v_mul_f64 v[96:97], v[84:85], v[6:7]
	v_add_f64 v[0:1], v[0:1], v[28:29]
	v_fmac_f64_e32 v[96:97], v[86:87], v[4:5]
	v_add_f64 v[0:1], v[0:1], v[96:97]
	ds_read_b128 v[96:99], v2 offset:1568
	ds_read_b128 v[112:115], v2 offset:1616
	v_accvgpr_write_b32 a159, v7
	v_accvgpr_write_b32 a158, v6
	;; [unrolled: 1-line block ×4, first 2 shown]
	scratch_load_dwordx4 v[56:59], off, off offset:736
	scratch_load_dwordx4 v[46:49], off, off offset:752
	v_mul_f64 v[6:7], v[190:191], v[42:43]
	v_fma_f64 v[36:37], v[188:189], v[40:41], -v[6:7]
	s_waitcnt vmcnt(11) lgkmcnt(1)
	v_mul_f64 v[40:41], v[96:97], v[14:15]
	v_mul_f64 v[34:35], v[142:143], v[34:35]
	v_fmac_f64_e32 v[40:41], v[98:99], v[12:13]
	v_mul_f64 v[42:43], v[166:167], v[10:11]
	v_fma_f64 v[246:247], v[140:141], v[32:33], -v[34:35]
	v_fma_f64 v[32:33], v[164:165], v[8:9], -v[42:43]
	v_add_f64 v[0:1], v[0:1], v[40:41]
	scratch_load_dwordx4 v[40:43], off, off offset:768
	s_waitcnt vmcnt(11)
	v_accvgpr_read_b32 v4, a128
	v_mul_f64 v[10:11], v[110:111], v[54:55]
	v_accvgpr_read_b32 v6, a130
	v_accvgpr_read_b32 v7, a131
	v_fma_f64 v[28:29], v[108:109], v[52:53], -v[10:11]
	v_accvgpr_read_b32 v5, a129
	v_mul_f64 v[108:109], v[104:105], v[6:7]
	v_fmac_f64_e32 v[108:109], v[106:107], v[4:5]
	v_accvgpr_write_b32 a163, v15
	scratch_load_dwordx4 v[52:55], off, off offset:784
	v_add_f64 v[0:1], v[0:1], v[108:109]
	v_mul_f64 v[62:63], v[202:203], v[62:63]
	ds_read_b128 v[108:111], v2 offset:1600
	v_accvgpr_write_b32 a162, v14
	v_accvgpr_write_b32 a161, v13
	;; [unrolled: 1-line block ×3, first 2 shown]
	v_fma_f64 v[24:25], v[200:201], v[60:61], -v[62:63]
	scratch_load_dwordx4 v[60:63], off, off offset:800
	v_mul_f64 v[14:15], v[194:195], v[70:71]
	v_fma_f64 v[20:21], v[192:193], v[68:69], -v[14:15]
	v_mul_f64 v[68:69], v[178:179], v[74:75]
	s_waitcnt vmcnt(12)
	v_accvgpr_read_b32 v4, a132
	v_fma_f64 v[16:17], v[176:177], v[72:73], -v[68:69]
	scratch_load_dwordx4 v[68:71], off, off offset:816
	v_accvgpr_read_b32 v6, a134
	v_accvgpr_read_b32 v7, a135
	;; [unrolled: 1-line block ×3, first 2 shown]
	s_waitcnt lgkmcnt(0)
	v_mul_f64 v[140:141], v[108:109], v[6:7]
	v_fmac_f64_e32 v[140:141], v[110:111], v[4:5]
	s_waitcnt vmcnt(12)
	v_accvgpr_read_b32 v4, a136
	v_accvgpr_read_b32 v6, a138
	;; [unrolled: 1-line block ×4, first 2 shown]
	v_mul_f64 v[18:19], v[112:113], v[6:7]
	scratch_load_dwordx4 v[72:75], off, off offset:832
	v_add_f64 v[0:1], v[0:1], v[140:141]
	v_fmac_f64_e32 v[18:19], v[114:115], v[4:5]
	v_add_f64 v[0:1], v[0:1], v[18:19]
	v_mul_f64 v[18:19], v[118:119], v[78:79]
	v_fma_f64 v[18:19], v[116:117], v[76:77], -v[18:19]
	ds_read_b128 v[116:119], v2 offset:1632
	v_mul_f64 v[76:77], v[126:127], v[82:83]
	v_fma_f64 v[14:15], v[124:125], v[80:81], -v[76:77]
	scratch_load_dwordx4 v[80:83], off, off offset:848
	scratch_load_dwordx4 v[76:79], off, off offset:864
	s_waitcnt vmcnt(14)
	v_accvgpr_read_b32 v4, a140
	v_mul_f64 v[22:23], v[182:183], v[90:91]
	v_accvgpr_read_b32 v6, a142
	v_accvgpr_read_b32 v7, a143
	v_fma_f64 v[22:23], v[180:181], v[88:89], -v[22:23]
	v_accvgpr_read_b32 v5, a141
	s_waitcnt lgkmcnt(0)
	v_mul_f64 v[88:89], v[116:117], v[6:7]
	v_fmac_f64_e32 v[88:89], v[118:119], v[4:5]
	v_add_f64 v[0:1], v[0:1], v[88:89]
	v_mul_f64 v[88:89], v[154:155], v[94:95]
	ds_read_b128 v[124:127], v2 offset:1648
	v_fma_f64 v[12:13], v[152:153], v[92:93], -v[88:89]
	scratch_load_dwordx4 v[92:95], off, off offset:880
	scratch_load_dwordx4 v[88:91], off, off offset:896
	s_waitcnt vmcnt(15)
	v_accvgpr_read_b32 v4, a144
	v_mul_f64 v[26:27], v[130:131], v[102:103]
	v_accvgpr_read_b32 v6, a146
	v_accvgpr_read_b32 v7, a147
	v_fma_f64 v[26:27], v[128:129], v[100:101], -v[26:27]
	v_accvgpr_read_b32 v5, a145
	s_waitcnt lgkmcnt(0)
	v_mul_f64 v[100:101], v[124:125], v[6:7]
	v_fmac_f64_e32 v[100:101], v[126:127], v[4:5]
	v_add_f64 v[0:1], v[0:1], v[100:101]
	v_mul_f64 v[100:101], v[206:207], v[122:123]
	v_fma_f64 v[10:11], v[204:205], v[120:121], -v[100:101]
	scratch_load_dwordx4 v[100:103], off, off offset:912
	ds_read_b128 v[128:131], v2 offset:1664
	ds_read_b128 v[120:123], v2 offset:1680
	s_waitcnt vmcnt(15)
	v_accvgpr_read_b32 v4, a148
	v_accvgpr_read_b32 v6, a150
	;; [unrolled: 1-line block ×4, first 2 shown]
	s_waitcnt lgkmcnt(1)
	v_mul_f64 v[30:31], v[128:129], v[6:7]
	v_fmac_f64_e32 v[30:31], v[130:131], v[4:5]
	v_add_f64 v[0:1], v[0:1], v[30:31]
	v_mul_f64 v[30:31], v[210:211], v[134:135]
	v_fma_f64 v[30:31], v[208:209], v[132:133], -v[30:31]
	ds_read_b128 v[132:135], v2 offset:1696
	v_mul_f64 v[138:139], v[214:215], v[138:139]
	s_waitcnt vmcnt(14)
	v_accvgpr_read_b32 v4, a152
	v_fma_f64 v[8:9], v[212:213], v[136:137], -v[138:139]
	ds_read_b128 v[136:139], v2 offset:1712
	v_accvgpr_read_b32 v6, a154
	v_accvgpr_read_b32 v7, a155
	;; [unrolled: 1-line block ×3, first 2 shown]
	s_waitcnt lgkmcnt(2)
	v_mul_f64 v[140:141], v[120:121], v[6:7]
	v_fmac_f64_e32 v[140:141], v[122:123], v[4:5]
	s_waitcnt vmcnt(13) lgkmcnt(1)
	v_mul_f64 v[34:35], v[132:133], v[66:67]
	s_waitcnt vmcnt(12)
	v_mov_b64_e32 v[4:5], v[184:185]
	v_add_f64 v[0:1], v[0:1], v[140:141]
	v_fmac_f64_e32 v[34:35], v[134:135], v[64:65]
	v_mov_b64_e32 v[6:7], v[186:187]
	v_add_f64 v[0:1], v[0:1], v[34:35]
	s_waitcnt lgkmcnt(0)
	v_mul_f64 v[34:35], v[136:137], v[6:7]
	v_fmac_f64_e32 v[34:35], v[138:139], v[4:5]
	ds_read_b128 v[140:143], v2 offset:1728
	v_add_f64 v[0:1], v[0:1], v[34:35]
	v_mul_f64 v[34:35], v[218:219], v[146:147]
	v_fma_f64 v[34:35], v[216:217], v[144:145], -v[34:35]
	ds_read_b128 v[144:147], v2 offset:1744
	v_mul_f64 v[150:151], v[222:223], v[150:151]
	v_fma_f64 v[6:7], v[220:221], v[148:149], -v[150:151]
	ds_read_b128 v[148:151], v2 offset:1760
	s_waitcnt vmcnt(11) lgkmcnt(2)
	v_mul_f64 v[152:153], v[140:141], v[58:59]
	v_fmac_f64_e32 v[152:153], v[142:143], v[56:57]
	s_waitcnt vmcnt(10) lgkmcnt(1)
	v_mul_f64 v[38:39], v[144:145], v[48:49]
	v_add_f64 v[0:1], v[0:1], v[152:153]
	v_fmac_f64_e32 v[38:39], v[146:147], v[46:47]
	v_add_f64 v[0:1], v[0:1], v[38:39]
	ds_read_b128 v[152:155], v2 offset:1776
	s_waitcnt vmcnt(9) lgkmcnt(1)
	v_mul_f64 v[38:39], v[148:149], v[42:43]
	v_fmac_f64_e32 v[38:39], v[150:151], v[40:41]
	v_add_f64 v[0:1], v[0:1], v[38:39]
	v_mul_f64 v[38:39], v[226:227], v[158:159]
	v_fma_f64 v[38:39], v[224:225], v[156:157], -v[38:39]
	ds_read_b128 v[156:159], v2 offset:1792
	v_mul_f64 v[162:163], v[230:231], v[162:163]
	v_fma_f64 v[4:5], v[228:229], v[160:161], -v[162:163]
	ds_read_b128 v[160:163], v2 offset:1808
	s_waitcnt vmcnt(8) lgkmcnt(2)
	v_mul_f64 v[164:165], v[152:153], v[54:55]
	v_fmac_f64_e32 v[164:165], v[154:155], v[52:53]
	s_waitcnt vmcnt(7) lgkmcnt(1)
	v_mul_f64 v[50:51], v[156:157], v[62:63]
	v_add_f64 v[0:1], v[0:1], v[164:165]
	v_fmac_f64_e32 v[50:51], v[158:159], v[60:61]
	v_add_f64 v[0:1], v[0:1], v[50:51]
	s_waitcnt vmcnt(6) lgkmcnt(0)
	v_mul_f64 v[50:51], v[160:161], v[70:71]
	ds_read_b128 v[164:167], v2 offset:1824
	v_fmac_f64_e32 v[50:51], v[162:163], v[68:69]
	v_add_f64 v[0:1], v[0:1], v[50:51]
	v_mul_f64 v[50:51], v[234:235], v[170:171]
	v_fma_f64 v[50:51], v[232:233], v[168:169], -v[50:51]
	ds_read_b128 v[168:171], v2 offset:1840
	s_waitcnt vmcnt(5) lgkmcnt(1)
	v_mul_f64 v[176:177], v[164:165], v[74:75]
	v_fmac_f64_e32 v[176:177], v[166:167], v[72:73]
	v_add_f64 v[176:177], v[0:1], v[176:177]
	v_mul_f64 v[0:1], v[238:239], v[174:175]
	v_fma_f64 v[0:1], v[236:237], v[172:173], -v[0:1]
	ds_read_b128 v[172:175], v2 offset:1856
	s_waitcnt vmcnt(4) lgkmcnt(1)
	v_mul_f64 v[178:179], v[168:169], v[82:83]
	v_accvgpr_write_b32 a164, v184
	v_fmac_f64_e32 v[178:179], v[170:171], v[80:81]
	v_accvgpr_write_b32 a165, v185
	v_accvgpr_write_b32 a166, v186
	;; [unrolled: 1-line block ×3, first 2 shown]
	v_add_f64 v[184:185], v[176:177], v[178:179]
	ds_read_b128 v[176:179], v2 offset:1872
	v_mul_f64 v[180:181], v[250:251], v[198:199]
	v_fma_f64 v[248:249], v[248:249], v[196:197], -v[180:181]
	ds_read_b128 v[180:183], v2 offset:1888
	ds_read_b128 v[192:195], v2 offset:1920
	s_waitcnt vmcnt(3) lgkmcnt(3)
	v_mul_f64 v[186:187], v[172:173], v[78:79]
	v_fmac_f64_e32 v[186:187], v[174:175], v[76:77]
	v_add_f64 v[184:185], v[184:185], v[186:187]
	s_waitcnt vmcnt(2) lgkmcnt(2)
	v_mul_f64 v[186:187], v[176:177], v[94:95]
	v_fmac_f64_e32 v[186:187], v[178:179], v[92:93]
	v_add_f64 v[184:185], v[184:185], v[186:187]
	;; [unrolled: 4-line block ×3, first 2 shown]
	ds_read_b128 v[184:187], v2 offset:1904
	ds_read_b128 v[200:203], v2 offset:1936
	scratch_load_dwordx4 v[232:235], off, off offset:1008
	ds_read_b128 v[208:211], v2 offset:1952
	ds_read_b128 v[216:219], v2 offset:1968
	s_waitcnt vmcnt(1) lgkmcnt(3)
	v_mul_f64 v[190:191], v[184:185], v[102:103]
	v_fmac_f64_e32 v[190:191], v[186:187], v[100:101]
	v_add_f64 v[196:197], v[188:189], v[190:191]
	scratch_load_dwordx4 v[188:191], off, off offset:928
	ds_read_b128 v[224:227], v2 offset:1984
	s_waitcnt vmcnt(0)
	v_mul_f64 v[198:199], v[192:193], v[190:191]
	v_fmac_f64_e32 v[198:199], v[194:195], v[188:189]
	v_add_f64 v[204:205], v[196:197], v[198:199]
	scratch_load_dwordx4 v[196:199], off, off offset:944
	s_waitcnt vmcnt(0) lgkmcnt(3)
	v_mul_f64 v[206:207], v[200:201], v[198:199]
	v_fmac_f64_e32 v[206:207], v[202:203], v[196:197]
	v_add_f64 v[212:213], v[204:205], v[206:207]
	scratch_load_dwordx4 v[204:207], off, off offset:960
	s_waitcnt vmcnt(0) lgkmcnt(2)
	;; [unrolled: 5-line block ×4, first 2 shown]
	v_mul_f64 v[230:231], v[224:225], v[222:223]
	v_fmac_f64_e32 v[230:231], v[226:227], v[220:221]
	v_add_f64 v[236:237], v[228:229], v[230:231]
	ds_read_b128 v[228:231], v2 offset:2000
	s_waitcnt lgkmcnt(0)
	v_mul_f64 v[2:3], v[228:229], v[234:235]
	v_fmac_f64_e32 v[2:3], v[230:231], v[232:233]
	v_add_f64 v[2:3], v[236:237], v[2:3]
	v_add_f64 v[236:237], v[240:241], 0
	;; [unrolled: 1-line block ×14, first 2 shown]
	scratch_load_dwordx4 v[236:239], off, off offset:112
	v_add_f64 v[14:15], v[16:17], v[14:15]
	v_add_f64 v[14:15], v[14:15], v[22:23]
	;; [unrolled: 1-line block ×11, first 2 shown]
	v_accvgpr_read_b32 v6, a156
	v_accvgpr_read_b32 v8, a158
	;; [unrolled: 1-line block ×3, first 2 shown]
	v_add_f64 v[250:251], v[4:5], v[50:51]
	v_accvgpr_read_b32 v7, a157
	v_mul_f64 v[4:5], v[86:87], v[8:9]
	v_add_f64 v[0:1], v[250:251], v[0:1]
	v_fma_f64 v[4:5], v[84:85], v[6:7], -v[4:5]
	v_accvgpr_read_b32 v6, a160
	v_add_f64 v[0:1], v[0:1], v[248:249]
	v_accvgpr_read_b32 v8, a162
	v_accvgpr_read_b32 v9, a163
	v_add_f64 v[0:1], v[0:1], v[4:5]
	v_accvgpr_read_b32 v7, a161
	v_mul_f64 v[4:5], v[98:99], v[8:9]
	v_fma_f64 v[4:5], v[96:97], v[6:7], -v[4:5]
	v_accvgpr_read_b32 v6, a128
	v_accvgpr_read_b32 v8, a130
	v_accvgpr_read_b32 v9, a131
	v_add_f64 v[0:1], v[0:1], v[4:5]
	v_accvgpr_read_b32 v7, a129
	v_mul_f64 v[4:5], v[106:107], v[8:9]
	v_fma_f64 v[4:5], v[104:105], v[6:7], -v[4:5]
	v_accvgpr_read_b32 v6, a132
	;; [unrolled: 7-line block ×7, first 2 shown]
	v_accvgpr_read_b32 v8, a154
	v_accvgpr_read_b32 v9, a155
	v_add_f64 v[0:1], v[0:1], v[4:5]
	v_accvgpr_read_b32 v7, a153
	v_mul_f64 v[4:5], v[122:123], v[8:9]
	v_fma_f64 v[4:5], v[120:121], v[6:7], -v[4:5]
	v_add_f64 v[0:1], v[0:1], v[4:5]
	v_mul_f64 v[4:5], v[134:135], v[66:67]
	v_accvgpr_read_b32 v6, a164
	v_fma_f64 v[4:5], v[132:133], v[64:65], -v[4:5]
	v_accvgpr_read_b32 v8, a166
	v_accvgpr_read_b32 v9, a167
	v_add_f64 v[0:1], v[0:1], v[4:5]
	v_accvgpr_read_b32 v7, a165
	v_mul_f64 v[4:5], v[138:139], v[8:9]
	v_fma_f64 v[4:5], v[136:137], v[6:7], -v[4:5]
	v_add_f64 v[0:1], v[0:1], v[4:5]
	v_mul_f64 v[4:5], v[142:143], v[58:59]
	v_fma_f64 v[4:5], v[140:141], v[56:57], -v[4:5]
	v_add_f64 v[0:1], v[0:1], v[4:5]
	;; [unrolled: 3-line block ×19, first 2 shown]
	s_waitcnt vmcnt(0)
	v_add_f64 v[4:5], v[236:237], -v[0:1]
	v_add_f64 v[6:7], v[238:239], -v[2:3]
	scratch_store_dwordx4 off, v[4:7], off offset:112
	s_and_saveexec_b64 s[0:1], vcc
	s_cbranch_execz .LBB126_393
; %bb.392:
	scratch_load_dwordx4 v[2:5], off, s84
	v_mov_b32_e32 v6, 0
	v_mov_b32_e32 v7, v6
	v_mov_b32_e32 v8, v6
	v_mov_b32_e32 v9, v6
	v_accvgpr_read_b32 v0, a1
	scratch_store_dwordx4 off, v[6:9], off offset:96
	s_waitcnt vmcnt(1)
	ds_write_b128 v0, v[2:5]
.LBB126_393:
	s_or_b64 exec, exec, s[0:1]
	s_waitcnt lgkmcnt(0)
	; wave barrier
	scratch_load_dwordx4 v[24:27], off, off offset:112
	scratch_load_dwordx4 v[28:31], off, off offset:128
	;; [unrolled: 1-line block ×30, first 2 shown]
	v_mov_b32_e32 v2, 0
	ds_read_b128 v[80:83], v2 offset:1104
	ds_read_b128 v[96:99], v2 offset:1120
	ds_read_b128 v[100:103], v2 offset:1136
	ds_read_b128 v[104:107], v2 offset:1152
	ds_read_b128 v[108:111], v2 offset:1168
	ds_read_b128 v[112:115], v2 offset:1184
	ds_read_b128 v[116:119], v2 offset:1200
	ds_read_b128 v[148:151], v2 offset:1216
	ds_read_b128 v[160:163], v2 offset:1232
	ds_read_b128 v[172:175], v2 offset:1248
	ds_read_b128 v[180:183], v2 offset:1264
	ds_read_b128 v[184:187], v2 offset:1280
	ds_read_b128 v[188:191], v2 offset:1296
	ds_read_b128 v[192:195], v2 offset:1312
	ds_read_b128 v[196:199], v2 offset:1328
	ds_read_b128 v[200:203], v2 offset:1344
	ds_read_b128 v[204:207], v2 offset:1360
	scratch_load_dwordx4 a[136:139], off, off offset:624
	scratch_load_dwordx4 a[140:143], off, off offset:640
	ds_read_b128 v[224:227], v2 offset:1440
	ds_read_b128 v[228:231], v2 offset:1456
	;; [unrolled: 1-line block ×6, first 2 shown]
	scratch_load_dwordx4 a[144:147], off, off offset:656
	scratch_load_dwordx4 a[148:151], off, off offset:672
	ds_read_b128 v[242:245], v2 offset:1536
	scratch_load_dwordx4 a[152:155], off, off offset:688
	scratch_load_dwordx4 a[156:159], off, off offset:704
	v_cmp_lt_u32_e32 vcc, 4, v254
	scratch_load_dwordx4 a[132:135], off, off offset:608
	ds_read_b128 v[220:223], v2 offset:1424
	s_waitcnt vmcnt(36) lgkmcnt(14)
	v_mul_f64 v[0:1], v[80:81], v[26:27]
	s_waitcnt vmcnt(35)
	v_mul_f64 v[4:5], v[96:97], v[30:31]
	v_fmac_f64_e32 v[0:1], v[82:83], v[24:25]
	s_waitcnt vmcnt(34)
	v_mul_f64 v[6:7], v[100:101], v[34:35]
	v_fmac_f64_e32 v[4:5], v[98:99], v[28:29]
	v_add_f64 v[0:1], v[0:1], 0
	s_waitcnt vmcnt(33)
	v_mul_f64 v[8:9], v[104:105], v[38:39]
	v_fmac_f64_e32 v[6:7], v[102:103], v[32:33]
	v_add_f64 v[0:1], v[0:1], v[4:5]
	;; [unrolled: 4-line block ×5, first 2 shown]
	v_fmac_f64_e32 v[14:15], v[118:119], v[48:49]
	v_add_f64 v[0:1], v[0:1], v[12:13]
	v_add_f64 v[0:1], v[0:1], v[14:15]
	scratch_load_dwordx4 v[12:15], off, off offset:592
	s_waitcnt vmcnt(30)
	v_mul_f64 v[16:17], v[148:149], v[54:55]
	s_waitcnt vmcnt(29)
	v_mul_f64 v[18:19], v[160:161], v[58:59]
	v_fmac_f64_e32 v[16:17], v[150:151], v[52:53]
	s_waitcnt vmcnt(28)
	v_mul_f64 v[20:21], v[172:173], v[62:63]
	v_fmac_f64_e32 v[18:19], v[162:163], v[56:57]
	v_add_f64 v[0:1], v[0:1], v[16:17]
	s_waitcnt vmcnt(27)
	v_mul_f64 v[22:23], v[180:181], v[66:67]
	v_fmac_f64_e32 v[20:21], v[174:175], v[60:61]
	v_add_f64 v[0:1], v[0:1], v[18:19]
	s_waitcnt vmcnt(26) lgkmcnt(13)
	v_mul_f64 v[208:209], v[184:185], v[70:71]
	v_fmac_f64_e32 v[22:23], v[182:183], v[64:65]
	v_add_f64 v[0:1], v[0:1], v[20:21]
	s_waitcnt vmcnt(25) lgkmcnt(12)
	;; [unrolled: 4-line block ×4, first 2 shown]
	v_mul_f64 v[214:215], v[196:197], v[86:87]
	v_fmac_f64_e32 v[212:213], v[194:195], v[76:77]
	v_add_f64 v[0:1], v[0:1], v[210:211]
	ds_read_b128 v[208:211], v2 offset:1376
	v_fmac_f64_e32 v[214:215], v[198:199], v[84:85]
	v_add_f64 v[0:1], v[0:1], v[212:213]
	s_waitcnt vmcnt(22) lgkmcnt(10)
	v_mul_f64 v[216:217], v[200:201], v[90:91]
	v_add_f64 v[0:1], v[0:1], v[214:215]
	ds_read_b128 v[212:215], v2 offset:1392
	v_fmac_f64_e32 v[216:217], v[202:203], v[88:89]
	s_waitcnt vmcnt(21) lgkmcnt(10)
	v_mul_f64 v[4:5], v[204:205], v[94:95]
	v_add_f64 v[0:1], v[0:1], v[216:217]
	v_fmac_f64_e32 v[4:5], v[206:207], v[92:93]
	ds_read_b128 v[216:219], v2 offset:1408
	v_add_f64 v[0:1], v[0:1], v[4:5]
	s_waitcnt vmcnt(20) lgkmcnt(2)
	v_mul_f64 v[4:5], v[208:209], v[122:123]
	v_fmac_f64_e32 v[4:5], v[210:211], v[120:121]
	v_add_f64 v[0:1], v[0:1], v[4:5]
	s_waitcnt vmcnt(19) lgkmcnt(1)
	v_mul_f64 v[4:5], v[212:213], v[126:127]
	v_fmac_f64_e32 v[4:5], v[214:215], v[124:125]
	;; [unrolled: 4-line block ×3, first 2 shown]
	v_add_f64 v[0:1], v[0:1], v[4:5]
	s_waitcnt vmcnt(17)
	v_mul_f64 v[4:5], v[220:221], v[134:135]
	v_fmac_f64_e32 v[4:5], v[222:223], v[132:133]
	v_add_f64 v[0:1], v[0:1], v[4:5]
	s_waitcnt vmcnt(16)
	v_mul_f64 v[4:5], v[224:225], v[138:139]
	v_fmac_f64_e32 v[4:5], v[226:227], v[136:137]
	;; [unrolled: 4-line block ×3, first 2 shown]
	v_add_f64 v[0:1], v[0:1], v[4:5]
	v_mul_f64 v[4:5], v[82:83], v[26:27]
	v_fma_f64 v[240:241], v[80:81], v[24:25], -v[4:5]
	s_waitcnt vmcnt(14)
	v_mul_f64 v[4:5], v[232:233], v[146:147]
	v_fmac_f64_e32 v[4:5], v[234:235], v[144:145]
	v_add_f64 v[0:1], v[0:1], v[4:5]
	s_waitcnt vmcnt(13)
	v_mul_f64 v[4:5], v[236:237], v[154:155]
	v_fmac_f64_e32 v[4:5], v[238:239], v[152:153]
	v_add_f64 v[0:1], v[0:1], v[4:5]
	;; [unrolled: 4-line block ×3, first 2 shown]
	v_mul_f64 v[4:5], v[98:99], v[30:31]
	v_fma_f64 v[80:81], v[96:97], v[28:29], -v[4:5]
	v_mul_f64 v[4:5], v[102:103], v[34:35]
	v_fma_f64 v[32:33], v[100:101], v[32:33], -v[4:5]
	v_mul_f64 v[4:5], v[106:107], v[38:39]
	v_fma_f64 v[28:29], v[104:105], v[36:37], -v[4:5]
	s_waitcnt vmcnt(11)
	v_mul_f64 v[4:5], v[250:251], v[166:167]
	v_fmac_f64_e32 v[4:5], v[252:253], v[164:165]
	v_mul_f64 v[36:37], v[114:115], v[46:47]
	v_add_f64 v[0:1], v[0:1], v[4:5]
	v_fma_f64 v[20:21], v[112:113], v[44:45], -v[36:37]
	ds_read_b128 v[34:37], v2 offset:1568
	s_waitcnt vmcnt(10)
	v_mul_f64 v[4:5], v[242:243], v[170:171]
	v_fmac_f64_e32 v[4:5], v[244:245], v[168:169]
	v_add_f64 v[0:1], v[0:1], v[4:5]
	v_mul_f64 v[4:5], v[110:111], v[42:43]
	v_fma_f64 v[24:25], v[108:109], v[40:41], -v[4:5]
	ds_read_b128 v[4:7], v2 offset:1552
	ds_read_b128 v[96:99], v2 offset:1584
	scratch_load_dwordx4 v[40:43], off, off offset:720
	s_waitcnt vmcnt(9)
	v_accvgpr_read_b32 v8, a128
	v_mul_f64 v[18:19], v[118:119], v[50:51]
	s_waitcnt lgkmcnt(1)
	v_mul_f64 v[44:45], v[4:5], v[178:179]
	v_fmac_f64_e32 v[44:45], v[6:7], v[176:177]
	v_add_f64 v[0:1], v[0:1], v[44:45]
	v_accvgpr_read_b32 v10, a130
	v_accvgpr_read_b32 v11, a131
	v_mul_f64 v[44:45], v[150:151], v[54:55]
	v_fma_f64 v[18:19], v[116:117], v[48:49], -v[18:19]
	v_accvgpr_read_b32 v9, a129
	v_mul_f64 v[48:49], v[34:35], v[10:11]
	v_fma_f64 v[16:17], v[148:149], v[52:53], -v[44:45]
	scratch_load_dwordx4 v[44:47], off, off offset:736
	v_fmac_f64_e32 v[48:49], v[36:37], v[8:9]
	v_add_f64 v[0:1], v[0:1], v[48:49]
	scratch_load_dwordx4 v[48:51], off, off offset:752
	v_mul_f64 v[52:53], v[174:175], v[62:63]
	ds_read_b128 v[100:103], v2 offset:1600
	ds_read_b128 v[104:107], v2 offset:1616
	s_waitcnt vmcnt(3)
	v_mov_b64_e32 v[8:9], v[12:13]
	v_mul_f64 v[22:23], v[162:163], v[58:59]
	v_fma_f64 v[172:173], v[172:173], v[60:61], -v[52:53]
	scratch_load_dwordx4 v[52:55], off, off offset:768
	v_mov_b64_e32 v[10:11], v[14:15]
	v_fma_f64 v[22:23], v[160:161], v[56:57], -v[22:23]
	s_waitcnt lgkmcnt(2)
	v_mul_f64 v[56:57], v[96:97], v[10:11]
	v_fmac_f64_e32 v[56:57], v[98:99], v[8:9]
	v_accvgpr_read_b32 v8, a132
	v_accvgpr_read_b32 v10, a134
	;; [unrolled: 1-line block ×3, first 2 shown]
	v_add_f64 v[0:1], v[0:1], v[56:57]
	v_mul_f64 v[56:57], v[182:183], v[66:67]
	v_accvgpr_read_b32 v9, a133
	s_waitcnt lgkmcnt(1)
	v_mul_f64 v[60:61], v[100:101], v[10:11]
	v_fma_f64 v[174:175], v[180:181], v[64:65], -v[56:57]
	scratch_load_dwordx4 v[56:59], off, off offset:784
	v_fmac_f64_e32 v[60:61], v[102:103], v[8:9]
	v_add_f64 v[0:1], v[0:1], v[60:61]
	v_mul_f64 v[60:61], v[186:187], v[70:71]
	v_fma_f64 v[180:181], v[184:185], v[68:69], -v[60:61]
	scratch_load_dwordx4 v[60:63], off, off offset:800
	v_mul_f64 v[64:65], v[190:191], v[74:75]
	v_fma_f64 v[182:183], v[188:189], v[72:73], -v[64:65]
	scratch_load_dwordx4 v[64:67], off, off offset:816
	ds_read_b128 v[108:111], v2 offset:1632
	v_accvgpr_read_b32 v8, a136
	v_accvgpr_read_b32 v10, a138
	;; [unrolled: 1-line block ×4, first 2 shown]
	s_waitcnt lgkmcnt(1)
	v_mul_f64 v[72:73], v[104:105], v[10:11]
	v_mul_f64 v[68:69], v[194:195], v[78:79]
	v_fmac_f64_e32 v[72:73], v[106:107], v[8:9]
	v_accvgpr_read_b32 v8, a140
	v_fma_f64 v[184:185], v[192:193], v[76:77], -v[68:69]
	scratch_load_dwordx4 v[68:71], off, off offset:832
	v_accvgpr_read_b32 v10, a142
	v_accvgpr_read_b32 v11, a143
	v_add_f64 v[0:1], v[0:1], v[72:73]
	v_mul_f64 v[72:73], v[198:199], v[86:87]
	v_accvgpr_read_b32 v9, a141
	s_waitcnt lgkmcnt(0)
	v_mul_f64 v[76:77], v[108:109], v[10:11]
	v_fma_f64 v[186:187], v[196:197], v[84:85], -v[72:73]
	v_fmac_f64_e32 v[76:77], v[110:111], v[8:9]
	scratch_load_dwordx4 v[72:75], off, off offset:848
	v_accvgpr_write_b32 a163, v15
	v_add_f64 v[0:1], v[0:1], v[76:77]
	v_mul_f64 v[76:77], v[202:203], v[90:91]
	v_accvgpr_write_b32 a162, v14
	v_accvgpr_write_b32 a161, v13
	;; [unrolled: 1-line block ×3, first 2 shown]
	v_fma_f64 v[14:15], v[200:201], v[88:89], -v[76:77]
	scratch_load_dwordx4 v[76:79], off, off offset:864
	ds_read_b128 v[116:119], v2 offset:1648
	ds_read_b128 v[112:115], v2 offset:1664
	scratch_load_dwordx4 v[88:91], off, off offset:880
	v_mul_f64 v[84:85], v[210:211], v[122:123]
	v_fma_f64 v[12:13], v[208:209], v[120:121], -v[84:85]
	scratch_load_dwordx4 v[84:87], off, off offset:896
	v_mul_f64 v[26:27], v[206:207], v[94:95]
	v_fma_f64 v[26:27], v[204:205], v[92:93], -v[26:27]
	scratch_load_dwordx4 v[92:95], off, off offset:912
	v_accvgpr_read_b32 v8, a144
	v_accvgpr_read_b32 v10, a146
	;; [unrolled: 1-line block ×4, first 2 shown]
	s_waitcnt lgkmcnt(1)
	v_mul_f64 v[30:31], v[116:117], v[10:11]
	v_fmac_f64_e32 v[30:31], v[118:119], v[8:9]
	v_add_f64 v[0:1], v[0:1], v[30:31]
	v_mul_f64 v[30:31], v[214:215], v[126:127]
	v_mul_f64 v[120:121], v[218:219], v[130:131]
	v_fma_f64 v[30:31], v[212:213], v[124:125], -v[30:31]
	v_fma_f64 v[10:11], v[216:217], v[128:129], -v[120:121]
	ds_read_b128 v[120:123], v2 offset:1680
	v_accvgpr_read_b32 v124, a148
	v_accvgpr_read_b32 v126, a150
	;; [unrolled: 1-line block ×4, first 2 shown]
	s_waitcnt lgkmcnt(1)
	v_mul_f64 v[82:83], v[112:113], v[126:127]
	v_fmac_f64_e32 v[82:83], v[114:115], v[124:125]
	ds_read_b128 v[124:127], v2 offset:1696
	v_accvgpr_read_b32 v128, a152
	v_accvgpr_read_b32 v130, a154
	;; [unrolled: 1-line block ×3, first 2 shown]
	v_add_f64 v[0:1], v[0:1], v[82:83]
	v_accvgpr_read_b32 v129, a153
	s_waitcnt lgkmcnt(1)
	v_mul_f64 v[82:83], v[120:121], v[130:131]
	v_fmac_f64_e32 v[82:83], v[122:123], v[128:129]
	v_accvgpr_read_b32 v148, a156
	v_add_f64 v[0:1], v[0:1], v[82:83]
	v_mul_f64 v[82:83], v[222:223], v[134:135]
	ds_read_b128 v[128:131], v2 offset:1712
	v_accvgpr_read_b32 v150, a158
	v_accvgpr_read_b32 v151, a159
	v_fma_f64 v[82:83], v[220:221], v[132:133], -v[82:83]
	v_accvgpr_read_b32 v149, a157
	s_waitcnt lgkmcnt(1)
	v_mul_f64 v[132:133], v[124:125], v[150:151]
	v_fmac_f64_e32 v[132:133], v[126:127], v[148:149]
	v_add_f64 v[0:1], v[0:1], v[132:133]
	v_mul_f64 v[132:133], v[226:227], v[138:139]
	v_fma_f64 v[8:9], v[224:225], v[136:137], -v[132:133]
	ds_read_b128 v[132:135], v2 offset:1728
	s_waitcnt vmcnt(12) lgkmcnt(1)
	v_mul_f64 v[38:39], v[128:129], v[42:43]
	v_fmac_f64_e32 v[38:39], v[130:131], v[40:41]
	ds_read_b128 v[136:139], v2 offset:1744
	v_add_f64 v[0:1], v[0:1], v[38:39]
	v_mul_f64 v[38:39], v[230:231], v[142:143]
	v_fma_f64 v[38:39], v[228:229], v[140:141], -v[38:39]
	ds_read_b128 v[140:143], v2 offset:1760
	s_waitcnt vmcnt(11) lgkmcnt(2)
	v_mul_f64 v[148:149], v[132:133], v[46:47]
	v_fmac_f64_e32 v[148:149], v[134:135], v[44:45]
	v_add_f64 v[0:1], v[0:1], v[148:149]
	s_waitcnt vmcnt(10) lgkmcnt(1)
	v_mul_f64 v[148:149], v[136:137], v[50:51]
	v_fmac_f64_e32 v[148:149], v[138:139], v[48:49]
	v_mul_f64 v[146:147], v[234:235], v[146:147]
	v_add_f64 v[0:1], v[0:1], v[148:149]
	v_fma_f64 v[228:229], v[232:233], v[144:145], -v[146:147]
	ds_read_b128 v[144:147], v2 offset:1776
	s_waitcnt vmcnt(9) lgkmcnt(1)
	v_mul_f64 v[148:149], v[140:141], v[54:55]
	v_fmac_f64_e32 v[148:149], v[142:143], v[52:53]
	v_add_f64 v[0:1], v[0:1], v[148:149]
	ds_read_b128 v[148:151], v2 offset:1792
	v_mul_f64 v[154:155], v[238:239], v[154:155]
	v_fma_f64 v[230:231], v[236:237], v[152:153], -v[154:155]
	ds_read_b128 v[152:155], v2 offset:1808
	s_waitcnt vmcnt(8) lgkmcnt(2)
	v_mul_f64 v[160:161], v[144:145], v[58:59]
	v_fmac_f64_e32 v[160:161], v[146:147], v[56:57]
	v_add_f64 v[0:1], v[0:1], v[160:161]
	s_waitcnt vmcnt(7) lgkmcnt(1)
	v_mul_f64 v[160:161], v[148:149], v[62:63]
	v_fmac_f64_e32 v[160:161], v[150:151], v[60:61]
	v_mul_f64 v[158:159], v[248:249], v[158:159]
	v_fma_f64 v[234:235], v[246:247], v[156:157], -v[158:159]
	ds_read_b128 v[156:159], v2 offset:1824
	v_add_f64 v[0:1], v[0:1], v[160:161]
	s_waitcnt vmcnt(6) lgkmcnt(1)
	v_mul_f64 v[160:161], v[152:153], v[66:67]
	v_fmac_f64_e32 v[160:161], v[154:155], v[64:65]
	v_add_f64 v[0:1], v[0:1], v[160:161]
	ds_read_b128 v[160:163], v2 offset:1840
	v_mul_f64 v[166:167], v[252:253], v[166:167]
	v_fma_f64 v[236:237], v[250:251], v[164:165], -v[166:167]
	ds_read_b128 v[164:167], v2 offset:1856
	v_mul_f64 v[170:171], v[244:245], v[170:171]
	s_waitcnt vmcnt(5) lgkmcnt(2)
	v_mul_f64 v[188:189], v[156:157], v[70:71]
	v_fma_f64 v[238:239], v[242:243], v[168:169], -v[170:171]
	ds_read_b128 v[168:171], v2 offset:1872
	ds_read_b128 v[242:245], v2 offset:1888
	v_fmac_f64_e32 v[188:189], v[158:159], v[68:69]
	v_add_f64 v[0:1], v[0:1], v[188:189]
	s_waitcnt vmcnt(4) lgkmcnt(3)
	v_mul_f64 v[188:189], v[160:161], v[74:75]
	v_fmac_f64_e32 v[188:189], v[162:163], v[72:73]
	v_mul_f64 v[6:7], v[6:7], v[178:179]
	v_add_f64 v[0:1], v[0:1], v[188:189]
	s_waitcnt vmcnt(3) lgkmcnt(2)
	v_mul_f64 v[188:189], v[164:165], v[78:79]
	v_fma_f64 v[246:247], v[4:5], v[176:177], -v[6:7]
	ds_read_b128 v[176:179], v2 offset:1904
	ds_read_b128 v[250:253], v2 offset:1920
	v_fmac_f64_e32 v[188:189], v[166:167], v[76:77]
	s_waitcnt vmcnt(2) lgkmcnt(3)
	v_mul_f64 v[4:5], v[168:169], v[90:91]
	v_add_f64 v[0:1], v[0:1], v[188:189]
	v_fmac_f64_e32 v[4:5], v[170:171], v[88:89]
	v_add_f64 v[0:1], v[0:1], v[4:5]
	s_waitcnt vmcnt(1) lgkmcnt(2)
	v_mul_f64 v[4:5], v[242:243], v[86:87]
	v_fmac_f64_e32 v[4:5], v[244:245], v[84:85]
	v_add_f64 v[0:1], v[0:1], v[4:5]
	s_waitcnt vmcnt(0) lgkmcnt(1)
	v_mul_f64 v[4:5], v[176:177], v[94:95]
	v_fmac_f64_e32 v[4:5], v[178:179], v[92:93]
	v_add_f64 v[0:1], v[0:1], v[4:5]
	scratch_load_dwordx4 v[4:7], off, off offset:928
	ds_read_b128 v[192:195], v2 offset:1936
	ds_read_b128 v[200:203], v2 offset:1952
	;; [unrolled: 1-line block ×5, first 2 shown]
	s_waitcnt vmcnt(0) lgkmcnt(5)
	v_mul_f64 v[188:189], v[250:251], v[6:7]
	v_fmac_f64_e32 v[188:189], v[252:253], v[4:5]
	v_add_f64 v[0:1], v[0:1], v[188:189]
	scratch_load_dwordx4 v[188:191], off, off offset:944
	v_mul_f64 v[6:7], v[252:253], v[6:7]
	v_fma_f64 v[4:5], v[250:251], v[4:5], -v[6:7]
	s_waitcnt vmcnt(0) lgkmcnt(4)
	v_mul_f64 v[196:197], v[192:193], v[190:191]
	v_fmac_f64_e32 v[196:197], v[194:195], v[188:189]
	v_add_f64 v[0:1], v[0:1], v[196:197]
	scratch_load_dwordx4 v[196:199], off, off offset:960
	s_waitcnt vmcnt(0) lgkmcnt(3)
	v_mul_f64 v[204:205], v[200:201], v[198:199]
	v_fmac_f64_e32 v[204:205], v[202:203], v[196:197]
	v_add_f64 v[0:1], v[0:1], v[204:205]
	scratch_load_dwordx4 v[204:207], off, off offset:976
	;; [unrolled: 5-line block ×4, first 2 shown]
	s_waitcnt vmcnt(0) lgkmcnt(0)
	v_mul_f64 v[232:233], v[224:225], v[222:223]
	v_fmac_f64_e32 v[232:233], v[226:227], v[220:221]
	v_add_f64 v[232:233], v[0:1], v[232:233]
	v_add_f64 v[0:1], v[240:241], 0
	v_add_f64 v[0:1], v[0:1], v[80:81]
	v_add_f64 v[0:1], v[0:1], v[32:33]
	v_add_f64 v[0:1], v[0:1], v[28:29]
	v_add_f64 v[0:1], v[0:1], v[24:25]
	v_add_f64 v[0:1], v[0:1], v[20:21]
	v_add_f64 v[0:1], v[0:1], v[18:19]
	v_add_f64 v[0:1], v[0:1], v[16:17]
	v_add_f64 v[0:1], v[0:1], v[22:23]
	v_add_f64 v[0:1], v[0:1], v[172:173]
	v_add_f64 v[0:1], v[0:1], v[174:175]
	v_add_f64 v[0:1], v[0:1], v[180:181]
	v_add_f64 v[0:1], v[0:1], v[182:183]
	v_add_f64 v[0:1], v[0:1], v[184:185]
	v_add_f64 v[0:1], v[0:1], v[186:187]
	v_add_f64 v[0:1], v[0:1], v[14:15]
	v_add_f64 v[0:1], v[0:1], v[26:27]
	v_add_f64 v[0:1], v[0:1], v[12:13]
	v_add_f64 v[0:1], v[0:1], v[30:31]
	v_add_f64 v[0:1], v[0:1], v[10:11]
	v_add_f64 v[0:1], v[0:1], v[82:83]
	v_add_f64 v[0:1], v[0:1], v[8:9]
	v_add_f64 v[0:1], v[0:1], v[38:39]
	v_add_f64 v[0:1], v[0:1], v[228:229]
	v_add_f64 v[248:249], v[0:1], v[230:231]
	scratch_load_dwordx4 v[228:231], off, off offset:96
	v_accvgpr_read_b32 v10, a128
	v_add_f64 v[0:1], v[248:249], v[234:235]
	v_accvgpr_read_b32 v12, a130
	v_accvgpr_read_b32 v13, a131
	v_add_f64 v[0:1], v[0:1], v[236:237]
	v_accvgpr_read_b32 v11, a129
	v_mul_f64 v[8:9], v[36:37], v[12:13]
	v_add_f64 v[0:1], v[0:1], v[238:239]
	v_fma_f64 v[8:9], v[34:35], v[10:11], -v[8:9]
	v_accvgpr_read_b32 v10, a160
	v_add_f64 v[0:1], v[0:1], v[246:247]
	v_accvgpr_read_b32 v12, a162
	v_accvgpr_read_b32 v13, a163
	v_add_f64 v[0:1], v[0:1], v[8:9]
	v_accvgpr_read_b32 v11, a161
	v_mul_f64 v[8:9], v[98:99], v[12:13]
	v_fma_f64 v[8:9], v[96:97], v[10:11], -v[8:9]
	v_accvgpr_read_b32 v10, a132
	v_accvgpr_read_b32 v12, a134
	v_accvgpr_read_b32 v13, a135
	v_add_f64 v[0:1], v[0:1], v[8:9]
	v_accvgpr_read_b32 v11, a133
	v_mul_f64 v[8:9], v[102:103], v[12:13]
	v_fma_f64 v[8:9], v[100:101], v[10:11], -v[8:9]
	v_accvgpr_read_b32 v10, a136
	;; [unrolled: 7-line block ×7, first 2 shown]
	v_accvgpr_read_b32 v12, a158
	v_accvgpr_read_b32 v13, a159
	v_add_f64 v[0:1], v[0:1], v[8:9]
	v_accvgpr_read_b32 v11, a157
	v_mul_f64 v[8:9], v[126:127], v[12:13]
	v_fma_f64 v[8:9], v[124:125], v[10:11], -v[8:9]
	v_add_f64 v[0:1], v[0:1], v[8:9]
	v_mul_f64 v[8:9], v[130:131], v[42:43]
	v_fma_f64 v[8:9], v[128:129], v[40:41], -v[8:9]
	v_add_f64 v[0:1], v[0:1], v[8:9]
	;; [unrolled: 3-line block ×14, first 2 shown]
	v_add_f64 v[0:1], v[0:1], v[4:5]
	v_mul_f64 v[4:5], v[194:195], v[190:191]
	v_fma_f64 v[4:5], v[192:193], v[188:189], -v[4:5]
	v_add_f64 v[0:1], v[0:1], v[4:5]
	v_mul_f64 v[4:5], v[202:203], v[198:199]
	v_fma_f64 v[4:5], v[200:201], v[196:197], -v[4:5]
	;; [unrolled: 3-line block ×5, first 2 shown]
	v_add_f64 v[0:1], v[0:1], v[4:5]
	s_waitcnt vmcnt(0)
	v_add_f64 v[4:5], v[228:229], -v[0:1]
	v_add_f64 v[6:7], v[230:231], -v[232:233]
	scratch_store_dwordx4 off, v[4:7], off offset:96
	s_and_saveexec_b64 s[0:1], vcc
	s_cbranch_execz .LBB126_395
; %bb.394:
	scratch_load_dwordx4 v[6:9], off, s85
	v_mov_b32_e32 v3, v2
	v_mov_b32_e32 v4, v2
	;; [unrolled: 1-line block ×3, first 2 shown]
	v_accvgpr_read_b32 v0, a1
	scratch_store_dwordx4 off, v[2:5], off offset:80
	s_waitcnt vmcnt(1)
	ds_write_b128 v0, v[6:9]
.LBB126_395:
	s_or_b64 exec, exec, s[0:1]
	s_waitcnt lgkmcnt(0)
	; wave barrier
	scratch_load_dwordx4 v[8:11], off, off offset:96
	scratch_load_dwordx4 v[4:7], off, off offset:112
	scratch_load_dwordx4 v[38:41], off, off offset:128
	scratch_load_dwordx4 v[20:23], off, off offset:144
	scratch_load_dwordx4 v[248:251], off, off offset:160
	scratch_load_dwordx4 v[30:33], off, off offset:176
	scratch_load_dwordx4 v[26:29], off, off offset:192
	scratch_load_dwordx4 v[34:37], off, off offset:208
	scratch_load_dwordx4 v[14:17], off, off offset:224
	scratch_load_dwordx4 v[44:47], off, off offset:240
	scratch_load_dwordx4 v[48:51], off, off offset:256
	scratch_load_dwordx4 v[52:55], off, off offset:272
	scratch_load_dwordx4 v[64:67], off, off offset:288
	scratch_load_dwordx4 v[76:79], off, off offset:304
	scratch_load_dwordx4 v[80:83], off, off offset:320
	scratch_load_dwordx4 v[84:87], off, off offset:336
	scratch_load_dwordx4 v[88:91], off, off offset:352
	ds_read_b128 v[180:183], v2 offset:1088
	ds_read_b128 v[108:111], v2 offset:1104
	scratch_load_dwordx4 v[92:95], off, off offset:368
	ds_read_b128 v[184:187], v2 offset:1120
	ds_read_b128 v[172:175], v2 offset:1136
	;; [unrolled: 1-line block ×5, first 2 shown]
	scratch_load_dwordx4 v[100:103], off, off offset:384
	ds_read_b128 v[160:163], v2 offset:1200
	ds_read_b128 v[128:131], v2 offset:1216
	scratch_load_dwordx4 v[116:119], off, off offset:400
	ds_read_b128 v[196:199], v2 offset:1232
	ds_read_b128 v[176:179], v2 offset:1248
	;; [unrolled: 1-line block ×5, first 2 shown]
	scratch_load_dwordx4 v[124:127], off, off offset:416
	ds_read_b128 v[168:171], v2 offset:1312
	ds_read_b128 v[156:159], v2 offset:1328
	;; [unrolled: 1-line block ×3, first 2 shown]
	scratch_load_dwordx4 v[136:139], off, off offset:432
	scratch_load_dwordx4 v[140:143], off, off offset:448
	;; [unrolled: 1-line block ×9, first 2 shown]
	ds_read_b128 v[208:211], v2 offset:1360
	scratch_load_dwordx4 a[136:139], off, off offset:608
	scratch_load_dwordx4 a[140:143], off, off offset:624
	;; [unrolled: 1-line block ×4, first 2 shown]
	ds_read_b128 v[232:235], v2 offset:1456
	ds_read_b128 v[236:239], v2 offset:1472
	scratch_load_dwordx4 a[152:155], off, off offset:672
	scratch_load_dwordx4 a[156:159], off, off offset:688
	;; [unrolled: 1-line block ×3, first 2 shown]
	v_cmp_lt_u32_e32 vcc, 3, v254
	ds_read_b128 v[242:245], v2 offset:1504
	ds_read_b128 v[228:231], v2 offset:1440
	scratch_load_dwordx4 a[132:135], off, off offset:592
	s_waitcnt vmcnt(37) lgkmcnt(14)
	v_mul_f64 v[0:1], v[180:181], v[10:11]
	s_waitcnt vmcnt(36)
	v_mul_f64 v[56:57], v[108:109], v[6:7]
	v_fmac_f64_e32 v[0:1], v[182:183], v[8:9]
	s_waitcnt vmcnt(35)
	v_mul_f64 v[58:59], v[184:185], v[40:41]
	v_fmac_f64_e32 v[56:57], v[110:111], v[4:5]
	v_add_f64 v[0:1], v[0:1], 0
	s_waitcnt vmcnt(34)
	v_mul_f64 v[60:61], v[172:173], v[22:23]
	v_fmac_f64_e32 v[58:59], v[186:187], v[38:39]
	v_add_f64 v[0:1], v[0:1], v[56:57]
	;; [unrolled: 4-line block ×6, first 2 shown]
	s_waitcnt vmcnt(29) lgkmcnt(13)
	v_mul_f64 v[74:75], v[128:129], v[16:17]
	v_fmac_f64_e32 v[72:73], v[162:163], v[34:35]
	v_add_f64 v[0:1], v[0:1], v[70:71]
	s_waitcnt vmcnt(28) lgkmcnt(12)
	v_mul_f64 v[212:213], v[196:197], v[46:47]
	v_fmac_f64_e32 v[74:75], v[130:131], v[14:15]
	v_add_f64 v[0:1], v[0:1], v[72:73]
	;; [unrolled: 4-line block ×8, first 2 shown]
	v_fmac_f64_e32 v[224:225], v[158:159], v[84:85]
	v_add_f64 v[0:1], v[0:1], v[222:223]
	s_waitcnt vmcnt(21) lgkmcnt(5)
	v_mul_f64 v[56:57], v[132:133], v[90:91]
	v_add_f64 v[0:1], v[0:1], v[224:225]
	v_fmac_f64_e32 v[56:57], v[134:135], v[88:89]
	v_add_f64 v[0:1], v[0:1], v[56:57]
	ds_read_b128 v[212:215], v2 offset:1376
	s_waitcnt vmcnt(20) lgkmcnt(5)
	v_mul_f64 v[56:57], v[208:209], v[94:95]
	v_fmac_f64_e32 v[56:57], v[210:211], v[92:93]
	v_add_f64 v[0:1], v[0:1], v[56:57]
	scratch_load_dwordx4 v[56:59], off, off offset:576
	ds_read_b128 v[216:219], v2 offset:1392
	ds_read_b128 v[220:223], v2 offset:1408
	s_waitcnt vmcnt(20) lgkmcnt(2)
	v_mul_f64 v[60:61], v[212:213], v[102:103]
	ds_read_b128 v[224:227], v2 offset:1424
	v_fmac_f64_e32 v[60:61], v[214:215], v[100:101]
	s_waitcnt vmcnt(19) lgkmcnt(2)
	v_mul_f64 v[68:69], v[216:217], v[118:119]
	v_add_f64 v[0:1], v[0:1], v[60:61]
	v_fmac_f64_e32 v[68:69], v[218:219], v[116:117]
	v_add_f64 v[0:1], v[0:1], v[68:69]
	s_waitcnt vmcnt(18) lgkmcnt(1)
	v_mul_f64 v[68:69], v[220:221], v[126:127]
	v_fmac_f64_e32 v[68:69], v[222:223], v[124:125]
	v_add_f64 v[0:1], v[0:1], v[68:69]
	s_waitcnt vmcnt(17) lgkmcnt(0)
	v_mul_f64 v[68:69], v[224:225], v[138:139]
	v_mul_f64 v[10:11], v[182:183], v[10:11]
	v_fmac_f64_e32 v[68:69], v[226:227], v[136:137]
	s_waitcnt vmcnt(16)
	v_mul_f64 v[72:73], v[228:229], v[142:143]
	v_fma_f64 v[240:241], v[180:181], v[8:9], -v[10:11]
	ds_read_b128 v[180:183], v2 offset:1488
	v_add_f64 v[0:1], v[0:1], v[68:69]
	v_fmac_f64_e32 v[72:73], v[230:231], v[140:141]
	s_waitcnt vmcnt(15)
	v_mul_f64 v[8:9], v[232:233], v[146:147]
	v_add_f64 v[0:1], v[0:1], v[72:73]
	v_fmac_f64_e32 v[8:9], v[234:235], v[144:145]
	v_add_f64 v[0:1], v[0:1], v[8:9]
	s_waitcnt vmcnt(14)
	v_mul_f64 v[8:9], v[236:237], v[154:155]
	v_mul_f64 v[12:13], v[186:187], v[40:41]
	v_fmac_f64_e32 v[8:9], v[238:239], v[152:153]
	v_fma_f64 v[246:247], v[184:185], v[38:39], -v[12:13]
	ds_read_b128 v[184:187], v2 offset:1520
	v_add_f64 v[0:1], v[0:1], v[8:9]
	s_waitcnt vmcnt(13) lgkmcnt(1)
	v_mul_f64 v[8:9], v[180:181], v[190:191]
	v_fmac_f64_e32 v[8:9], v[182:183], v[188:189]
	v_add_f64 v[0:1], v[0:1], v[8:9]
	v_mul_f64 v[8:9], v[110:111], v[6:7]
	v_mul_f64 v[12:13], v[174:175], v[22:23]
	s_waitcnt vmcnt(12)
	v_mul_f64 v[6:7], v[242:243], v[194:195]
	v_fma_f64 v[40:41], v[172:173], v[20:21], -v[12:13]
	v_fmac_f64_e32 v[6:7], v[244:245], v[192:193]
	v_mul_f64 v[20:21], v[98:99], v[32:33]
	v_add_f64 v[0:1], v[0:1], v[6:7]
	v_fma_f64 v[172:173], v[96:97], v[30:31], -v[20:21]
	ds_read_b128 v[96:99], v2 offset:1552
	s_waitcnt vmcnt(11) lgkmcnt(1)
	v_mul_f64 v[6:7], v[184:185], v[202:203]
	v_fmac_f64_e32 v[6:7], v[186:187], v[200:201]
	v_add_f64 v[0:1], v[0:1], v[6:7]
	v_mul_f64 v[6:7], v[114:115], v[250:251]
	v_mul_f64 v[24:25], v[106:107], v[28:29]
	v_fma_f64 v[252:253], v[108:109], v[4:5], -v[8:9]
	v_fma_f64 v[38:39], v[112:113], v[248:249], -v[6:7]
	ds_read_b128 v[248:251], v2 offset:1536
	v_fma_f64 v[174:175], v[104:105], v[26:27], -v[24:25]
	s_waitcnt vmcnt(9)
	v_accvgpr_read_b32 v4, a128
	scratch_load_dwordx4 v[72:75], off, off offset:720
	ds_read_b128 v[104:107], v2 offset:1568
	v_accvgpr_read_b32 v6, a130
	v_accvgpr_read_b32 v7, a131
	v_accvgpr_read_b32 v5, a129
	s_waitcnt lgkmcnt(2)
	v_mul_f64 v[32:33], v[96:97], v[6:7]
	scratch_load_dwordx4 v[68:71], off, off offset:736
	scratch_load_dwordx4 v[60:63], off, off offset:752
	v_fmac_f64_e32 v[32:33], v[98:99], v[4:5]
	ds_read_b128 v[108:111], v2 offset:1584
	ds_read_b128 v[112:115], v2 offset:1600
	v_mul_f64 v[10:11], v[130:131], v[16:17]
	s_waitcnt lgkmcnt(3)
	v_mul_f64 v[28:29], v[248:249], v[206:207]
	v_fma_f64 v[30:31], v[128:129], v[14:15], -v[10:11]
	v_fmac_f64_e32 v[28:29], v[250:251], v[204:205]
	v_add_f64 v[0:1], v[0:1], v[28:29]
	v_mul_f64 v[28:29], v[162:163], v[36:37]
	v_mul_f64 v[36:37], v[198:199], v[46:47]
	v_add_f64 v[0:1], v[0:1], v[32:33]
	v_fma_f64 v[26:27], v[196:197], v[44:45], -v[36:37]
	v_mul_f64 v[18:19], v[150:151], v[66:67]
	v_fma_f64 v[18:19], v[148:149], v[64:65], -v[18:19]
	scratch_load_dwordx4 v[64:67], off, off offset:832
	v_mul_f64 v[24:25], v[134:135], v[90:91]
	v_fma_f64 v[24:25], v[132:133], v[88:89], -v[24:25]
	v_fma_f64 v[34:35], v[160:161], v[34:35], -v[28:29]
	v_mul_f64 v[146:147], v[234:235], v[146:147]
	s_waitcnt vmcnt(4)
	v_mov_b64_e32 v[4:5], v[56:57]
	v_mov_b64_e32 v[6:7], v[58:59]
	v_accvgpr_write_b32 a167, v59
	s_waitcnt lgkmcnt(2)
	v_mul_f64 v[14:15], v[104:105], v[6:7]
	v_accvgpr_write_b32 a166, v58
	v_accvgpr_write_b32 a165, v57
	;; [unrolled: 1-line block ×3, first 2 shown]
	scratch_load_dwordx4 v[56:59], off, off offset:768
	v_fmac_f64_e32 v[14:15], v[106:107], v[4:5]
	v_accvgpr_read_b32 v4, a132
	v_accvgpr_read_b32 v6, a134
	;; [unrolled: 1-line block ×4, first 2 shown]
	s_waitcnt lgkmcnt(1)
	v_mul_f64 v[44:45], v[108:109], v[6:7]
	v_add_f64 v[0:1], v[0:1], v[14:15]
	v_fmac_f64_e32 v[44:45], v[110:111], v[4:5]
	v_add_f64 v[0:1], v[0:1], v[44:45]
	v_mul_f64 v[44:45], v[166:167], v[54:55]
	v_fma_f64 v[16:17], v[164:165], v[52:53], -v[44:45]
	scratch_load_dwordx4 v[44:47], off, off offset:784
	v_mul_f64 v[14:15], v[178:179], v[50:51]
	v_fma_f64 v[22:23], v[176:177], v[48:49], -v[14:15]
	scratch_load_dwordx4 v[48:51], off, off offset:800
	v_mul_f64 v[52:53], v[122:123], v[78:79]
	v_fma_f64 v[14:15], v[120:121], v[76:77], -v[52:53]
	ds_read_b128 v[120:123], v2 offset:1616
	v_accvgpr_read_b32 v4, a136
	scratch_load_dwordx4 v[52:55], off, off offset:816
	v_accvgpr_read_b32 v6, a138
	v_accvgpr_read_b32 v7, a139
	;; [unrolled: 1-line block ×3, first 2 shown]
	s_waitcnt lgkmcnt(1)
	v_mul_f64 v[20:21], v[112:113], v[6:7]
	v_fmac_f64_e32 v[20:21], v[114:115], v[4:5]
	v_accvgpr_read_b32 v4, a140
	v_accvgpr_read_b32 v6, a142
	;; [unrolled: 1-line block ×4, first 2 shown]
	s_waitcnt lgkmcnt(0)
	v_mul_f64 v[76:77], v[120:121], v[6:7]
	v_add_f64 v[0:1], v[0:1], v[20:21]
	v_fmac_f64_e32 v[76:77], v[122:123], v[4:5]
	v_add_f64 v[0:1], v[0:1], v[76:77]
	v_mul_f64 v[76:77], v[158:159], v[86:87]
	v_fma_f64 v[12:13], v[156:157], v[84:85], -v[76:77]
	scratch_load_dwordx4 v[76:79], off, off offset:848
	v_mul_f64 v[20:21], v[170:171], v[82:83]
	ds_read_b128 v[132:135], v2 offset:1632
	ds_read_b128 v[128:131], v2 offset:1648
	scratch_load_dwordx4 v[84:87], off, off offset:864
	v_fma_f64 v[20:21], v[168:169], v[80:81], -v[20:21]
	v_mul_f64 v[80:81], v[210:211], v[94:95]
	v_fma_f64 v[10:11], v[208:209], v[92:93], -v[80:81]
	scratch_load_dwordx4 v[80:83], off, off offset:880
	scratch_load_dwordx4 v[88:91], off, off offset:896
	v_accvgpr_read_b32 v4, a144
	v_accvgpr_read_b32 v6, a146
	;; [unrolled: 1-line block ×4, first 2 shown]
	s_waitcnt lgkmcnt(1)
	v_mul_f64 v[28:29], v[132:133], v[6:7]
	v_mul_f64 v[92:93], v[218:219], v[118:119]
	v_fmac_f64_e32 v[28:29], v[134:135], v[4:5]
	v_fma_f64 v[8:9], v[216:217], v[116:117], -v[92:93]
	ds_read_b128 v[92:95], v2 offset:1664
	v_accvgpr_read_b32 v4, a148
	v_accvgpr_read_b32 v6, a150
	;; [unrolled: 1-line block ×3, first 2 shown]
	v_add_f64 v[0:1], v[0:1], v[28:29]
	v_mul_f64 v[28:29], v[214:215], v[102:103]
	v_accvgpr_read_b32 v5, a149
	s_waitcnt lgkmcnt(1)
	v_mul_f64 v[32:33], v[128:129], v[6:7]
	v_fma_f64 v[28:29], v[212:213], v[100:101], -v[28:29]
	v_fmac_f64_e32 v[32:33], v[130:131], v[4:5]
	ds_read_b128 v[100:103], v2 offset:1680
	v_accvgpr_read_b32 v4, a152
	v_accvgpr_read_b32 v6, a154
	;; [unrolled: 1-line block ×3, first 2 shown]
	v_add_f64 v[0:1], v[0:1], v[32:33]
	v_accvgpr_read_b32 v5, a153
	s_waitcnt lgkmcnt(1)
	v_mul_f64 v[32:33], v[92:93], v[6:7]
	v_fmac_f64_e32 v[32:33], v[94:95], v[4:5]
	v_accvgpr_read_b32 v4, a156
	v_add_f64 v[0:1], v[0:1], v[32:33]
	v_mul_f64 v[32:33], v[222:223], v[126:127]
	v_accvgpr_read_b32 v6, a158
	v_accvgpr_read_b32 v7, a159
	v_fma_f64 v[32:33], v[220:221], v[124:125], -v[32:33]
	ds_read_b128 v[116:119], v2 offset:1696
	v_accvgpr_read_b32 v5, a157
	s_waitcnt lgkmcnt(1)
	v_mul_f64 v[124:125], v[100:101], v[6:7]
	v_fmac_f64_e32 v[124:125], v[102:103], v[4:5]
	v_add_f64 v[0:1], v[0:1], v[124:125]
	v_mul_f64 v[124:125], v[226:227], v[138:139]
	v_fma_f64 v[6:7], v[224:225], v[136:137], -v[124:125]
	v_accvgpr_read_b32 v136, a160
	v_accvgpr_read_b32 v138, a162
	;; [unrolled: 1-line block ×3, first 2 shown]
	ds_read_b128 v[124:127], v2 offset:1712
	v_accvgpr_read_b32 v137, a161
	s_waitcnt lgkmcnt(1)
	v_mul_f64 v[36:37], v[116:117], v[138:139]
	v_fmac_f64_e32 v[36:37], v[118:119], v[136:137]
	v_add_f64 v[0:1], v[0:1], v[36:37]
	ds_read_b128 v[136:139], v2 offset:1728
	v_mul_f64 v[36:37], v[230:231], v[142:143]
	v_fma_f64 v[36:37], v[228:229], v[140:141], -v[36:37]
	ds_read_b128 v[140:143], v2 offset:1744
	s_waitcnt vmcnt(11) lgkmcnt(2)
	v_mul_f64 v[148:149], v[124:125], v[74:75]
	v_fma_f64 v[4:5], v[232:233], v[144:145], -v[146:147]
	ds_read_b128 v[144:147], v2 offset:1760
	v_fmac_f64_e32 v[148:149], v[126:127], v[72:73]
	v_add_f64 v[0:1], v[0:1], v[148:149]
	s_waitcnt vmcnt(10) lgkmcnt(2)
	v_mul_f64 v[148:149], v[136:137], v[70:71]
	v_fmac_f64_e32 v[148:149], v[138:139], v[68:69]
	s_waitcnt vmcnt(9) lgkmcnt(1)
	v_mul_f64 v[42:43], v[140:141], v[62:63]
	v_add_f64 v[0:1], v[0:1], v[148:149]
	v_fmac_f64_e32 v[42:43], v[142:143], v[60:61]
	v_add_f64 v[0:1], v[0:1], v[42:43]
	ds_read_b128 v[148:151], v2 offset:1776
	s_waitcnt vmcnt(7) lgkmcnt(1)
	v_mul_f64 v[42:43], v[144:145], v[58:59]
	v_fmac_f64_e32 v[42:43], v[146:147], v[56:57]
	v_add_f64 v[0:1], v[0:1], v[42:43]
	v_mul_f64 v[42:43], v[238:239], v[154:155]
	v_fma_f64 v[42:43], v[236:237], v[152:153], -v[42:43]
	ds_read_b128 v[152:155], v2 offset:1792
	v_mul_f64 v[156:157], v[182:183], v[190:191]
	v_fma_f64 v[236:237], v[180:181], v[188:189], -v[156:157]
	ds_read_b128 v[156:159], v2 offset:1808
	s_waitcnt vmcnt(6) lgkmcnt(2)
	v_mul_f64 v[160:161], v[148:149], v[46:47]
	v_fmac_f64_e32 v[160:161], v[150:151], v[44:45]
	v_add_f64 v[0:1], v[0:1], v[160:161]
	s_waitcnt vmcnt(5) lgkmcnt(1)
	v_mul_f64 v[160:161], v[152:153], v[50:51]
	v_fmac_f64_e32 v[160:161], v[154:155], v[48:49]
	v_add_f64 v[0:1], v[0:1], v[160:161]
	s_waitcnt vmcnt(4) lgkmcnt(0)
	v_mul_f64 v[164:165], v[156:157], v[54:55]
	ds_read_b128 v[160:163], v2 offset:1824
	v_fmac_f64_e32 v[164:165], v[158:159], v[52:53]
	v_add_f64 v[0:1], v[0:1], v[164:165]
	v_mul_f64 v[164:165], v[244:245], v[194:195]
	v_fma_f64 v[238:239], v[242:243], v[192:193], -v[164:165]
	ds_read_b128 v[164:167], v2 offset:1840
	s_waitcnt lgkmcnt(1)
	v_mul_f64 v[168:169], v[160:161], v[66:67]
	v_fmac_f64_e32 v[168:169], v[162:163], v[64:65]
	v_add_f64 v[176:177], v[0:1], v[168:169]
	ds_read_b128 v[168:171], v2 offset:1856
	ds_read_b128 v[242:245], v2 offset:1872
	s_waitcnt vmcnt(3) lgkmcnt(2)
	v_mul_f64 v[178:179], v[164:165], v[78:79]
	v_fmac_f64_e32 v[178:179], v[166:167], v[76:77]
	v_add_f64 v[180:181], v[176:177], v[178:179]
	v_mul_f64 v[176:177], v[250:251], v[206:207]
	v_fma_f64 v[248:249], v[248:249], v[204:205], -v[176:177]
	ds_read_b128 v[176:179], v2 offset:1888
	s_waitcnt vmcnt(2) lgkmcnt(2)
	v_mul_f64 v[182:183], v[168:169], v[86:87]
	v_fmac_f64_e32 v[182:183], v[170:171], v[84:85]
	v_add_f64 v[180:181], v[180:181], v[182:183]
	s_waitcnt vmcnt(1) lgkmcnt(1)
	v_mul_f64 v[182:183], v[242:243], v[82:83]
	v_mul_f64 v[0:1], v[186:187], v[202:203]
	v_fmac_f64_e32 v[182:183], v[244:245], v[80:81]
	v_fma_f64 v[0:1], v[184:185], v[200:201], -v[0:1]
	v_add_f64 v[180:181], v[180:181], v[182:183]
	ds_read_b128 v[184:187], v2 offset:1904
	scratch_load_dwordx4 v[232:235], off, off offset:1008
	s_waitcnt vmcnt(1) lgkmcnt(1)
	v_mul_f64 v[182:183], v[176:177], v[90:91]
	v_fmac_f64_e32 v[182:183], v[178:179], v[88:89]
	v_add_f64 v[188:189], v[180:181], v[182:183]
	scratch_load_dwordx4 v[180:183], off, off offset:912
	ds_read_b128 v[192:195], v2 offset:1920
	ds_read_b128 v[200:203], v2 offset:1936
	;; [unrolled: 1-line block ×4, first 2 shown]
	v_add_f64 v[240:241], v[240:241], 0
	v_add_f64 v[240:241], v[240:241], v[252:253]
	;; [unrolled: 1-line block ×12, first 2 shown]
	ds_read_b128 v[224:227], v2 offset:1984
	v_add_f64 v[16:17], v[16:17], v[18:19]
	v_add_f64 v[14:15], v[16:17], v[14:15]
	;; [unrolled: 1-line block ×14, first 2 shown]
	v_accvgpr_read_b32 v6, a128
	v_accvgpr_read_b32 v8, a130
	;; [unrolled: 1-line block ×4, first 2 shown]
	s_waitcnt vmcnt(0) lgkmcnt(5)
	v_mul_f64 v[190:191], v[184:185], v[182:183]
	v_fmac_f64_e32 v[190:191], v[186:187], v[180:181]
	v_add_f64 v[196:197], v[188:189], v[190:191]
	scratch_load_dwordx4 v[188:191], off, off offset:928
	s_waitcnt vmcnt(0) lgkmcnt(4)
	v_mul_f64 v[198:199], v[192:193], v[190:191]
	v_fmac_f64_e32 v[198:199], v[194:195], v[188:189]
	v_add_f64 v[204:205], v[196:197], v[198:199]
	scratch_load_dwordx4 v[196:199], off, off offset:944
	;; [unrolled: 5-line block ×5, first 2 shown]
	s_waitcnt vmcnt(0) lgkmcnt(0)
	v_mul_f64 v[230:231], v[224:225], v[222:223]
	v_fmac_f64_e32 v[230:231], v[226:227], v[220:221]
	v_add_f64 v[250:251], v[228:229], v[230:231]
	ds_read_b128 v[228:231], v2 offset:2000
	s_waitcnt lgkmcnt(0)
	v_mul_f64 v[2:3], v[228:229], v[234:235]
	v_fmac_f64_e32 v[2:3], v[230:231], v[232:233]
	v_add_f64 v[2:3], v[250:251], v[2:3]
	v_add_f64 v[250:251], v[4:5], v[238:239]
	scratch_load_dwordx4 v[236:239], off, off offset:80
	v_mul_f64 v[4:5], v[98:99], v[8:9]
	v_add_f64 v[0:1], v[250:251], v[0:1]
	v_fma_f64 v[4:5], v[96:97], v[6:7], -v[4:5]
	v_accvgpr_read_b32 v6, a164
	v_add_f64 v[0:1], v[0:1], v[248:249]
	v_accvgpr_read_b32 v8, a166
	v_accvgpr_read_b32 v9, a167
	v_add_f64 v[0:1], v[0:1], v[4:5]
	v_accvgpr_read_b32 v7, a165
	v_mul_f64 v[4:5], v[106:107], v[8:9]
	v_fma_f64 v[4:5], v[104:105], v[6:7], -v[4:5]
	v_accvgpr_read_b32 v6, a132
	v_accvgpr_read_b32 v8, a134
	v_accvgpr_read_b32 v9, a135
	v_add_f64 v[0:1], v[0:1], v[4:5]
	v_accvgpr_read_b32 v7, a133
	v_mul_f64 v[4:5], v[110:111], v[8:9]
	v_fma_f64 v[4:5], v[108:109], v[6:7], -v[4:5]
	v_accvgpr_read_b32 v6, a136
	;; [unrolled: 7-line block ×8, first 2 shown]
	v_accvgpr_read_b32 v8, a162
	v_accvgpr_read_b32 v9, a163
	v_add_f64 v[0:1], v[0:1], v[4:5]
	v_accvgpr_read_b32 v7, a161
	v_mul_f64 v[4:5], v[118:119], v[8:9]
	v_fma_f64 v[4:5], v[116:117], v[6:7], -v[4:5]
	v_add_f64 v[0:1], v[0:1], v[4:5]
	v_mul_f64 v[4:5], v[126:127], v[74:75]
	v_fma_f64 v[4:5], v[124:125], v[72:73], -v[4:5]
	v_add_f64 v[0:1], v[0:1], v[4:5]
	;; [unrolled: 3-line block ×20, first 2 shown]
	s_waitcnt vmcnt(0)
	v_add_f64 v[4:5], v[236:237], -v[0:1]
	v_add_f64 v[6:7], v[238:239], -v[2:3]
	scratch_store_dwordx4 off, v[4:7], off offset:80
	s_and_saveexec_b64 s[0:1], vcc
	s_cbranch_execz .LBB126_397
; %bb.396:
	scratch_load_dwordx4 v[2:5], off, s86
	v_mov_b32_e32 v6, 0
	v_mov_b32_e32 v7, v6
	;; [unrolled: 1-line block ×4, first 2 shown]
	v_accvgpr_read_b32 v0, a1
	scratch_store_dwordx4 off, v[6:9], off offset:64
	s_waitcnt vmcnt(1)
	ds_write_b128 v0, v[2:5]
.LBB126_397:
	s_or_b64 exec, exec, s[0:1]
	s_waitcnt lgkmcnt(0)
	; wave barrier
	scratch_load_dwordx4 v[16:19], off, off offset:80
	scratch_load_dwordx4 v[20:23], off, off offset:96
	;; [unrolled: 1-line block ×30, first 2 shown]
	v_mov_b32_e32 v2, 0
	ds_read_b128 v[88:91], v2 offset:1072
	ds_read_b128 v[96:99], v2 offset:1088
	;; [unrolled: 1-line block ×17, first 2 shown]
	scratch_load_dwordx4 a[128:131], off, off offset:592
	scratch_load_dwordx4 a[132:135], off, off offset:608
	;; [unrolled: 1-line block ×6, first 2 shown]
	ds_read_b128 v[224:227], v2 offset:1408
	ds_read_b128 v[228:231], v2 offset:1424
	;; [unrolled: 1-line block ×7, first 2 shown]
	scratch_load_dwordx4 a[152:155], off, off offset:688
	scratch_load_dwordx4 a[156:159], off, off offset:704
	v_cmp_lt_u32_e32 vcc, 2, v254
	s_waitcnt vmcnt(37) lgkmcnt(14)
	v_mul_f64 v[0:1], v[88:89], v[18:19]
	s_waitcnt vmcnt(36)
	v_mul_f64 v[4:5], v[96:97], v[22:23]
	v_fmac_f64_e32 v[0:1], v[90:91], v[16:17]
	s_waitcnt vmcnt(35)
	v_mul_f64 v[6:7], v[100:101], v[26:27]
	v_fmac_f64_e32 v[4:5], v[98:99], v[20:21]
	v_add_f64 v[0:1], v[0:1], 0
	s_waitcnt vmcnt(34)
	v_mul_f64 v[8:9], v[104:105], v[30:31]
	v_fmac_f64_e32 v[6:7], v[102:103], v[24:25]
	v_add_f64 v[0:1], v[0:1], v[4:5]
	;; [unrolled: 4-line block ×8, first 2 shown]
	s_waitcnt vmcnt(27) lgkmcnt(13)
	v_mul_f64 v[210:211], v[176:177], v[58:59]
	v_fmac_f64_e32 v[208:209], v[174:175], v[52:53]
	v_add_f64 v[0:1], v[0:1], v[206:207]
	s_waitcnt vmcnt(26) lgkmcnt(12)
	v_mul_f64 v[212:213], v[180:181], v[62:63]
	v_fmac_f64_e32 v[210:211], v[178:179], v[56:57]
	v_add_f64 v[0:1], v[0:1], v[208:209]
	;; [unrolled: 4-line block ×5, first 2 shown]
	v_fmac_f64_e32 v[218:219], v[194:195], v[72:73]
	v_add_f64 v[0:1], v[0:1], v[216:217]
	v_add_f64 v[0:1], v[0:1], v[218:219]
	scratch_load_dwordx4 v[216:219], off, off offset:560
	scratch_load_dwordx4 v[12:15], off, off offset:576
	ds_read_b128 v[204:207], v2 offset:1344
	ds_read_b128 v[208:211], v2 offset:1360
	s_waitcnt vmcnt(24) lgkmcnt(10)
	v_mul_f64 v[220:221], v[196:197], v[78:79]
	v_fmac_f64_e32 v[220:221], v[198:199], v[76:77]
	s_waitcnt vmcnt(23) lgkmcnt(9)
	v_mul_f64 v[4:5], v[200:201], v[82:83]
	v_add_f64 v[0:1], v[0:1], v[220:221]
	v_fmac_f64_e32 v[4:5], v[202:203], v[80:81]
	ds_read_b128 v[212:215], v2 offset:1376
	ds_read_b128 v[220:223], v2 offset:1392
	v_add_f64 v[0:1], v[0:1], v[4:5]
	s_waitcnt vmcnt(22) lgkmcnt(3)
	v_mul_f64 v[4:5], v[204:205], v[86:87]
	v_fmac_f64_e32 v[4:5], v[206:207], v[84:85]
	v_add_f64 v[0:1], v[0:1], v[4:5]
	s_waitcnt vmcnt(21) lgkmcnt(2)
	v_mul_f64 v[4:5], v[208:209], v[94:95]
	v_fmac_f64_e32 v[4:5], v[210:211], v[92:93]
	;; [unrolled: 4-line block ×4, first 2 shown]
	v_add_f64 v[0:1], v[0:1], v[4:5]
	s_waitcnt vmcnt(18)
	v_mul_f64 v[4:5], v[224:225], v[126:127]
	v_fmac_f64_e32 v[4:5], v[226:227], v[124:125]
	v_add_f64 v[0:1], v[0:1], v[4:5]
	s_waitcnt vmcnt(17)
	v_mul_f64 v[4:5], v[228:229], v[130:131]
	v_fmac_f64_e32 v[4:5], v[230:231], v[128:129]
	v_add_f64 v[0:1], v[0:1], v[4:5]
	v_mul_f64 v[4:5], v[90:91], v[18:19]
	v_fma_f64 v[240:241], v[88:89], v[16:17], -v[4:5]
	s_waitcnt vmcnt(16)
	v_mul_f64 v[4:5], v[232:233], v[134:135]
	v_fmac_f64_e32 v[4:5], v[234:235], v[132:133]
	v_add_f64 v[0:1], v[0:1], v[4:5]
	s_waitcnt vmcnt(15)
	v_mul_f64 v[4:5], v[236:237], v[138:139]
	v_fmac_f64_e32 v[4:5], v[238:239], v[136:137]
	v_add_f64 v[0:1], v[0:1], v[4:5]
	;; [unrolled: 4-line block ×3, first 2 shown]
	s_waitcnt vmcnt(13)
	v_mul_f64 v[4:5], v[246:247], v[150:151]
	v_mul_f64 v[6:7], v[98:99], v[22:23]
	v_fmac_f64_e32 v[4:5], v[248:249], v[148:149]
	v_mul_f64 v[8:9], v[114:115], v[38:39]
	v_fma_f64 v[96:97], v[96:97], v[20:21], -v[6:7]
	v_add_f64 v[0:1], v[0:1], v[4:5]
	v_fma_f64 v[20:21], v[112:113], v[36:37], -v[8:9]
	ds_read_b128 v[8:11], v2 offset:1536
	s_waitcnt vmcnt(12)
	v_mul_f64 v[4:5], v[250:251], v[154:155]
	v_mul_f64 v[6:7], v[102:103], v[26:27]
	v_fmac_f64_e32 v[4:5], v[252:253], v[152:153]
	v_fma_f64 v[88:89], v[100:101], v[24:25], -v[6:7]
	v_mul_f64 v[6:7], v[106:107], v[30:31]
	v_add_f64 v[0:1], v[0:1], v[4:5]
	v_mul_f64 v[4:5], v[110:111], v[34:35]
	v_fma_f64 v[26:27], v[104:105], v[28:29], -v[6:7]
	v_fma_f64 v[24:25], v[108:109], v[32:33], -v[4:5]
	ds_read_b128 v[4:7], v2 offset:1520
	v_mul_f64 v[22:23], v[146:147], v[42:43]
	v_fma_f64 v[22:23], v[144:145], v[40:41], -v[22:23]
	ds_read_b128 v[144:147], v2 offset:1552
	s_waitcnt vmcnt(10) lgkmcnt(2)
	v_mul_f64 v[40:41], v[8:9], v[166:167]
	s_waitcnt lgkmcnt(1)
	v_mul_f64 v[36:37], v[4:5], v[162:163]
	v_fmac_f64_e32 v[36:37], v[6:7], v[160:161]
	v_add_f64 v[0:1], v[0:1], v[36:37]
	v_mul_f64 v[36:37], v[158:159], v[46:47]
	v_fmac_f64_e32 v[40:41], v[10:11], v[164:165]
	v_fma_f64 v[156:157], v[156:157], v[44:45], -v[36:37]
	ds_read_b128 v[36:39], v2 offset:1568
	ds_read_b128 v[32:35], v2 offset:1584
	v_add_f64 v[0:1], v[0:1], v[40:41]
	v_mul_f64 v[40:41], v[170:171], v[50:51]
	v_fma_f64 v[158:159], v[168:169], v[48:49], -v[40:41]
	scratch_load_dwordx4 v[40:43], off, off offset:720
	v_mul_f64 v[44:45], v[174:175], v[54:55]
	v_fma_f64 v[168:169], v[172:173], v[52:53], -v[44:45]
	scratch_load_dwordx4 v[44:47], off, off offset:736
	ds_read_b128 v[100:103], v2 offset:1600
	v_mul_f64 v[28:29], v[222:223], v[122:123]
	s_waitcnt vmcnt(3) lgkmcnt(3)
	v_mul_f64 v[48:49], v[144:145], v[218:219]
	v_fmac_f64_e32 v[48:49], v[146:147], v[216:217]
	v_add_f64 v[0:1], v[0:1], v[48:49]
	v_mul_f64 v[48:49], v[178:179], v[58:59]
	s_waitcnt vmcnt(2) lgkmcnt(2)
	v_mul_f64 v[52:53], v[36:37], v[14:15]
	v_fma_f64 v[170:171], v[176:177], v[56:57], -v[48:49]
	scratch_load_dwordx4 v[48:51], off, off offset:752
	v_fmac_f64_e32 v[52:53], v[38:39], v[12:13]
	v_accvgpr_write_b32 a163, v15
	v_accvgpr_write_b32 a162, v14
	;; [unrolled: 1-line block ×4, first 2 shown]
	v_add_f64 v[0:1], v[0:1], v[52:53]
	v_mul_f64 v[52:53], v[182:183], v[62:63]
	v_accvgpr_read_b32 v12, a128
	v_fma_f64 v[172:173], v[180:181], v[60:61], -v[52:53]
	scratch_load_dwordx4 v[52:55], off, off offset:768
	v_mul_f64 v[56:57], v[186:187], v[66:67]
	v_accvgpr_read_b32 v14, a130
	v_accvgpr_read_b32 v15, a131
	v_fma_f64 v[174:175], v[184:185], v[64:65], -v[56:57]
	v_accvgpr_read_b32 v13, a129
	s_waitcnt lgkmcnt(1)
	v_mul_f64 v[64:65], v[32:33], v[14:15]
	scratch_load_dwordx4 v[56:59], off, off offset:784
	v_fmac_f64_e32 v[64:65], v[34:35], v[12:13]
	v_accvgpr_read_b32 v12, a132
	v_mul_f64 v[60:61], v[190:191], v[70:71]
	v_accvgpr_read_b32 v14, a134
	v_accvgpr_read_b32 v15, a135
	v_fma_f64 v[176:177], v[188:189], v[68:69], -v[60:61]
	scratch_load_dwordx4 v[60:63], off, off offset:800
	v_accvgpr_read_b32 v13, a133
	s_waitcnt lgkmcnt(0)
	v_mul_f64 v[68:69], v[100:101], v[14:15]
	v_add_f64 v[0:1], v[0:1], v[64:65]
	v_mul_f64 v[64:65], v[194:195], v[74:75]
	v_fmac_f64_e32 v[68:69], v[102:103], v[12:13]
	v_fma_f64 v[178:179], v[192:193], v[72:73], -v[64:65]
	scratch_load_dwordx4 v[64:67], off, off offset:816
	v_add_f64 v[0:1], v[0:1], v[68:69]
	v_mul_f64 v[68:69], v[198:199], v[78:79]
	v_fma_f64 v[18:19], v[196:197], v[76:77], -v[68:69]
	scratch_load_dwordx4 v[68:71], off, off offset:832
	ds_read_b128 v[108:111], v2 offset:1616
	ds_read_b128 v[104:107], v2 offset:1632
	scratch_load_dwordx4 v[76:79], off, off offset:848
	v_accvgpr_read_b32 v12, a136
	v_mul_f64 v[72:73], v[202:203], v[82:83]
	v_accvgpr_read_b32 v14, a138
	v_accvgpr_read_b32 v15, a139
	v_fma_f64 v[90:91], v[200:201], v[80:81], -v[72:73]
	v_mul_f64 v[72:73], v[206:207], v[86:87]
	v_accvgpr_read_b32 v13, a137
	s_waitcnt lgkmcnt(1)
	v_mul_f64 v[30:31], v[108:109], v[14:15]
	v_fma_f64 v[16:17], v[204:205], v[84:85], -v[72:73]
	scratch_load_dwordx4 v[72:75], off, off offset:864
	v_fmac_f64_e32 v[30:31], v[110:111], v[12:13]
	v_accvgpr_read_b32 v12, a140
	ds_read_b128 v[112:115], v2 offset:1648
	v_accvgpr_read_b32 v14, a142
	v_accvgpr_read_b32 v15, a143
	v_mul_f64 v[80:81], v[214:215], v[118:119]
	v_add_f64 v[0:1], v[0:1], v[30:31]
	v_accvgpr_read_b32 v13, a141
	s_waitcnt lgkmcnt(1)
	v_mul_f64 v[30:31], v[104:105], v[14:15]
	v_fma_f64 v[14:15], v[212:213], v[116:117], -v[80:81]
	scratch_load_dwordx4 v[80:83], off, off offset:880
	scratch_load_dwordx4 v[84:87], off, off offset:896
	v_fmac_f64_e32 v[30:31], v[106:107], v[12:13]
	v_fma_f64 v[28:29], v[220:221], v[120:121], -v[28:29]
	v_accvgpr_read_b32 v120, a144
	v_add_f64 v[0:1], v[0:1], v[30:31]
	v_mul_f64 v[30:31], v[210:211], v[94:95]
	v_accvgpr_read_b32 v122, a146
	v_accvgpr_read_b32 v123, a147
	v_fma_f64 v[30:31], v[208:209], v[92:93], -v[30:31]
	ds_read_b128 v[116:119], v2 offset:1664
	v_accvgpr_read_b32 v121, a145
	s_waitcnt lgkmcnt(1)
	v_mul_f64 v[92:93], v[112:113], v[122:123]
	v_fmac_f64_e32 v[92:93], v[114:115], v[120:121]
	v_add_f64 v[0:1], v[0:1], v[92:93]
	v_mul_f64 v[92:93], v[226:227], v[126:127]
	v_fma_f64 v[12:13], v[224:225], v[124:125], -v[92:93]
	v_accvgpr_read_b32 v92, a148
	v_accvgpr_read_b32 v94, a150
	;; [unrolled: 1-line block ×4, first 2 shown]
	s_waitcnt lgkmcnt(0)
	v_mul_f64 v[98:99], v[116:117], v[94:95]
	v_fmac_f64_e32 v[98:99], v[118:119], v[92:93]
	scratch_load_dwordx4 v[92:95], off, off offset:912
	ds_read_b128 v[120:123], v2 offset:1680
	ds_read_b128 v[124:127], v2 offset:1696
	v_accvgpr_read_b32 v183, a155
	v_add_f64 v[0:1], v[0:1], v[98:99]
	v_mul_f64 v[98:99], v[230:231], v[130:131]
	v_accvgpr_read_b32 v182, a154
	v_fma_f64 v[98:99], v[228:229], v[128:129], -v[98:99]
	v_accvgpr_read_b32 v181, a153
	v_accvgpr_read_b32 v180, a152
	s_waitcnt lgkmcnt(1)
	v_mul_f64 v[128:129], v[120:121], v[182:183]
	v_fmac_f64_e32 v[128:129], v[122:123], v[180:181]
	v_add_f64 v[0:1], v[0:1], v[128:129]
	v_mul_f64 v[128:129], v[234:235], v[134:135]
	v_fma_f64 v[228:229], v[232:233], v[132:133], -v[128:129]
	v_accvgpr_read_b32 v132, a156
	ds_read_b128 v[128:131], v2 offset:1712
	v_accvgpr_read_b32 v134, a158
	v_accvgpr_read_b32 v135, a159
	;; [unrolled: 1-line block ×3, first 2 shown]
	s_waitcnt lgkmcnt(1)
	v_mul_f64 v[180:181], v[124:125], v[134:135]
	v_fmac_f64_e32 v[180:181], v[126:127], v[132:133]
	ds_read_b128 v[132:135], v2 offset:1728
	v_mul_f64 v[138:139], v[238:239], v[138:139]
	v_fma_f64 v[230:231], v[236:237], v[136:137], -v[138:139]
	ds_read_b128 v[136:139], v2 offset:1744
	v_add_f64 v[0:1], v[0:1], v[180:181]
	s_waitcnt vmcnt(12) lgkmcnt(2)
	v_mul_f64 v[180:181], v[128:129], v[42:43]
	v_mul_f64 v[142:143], v[244:245], v[142:143]
	v_fmac_f64_e32 v[180:181], v[130:131], v[40:41]
	v_fma_f64 v[232:233], v[242:243], v[140:141], -v[142:143]
	ds_read_b128 v[140:143], v2 offset:1760
	v_add_f64 v[0:1], v[0:1], v[180:181]
	s_waitcnt vmcnt(11) lgkmcnt(2)
	v_mul_f64 v[180:181], v[132:133], v[46:47]
	v_fmac_f64_e32 v[180:181], v[134:135], v[44:45]
	ds_read_b128 v[242:245], v2 offset:1776
	v_add_f64 v[0:1], v[0:1], v[180:181]
	s_waitcnt vmcnt(10) lgkmcnt(2)
	v_mul_f64 v[180:181], v[136:137], v[50:51]
	v_mul_f64 v[150:151], v[248:249], v[150:151]
	;; [unrolled: 1-line block ×3, first 2 shown]
	v_fmac_f64_e32 v[180:181], v[138:139], v[48:49]
	v_fma_f64 v[248:249], v[246:247], v[148:149], -v[150:151]
	ds_read_b128 v[148:151], v2 offset:1792
	v_fma_f64 v[152:153], v[250:251], v[152:153], -v[154:155]
	v_add_f64 v[0:1], v[0:1], v[180:181]
	s_waitcnt vmcnt(9) lgkmcnt(2)
	v_mul_f64 v[180:181], v[140:141], v[54:55]
	v_accvgpr_write_b32 a165, v153
	v_fmac_f64_e32 v[180:181], v[142:143], v[52:53]
	v_accvgpr_write_b32 a164, v152
	ds_read_b128 v[152:155], v2 offset:1808
	ds_read_b128 v[250:253], v2 offset:1824
	v_add_f64 v[0:1], v[0:1], v[180:181]
	s_waitcnt vmcnt(8) lgkmcnt(3)
	v_mul_f64 v[180:181], v[242:243], v[58:59]
	v_fmac_f64_e32 v[180:181], v[244:245], v[56:57]
	v_mul_f64 v[6:7], v[6:7], v[162:163]
	v_add_f64 v[0:1], v[0:1], v[180:181]
	s_waitcnt vmcnt(7) lgkmcnt(2)
	v_mul_f64 v[180:181], v[148:149], v[62:63]
	v_fma_f64 v[236:237], v[4:5], v[160:161], -v[6:7]
	ds_read_b128 v[160:163], v2 offset:1840
	v_fmac_f64_e32 v[180:181], v[150:151], v[60:61]
	v_add_f64 v[0:1], v[0:1], v[180:181]
	s_waitcnt vmcnt(6) lgkmcnt(2)
	v_mul_f64 v[180:181], v[152:153], v[66:67]
	v_fmac_f64_e32 v[180:181], v[154:155], v[64:65]
	s_waitcnt vmcnt(5) lgkmcnt(1)
	v_mul_f64 v[4:5], v[250:251], v[70:71]
	v_add_f64 v[0:1], v[0:1], v[180:181]
	v_fmac_f64_e32 v[4:5], v[252:253], v[68:69]
	v_mul_f64 v[6:7], v[10:11], v[166:167]
	v_fma_f64 v[238:239], v[8:9], v[164:165], -v[6:7]
	ds_read_b128 v[164:167], v2 offset:1856
	v_add_f64 v[0:1], v[0:1], v[4:5]
	s_waitcnt vmcnt(4) lgkmcnt(1)
	v_mul_f64 v[4:5], v[160:161], v[78:79]
	v_fmac_f64_e32 v[4:5], v[162:163], v[76:77]
	v_add_f64 v[0:1], v[0:1], v[4:5]
	ds_read_b128 v[4:7], v2 offset:1872
	v_mul_f64 v[8:9], v[146:147], v[218:219]
	v_fma_f64 v[246:247], v[144:145], v[216:217], -v[8:9]
	ds_read_b128 v[8:11], v2 offset:1888
	s_waitcnt vmcnt(3) lgkmcnt(2)
	v_mul_f64 v[144:145], v[164:165], v[74:75]
	v_fmac_f64_e32 v[144:145], v[166:167], v[72:73]
	v_add_f64 v[0:1], v[0:1], v[144:145]
	s_waitcnt vmcnt(2) lgkmcnt(1)
	v_mul_f64 v[144:145], v[4:5], v[82:83]
	v_fmac_f64_e32 v[144:145], v[6:7], v[80:81]
	v_add_f64 v[0:1], v[0:1], v[144:145]
	;; [unrolled: 4-line block ×3, first 2 shown]
	ds_read_b128 v[144:147], v2 offset:1904
	ds_read_b128 v[184:187], v2 offset:1920
	;; [unrolled: 1-line block ×6, first 2 shown]
	s_waitcnt vmcnt(0) lgkmcnt(5)
	v_mul_f64 v[180:181], v[144:145], v[94:95]
	v_fmac_f64_e32 v[180:181], v[146:147], v[92:93]
	v_add_f64 v[0:1], v[0:1], v[180:181]
	scratch_load_dwordx4 v[180:183], off, off offset:928
	ds_read_b128 v[224:227], v2 offset:2000
	v_mul_f64 v[6:7], v[6:7], v[82:83]
	v_fma_f64 v[4:5], v[4:5], v[80:81], -v[6:7]
	v_mul_f64 v[6:7], v[10:11], v[86:87]
	v_fma_f64 v[6:7], v[8:9], v[84:85], -v[6:7]
	s_waitcnt vmcnt(0) lgkmcnt(5)
	v_mul_f64 v[188:189], v[184:185], v[182:183]
	v_fmac_f64_e32 v[188:189], v[186:187], v[180:181]
	v_add_f64 v[0:1], v[0:1], v[188:189]
	scratch_load_dwordx4 v[188:191], off, off offset:944
	s_waitcnt vmcnt(0) lgkmcnt(4)
	v_mul_f64 v[196:197], v[192:193], v[190:191]
	v_fmac_f64_e32 v[196:197], v[194:195], v[188:189]
	v_add_f64 v[0:1], v[0:1], v[196:197]
	scratch_load_dwordx4 v[196:199], off, off offset:960
	;; [unrolled: 5-line block ×5, first 2 shown]
	s_waitcnt vmcnt(0) lgkmcnt(0)
	v_mul_f64 v[234:235], v[224:225], v[222:223]
	v_fmac_f64_e32 v[234:235], v[226:227], v[220:221]
	v_add_f64 v[0:1], v[0:1], v[234:235]
	v_add_f64 v[234:235], v[240:241], 0
	;; [unrolled: 1-line block ×26, first 2 shown]
	scratch_load_dwordx4 v[228:231], off, off offset:64
	v_add_f64 v[12:13], v[12:13], v[232:233]
	v_add_f64 v[248:249], v[12:13], v[248:249]
	v_accvgpr_read_b32 v12, a164
	v_accvgpr_read_b32 v13, a165
	;; [unrolled: 1-line block ×3, first 2 shown]
	v_add_f64 v[12:13], v[248:249], v[12:13]
	v_accvgpr_read_b32 v18, a162
	v_accvgpr_read_b32 v19, a163
	v_add_f64 v[12:13], v[12:13], v[236:237]
	v_accvgpr_read_b32 v17, a161
	v_mul_f64 v[14:15], v[38:39], v[18:19]
	v_add_f64 v[12:13], v[12:13], v[238:239]
	v_fma_f64 v[14:15], v[36:37], v[16:17], -v[14:15]
	v_accvgpr_read_b32 v16, a128
	v_add_f64 v[12:13], v[12:13], v[246:247]
	v_accvgpr_read_b32 v18, a130
	v_accvgpr_read_b32 v19, a131
	v_add_f64 v[12:13], v[12:13], v[14:15]
	v_accvgpr_read_b32 v17, a129
	v_mul_f64 v[14:15], v[34:35], v[18:19]
	v_fma_f64 v[14:15], v[32:33], v[16:17], -v[14:15]
	v_accvgpr_read_b32 v16, a132
	v_accvgpr_read_b32 v18, a134
	v_accvgpr_read_b32 v19, a135
	v_add_f64 v[12:13], v[12:13], v[14:15]
	v_accvgpr_read_b32 v17, a133
	v_mul_f64 v[14:15], v[102:103], v[18:19]
	v_fma_f64 v[14:15], v[100:101], v[16:17], -v[14:15]
	v_accvgpr_read_b32 v16, a136
	;; [unrolled: 7-line block ×7, first 2 shown]
	v_accvgpr_read_b32 v18, a158
	v_accvgpr_read_b32 v19, a159
	v_add_f64 v[12:13], v[12:13], v[14:15]
	v_accvgpr_read_b32 v17, a157
	v_mul_f64 v[14:15], v[126:127], v[18:19]
	v_fma_f64 v[14:15], v[124:125], v[16:17], -v[14:15]
	v_add_f64 v[12:13], v[12:13], v[14:15]
	v_mul_f64 v[14:15], v[130:131], v[42:43]
	v_fma_f64 v[14:15], v[128:129], v[40:41], -v[14:15]
	v_add_f64 v[12:13], v[12:13], v[14:15]
	;; [unrolled: 3-line block ×11, first 2 shown]
	v_add_f64 v[4:5], v[12:13], v[4:5]
	v_add_f64 v[4:5], v[4:5], v[6:7]
	v_mul_f64 v[6:7], v[146:147], v[94:95]
	v_fma_f64 v[6:7], v[144:145], v[92:93], -v[6:7]
	v_add_f64 v[4:5], v[4:5], v[6:7]
	v_mul_f64 v[6:7], v[186:187], v[182:183]
	v_fma_f64 v[6:7], v[184:185], v[180:181], -v[6:7]
	;; [unrolled: 3-line block ×7, first 2 shown]
	v_add_f64 v[4:5], v[4:5], v[6:7]
	s_waitcnt vmcnt(0)
	v_add_f64 v[4:5], v[228:229], -v[4:5]
	v_add_f64 v[6:7], v[230:231], -v[0:1]
	scratch_store_dwordx4 off, v[4:7], off offset:64
	s_and_saveexec_b64 s[0:1], vcc
	s_cbranch_execz .LBB126_399
; %bb.398:
	scratch_load_dwordx4 v[6:9], off, s87
	v_mov_b32_e32 v3, v2
	v_mov_b32_e32 v4, v2
	;; [unrolled: 1-line block ×3, first 2 shown]
	v_accvgpr_read_b32 v0, a1
	scratch_store_dwordx4 off, v[2:5], off offset:48
	s_waitcnt vmcnt(1)
	ds_write_b128 v0, v[6:9]
.LBB126_399:
	s_or_b64 exec, exec, s[0:1]
	s_waitcnt lgkmcnt(0)
	; wave barrier
	scratch_load_dwordx4 v[4:7], off, off offset:64
	scratch_load_dwordx4 v[40:43], off, off offset:80
	;; [unrolled: 1-line block ×17, first 2 shown]
	ds_read_b128 v[172:175], v2 offset:1056
	ds_read_b128 v[108:111], v2 offset:1072
	scratch_load_dwordx4 v[84:87], off, off offset:336
	ds_read_b128 v[176:179], v2 offset:1088
	ds_read_b128 v[164:167], v2 offset:1104
	;; [unrolled: 1-line block ×5, first 2 shown]
	scratch_load_dwordx4 v[92:95], off, off offset:352
	ds_read_b128 v[148:151], v2 offset:1168
	ds_read_b128 v[112:115], v2 offset:1184
	scratch_load_dwordx4 v[116:119], off, off offset:368
	ds_read_b128 v[180:183], v2 offset:1200
	ds_read_b128 v[168:171], v2 offset:1216
	;; [unrolled: 1-line block ×5, first 2 shown]
	scratch_load_dwordx4 v[120:123], off, off offset:384
	ds_read_b128 v[156:159], v2 offset:1280
	ds_read_b128 v[140:143], v2 offset:1296
	;; [unrolled: 1-line block ×3, first 2 shown]
	scratch_load_dwordx4 v[124:127], off, off offset:400
	scratch_load_dwordx4 v[128:131], off, off offset:416
	;; [unrolled: 1-line block ×9, first 2 shown]
	ds_read_b128 v[204:207], v2 offset:1328
	ds_read_b128 v[232:235], v2 offset:1424
	;; [unrolled: 1-line block ×3, first 2 shown]
	scratch_load_dwordx4 a[136:139], off, off offset:608
	scratch_load_dwordx4 a[144:147], off, off offset:624
	;; [unrolled: 1-line block ×6, first 2 shown]
	v_cmp_lt_u32_e32 vcc, 1, v254
	scratch_load_dwordx4 a[128:131], off, off offset:560
	ds_read_b128 v[228:231], v2 offset:1408
	scratch_load_dwordx4 a[132:135], off, off offset:592
	s_waitcnt vmcnt(37) lgkmcnt(14)
	v_mul_f64 v[0:1], v[172:173], v[6:7]
	s_waitcnt vmcnt(36)
	v_mul_f64 v[24:25], v[108:109], v[42:43]
	v_fmac_f64_e32 v[0:1], v[174:175], v[4:5]
	s_waitcnt vmcnt(35)
	v_mul_f64 v[26:27], v[176:177], v[38:39]
	v_fmac_f64_e32 v[24:25], v[110:111], v[40:41]
	v_add_f64 v[0:1], v[0:1], 0
	s_waitcnt vmcnt(34)
	v_mul_f64 v[28:29], v[164:165], v[10:11]
	v_fmac_f64_e32 v[26:27], v[178:179], v[36:37]
	v_add_f64 v[0:1], v[0:1], v[24:25]
	;; [unrolled: 4-line block ×5, first 2 shown]
	s_waitcnt vmcnt(30) lgkmcnt(13)
	v_mul_f64 v[208:209], v[148:149], v[252:253]
	v_fmac_f64_e32 v[34:35], v[90:91], v[44:45]
	v_add_f64 v[0:1], v[0:1], v[32:33]
	s_waitcnt vmcnt(29) lgkmcnt(12)
	v_mul_f64 v[210:211], v[112:113], v[20:21]
	v_fmac_f64_e32 v[208:209], v[150:151], v[250:251]
	v_add_f64 v[0:1], v[0:1], v[34:35]
	;; [unrolled: 4-line block ×6, first 2 shown]
	v_fmac_f64_e32 v[218:219], v[138:139], v[64:65]
	v_add_f64 v[0:1], v[0:1], v[216:217]
	v_add_f64 v[0:1], v[0:1], v[218:219]
	scratch_load_dwordx4 v[216:219], off, off offset:544
	s_waitcnt vmcnt(25) lgkmcnt(7)
	v_mul_f64 v[220:221], v[104:105], v[70:71]
	s_waitcnt vmcnt(24) lgkmcnt(6)
	v_mul_f64 v[222:223], v[156:157], v[74:75]
	v_fmac_f64_e32 v[220:221], v[106:107], v[68:69]
	s_waitcnt vmcnt(23) lgkmcnt(5)
	v_mul_f64 v[224:225], v[140:141], v[78:79]
	v_fmac_f64_e32 v[222:223], v[158:159], v[72:73]
	v_add_f64 v[0:1], v[0:1], v[220:221]
	ds_read_b128 v[208:211], v2 offset:1344
	v_fmac_f64_e32 v[224:225], v[142:143], v[76:77]
	v_add_f64 v[0:1], v[0:1], v[222:223]
	s_waitcnt vmcnt(22) lgkmcnt(5)
	v_mul_f64 v[24:25], v[132:133], v[82:83]
	ds_read_b128 v[212:215], v2 offset:1360
	ds_read_b128 v[220:223], v2 offset:1376
	v_add_f64 v[0:1], v[0:1], v[224:225]
	v_fmac_f64_e32 v[24:25], v[134:135], v[80:81]
	v_add_f64 v[0:1], v[0:1], v[24:25]
	s_waitcnt vmcnt(21) lgkmcnt(6)
	v_mul_f64 v[24:25], v[204:205], v[86:87]
	v_fmac_f64_e32 v[24:25], v[206:207], v[84:85]
	v_add_f64 v[0:1], v[0:1], v[24:25]
	s_waitcnt vmcnt(20) lgkmcnt(2)
	v_mul_f64 v[24:25], v[208:209], v[94:95]
	ds_read_b128 v[224:227], v2 offset:1392
	v_fmac_f64_e32 v[24:25], v[210:211], v[92:93]
	s_waitcnt vmcnt(19) lgkmcnt(2)
	v_mul_f64 v[28:29], v[212:213], v[118:119]
	v_add_f64 v[0:1], v[0:1], v[24:25]
	v_fmac_f64_e32 v[28:29], v[214:215], v[116:117]
	v_add_f64 v[0:1], v[0:1], v[28:29]
	s_waitcnt vmcnt(18) lgkmcnt(1)
	v_mul_f64 v[28:29], v[220:221], v[122:123]
	v_fmac_f64_e32 v[28:29], v[222:223], v[120:121]
	v_add_f64 v[0:1], v[0:1], v[28:29]
	s_waitcnt vmcnt(17) lgkmcnt(0)
	v_mul_f64 v[28:29], v[224:225], v[126:127]
	v_fmac_f64_e32 v[28:29], v[226:227], v[124:125]
	v_add_f64 v[0:1], v[0:1], v[28:29]
	scratch_load_dwordx4 v[28:31], off, off offset:576
	v_mul_f64 v[6:7], v[174:175], v[6:7]
	v_fma_f64 v[240:241], v[172:173], v[4:5], -v[6:7]
	ds_read_b128 v[172:175], v2 offset:1456
	s_waitcnt vmcnt(17)
	v_mul_f64 v[32:33], v[228:229], v[130:131]
	v_fmac_f64_e32 v[32:33], v[230:231], v[128:129]
	s_waitcnt vmcnt(16)
	v_mul_f64 v[4:5], v[232:233], v[146:147]
	v_accvgpr_write_b32 a143, v47
	v_add_f64 v[0:1], v[0:1], v[32:33]
	v_fmac_f64_e32 v[4:5], v[234:235], v[144:145]
	v_mul_f64 v[6:7], v[178:179], v[38:39]
	v_accvgpr_write_b32 a142, v46
	v_accvgpr_write_b32 a141, v45
	;; [unrolled: 1-line block ×3, first 2 shown]
	v_add_f64 v[0:1], v[0:1], v[4:5]
	s_waitcnt vmcnt(15)
	v_mul_f64 v[4:5], v[236:237], v[162:163]
	v_fma_f64 v[46:47], v[176:177], v[36:37], -v[6:7]
	ds_read_b128 v[176:179], v2 offset:1472
	v_fmac_f64_e32 v[4:5], v[238:239], v[160:161]
	s_waitcnt vmcnt(14) lgkmcnt(1)
	v_mul_f64 v[242:243], v[172:173], v[186:187]
	v_mul_f64 v[12:13], v[166:167], v[10:11]
	v_add_f64 v[0:1], v[0:1], v[4:5]
	v_fmac_f64_e32 v[242:243], v[174:175], v[184:185]
	v_mul_f64 v[4:5], v[110:111], v[42:43]
	v_fma_f64 v[42:43], v[164:165], v[8:9], -v[12:13]
	ds_read_b128 v[164:167], v2 offset:1488
	v_add_f64 v[0:1], v[0:1], v[242:243]
	ds_read_b128 v[242:245], v2 offset:1504
	v_fma_f64 v[50:51], v[108:109], v[40:41], -v[4:5]
	s_waitcnt vmcnt(13) lgkmcnt(2)
	v_mul_f64 v[10:11], v[176:177], v[190:191]
	v_accvgpr_read_b32 v4, a140
	v_fmac_f64_e32 v[10:11], v[178:179], v[188:189]
	v_accvgpr_read_b32 v5, a141
	v_accvgpr_read_b32 v6, a142
	;; [unrolled: 1-line block ×3, first 2 shown]
	scratch_load_dwordx4 a[140:143], off, off offset:672
	v_add_f64 v[0:1], v[0:1], v[10:11]
	s_waitcnt vmcnt(13) lgkmcnt(1)
	v_mul_f64 v[10:11], v[164:165], v[194:195]
	v_fmac_f64_e32 v[10:11], v[166:167], v[192:193]
	s_waitcnt vmcnt(12) lgkmcnt(0)
	v_mul_f64 v[36:37], v[242:243], v[198:199]
	v_add_f64 v[0:1], v[0:1], v[10:11]
	v_fmac_f64_e32 v[36:37], v[244:245], v[196:197]
	v_add_f64 v[0:1], v[0:1], v[36:37]
	v_mul_f64 v[36:37], v[150:151], v[252:253]
	v_fma_f64 v[22:23], v[148:149], v[250:251], -v[36:37]
	scratch_load_dwordx4 v[148:151], off, off offset:688
	v_mul_f64 v[10:11], v[102:103], v[16:17]
	v_mul_f64 v[16:17], v[98:99], v[248:249]
	v_fma_f64 v[26:27], v[96:97], v[246:247], -v[16:17]
	ds_read_b128 v[246:249], v2 offset:1520
	ds_read_b128 v[250:253], v2 offset:1536
	v_mul_f64 v[12:13], v[90:91], v[6:7]
	v_fma_f64 v[24:25], v[88:89], v[4:5], -v[12:13]
	ds_read_b128 v[88:91], v2 offset:1552
	ds_read_b128 v[96:99], v2 offset:1568
	s_waitcnt vmcnt(12) lgkmcnt(3)
	v_mul_f64 v[40:41], v[246:247], v[202:203]
	v_fmac_f64_e32 v[40:41], v[248:249], v[200:201]
	s_waitcnt vmcnt(3) lgkmcnt(2)
	v_mul_f64 v[48:49], v[250:251], v[218:219]
	v_add_f64 v[0:1], v[0:1], v[40:41]
	v_fmac_f64_e32 v[48:49], v[252:253], v[216:217]
	v_add_f64 v[0:1], v[0:1], v[48:49]
	v_mul_f64 v[48:49], v[170:171], v[58:59]
	v_mul_f64 v[44:45], v[182:183], v[54:55]
	v_fma_f64 v[182:183], v[168:169], v[56:57], -v[48:49]
	scratch_load_dwordx4 v[168:171], off, off offset:736
	v_accvgpr_read_b32 v4, a128
	v_accvgpr_read_b32 v6, a130
	;; [unrolled: 1-line block ×3, first 2 shown]
	v_fma_f64 v[180:181], v[180:181], v[52:53], -v[44:45]
	v_accvgpr_read_b32 v5, a129
	s_waitcnt lgkmcnt(1)
	v_mul_f64 v[52:53], v[88:89], v[6:7]
	v_fmac_f64_e32 v[52:53], v[90:91], v[4:5]
	v_mul_f64 v[16:17], v[114:115], v[20:21]
	v_add_f64 v[0:1], v[0:1], v[52:53]
	v_mul_f64 v[52:53], v[154:155], v[62:63]
	v_fma_f64 v[20:21], v[112:113], v[18:19], -v[16:17]
	v_fma_f64 v[18:19], v[152:153], v[60:61], -v[52:53]
	scratch_load_dwordx4 v[52:55], off, off offset:752
	scratch_load_dwordx4 v[56:59], off, off offset:768
	v_mul_f64 v[60:61], v[106:107], v[70:71]
	v_fma_f64 v[16:17], v[104:105], v[68:69], -v[60:61]
	scratch_load_dwordx4 v[60:63], off, off offset:784
	v_mul_f64 v[34:35], v[138:139], v[66:67]
	v_fma_f64 v[34:35], v[136:137], v[64:65], -v[34:35]
	scratch_load_dwordx4 v[64:67], off, off offset:800
	v_fma_f64 v[38:39], v[100:101], v[14:15], -v[10:11]
	ds_read_b128 v[100:103], v2 offset:1584
	s_waitcnt vmcnt(7)
	v_mov_b64_e32 v[4:5], v[28:29]
	v_mov_b64_e32 v[6:7], v[30:31]
	s_waitcnt lgkmcnt(1)
	v_mul_f64 v[32:33], v[96:97], v[6:7]
	v_fmac_f64_e32 v[32:33], v[98:99], v[4:5]
	v_accvgpr_read_b32 v4, a132
	v_accvgpr_read_b32 v6, a134
	;; [unrolled: 1-line block ×4, first 2 shown]
	s_waitcnt lgkmcnt(0)
	v_mul_f64 v[68:69], v[100:101], v[6:7]
	v_add_f64 v[0:1], v[0:1], v[32:33]
	v_fmac_f64_e32 v[68:69], v[102:103], v[4:5]
	v_add_f64 v[0:1], v[0:1], v[68:69]
	v_mul_f64 v[68:69], v[142:143], v[78:79]
	v_fma_f64 v[14:15], v[140:141], v[76:77], -v[68:69]
	scratch_load_dwordx4 v[68:71], off, off offset:816
	ds_read_b128 v[108:111], v2 offset:1600
	ds_read_b128 v[104:107], v2 offset:1616
	v_accvgpr_read_b32 v4, a136
	v_accvgpr_write_b32 a167, v31
	v_accvgpr_read_b32 v6, a138
	v_accvgpr_read_b32 v7, a139
	v_accvgpr_write_b32 a166, v30
	v_accvgpr_write_b32 a165, v29
	;; [unrolled: 1-line block ×3, first 2 shown]
	v_accvgpr_read_b32 v5, a137
	s_waitcnt lgkmcnt(1)
	v_mul_f64 v[28:29], v[108:109], v[6:7]
	v_fmac_f64_e32 v[28:29], v[110:111], v[4:5]
	v_accvgpr_read_b32 v4, a144
	ds_read_b128 v[112:115], v2 offset:1632
	v_mul_f64 v[30:31], v[134:135], v[82:83]
	v_accvgpr_read_b32 v6, a146
	v_accvgpr_read_b32 v7, a147
	v_fma_f64 v[30:31], v[132:133], v[80:81], -v[30:31]
	v_add_f64 v[0:1], v[0:1], v[28:29]
	v_accvgpr_read_b32 v5, a145
	s_waitcnt lgkmcnt(1)
	v_mul_f64 v[28:29], v[104:105], v[6:7]
	v_mul_f64 v[80:81], v[214:215], v[118:119]
	v_fmac_f64_e32 v[28:29], v[106:107], v[4:5]
	v_fma_f64 v[10:11], v[212:213], v[116:117], -v[80:81]
	ds_read_b128 v[116:119], v2 offset:1648
	v_accvgpr_read_b32 v4, a148
	v_add_f64 v[0:1], v[0:1], v[28:29]
	v_mul_f64 v[28:29], v[210:211], v[94:95]
	v_accvgpr_read_b32 v6, a150
	v_accvgpr_read_b32 v7, a151
	v_fma_f64 v[28:29], v[208:209], v[92:93], -v[28:29]
	v_mul_f64 v[36:37], v[222:223], v[122:123]
	v_accvgpr_read_b32 v5, a149
	s_waitcnt lgkmcnt(1)
	v_mul_f64 v[92:93], v[112:113], v[6:7]
	v_fma_f64 v[36:37], v[220:221], v[120:121], -v[36:37]
	v_fmac_f64_e32 v[92:93], v[114:115], v[4:5]
	ds_read_b128 v[120:123], v2 offset:1664
	v_accvgpr_read_b32 v4, a152
	v_accvgpr_read_b32 v6, a154
	v_accvgpr_read_b32 v7, a155
	v_accvgpr_read_b32 v5, a153
	s_waitcnt lgkmcnt(1)
	v_mul_f64 v[40:41], v[116:117], v[6:7]
	v_add_f64 v[0:1], v[0:1], v[92:93]
	v_fmac_f64_e32 v[40:41], v[118:119], v[4:5]
	s_waitcnt vmcnt(7)
	v_accvgpr_read_b32 v4, a140
	v_mul_f64 v[92:93], v[226:227], v[126:127]
	v_add_f64 v[0:1], v[0:1], v[40:41]
	v_mul_f64 v[40:41], v[230:231], v[130:131]
	v_accvgpr_read_b32 v6, a142
	v_accvgpr_read_b32 v7, a143
	v_fma_f64 v[8:9], v[224:225], v[124:125], -v[92:93]
	v_fma_f64 v[40:41], v[228:229], v[128:129], -v[40:41]
	ds_read_b128 v[124:127], v2 offset:1680
	v_accvgpr_read_b32 v5, a141
	s_waitcnt lgkmcnt(1)
	v_mul_f64 v[128:129], v[120:121], v[6:7]
	v_fmac_f64_e32 v[128:129], v[122:123], v[4:5]
	v_add_f64 v[0:1], v[0:1], v[128:129]
	v_mul_f64 v[128:129], v[234:235], v[146:147]
	v_fma_f64 v[6:7], v[232:233], v[144:145], -v[128:129]
	ds_read_b128 v[128:131], v2 offset:1696
	s_waitcnt vmcnt(6)
	v_mov_b64_e32 v[132:133], v[148:149]
	v_mov_b64_e32 v[134:135], v[150:151]
	s_waitcnt lgkmcnt(1)
	v_mul_f64 v[44:45], v[124:125], v[134:135]
	v_fmac_f64_e32 v[44:45], v[126:127], v[132:133]
	ds_read_b128 v[132:135], v2 offset:1712
	v_accvgpr_read_b32 v136, a156
	v_accvgpr_read_b32 v138, a158
	;; [unrolled: 1-line block ×3, first 2 shown]
	v_add_f64 v[0:1], v[0:1], v[44:45]
	v_accvgpr_read_b32 v137, a157
	s_waitcnt lgkmcnt(1)
	v_mul_f64 v[44:45], v[128:129], v[138:139]
	v_fmac_f64_e32 v[44:45], v[130:131], v[136:137]
	v_accvgpr_read_b32 v136, a160
	v_accvgpr_read_b32 v138, a162
	;; [unrolled: 1-line block ×4, first 2 shown]
	s_waitcnt lgkmcnt(0)
	v_mul_f64 v[140:141], v[132:133], v[138:139]
	scratch_load_dwordx4 v[76:79], off, off offset:832
	v_fmac_f64_e32 v[140:141], v[134:135], v[136:137]
	ds_read_b128 v[136:139], v2 offset:1728
	v_accvgpr_write_b32 a171, v151
	v_add_f64 v[0:1], v[0:1], v[44:45]
	v_mul_f64 v[32:33], v[158:159], v[74:75]
	v_accvgpr_write_b32 a170, v150
	v_accvgpr_write_b32 a169, v149
	;; [unrolled: 1-line block ×3, first 2 shown]
	v_mul_f64 v[44:45], v[238:239], v[162:163]
	v_add_f64 v[0:1], v[0:1], v[140:141]
	v_mul_f64 v[140:141], v[174:175], v[186:187]
	s_waitcnt vmcnt(6)
	v_mov_b64_e32 v[146:147], v[168:169]
	v_fma_f64 v[32:33], v[156:157], v[72:73], -v[32:33]
	v_mul_f64 v[72:73], v[206:207], v[86:87]
	v_fma_f64 v[44:45], v[236:237], v[160:161], -v[44:45]
	v_fma_f64 v[236:237], v[172:173], v[184:185], -v[140:141]
	ds_read_b128 v[140:143], v2 offset:1744
	v_mov_b64_e32 v[148:149], v[170:171]
	v_fma_f64 v[12:13], v[204:205], v[84:85], -v[72:73]
	scratch_load_dwordx4 v[72:75], off, off offset:848
	s_waitcnt lgkmcnt(1)
	v_mul_f64 v[144:145], v[136:137], v[148:149]
	v_fmac_f64_e32 v[144:145], v[138:139], v[146:147]
	scratch_load_dwordx4 v[80:83], off, off offset:864
	scratch_load_dwordx4 v[84:87], off, off offset:880
	v_add_f64 v[0:1], v[0:1], v[144:145]
	ds_read_b128 v[144:147], v2 offset:1760
	s_waitcnt vmcnt(8) lgkmcnt(1)
	v_mul_f64 v[148:149], v[140:141], v[54:55]
	v_fmac_f64_e32 v[148:149], v[142:143], v[52:53]
	v_add_f64 v[0:1], v[0:1], v[148:149]
	v_mul_f64 v[148:149], v[178:179], v[190:191]
	v_fma_f64 v[238:239], v[176:177], v[188:189], -v[148:149]
	ds_read_b128 v[148:151], v2 offset:1776
	s_waitcnt vmcnt(7) lgkmcnt(1)
	v_mul_f64 v[152:153], v[144:145], v[58:59]
	v_fmac_f64_e32 v[152:153], v[146:147], v[56:57]
	v_add_f64 v[0:1], v[0:1], v[152:153]
	v_mul_f64 v[152:153], v[166:167], v[194:195]
	v_fma_f64 v[4:5], v[164:165], v[192:193], -v[152:153]
	ds_read_b128 v[152:155], v2 offset:1792
	ds_read_b128 v[156:159], v2 offset:1808
	scratch_load_dwordx4 v[92:95], off, off offset:896
	s_waitcnt vmcnt(7) lgkmcnt(2)
	v_mul_f64 v[48:49], v[148:149], v[62:63]
	v_fmac_f64_e32 v[48:49], v[150:151], v[60:61]
	v_add_f64 v[0:1], v[0:1], v[48:49]
	s_waitcnt vmcnt(6) lgkmcnt(1)
	v_mul_f64 v[48:49], v[152:153], v[66:67]
	v_fmac_f64_e32 v[48:49], v[154:155], v[64:65]
	v_add_f64 v[0:1], v[0:1], v[48:49]
	v_mul_f64 v[48:49], v[244:245], v[198:199]
	v_fma_f64 v[48:49], v[242:243], v[196:197], -v[48:49]
	scratch_load_dwordx4 v[242:245], off, off offset:912
	ds_read_b128 v[160:163], v2 offset:1824
	v_accvgpr_write_b32 a175, v171
	v_accvgpr_write_b32 a174, v170
	;; [unrolled: 1-line block ×4, first 2 shown]
	s_waitcnt vmcnt(6) lgkmcnt(1)
	v_mul_f64 v[168:169], v[156:157], v[70:71]
	v_fmac_f64_e32 v[168:169], v[158:159], v[68:69]
	v_mul_f64 v[164:165], v[248:249], v[202:203]
	v_fma_f64 v[246:247], v[246:247], v[200:201], -v[164:165]
	ds_read_b128 v[164:167], v2 offset:1840
	v_add_f64 v[0:1], v[0:1], v[168:169]
	v_mul_f64 v[172:173], v[252:253], v[218:219]
	v_fma_f64 v[248:249], v[250:251], v[216:217], -v[172:173]
	ds_read_b128 v[172:175], v2 offset:1872
	ds_read_b128 v[192:195], v2 offset:1920
	;; [unrolled: 1-line block ×3, first 2 shown]
	scratch_load_dwordx4 v[232:235], off, off offset:1008
	ds_read_b128 v[208:211], v2 offset:1952
	ds_read_b128 v[216:219], v2 offset:1968
	;; [unrolled: 1-line block ×3, first 2 shown]
	s_waitcnt vmcnt(6) lgkmcnt(7)
	v_mul_f64 v[168:169], v[160:161], v[78:79]
	v_fmac_f64_e32 v[168:169], v[162:163], v[76:77]
	v_add_f64 v[0:1], v[0:1], v[168:169]
	ds_read_b128 v[168:171], v2 offset:1856
	s_waitcnt vmcnt(5) lgkmcnt(7)
	v_mul_f64 v[176:177], v[164:165], v[74:75]
	v_fmac_f64_e32 v[176:177], v[166:167], v[72:73]
	v_add_f64 v[0:1], v[0:1], v[176:177]
	s_waitcnt vmcnt(4) lgkmcnt(0)
	v_mul_f64 v[176:177], v[168:169], v[82:83]
	v_fmac_f64_e32 v[176:177], v[170:171], v[80:81]
	v_add_f64 v[0:1], v[0:1], v[176:177]
	s_waitcnt vmcnt(3)
	v_mul_f64 v[176:177], v[172:173], v[86:87]
	v_fmac_f64_e32 v[176:177], v[174:175], v[84:85]
	v_add_f64 v[0:1], v[0:1], v[176:177]
	ds_read_b128 v[176:179], v2 offset:1888
	s_waitcnt vmcnt(2) lgkmcnt(0)
	v_mul_f64 v[184:185], v[176:177], v[94:95]
	v_fmac_f64_e32 v[184:185], v[178:179], v[92:93]
	v_add_f64 v[0:1], v[0:1], v[184:185]
	ds_read_b128 v[184:187], v2 offset:1904
	s_waitcnt vmcnt(1) lgkmcnt(0)
	v_mul_f64 v[188:189], v[184:185], v[244:245]
	v_fmac_f64_e32 v[188:189], v[186:187], v[242:243]
	v_add_f64 v[0:1], v[0:1], v[188:189]
	scratch_load_dwordx4 v[188:191], off, off offset:928
	s_waitcnt vmcnt(0)
	v_mul_f64 v[196:197], v[192:193], v[190:191]
	v_fmac_f64_e32 v[196:197], v[194:195], v[188:189]
	v_add_f64 v[0:1], v[0:1], v[196:197]
	scratch_load_dwordx4 v[196:199], off, off offset:944
	s_waitcnt vmcnt(0)
	;; [unrolled: 5-line block ×5, first 2 shown]
	v_mul_f64 v[228:229], v[224:225], v[222:223]
	v_fmac_f64_e32 v[228:229], v[226:227], v[220:221]
	v_add_f64 v[0:1], v[0:1], v[228:229]
	ds_read_b128 v[228:231], v2 offset:2000
	s_waitcnt lgkmcnt(0)
	v_mul_f64 v[2:3], v[228:229], v[234:235]
	v_fmac_f64_e32 v[2:3], v[230:231], v[232:233]
	v_add_f64 v[2:3], v[0:1], v[2:3]
	v_add_f64 v[0:1], v[240:241], 0
	;; [unrolled: 1-line block ×28, first 2 shown]
	scratch_load_dwordx4 v[236:239], off, off offset:48
	v_accvgpr_read_b32 v6, a128
	v_add_f64 v[0:1], v[0:1], v[4:5]
	v_accvgpr_read_b32 v8, a130
	v_accvgpr_read_b32 v9, a131
	v_add_f64 v[250:251], v[0:1], v[48:49]
	v_accvgpr_read_b32 v7, a129
	v_mul_f64 v[4:5], v[90:91], v[8:9]
	v_add_f64 v[0:1], v[250:251], v[246:247]
	v_fma_f64 v[4:5], v[88:89], v[6:7], -v[4:5]
	v_accvgpr_read_b32 v6, a164
	v_add_f64 v[0:1], v[0:1], v[248:249]
	v_accvgpr_read_b32 v8, a166
	v_accvgpr_read_b32 v9, a167
	v_add_f64 v[0:1], v[0:1], v[4:5]
	v_accvgpr_read_b32 v7, a165
	v_mul_f64 v[4:5], v[98:99], v[8:9]
	v_fma_f64 v[4:5], v[96:97], v[6:7], -v[4:5]
	v_accvgpr_read_b32 v6, a132
	v_accvgpr_read_b32 v8, a134
	v_accvgpr_read_b32 v9, a135
	v_add_f64 v[0:1], v[0:1], v[4:5]
	v_accvgpr_read_b32 v7, a133
	v_mul_f64 v[4:5], v[102:103], v[8:9]
	v_fma_f64 v[4:5], v[100:101], v[6:7], -v[4:5]
	v_accvgpr_read_b32 v6, a136
	;; [unrolled: 7-line block ×10, first 2 shown]
	v_accvgpr_read_b32 v8, a174
	v_accvgpr_read_b32 v9, a175
	v_add_f64 v[0:1], v[0:1], v[4:5]
	v_accvgpr_read_b32 v7, a173
	v_mul_f64 v[4:5], v[138:139], v[8:9]
	v_fma_f64 v[4:5], v[136:137], v[6:7], -v[4:5]
	v_add_f64 v[0:1], v[0:1], v[4:5]
	v_mul_f64 v[4:5], v[142:143], v[54:55]
	v_fma_f64 v[4:5], v[140:141], v[52:53], -v[4:5]
	v_add_f64 v[0:1], v[0:1], v[4:5]
	;; [unrolled: 3-line block ×18, first 2 shown]
	s_waitcnt vmcnt(0)
	v_add_f64 v[4:5], v[236:237], -v[0:1]
	v_add_f64 v[6:7], v[238:239], -v[2:3]
	scratch_store_dwordx4 off, v[4:7], off offset:48
	s_and_saveexec_b64 s[0:1], vcc
	s_cbranch_execz .LBB126_401
; %bb.400:
	scratch_load_dwordx4 v[2:5], off, s88
	v_mov_b32_e32 v6, 0
	v_mov_b32_e32 v7, v6
	;; [unrolled: 1-line block ×4, first 2 shown]
	v_accvgpr_read_b32 v0, a1
	scratch_store_dwordx4 off, v[6:9], off offset:32
	s_waitcnt vmcnt(1)
	ds_write_b128 v0, v[2:5]
.LBB126_401:
	s_or_b64 exec, exec, s[0:1]
	s_waitcnt lgkmcnt(0)
	; wave barrier
	scratch_load_dwordx4 v[8:11], off, off offset:48
	scratch_load_dwordx4 v[12:15], off, off offset:64
	;; [unrolled: 1-line block ×30, first 2 shown]
	v_mov_b32_e32 v2, 0
	ds_read_b128 v[88:91], v2 offset:1040
	ds_read_b128 v[92:95], v2 offset:1056
	;; [unrolled: 1-line block ×22, first 2 shown]
	scratch_load_dwordx4 v[228:231], off, off offset:560
	scratch_load_dwordx4 a[128:131], off, off offset:576
	;; [unrolled: 1-line block ×6, first 2 shown]
	v_cmp_ne_u32_e32 vcc, 0, v254
	ds_read_b128 v[224:227], v2 offset:1392
	s_waitcnt vmcnt(35) lgkmcnt(14)
	v_mul_f64 v[0:1], v[88:89], v[10:11]
	s_waitcnt vmcnt(34)
	v_mul_f64 v[4:5], v[92:93], v[14:15]
	v_fmac_f64_e32 v[0:1], v[90:91], v[8:9]
	s_waitcnt vmcnt(33)
	v_mul_f64 v[6:7], v[96:97], v[18:19]
	v_fmac_f64_e32 v[4:5], v[94:95], v[12:13]
	v_add_f64 v[0:1], v[0:1], 0
	s_waitcnt vmcnt(32)
	v_mul_f64 v[196:197], v[100:101], v[22:23]
	v_fmac_f64_e32 v[6:7], v[98:99], v[16:17]
	v_add_f64 v[0:1], v[0:1], v[4:5]
	;; [unrolled: 4-line block ×7, first 2 shown]
	s_waitcnt vmcnt(26) lgkmcnt(13)
	v_mul_f64 v[208:209], v[164:165], v[46:47]
	v_fmac_f64_e32 v[206:207], v[162:163], v[40:41]
	v_add_f64 v[0:1], v[0:1], v[204:205]
	scratch_load_dwordx4 v[200:203], off, off offset:528
	s_waitcnt vmcnt(26) lgkmcnt(12)
	v_mul_f64 v[210:211], v[168:169], v[50:51]
	v_fmac_f64_e32 v[208:209], v[166:167], v[44:45]
	v_add_f64 v[0:1], v[0:1], v[206:207]
	v_fmac_f64_e32 v[210:211], v[170:171], v[48:49]
	v_add_f64 v[0:1], v[0:1], v[208:209]
	v_add_f64 v[0:1], v[0:1], v[210:211]
	scratch_load_dwordx4 v[208:211], off, off offset:544
	s_waitcnt vmcnt(26) lgkmcnt(11)
	v_mul_f64 v[212:213], v[172:173], v[54:55]
	s_waitcnt vmcnt(25) lgkmcnt(10)
	v_mul_f64 v[214:215], v[176:177], v[58:59]
	v_fmac_f64_e32 v[212:213], v[174:175], v[52:53]
	s_waitcnt vmcnt(24) lgkmcnt(9)
	v_mul_f64 v[216:217], v[180:181], v[62:63]
	v_fmac_f64_e32 v[214:215], v[178:179], v[56:57]
	v_add_f64 v[0:1], v[0:1], v[212:213]
	ds_read_b128 v[196:199], v2 offset:1312
	ds_read_b128 v[204:207], v2 offset:1328
	s_waitcnt vmcnt(23) lgkmcnt(10)
	v_mul_f64 v[218:219], v[184:185], v[66:67]
	v_fmac_f64_e32 v[216:217], v[182:183], v[60:61]
	v_add_f64 v[0:1], v[0:1], v[214:215]
	s_waitcnt vmcnt(22) lgkmcnt(9)
	v_mul_f64 v[220:221], v[188:189], v[70:71]
	v_fmac_f64_e32 v[218:219], v[186:187], v[64:65]
	v_add_f64 v[0:1], v[0:1], v[216:217]
	v_fmac_f64_e32 v[220:221], v[190:191], v[68:69]
	v_add_f64 v[0:1], v[0:1], v[218:219]
	s_waitcnt vmcnt(21) lgkmcnt(8)
	v_mul_f64 v[4:5], v[192:193], v[74:75]
	v_add_f64 v[0:1], v[0:1], v[220:221]
	v_fmac_f64_e32 v[4:5], v[194:195], v[72:73]
	ds_read_b128 v[212:215], v2 offset:1344
	ds_read_b128 v[216:219], v2 offset:1360
	v_add_f64 v[0:1], v[0:1], v[4:5]
	s_waitcnt vmcnt(20) lgkmcnt(3)
	v_mul_f64 v[4:5], v[196:197], v[78:79]
	v_fmac_f64_e32 v[4:5], v[198:199], v[76:77]
	v_add_f64 v[0:1], v[0:1], v[4:5]
	s_waitcnt vmcnt(19) lgkmcnt(2)
	v_mul_f64 v[4:5], v[204:205], v[82:83]
	v_fmac_f64_e32 v[4:5], v[206:207], v[80:81]
	ds_read_b128 v[220:223], v2 offset:1376
	v_add_f64 v[0:1], v[0:1], v[4:5]
	s_waitcnt vmcnt(18) lgkmcnt(2)
	v_mul_f64 v[4:5], v[212:213], v[86:87]
	v_fmac_f64_e32 v[4:5], v[214:215], v[84:85]
	v_add_f64 v[0:1], v[0:1], v[4:5]
	s_waitcnt vmcnt(17) lgkmcnt(1)
	v_mul_f64 v[4:5], v[216:217], v[110:111]
	v_fmac_f64_e32 v[4:5], v[218:219], v[108:109]
	v_add_f64 v[0:1], v[0:1], v[4:5]
	s_waitcnt vmcnt(16) lgkmcnt(0)
	v_mul_f64 v[4:5], v[220:221], v[114:115]
	v_fmac_f64_e32 v[4:5], v[222:223], v[112:113]
	v_add_f64 v[0:1], v[0:1], v[4:5]
	s_waitcnt vmcnt(15)
	v_mul_f64 v[4:5], v[224:225], v[118:119]
	v_fmac_f64_e32 v[4:5], v[226:227], v[116:117]
	v_add_f64 v[0:1], v[0:1], v[4:5]
	s_waitcnt vmcnt(14)
	v_mul_f64 v[4:5], v[232:233], v[122:123]
	v_fmac_f64_e32 v[4:5], v[234:235], v[120:121]
	v_add_f64 v[0:1], v[0:1], v[4:5]
	v_mul_f64 v[4:5], v[90:91], v[10:11]
	v_fma_f64 v[4:5], v[88:89], v[8:9], -v[4:5]
	v_accvgpr_write_b32 a171, v5
	v_accvgpr_write_b32 a170, v4
	s_waitcnt vmcnt(13)
	v_mul_f64 v[4:5], v[236:237], v[126:127]
	v_fmac_f64_e32 v[4:5], v[238:239], v[124:125]
	v_add_f64 v[0:1], v[0:1], v[4:5]
	v_mul_f64 v[4:5], v[94:95], v[14:15]
	v_fma_f64 v[240:241], v[92:93], v[12:13], -v[4:5]
	s_waitcnt vmcnt(12)
	v_mul_f64 v[4:5], v[242:243], v[130:131]
	v_fmac_f64_e32 v[4:5], v[244:245], v[128:129]
	v_add_f64 v[0:1], v[0:1], v[4:5]
	s_waitcnt vmcnt(11)
	v_mul_f64 v[4:5], v[246:247], v[134:135]
	v_fmac_f64_e32 v[4:5], v[248:249], v[132:133]
	v_mul_f64 v[8:9], v[142:143], v[30:31]
	v_add_f64 v[0:1], v[0:1], v[4:5]
	v_fma_f64 v[140:141], v[140:141], v[28:29], -v[8:9]
	ds_read_b128 v[8:11], v2 offset:1504
	s_waitcnt vmcnt(10)
	v_mul_f64 v[4:5], v[250:251], v[138:139]
	v_mul_f64 v[6:7], v[98:99], v[18:19]
	v_fmac_f64_e32 v[4:5], v[252:253], v[136:137]
	v_fma_f64 v[92:93], v[96:97], v[16:17], -v[6:7]
	v_mul_f64 v[6:7], v[102:103], v[22:23]
	v_add_f64 v[0:1], v[0:1], v[4:5]
	v_mul_f64 v[4:5], v[106:107], v[26:27]
	v_fma_f64 v[90:91], v[100:101], v[20:21], -v[6:7]
	v_fma_f64 v[88:89], v[104:105], v[24:25], -v[4:5]
	ds_read_b128 v[4:7], v2 offset:1488
	v_mul_f64 v[18:19], v[158:159], v[38:39]
	v_mul_f64 v[138:139], v[252:253], v[138:139]
	s_waitcnt vmcnt(9) lgkmcnt(0)
	v_mul_f64 v[12:13], v[4:5], v[146:147]
	v_fmac_f64_e32 v[12:13], v[6:7], v[144:145]
	v_add_f64 v[0:1], v[0:1], v[12:13]
	s_waitcnt vmcnt(8)
	v_mul_f64 v[12:13], v[8:9], v[150:151]
	v_fmac_f64_e32 v[12:13], v[10:11], v[148:149]
	v_add_f64 v[0:1], v[0:1], v[12:13]
	v_mul_f64 v[12:13], v[154:155], v[34:35]
	v_fma_f64 v[142:143], v[152:153], v[32:33], -v[12:13]
	ds_read_b128 v[12:15], v2 offset:1520
	scratch_load_dwordx4 a[152:155], off, off offset:656
	scratch_load_dwordx4 a[148:151], off, off offset:672
	;; [unrolled: 1-line block ×4, first 2 shown]
	v_fma_f64 v[152:153], v[156:157], v[36:37], -v[18:19]
	v_mul_f64 v[18:19], v[162:163], v[42:43]
	v_fma_f64 v[154:155], v[160:161], v[40:41], -v[18:19]
	ds_read_b128 v[160:163], v2 offset:1536
	s_waitcnt vmcnt(5) lgkmcnt(1)
	v_mul_f64 v[18:19], v[12:13], v[202:203]
	v_fmac_f64_e32 v[18:19], v[14:15], v[200:201]
	v_add_f64 v[0:1], v[0:1], v[18:19]
	v_mul_f64 v[18:19], v[166:167], v[46:47]
	v_fma_f64 v[156:157], v[164:165], v[44:45], -v[18:19]
	s_waitcnt vmcnt(4) lgkmcnt(0)
	v_mul_f64 v[18:19], v[160:161], v[210:211]
	v_fmac_f64_e32 v[18:19], v[162:163], v[208:209]
	v_add_f64 v[0:1], v[0:1], v[18:19]
	v_mul_f64 v[18:19], v[170:171], v[50:51]
	v_fma_f64 v[158:159], v[168:169], v[48:49], -v[18:19]
	ds_read_b128 v[168:171], v2 offset:1552
	scratch_load_dwordx4 v[44:47], off, off offset:720
	scratch_load_dwordx4 a[164:167], off, off offset:736
	ds_read_b128 v[40:43], v2 offset:1568
	ds_read_b128 v[36:39], v2 offset:1584
	v_mul_f64 v[18:19], v[174:175], v[54:55]
	v_fma_f64 v[164:165], v[172:173], v[52:53], -v[18:19]
	v_mul_f64 v[18:19], v[178:179], v[58:59]
	v_fma_f64 v[166:167], v[176:177], v[56:57], -v[18:19]
	s_waitcnt lgkmcnt(2)
	v_mul_f64 v[48:49], v[168:169], v[230:231]
	v_accvgpr_read_b32 v16, a128
	v_fmac_f64_e32 v[48:49], v[170:171], v[228:229]
	v_accvgpr_read_b32 v18, a130
	v_accvgpr_read_b32 v19, a131
	v_add_f64 v[0:1], v[0:1], v[48:49]
	v_mul_f64 v[48:49], v[182:183], v[62:63]
	v_accvgpr_read_b32 v17, a129
	s_waitcnt lgkmcnt(1)
	v_mul_f64 v[56:57], v[40:41], v[18:19]
	v_fma_f64 v[172:173], v[180:181], v[60:61], -v[48:49]
	scratch_load_dwordx4 v[48:51], off, off offset:752
	scratch_load_dwordx4 v[52:55], off, off offset:768
	v_fmac_f64_e32 v[56:57], v[42:43], v[16:17]
	v_mul_f64 v[18:19], v[194:195], v[74:75]
	v_add_f64 v[0:1], v[0:1], v[56:57]
	v_mul_f64 v[56:57], v[186:187], v[66:67]
	ds_read_b128 v[96:99], v2 offset:1600
	ds_read_b128 v[100:103], v2 offset:1616
	v_fma_f64 v[26:27], v[192:193], v[72:73], -v[18:19]
	v_accvgpr_read_b32 v16, a132
	v_fma_f64 v[174:175], v[184:185], v[64:65], -v[56:57]
	v_mul_f64 v[56:57], v[190:191], v[70:71]
	v_accvgpr_read_b32 v18, a134
	v_accvgpr_read_b32 v19, a135
	v_fma_f64 v[28:29], v[188:189], v[68:69], -v[56:57]
	scratch_load_dwordx4 v[56:59], off, off offset:784
	scratch_load_dwordx4 v[60:63], off, off offset:800
	v_accvgpr_read_b32 v17, a133
	s_waitcnt lgkmcnt(2)
	v_mul_f64 v[64:65], v[36:37], v[18:19]
	v_fmac_f64_e32 v[64:65], v[38:39], v[16:17]
	v_accvgpr_read_b32 v16, a136
	v_accvgpr_read_b32 v18, a138
	;; [unrolled: 1-line block ×4, first 2 shown]
	s_waitcnt lgkmcnt(1)
	v_mul_f64 v[72:73], v[96:97], v[18:19]
	v_add_f64 v[0:1], v[0:1], v[64:65]
	v_fmac_f64_e32 v[72:73], v[98:99], v[16:17]
	v_add_f64 v[0:1], v[0:1], v[72:73]
	v_mul_f64 v[72:73], v[214:215], v[86:87]
	ds_read_b128 v[104:107], v2 offset:1632
	v_accvgpr_read_b32 v16, a140
	v_mul_f64 v[64:65], v[198:199], v[78:79]
	v_mul_f64 v[68:69], v[206:207], v[82:83]
	v_fma_f64 v[22:23], v[212:213], v[84:85], -v[72:73]
	v_accvgpr_read_b32 v18, a142
	v_accvgpr_read_b32 v19, a143
	v_mul_f64 v[72:73], v[218:219], v[110:111]
	v_fma_f64 v[24:25], v[196:197], v[76:77], -v[64:65]
	scratch_load_dwordx4 v[64:67], off, off offset:816
	v_fma_f64 v[94:95], v[204:205], v[80:81], -v[68:69]
	scratch_load_dwordx4 v[68:71], off, off offset:832
	v_accvgpr_read_b32 v17, a141
	s_waitcnt lgkmcnt(1)
	v_mul_f64 v[34:35], v[100:101], v[18:19]
	v_fma_f64 v[20:21], v[216:217], v[108:109], -v[72:73]
	scratch_load_dwordx4 v[76:79], off, off offset:848
	scratch_load_dwordx4 v[72:75], off, off offset:864
	ds_read_b128 v[108:111], v2 offset:1648
	v_fmac_f64_e32 v[34:35], v[102:103], v[16:17]
	v_accvgpr_read_b32 v16, a144
	v_add_f64 v[0:1], v[0:1], v[34:35]
	v_accvgpr_read_b32 v18, a146
	v_accvgpr_read_b32 v19, a147
	v_mul_f64 v[34:35], v[222:223], v[114:115]
	v_mul_f64 v[84:85], v[226:227], v[118:119]
	v_accvgpr_read_b32 v17, a145
	s_waitcnt lgkmcnt(1)
	v_mul_f64 v[32:33], v[104:105], v[18:19]
	v_fma_f64 v[34:35], v[220:221], v[112:113], -v[34:35]
	v_fma_f64 v[18:19], v[224:225], v[116:117], -v[84:85]
	ds_read_b128 v[112:115], v2 offset:1664
	s_waitcnt vmcnt(13)
	v_accvgpr_read_b32 v116, a152
	v_fmac_f64_e32 v[32:33], v[106:107], v[16:17]
	v_accvgpr_read_b32 v118, a154
	v_accvgpr_read_b32 v119, a155
	v_add_f64 v[0:1], v[0:1], v[32:33]
	v_accvgpr_read_b32 v117, a153
	s_waitcnt lgkmcnt(1)
	v_mul_f64 v[32:33], v[108:109], v[118:119]
	v_fmac_f64_e32 v[32:33], v[110:111], v[116:117]
	s_waitcnt vmcnt(12)
	v_accvgpr_read_b32 v116, a148
	v_accvgpr_read_b32 v118, a150
	v_accvgpr_read_b32 v119, a151
	v_add_f64 v[0:1], v[0:1], v[32:33]
	v_accvgpr_read_b32 v117, a149
	s_waitcnt lgkmcnt(0)
	v_mul_f64 v[32:33], v[112:113], v[118:119]
	v_fmac_f64_e32 v[32:33], v[114:115], v[116:117]
	ds_read_b128 v[116:119], v2 offset:1680
	s_waitcnt vmcnt(11)
	v_accvgpr_read_b32 v179, a159
	v_mul_f64 v[84:85], v[234:235], v[122:123]
	v_add_f64 v[0:1], v[0:1], v[32:33]
	v_mul_f64 v[32:33], v[238:239], v[126:127]
	v_accvgpr_read_b32 v178, a158
	v_fma_f64 v[232:233], v[232:233], v[120:121], -v[84:85]
	v_fma_f64 v[32:33], v[236:237], v[124:125], -v[32:33]
	ds_read_b128 v[120:123], v2 offset:1696
	v_accvgpr_read_b32 v177, a157
	v_accvgpr_read_b32 v176, a156
	s_waitcnt lgkmcnt(1)
	v_mul_f64 v[124:125], v[116:117], v[178:179]
	scratch_load_dwordx4 v[80:83], off, off offset:880
	scratch_load_dwordx4 v[84:87], off, off offset:896
	v_fmac_f64_e32 v[124:125], v[118:119], v[176:177]
	v_add_f64 v[0:1], v[0:1], v[124:125]
	v_mul_f64 v[124:125], v[244:245], v[130:131]
	v_fma_f64 v[16:17], v[242:243], v[128:129], -v[124:125]
	ds_read_b128 v[124:127], v2 offset:1712
	s_waitcnt vmcnt(12)
	v_accvgpr_read_b32 v128, a160
	v_accvgpr_read_b32 v130, a162
	;; [unrolled: 1-line block ×4, first 2 shown]
	s_waitcnt lgkmcnt(1)
	v_mul_f64 v[30:31], v[120:121], v[130:131]
	v_fmac_f64_e32 v[30:31], v[122:123], v[128:129]
	v_add_f64 v[0:1], v[0:1], v[30:31]
	ds_read_b128 v[128:131], v2 offset:1728
	s_waitcnt vmcnt(11) lgkmcnt(1)
	v_mul_f64 v[30:31], v[124:125], v[46:47]
	v_fmac_f64_e32 v[30:31], v[126:127], v[44:45]
	v_add_f64 v[0:1], v[0:1], v[30:31]
	v_mul_f64 v[30:31], v[248:249], v[134:135]
	v_fma_f64 v[248:249], v[250:251], v[136:137], -v[138:139]
	scratch_load_dwordx4 v[250:253], off, off offset:912
	v_fma_f64 v[30:31], v[246:247], v[132:133], -v[30:31]
	s_waitcnt vmcnt(11)
	v_accvgpr_read_b32 v132, a164
	v_accvgpr_read_b32 v134, a166
	;; [unrolled: 1-line block ×4, first 2 shown]
	s_waitcnt lgkmcnt(0)
	v_mul_f64 v[176:177], v[128:129], v[134:135]
	v_fmac_f64_e32 v[176:177], v[130:131], v[132:133]
	ds_read_b128 v[132:135], v2 offset:1744
	ds_read_b128 v[136:139], v2 offset:1760
	;; [unrolled: 1-line block ×3, first 2 shown]
	v_add_f64 v[0:1], v[0:1], v[176:177]
	v_mul_f64 v[6:7], v[6:7], v[146:147]
	s_waitcnt vmcnt(10) lgkmcnt(2)
	v_mul_f64 v[176:177], v[132:133], v[50:51]
	v_fmac_f64_e32 v[176:177], v[134:135], v[48:49]
	v_add_f64 v[0:1], v[0:1], v[176:177]
	s_waitcnt vmcnt(9) lgkmcnt(1)
	v_mul_f64 v[176:177], v[136:137], v[54:55]
	v_fmac_f64_e32 v[176:177], v[138:139], v[52:53]
	v_fma_f64 v[4:5], v[4:5], v[144:145], -v[6:7]
	ds_read_b128 v[144:147], v2 offset:1792
	s_waitcnt vmcnt(8) lgkmcnt(1)
	v_mul_f64 v[6:7], v[242:243], v[58:59]
	v_add_f64 v[0:1], v[0:1], v[176:177]
	v_fmac_f64_e32 v[6:7], v[244:245], v[56:57]
	v_add_f64 v[0:1], v[0:1], v[6:7]
	v_mul_f64 v[6:7], v[10:11], v[150:151]
	v_fma_f64 v[6:7], v[8:9], v[148:149], -v[6:7]
	ds_read_b128 v[148:151], v2 offset:1808
	ds_read_b128 v[234:237], v2 offset:1824
	s_waitcnt vmcnt(7) lgkmcnt(2)
	v_mul_f64 v[8:9], v[144:145], v[62:63]
	v_fmac_f64_e32 v[8:9], v[146:147], v[60:61]
	v_add_f64 v[0:1], v[0:1], v[8:9]
	s_waitcnt vmcnt(6) lgkmcnt(1)
	v_mul_f64 v[8:9], v[148:149], v[66:67]
	v_fmac_f64_e32 v[8:9], v[150:151], v[64:65]
	v_add_f64 v[176:177], v[0:1], v[8:9]
	ds_read_b128 v[8:11], v2 offset:1840
	v_mul_f64 v[0:1], v[14:15], v[202:203]
	v_fma_f64 v[0:1], v[12:13], v[200:201], -v[0:1]
	s_waitcnt vmcnt(5) lgkmcnt(1)
	v_mul_f64 v[12:13], v[234:235], v[70:71]
	v_mul_f64 v[14:15], v[162:163], v[210:211]
	v_fmac_f64_e32 v[12:13], v[236:237], v[68:69]
	v_fma_f64 v[238:239], v[160:161], v[208:209], -v[14:15]
	ds_read_b128 v[160:163], v2 offset:1856
	s_waitcnt vmcnt(4) lgkmcnt(1)
	v_mul_f64 v[14:15], v[8:9], v[78:79]
	v_add_f64 v[12:13], v[176:177], v[12:13]
	v_fmac_f64_e32 v[14:15], v[10:11], v[76:77]
	v_add_f64 v[176:177], v[12:13], v[14:15]
	ds_read_b128 v[12:15], v2 offset:1872
	v_mul_f64 v[170:171], v[170:171], v[230:231]
	v_fma_f64 v[246:247], v[168:169], v[228:229], -v[170:171]
	ds_read_b128 v[168:171], v2 offset:1888
	s_waitcnt vmcnt(3) lgkmcnt(2)
	v_mul_f64 v[178:179], v[160:161], v[74:75]
	v_fmac_f64_e32 v[178:179], v[162:163], v[72:73]
	v_add_f64 v[176:177], v[176:177], v[178:179]
	ds_read_b128 v[184:187], v2 offset:1920
	ds_read_b128 v[192:195], v2 offset:1936
	;; [unrolled: 1-line block ×6, first 2 shown]
	s_waitcnt vmcnt(2) lgkmcnt(7)
	v_mul_f64 v[178:179], v[12:13], v[82:83]
	v_fmac_f64_e32 v[178:179], v[14:15], v[80:81]
	v_add_f64 v[176:177], v[176:177], v[178:179]
	s_waitcnt vmcnt(1) lgkmcnt(6)
	v_mul_f64 v[178:179], v[168:169], v[86:87]
	v_fmac_f64_e32 v[178:179], v[170:171], v[84:85]
	v_add_f64 v[180:181], v[176:177], v[178:179]
	ds_read_b128 v[176:179], v2 offset:1904
	s_waitcnt vmcnt(0) lgkmcnt(0)
	v_mul_f64 v[182:183], v[176:177], v[252:253]
	v_fmac_f64_e32 v[182:183], v[178:179], v[250:251]
	v_add_f64 v[188:189], v[180:181], v[182:183]
	scratch_load_dwordx4 v[180:183], off, off offset:928
	s_waitcnt vmcnt(0)
	v_mul_f64 v[190:191], v[184:185], v[182:183]
	v_fmac_f64_e32 v[190:191], v[186:187], v[180:181]
	v_add_f64 v[196:197], v[188:189], v[190:191]
	scratch_load_dwordx4 v[188:191], off, off offset:944
	s_waitcnt vmcnt(0)
	;; [unrolled: 5-line block ×6, first 2 shown]
	v_mul_f64 v[230:231], v[224:225], v[222:223]
	v_fmac_f64_e32 v[230:231], v[226:227], v[220:221]
	v_add_f64 v[228:229], v[228:229], v[230:231]
	v_accvgpr_write_b32 a168, v228
	v_accvgpr_write_b32 a169, v229
	v_accvgpr_read_b32 v229, a171
	v_accvgpr_read_b32 v228, a170
	v_add_f64 v[228:229], v[228:229], 0
	v_add_f64 v[228:229], v[228:229], v[240:241]
	;; [unrolled: 1-line block ×16, first 2 shown]
	scratch_load_dwordx4 v[228:231], off, off offset:32
	v_add_f64 v[26:27], v[28:29], v[26:27]
	v_add_f64 v[24:25], v[26:27], v[24:25]
	;; [unrolled: 1-line block ×13, first 2 shown]
	v_accvgpr_read_b32 v16, a128
	v_add_f64 v[4:5], v[248:249], v[6:7]
	v_accvgpr_read_b32 v18, a130
	v_accvgpr_read_b32 v19, a131
	v_add_f64 v[0:1], v[4:5], v[0:1]
	v_accvgpr_read_b32 v17, a129
	v_mul_f64 v[4:5], v[42:43], v[18:19]
	v_add_f64 v[0:1], v[0:1], v[238:239]
	v_fma_f64 v[4:5], v[40:41], v[16:17], -v[4:5]
	v_accvgpr_read_b32 v16, a132
	v_add_f64 v[0:1], v[0:1], v[246:247]
	v_accvgpr_read_b32 v18, a134
	v_accvgpr_read_b32 v19, a135
	v_add_f64 v[0:1], v[0:1], v[4:5]
	v_accvgpr_read_b32 v17, a133
	v_mul_f64 v[4:5], v[38:39], v[18:19]
	v_fma_f64 v[4:5], v[36:37], v[16:17], -v[4:5]
	v_accvgpr_read_b32 v16, a136
	v_accvgpr_read_b32 v18, a138
	v_accvgpr_read_b32 v19, a139
	v_add_f64 v[0:1], v[0:1], v[4:5]
	v_accvgpr_read_b32 v17, a137
	v_mul_f64 v[4:5], v[98:99], v[18:19]
	v_fma_f64 v[4:5], v[96:97], v[16:17], -v[4:5]
	v_accvgpr_read_b32 v16, a140
	;; [unrolled: 7-line block ×7, first 2 shown]
	v_accvgpr_read_b32 v18, a162
	v_accvgpr_read_b32 v19, a163
	v_add_f64 v[0:1], v[0:1], v[4:5]
	v_accvgpr_read_b32 v17, a161
	v_mul_f64 v[4:5], v[122:123], v[18:19]
	v_fma_f64 v[4:5], v[120:121], v[16:17], -v[4:5]
	v_add_f64 v[0:1], v[0:1], v[4:5]
	v_mul_f64 v[4:5], v[126:127], v[46:47]
	v_accvgpr_read_b32 v16, a164
	v_fma_f64 v[4:5], v[124:125], v[44:45], -v[4:5]
	v_accvgpr_read_b32 v18, a166
	v_accvgpr_read_b32 v19, a167
	v_add_f64 v[0:1], v[0:1], v[4:5]
	v_accvgpr_read_b32 v17, a165
	v_mul_f64 v[4:5], v[130:131], v[18:19]
	v_fma_f64 v[4:5], v[128:129], v[16:17], -v[4:5]
	v_add_f64 v[0:1], v[0:1], v[4:5]
	v_mul_f64 v[4:5], v[134:135], v[50:51]
	v_fma_f64 v[4:5], v[132:133], v[48:49], -v[4:5]
	v_add_f64 v[0:1], v[0:1], v[4:5]
	;; [unrolled: 3-line block ×18, first 2 shown]
	s_waitcnt vmcnt(0)
	v_add_f64 v[4:5], v[228:229], -v[0:1]
	v_accvgpr_read_b32 v0, a168
	v_accvgpr_read_b32 v1, a169
	v_add_f64 v[6:7], v[230:231], -v[0:1]
	scratch_store_dwordx4 off, v[4:7], off offset:32
	s_and_saveexec_b64 s[0:1], vcc
	s_cbranch_execz .LBB126_403
; %bb.402:
	scratch_load_dwordx4 v[6:9], off, off offset:16
	v_mov_b32_e32 v3, v2
	v_mov_b32_e32 v4, v2
	;; [unrolled: 1-line block ×3, first 2 shown]
	v_accvgpr_read_b32 v0, a1
	scratch_store_dwordx4 off, v[2:5], off offset:16
	s_waitcnt vmcnt(1)
	ds_write_b128 v0, v[6:9]
.LBB126_403:
	s_or_b64 exec, exec, s[0:1]
	s_waitcnt lgkmcnt(0)
	; wave barrier
	scratch_load_dwordx4 v[4:7], off, off offset:32
	scratch_load_dwordx4 v[24:27], off, off offset:48
	;; [unrolled: 1-line block ×17, first 2 shown]
	ds_read_b128 v[168:171], v2 offset:1024
	ds_read_b128 v[144:147], v2 offset:1040
	;; [unrolled: 1-line block ×4, first 2 shown]
	scratch_load_dwordx4 v[76:79], off, off offset:304
	ds_read_b128 v[136:139], v2 offset:1088
	ds_read_b128 v[120:123], v2 offset:1104
	;; [unrolled: 1-line block ×3, first 2 shown]
	scratch_load_dwordx4 v[80:83], off, off offset:320
	ds_read_b128 v[152:155], v2 offset:1136
	ds_read_b128 v[132:135], v2 offset:1152
	ds_read_b128 v[100:103], v2 offset:1168
	ds_read_b128 v[92:95], v2 offset:1184
	scratch_load_dwordx4 v[84:87], off, off offset:336
	ds_read_b128 v[156:159], v2 offset:1200
	ds_read_b128 v[140:143], v2 offset:1216
	;; [unrolled: 1-line block ×3, first 2 shown]
	scratch_load_dwordx4 v[108:111], off, off offset:352
	ds_read_b128 v[160:163], v2 offset:1248
	ds_read_b128 v[148:151], v2 offset:1264
	;; [unrolled: 1-line block ×3, first 2 shown]
	scratch_load_dwordx4 v[112:115], off, off offset:368
	scratch_load_dwordx4 v[116:119], off, off offset:384
	;; [unrolled: 1-line block ×10, first 2 shown]
	ds_read_b128 v[196:199], v2 offset:1296
	ds_read_b128 v[232:235], v2 offset:1392
	;; [unrolled: 1-line block ×3, first 2 shown]
	scratch_load_dwordx4 a[136:139], off, off offset:608
	scratch_load_dwordx4 a[140:143], off, off offset:624
	;; [unrolled: 1-line block ×4, first 2 shown]
	v_readlane_b32 s0, v255, 0
	v_readlane_b32 s1, v255, 1
	s_and_b64 vcc, exec, s[0:1]
	ds_read_b128 v[228:231], v2 offset:1376
	scratch_load_dwordx4 a[128:131], off, off offset:560
	s_waitcnt vmcnt(35) lgkmcnt(14)
	v_mul_f64 v[0:1], v[168:169], v[6:7]
	s_waitcnt vmcnt(34)
	v_mul_f64 v[8:9], v[144:145], v[26:27]
	v_fmac_f64_e32 v[0:1], v[170:171], v[4:5]
	s_waitcnt vmcnt(33)
	v_mul_f64 v[10:11], v[124:125], v[244:245]
	v_fmac_f64_e32 v[8:9], v[146:147], v[24:25]
	v_add_f64 v[0:1], v[0:1], 0
	s_waitcnt vmcnt(32)
	v_mul_f64 v[200:201], v[96:97], v[248:249]
	v_fmac_f64_e32 v[10:11], v[126:127], v[242:243]
	v_add_f64 v[0:1], v[0:1], v[8:9]
	;; [unrolled: 4-line block ×5, first 2 shown]
	s_waitcnt vmcnt(28) lgkmcnt(13)
	v_mul_f64 v[208:209], v[152:153], v[18:19]
	v_fmac_f64_e32 v[206:207], v[90:91], v[30:31]
	v_add_f64 v[0:1], v[0:1], v[204:205]
	s_waitcnt vmcnt(27) lgkmcnt(12)
	v_mul_f64 v[210:211], v[132:133], v[40:41]
	v_fmac_f64_e32 v[208:209], v[154:155], v[16:17]
	v_add_f64 v[0:1], v[0:1], v[206:207]
	;; [unrolled: 4-line block ×7, first 2 shown]
	scratch_load_dwordx4 v[200:203], off, off offset:512
	scratch_load_dwordx4 v[212:215], off, off offset:528
	s_waitcnt vmcnt(23) lgkmcnt(6)
	v_mul_f64 v[222:223], v[160:161], v[66:67]
	v_fmac_f64_e32 v[220:221], v[106:107], v[60:61]
	v_add_f64 v[0:1], v[0:1], v[218:219]
	s_waitcnt vmcnt(22) lgkmcnt(5)
	v_mul_f64 v[224:225], v[148:149], v[70:71]
	v_fmac_f64_e32 v[222:223], v[162:163], v[64:65]
	v_add_f64 v[0:1], v[0:1], v[220:221]
	v_fmac_f64_e32 v[224:225], v[150:151], v[68:69]
	v_add_f64 v[0:1], v[0:1], v[222:223]
	v_add_f64 v[0:1], v[0:1], v[224:225]
	scratch_load_dwordx4 v[224:227], off, off offset:544
	ds_read_b128 v[204:207], v2 offset:1312
	s_waitcnt vmcnt(22) lgkmcnt(5)
	v_mul_f64 v[8:9], v[128:129], v[74:75]
	v_fmac_f64_e32 v[8:9], v[130:131], v[72:73]
	ds_read_b128 v[208:211], v2 offset:1328
	ds_read_b128 v[216:219], v2 offset:1344
	v_add_f64 v[0:1], v[0:1], v[8:9]
	s_waitcnt vmcnt(21) lgkmcnt(6)
	v_mul_f64 v[8:9], v[196:197], v[78:79]
	v_fmac_f64_e32 v[8:9], v[198:199], v[76:77]
	v_add_f64 v[0:1], v[0:1], v[8:9]
	s_waitcnt vmcnt(20) lgkmcnt(2)
	v_mul_f64 v[8:9], v[204:205], v[82:83]
	v_fmac_f64_e32 v[8:9], v[206:207], v[80:81]
	ds_read_b128 v[220:223], v2 offset:1360
	v_add_f64 v[0:1], v[0:1], v[8:9]
	s_waitcnt vmcnt(19) lgkmcnt(2)
	v_mul_f64 v[8:9], v[208:209], v[86:87]
	v_fmac_f64_e32 v[8:9], v[210:211], v[84:85]
	v_add_f64 v[0:1], v[0:1], v[8:9]
	s_waitcnt vmcnt(18) lgkmcnt(1)
	v_mul_f64 v[8:9], v[216:217], v[110:111]
	v_fmac_f64_e32 v[8:9], v[218:219], v[108:109]
	;; [unrolled: 4-line block ×3, first 2 shown]
	v_add_f64 v[0:1], v[0:1], v[8:9]
	s_waitcnt vmcnt(16)
	v_mul_f64 v[8:9], v[228:229], v[118:119]
	v_fmac_f64_e32 v[8:9], v[230:231], v[116:117]
	v_add_f64 v[0:1], v[0:1], v[8:9]
	s_waitcnt vmcnt(15)
	v_mul_f64 v[8:9], v[232:233], v[166:167]
	v_mul_f64 v[6:7], v[170:171], v[6:7]
	v_fmac_f64_e32 v[8:9], v[234:235], v[164:165]
	v_fma_f64 v[240:241], v[168:169], v[4:5], -v[6:7]
	s_waitcnt vmcnt(14)
	v_mul_f64 v[4:5], v[236:237], v[174:175]
	v_add_f64 v[0:1], v[0:1], v[8:9]
	v_fmac_f64_e32 v[4:5], v[238:239], v[172:173]
	v_add_f64 v[0:1], v[0:1], v[4:5]
	v_mul_f64 v[4:5], v[146:147], v[26:27]
	v_fma_f64 v[46:47], v[144:145], v[24:25], -v[4:5]
	v_mul_f64 v[4:5], v[126:127], v[244:245]
	v_fma_f64 v[42:43], v[124:125], v[242:243], -v[4:5]
	scratch_load_dwordx4 v[124:127], off, off offset:592
	ds_read_b128 v[168:171], v2 offset:1424
	ds_read_b128 v[144:147], v2 offset:1440
	;; [unrolled: 1-line block ×3, first 2 shown]
	v_mul_f64 v[6:7], v[98:99], v[248:249]
	v_fma_f64 v[36:37], v[96:97], v[246:247], -v[6:7]
	s_waitcnt vmcnt(14) lgkmcnt(2)
	v_mul_f64 v[4:5], v[168:169], v[178:179]
	v_fmac_f64_e32 v[4:5], v[170:171], v[176:177]
	ds_read_b128 v[246:249], v2 offset:1472
	v_add_f64 v[0:1], v[0:1], v[4:5]
	s_waitcnt vmcnt(13) lgkmcnt(2)
	v_mul_f64 v[4:5], v[144:145], v[182:183]
	v_mul_f64 v[6:7], v[138:139], v[252:253]
	v_fmac_f64_e32 v[4:5], v[146:147], v[180:181]
	v_fma_f64 v[34:35], v[136:137], v[250:251], -v[6:7]
	ds_read_b128 v[250:253], v2 offset:1488
	v_add_f64 v[0:1], v[0:1], v[4:5]
	s_waitcnt vmcnt(12) lgkmcnt(2)
	v_mul_f64 v[4:5], v[242:243], v[186:187]
	v_fmac_f64_e32 v[4:5], v[244:245], v[184:185]
	v_add_f64 v[0:1], v[0:1], v[4:5]
	s_waitcnt vmcnt(11) lgkmcnt(1)
	v_mul_f64 v[4:5], v[246:247], v[190:191]
	v_fmac_f64_e32 v[4:5], v[248:249], v[188:189]
	;; [unrolled: 4-line block ×3, first 2 shown]
	v_add_f64 v[0:1], v[0:1], v[4:5]
	v_mul_f64 v[4:5], v[90:91], v[32:33]
	v_mul_f64 v[6:7], v[122:123], v[14:15]
	v_fma_f64 v[24:25], v[88:89], v[30:31], -v[4:5]
	v_mul_f64 v[4:5], v[154:155], v[18:19]
	v_mul_f64 v[8:9], v[134:135], v[40:41]
	v_fma_f64 v[28:29], v[120:121], v[12:13], -v[6:7]
	v_fma_f64 v[152:153], v[152:153], v[16:17], -v[4:5]
	ds_read_b128 v[4:7], v2 offset:1504
	v_fma_f64 v[154:155], v[132:133], v[38:39], -v[8:9]
	ds_read_b128 v[8:11], v2 offset:1520
	scratch_load_dwordx4 a[152:155], off, off offset:672
	scratch_load_dwordx4 v[132:135], off, off offset:688
	;; [unrolled: 1-line block ×3, first 2 shown]
	v_mul_f64 v[44:45], v[142:143], v[58:59]
	ds_read_b128 v[136:139], v2 offset:1536
	ds_read_b128 v[88:91], v2 offset:1552
	v_mul_f64 v[40:41], v[158:159], v[54:55]
	v_fma_f64 v[158:159], v[140:141], v[56:57], -v[44:45]
	scratch_load_dwordx4 v[140:143], off, off offset:720
	s_waitcnt vmcnt(7) lgkmcnt(3)
	v_mul_f64 v[32:33], v[4:5], v[202:203]
	v_fmac_f64_e32 v[32:33], v[6:7], v[200:201]
	s_waitcnt vmcnt(6) lgkmcnt(2)
	v_mul_f64 v[26:27], v[8:9], v[214:215]
	v_add_f64 v[0:1], v[0:1], v[32:33]
	v_fmac_f64_e32 v[26:27], v[10:11], v[212:213]
	v_add_f64 v[0:1], v[0:1], v[26:27]
	v_mul_f64 v[26:27], v[94:95], v[50:51]
	v_fma_f64 v[26:27], v[92:93], v[48:49], -v[26:27]
	s_waitcnt vmcnt(5) lgkmcnt(1)
	v_mul_f64 v[48:49], v[136:137], v[226:227]
	v_fmac_f64_e32 v[48:49], v[138:139], v[224:225]
	v_accvgpr_read_b32 v12, a128
	v_mul_f64 v[32:33], v[102:103], v[22:23]
	v_add_f64 v[0:1], v[0:1], v[48:49]
	v_mul_f64 v[48:49], v[106:107], v[62:63]
	v_accvgpr_read_b32 v14, a130
	v_accvgpr_read_b32 v15, a131
	v_fma_f64 v[22:23], v[100:101], v[20:21], -v[32:33]
	v_fma_f64 v[20:21], v[104:105], v[60:61], -v[48:49]
	scratch_load_dwordx4 v[48:51], off, off offset:736
	v_accvgpr_read_b32 v13, a129
	s_waitcnt lgkmcnt(0)
	v_mul_f64 v[30:31], v[88:89], v[14:15]
	v_fma_f64 v[156:157], v[156:157], v[52:53], -v[40:41]
	v_fmac_f64_e32 v[30:31], v[90:91], v[12:13]
	scratch_load_dwordx4 v[52:55], off, off offset:752
	v_add_f64 v[0:1], v[0:1], v[30:31]
	v_mul_f64 v[30:31], v[162:163], v[66:67]
	v_mul_f64 v[56:57], v[150:151], v[70:71]
	v_fma_f64 v[30:31], v[160:161], v[64:65], -v[30:31]
	ds_read_b128 v[92:95], v2 offset:1568
	ds_read_b128 v[96:99], v2 offset:1584
	v_fma_f64 v[160:161], v[148:149], v[68:69], -v[56:57]
	scratch_load_dwordx4 v[56:59], off, off offset:768
	v_accvgpr_read_b32 v12, a132
	v_accvgpr_read_b32 v14, a134
	v_accvgpr_read_b32 v15, a135
	v_mul_f64 v[60:61], v[130:131], v[74:75]
	v_accvgpr_read_b32 v13, a133
	s_waitcnt lgkmcnt(1)
	v_mul_f64 v[64:65], v[92:93], v[14:15]
	v_fma_f64 v[162:163], v[128:129], v[72:73], -v[60:61]
	scratch_load_dwordx4 v[60:63], off, off offset:784
	v_fmac_f64_e32 v[64:65], v[94:95], v[12:13]
	v_add_f64 v[0:1], v[0:1], v[64:65]
	v_mul_f64 v[64:65], v[198:199], v[78:79]
	v_fma_f64 v[196:197], v[196:197], v[76:77], -v[64:65]
	scratch_load_dwordx4 v[64:67], off, off offset:800
	v_mul_f64 v[68:69], v[206:207], v[82:83]
	v_fma_f64 v[198:199], v[204:205], v[80:81], -v[68:69]
	scratch_load_dwordx4 v[68:71], off, off offset:816
	;; [unrolled: 3-line block ×3, first 2 shown]
	s_waitcnt vmcnt(11)
	v_mov_b64_e32 v[12:13], v[124:125]
	ds_read_b128 v[100:103], v2 offset:1600
	ds_read_b128 v[104:107], v2 offset:1616
	v_mov_b64_e32 v[14:15], v[126:127]
	s_waitcnt lgkmcnt(2)
	v_mul_f64 v[120:121], v[96:97], v[14:15]
	v_add_f64 v[240:241], v[240:241], 0
	v_fmac_f64_e32 v[120:121], v[98:99], v[12:13]
	v_accvgpr_read_b32 v12, a136
	v_add_f64 v[46:47], v[240:241], v[46:47]
	v_accvgpr_read_b32 v14, a138
	v_accvgpr_read_b32 v15, a139
	v_add_f64 v[42:43], v[46:47], v[42:43]
	v_accvgpr_read_b32 v13, a137
	s_waitcnt lgkmcnt(1)
	v_mul_f64 v[32:33], v[100:101], v[14:15]
	v_add_f64 v[36:37], v[42:43], v[36:37]
	v_add_f64 v[0:1], v[0:1], v[120:121]
	v_fmac_f64_e32 v[32:33], v[102:103], v[12:13]
	v_add_f64 v[34:35], v[36:37], v[34:35]
	v_add_f64 v[0:1], v[0:1], v[32:33]
	v_mul_f64 v[32:33], v[218:219], v[110:111]
	v_add_f64 v[28:29], v[34:35], v[28:29]
	v_fma_f64 v[32:33], v[216:217], v[108:109], -v[32:33]
	v_accvgpr_read_b32 v12, a140
	ds_read_b128 v[108:111], v2 offset:1632
	v_add_f64 v[24:25], v[28:29], v[24:25]
	v_accvgpr_read_b32 v14, a142
	v_accvgpr_read_b32 v15, a143
	v_add_f64 v[24:25], v[24:25], v[152:153]
	v_accvgpr_read_b32 v13, a141
	s_waitcnt lgkmcnt(1)
	v_mul_f64 v[84:85], v[104:105], v[14:15]
	v_mul_f64 v[80:81], v[222:223], v[114:115]
	v_add_f64 v[24:25], v[24:25], v[154:155]
	v_fmac_f64_e32 v[84:85], v[106:107], v[12:13]
	v_fma_f64 v[16:17], v[220:221], v[112:113], -v[80:81]
	v_mul_f64 v[112:113], v[234:235], v[166:167]
	v_accvgpr_read_b32 v12, a144
	v_add_f64 v[22:23], v[24:25], v[22:23]
	v_mul_f64 v[38:39], v[230:231], v[118:119]
	v_fma_f64 v[232:233], v[232:233], v[164:165], -v[112:113]
	ds_read_b128 v[112:115], v2 offset:1648
	v_accvgpr_read_b32 v14, a146
	v_accvgpr_read_b32 v15, a147
	v_add_f64 v[22:23], v[22:23], v[26:27]
	v_fma_f64 v[38:39], v[228:229], v[116:117], -v[38:39]
	v_accvgpr_read_b32 v13, a145
	s_waitcnt lgkmcnt(1)
	v_mul_f64 v[116:117], v[108:109], v[14:15]
	v_add_f64 v[22:23], v[22:23], v[156:157]
	v_add_f64 v[0:1], v[0:1], v[84:85]
	v_fmac_f64_e32 v[116:117], v[110:111], v[12:13]
	v_add_f64 v[22:23], v[22:23], v[158:159]
	v_add_f64 v[0:1], v[0:1], v[116:117]
	ds_read_b128 v[116:119], v2 offset:1664
	v_accvgpr_read_b32 v12, a148
	v_add_f64 v[20:21], v[22:23], v[20:21]
	v_accvgpr_write_b32 a163, v127
	v_accvgpr_read_b32 v14, a150
	v_accvgpr_read_b32 v15, a151
	v_add_f64 v[20:21], v[20:21], v[30:31]
	v_accvgpr_write_b32 a162, v126
	v_accvgpr_write_b32 a161, v125
	;; [unrolled: 1-line block ×3, first 2 shown]
	v_accvgpr_read_b32 v13, a149
	s_waitcnt lgkmcnt(1)
	v_mul_f64 v[124:125], v[112:113], v[14:15]
	v_add_f64 v[20:21], v[20:21], v[160:161]
	v_fmac_f64_e32 v[124:125], v[114:115], v[12:13]
	s_waitcnt vmcnt(10)
	v_accvgpr_read_b32 v12, a152
	v_add_f64 v[20:21], v[20:21], v[162:163]
	v_mul_f64 v[120:121], v[238:239], v[174:175]
	v_accvgpr_read_b32 v14, a154
	v_accvgpr_read_b32 v15, a155
	v_add_f64 v[20:21], v[20:21], v[196:197]
	v_fma_f64 v[234:235], v[236:237], v[172:173], -v[120:121]
	ds_read_b128 v[120:123], v2 offset:1680
	v_add_f64 v[0:1], v[0:1], v[124:125]
	v_accvgpr_read_b32 v13, a153
	s_waitcnt lgkmcnt(1)
	v_mul_f64 v[124:125], v[116:117], v[14:15]
	v_add_f64 v[20:21], v[20:21], v[198:199]
	v_fmac_f64_e32 v[124:125], v[118:119], v[12:13]
	v_add_f64 v[18:19], v[20:21], v[18:19]
	v_add_f64 v[0:1], v[0:1], v[124:125]
	v_mul_f64 v[124:125], v[170:171], v[178:179]
	v_add_f64 v[18:19], v[18:19], v[32:33]
	v_fma_f64 v[14:15], v[168:169], v[176:177], -v[124:125]
	ds_read_b128 v[124:127], v2 offset:1696
	v_add_f64 v[16:17], v[18:19], v[16:17]
	s_waitcnt vmcnt(9)
	v_mov_b64_e32 v[128:129], v[132:133]
	v_add_f64 v[16:17], v[16:17], v[38:39]
	v_mov_b64_e32 v[130:131], v[134:135]
	v_accvgpr_write_b32 a167, v135
	v_add_f64 v[16:17], v[16:17], v[232:233]
	s_waitcnt lgkmcnt(1)
	v_mul_f64 v[40:41], v[120:121], v[130:131]
	v_accvgpr_write_b32 a166, v134
	v_accvgpr_write_b32 a165, v133
	v_accvgpr_write_b32 a164, v132
	v_add_f64 v[16:17], v[16:17], v[234:235]
	scratch_load_dwordx4 v[232:235], off, off offset:16
	s_waitcnt vmcnt(9)
	v_accvgpr_read_b32 v132, a156
	v_fmac_f64_e32 v[40:41], v[122:123], v[128:129]
	ds_read_b128 v[128:131], v2 offset:1712
	v_accvgpr_read_b32 v134, a158
	v_accvgpr_read_b32 v135, a159
	v_add_f64 v[0:1], v[0:1], v[40:41]
	v_accvgpr_read_b32 v133, a157
	s_waitcnt lgkmcnt(1)
	v_mul_f64 v[40:41], v[124:125], v[134:135]
	v_fmac_f64_e32 v[40:41], v[126:127], v[132:133]
	v_add_f64 v[0:1], v[0:1], v[40:41]
	v_mul_f64 v[40:41], v[146:147], v[182:183]
	v_fma_f64 v[40:41], v[144:145], v[180:181], -v[40:41]
	s_waitcnt vmcnt(8)
	v_mov_b64_e32 v[144:145], v[142:143]
	v_mov_b64_e32 v[142:143], v[140:141]
	s_waitcnt lgkmcnt(0)
	v_mul_f64 v[140:141], v[128:129], v[144:145]
	v_fmac_f64_e32 v[140:141], v[130:131], v[142:143]
	ds_read_b128 v[132:135], v2 offset:1728
	v_add_f64 v[0:1], v[0:1], v[140:141]
	v_mul_f64 v[140:141], v[244:245], v[186:187]
	v_fma_f64 v[12:13], v[242:243], v[184:185], -v[140:141]
	ds_read_b128 v[242:245], v2 offset:1744
	v_accvgpr_write_b32 a171, v145
	v_accvgpr_write_b32 a170, v144
	;; [unrolled: 1-line block ×4, first 2 shown]
	ds_read_b128 v[140:143], v2 offset:1760
	ds_read_b128 v[144:147], v2 offset:1776
	s_waitcnt vmcnt(7) lgkmcnt(3)
	v_mul_f64 v[44:45], v[132:133], v[50:51]
	v_fmac_f64_e32 v[44:45], v[134:135], v[48:49]
	s_waitcnt vmcnt(6) lgkmcnt(2)
	v_mul_f64 v[148:149], v[242:243], v[54:55]
	v_add_f64 v[0:1], v[0:1], v[44:45]
	v_fmac_f64_e32 v[148:149], v[244:245], v[52:53]
	v_add_f64 v[0:1], v[0:1], v[148:149]
	s_waitcnt vmcnt(5) lgkmcnt(1)
	v_mul_f64 v[148:149], v[140:141], v[58:59]
	v_fmac_f64_e32 v[148:149], v[142:143], v[56:57]
	v_add_f64 v[0:1], v[0:1], v[148:149]
	v_mul_f64 v[148:149], v[252:253], v[194:195]
	v_mul_f64 v[44:45], v[248:249], v[190:191]
	v_fma_f64 v[248:249], v[250:251], v[192:193], -v[148:149]
	ds_read_b128 v[148:151], v2 offset:1792
	ds_read_b128 v[250:253], v2 offset:1808
	scratch_load_dwordx4 v[76:79], off, off offset:848
	scratch_load_dwordx4 v[80:83], off, off offset:864
	s_waitcnt vmcnt(6) lgkmcnt(2)
	v_mul_f64 v[164:165], v[144:145], v[62:63]
	v_fmac_f64_e32 v[164:165], v[146:147], v[60:61]
	v_add_f64 v[0:1], v[0:1], v[164:165]
	s_waitcnt vmcnt(5) lgkmcnt(1)
	v_mul_f64 v[164:165], v[148:149], v[66:67]
	v_mul_f64 v[6:7], v[6:7], v[202:203]
	scratch_load_dwordx4 v[84:87], off, off offset:880
	scratch_load_dwordx4 v[172:175], off, off offset:896
	v_fmac_f64_e32 v[164:165], v[150:151], v[64:65]
	v_fma_f64 v[4:5], v[4:5], v[200:201], -v[6:7]
	ds_read_b128 v[236:239], v2 offset:1824
	s_waitcnt vmcnt(6) lgkmcnt(1)
	v_mul_f64 v[6:7], v[250:251], v[70:71]
	v_add_f64 v[0:1], v[0:1], v[164:165]
	v_fmac_f64_e32 v[6:7], v[252:253], v[68:69]
	v_add_f64 v[0:1], v[0:1], v[6:7]
	v_mul_f64 v[6:7], v[10:11], v[214:215]
	v_fma_f64 v[6:7], v[8:9], v[212:213], -v[6:7]
	v_accvgpr_write_b32 a0, v6
	scratch_load_dwordx4 v[180:183], off, off offset:912
	v_accvgpr_write_b32 a1, v7
	ds_read_b128 v[8:11], v2 offset:1840
	s_waitcnt vmcnt(6) lgkmcnt(1)
	v_mul_f64 v[6:7], v[236:237], v[74:75]
	v_fma_f64 v[44:45], v[246:247], v[188:189], -v[44:45]
	v_fmac_f64_e32 v[6:7], v[238:239], v[72:73]
	scratch_load_dwordx4 v[188:191], off, off offset:928
	v_add_f64 v[0:1], v[0:1], v[6:7]
	v_mul_f64 v[6:7], v[138:139], v[226:227]
	v_fma_f64 v[6:7], v[136:137], v[224:225], -v[6:7]
	scratch_load_dwordx4 v[136:139], off, off offset:944
	scratch_load_dwordx4 v[204:207], off, off offset:960
	;; [unrolled: 1-line block ×5, first 2 shown]
	v_add_f64 v[14:15], v[16:17], v[14:15]
	v_add_f64 v[14:15], v[14:15], v[40:41]
	;; [unrolled: 1-line block ×4, first 2 shown]
	v_accvgpr_write_b32 a173, v7
	v_add_f64 v[12:13], v[12:13], v[248:249]
	v_accvgpr_write_b32 a172, v6
	v_add_f64 v[248:249], v[12:13], v[4:5]
	v_accvgpr_read_b32 v5, a1
	v_accvgpr_read_b32 v4, a0
	v_accvgpr_read_b32 v12, a172
	v_accvgpr_read_b32 v14, a128
	v_add_f64 v[4:5], v[248:249], v[4:5]
	v_accvgpr_read_b32 v13, a173
	v_accvgpr_read_b32 v16, a130
	v_accvgpr_read_b32 v17, a131
	v_add_f64 v[4:5], v[4:5], v[12:13]
	v_accvgpr_read_b32 v15, a129
	v_mul_f64 v[12:13], v[90:91], v[16:17]
	v_fma_f64 v[12:13], v[88:89], v[14:15], -v[12:13]
	v_accvgpr_read_b32 v14, a132
	v_accvgpr_read_b32 v16, a134
	v_accvgpr_read_b32 v17, a135
	v_add_f64 v[4:5], v[4:5], v[12:13]
	v_accvgpr_read_b32 v15, a133
	v_mul_f64 v[12:13], v[94:95], v[16:17]
	v_fma_f64 v[12:13], v[92:93], v[14:15], -v[12:13]
	;; [unrolled: 7-line block ×11, first 2 shown]
	v_add_f64 v[4:5], v[4:5], v[12:13]
	v_mul_f64 v[12:13], v[134:135], v[50:51]
	v_fma_f64 v[12:13], v[132:133], v[48:49], -v[12:13]
	v_add_f64 v[4:5], v[4:5], v[12:13]
	v_mul_f64 v[12:13], v[244:245], v[54:55]
	ds_read_b128 v[164:167], v2 offset:1856
	ds_read_b128 v[168:171], v2 offset:1872
	v_fma_f64 v[12:13], v[242:243], v[52:53], -v[12:13]
	v_add_f64 v[4:5], v[4:5], v[12:13]
	v_mul_f64 v[12:13], v[142:143], v[58:59]
	v_fma_f64 v[12:13], v[140:141], v[56:57], -v[12:13]
	s_waitcnt vmcnt(10) lgkmcnt(2)
	v_mul_f64 v[6:7], v[8:9], v[78:79]
	v_add_f64 v[4:5], v[4:5], v[12:13]
	v_mul_f64 v[12:13], v[146:147], v[62:63]
	v_fmac_f64_e32 v[6:7], v[10:11], v[76:77]
	ds_read_b128 v[176:179], v2 offset:1888
	ds_read_b128 v[184:187], v2 offset:1904
	v_fma_f64 v[12:13], v[144:145], v[60:61], -v[12:13]
	v_add_f64 v[0:1], v[0:1], v[6:7]
	s_waitcnt vmcnt(9) lgkmcnt(3)
	v_mul_f64 v[6:7], v[164:165], v[82:83]
	v_add_f64 v[4:5], v[4:5], v[12:13]
	v_mul_f64 v[12:13], v[150:151], v[66:67]
	v_fmac_f64_e32 v[6:7], v[166:167], v[80:81]
	v_fma_f64 v[12:13], v[148:149], v[64:65], -v[12:13]
	v_add_f64 v[0:1], v[0:1], v[6:7]
	s_waitcnt vmcnt(8) lgkmcnt(2)
	v_mul_f64 v[6:7], v[168:169], v[86:87]
	v_add_f64 v[4:5], v[4:5], v[12:13]
	v_mul_f64 v[12:13], v[252:253], v[70:71]
	v_fmac_f64_e32 v[6:7], v[170:171], v[84:85]
	ds_read_b128 v[192:195], v2 offset:1920
	ds_read_b128 v[200:203], v2 offset:1936
	v_fma_f64 v[12:13], v[250:251], v[68:69], -v[12:13]
	v_add_f64 v[0:1], v[0:1], v[6:7]
	s_waitcnt vmcnt(7) lgkmcnt(3)
	v_mul_f64 v[6:7], v[176:177], v[174:175]
	v_add_f64 v[4:5], v[4:5], v[12:13]
	v_mul_f64 v[12:13], v[238:239], v[74:75]
	v_fmac_f64_e32 v[6:7], v[178:179], v[172:173]
	v_fma_f64 v[12:13], v[236:237], v[72:73], -v[12:13]
	v_mul_f64 v[10:11], v[10:11], v[78:79]
	v_add_f64 v[0:1], v[0:1], v[6:7]
	s_waitcnt vmcnt(6) lgkmcnt(2)
	v_mul_f64 v[6:7], v[184:185], v[182:183]
	v_add_f64 v[4:5], v[4:5], v[12:13]
	v_fma_f64 v[8:9], v[8:9], v[76:77], -v[10:11]
	v_fmac_f64_e32 v[6:7], v[186:187], v[180:181]
	ds_read_b128 v[208:211], v2 offset:1952
	ds_read_b128 v[216:219], v2 offset:1968
	v_add_f64 v[4:5], v[4:5], v[8:9]
	v_mul_f64 v[8:9], v[166:167], v[82:83]
	v_add_f64 v[0:1], v[0:1], v[6:7]
	s_waitcnt vmcnt(5) lgkmcnt(3)
	v_mul_f64 v[6:7], v[192:193], v[190:191]
	v_fma_f64 v[8:9], v[164:165], v[80:81], -v[8:9]
	v_fmac_f64_e32 v[6:7], v[194:195], v[188:189]
	v_add_f64 v[4:5], v[4:5], v[8:9]
	v_mul_f64 v[8:9], v[170:171], v[86:87]
	v_add_f64 v[0:1], v[0:1], v[6:7]
	s_waitcnt vmcnt(4) lgkmcnt(2)
	v_mul_f64 v[6:7], v[200:201], v[138:139]
	v_fma_f64 v[8:9], v[168:169], v[84:85], -v[8:9]
	v_fmac_f64_e32 v[6:7], v[202:203], v[136:137]
	ds_read_b128 v[224:227], v2 offset:1984
	v_add_f64 v[4:5], v[4:5], v[8:9]
	v_mul_f64 v[8:9], v[178:179], v[174:175]
	v_add_f64 v[0:1], v[0:1], v[6:7]
	s_waitcnt vmcnt(3) lgkmcnt(2)
	v_mul_f64 v[6:7], v[208:209], v[206:207]
	v_fma_f64 v[8:9], v[176:177], v[172:173], -v[8:9]
	v_fmac_f64_e32 v[6:7], v[210:211], v[204:205]
	v_add_f64 v[4:5], v[4:5], v[8:9]
	v_mul_f64 v[8:9], v[186:187], v[182:183]
	v_add_f64 v[0:1], v[0:1], v[6:7]
	s_waitcnt vmcnt(2) lgkmcnt(1)
	v_mul_f64 v[6:7], v[216:217], v[214:215]
	v_fma_f64 v[8:9], v[184:185], v[180:181], -v[8:9]
	v_fmac_f64_e32 v[6:7], v[218:219], v[212:213]
	;; [unrolled: 7-line block ×3, first 2 shown]
	v_add_f64 v[4:5], v[4:5], v[8:9]
	v_mul_f64 v[8:9], v[202:203], v[138:139]
	v_add_f64 v[6:7], v[0:1], v[6:7]
	ds_read_b128 v[0:3], v2 offset:2000
	v_fma_f64 v[8:9], v[200:201], v[136:137], -v[8:9]
	v_add_f64 v[4:5], v[4:5], v[8:9]
	v_mul_f64 v[8:9], v[210:211], v[206:207]
	v_fma_f64 v[8:9], v[208:209], v[204:205], -v[8:9]
	v_add_f64 v[4:5], v[4:5], v[8:9]
	v_mul_f64 v[8:9], v[218:219], v[214:215]
	v_fma_f64 v[8:9], v[216:217], v[212:213], -v[8:9]
	s_waitcnt vmcnt(0) lgkmcnt(0)
	v_mul_f64 v[246:247], v[0:1], v[230:231]
	v_add_f64 v[4:5], v[4:5], v[8:9]
	v_mul_f64 v[8:9], v[226:227], v[222:223]
	v_fmac_f64_e32 v[246:247], v[2:3], v[228:229]
	v_fma_f64 v[8:9], v[224:225], v[220:221], -v[8:9]
	v_mul_f64 v[2:3], v[2:3], v[230:231]
	v_add_f64 v[4:5], v[4:5], v[8:9]
	v_fma_f64 v[0:1], v[0:1], v[228:229], -v[2:3]
	v_add_f64 v[6:7], v[6:7], v[246:247]
	v_add_f64 v[0:1], v[4:5], v[0:1]
	v_add_f64 v[0:1], v[232:233], -v[0:1]
	v_add_f64 v[2:3], v[234:235], -v[6:7]
	scratch_store_dwordx4 off, v[0:3], off offset:16
	s_cbranch_vccz .LBB126_528
; %bb.404:
	s_nop 0
	v_mov_b32_e32 v0, 0
	global_load_dword v1, v0, s[12:13] offset:244
	s_waitcnt vmcnt(0)
	v_readfirstlane_b32 s0, v1
	s_add_i32 s0, s0, -1
	s_cmp_lg_u32 s0, 61
	s_cbranch_scc0 .LBB126_406
; %bb.405:
	s_lshl_b32 s0, s0, 4
	s_add_i32 s0, s0, 16
	scratch_load_dwordx4 v[2:5], off, s0
	scratch_load_dwordx4 v[6:9], off, s15
	s_waitcnt vmcnt(1)
	scratch_store_dwordx4 off, v[2:5], s15
	s_waitcnt vmcnt(1)
	scratch_store_dwordx4 off, v[6:9], s0
.LBB126_406:
	global_load_dword v0, v0, s[12:13] offset:240
	s_waitcnt vmcnt(0)
	v_readfirstlane_b32 s0, v0
	s_add_i32 s0, s0, -1
	s_cmp_eq_u32 s0, 60
	s_cbranch_scc1 .LBB126_408
; %bb.407:
	s_lshl_b32 s0, s0, 4
	s_add_i32 s0, s0, 16
	scratch_load_dwordx4 v[0:3], off, s0
	scratch_load_dwordx4 v[4:7], off, s49
	s_waitcnt vmcnt(1)
	scratch_store_dwordx4 off, v[0:3], s49
	s_waitcnt vmcnt(1)
	scratch_store_dwordx4 off, v[4:7], s0
.LBB126_408:
	v_mov_b32_e32 v0, 0
	global_load_dword v1, v0, s[12:13] offset:236
	s_waitcnt vmcnt(0)
	v_readfirstlane_b32 s0, v1
	s_add_i32 s0, s0, -1
	s_cmp_eq_u32 s0, 59
	s_cbranch_scc1 .LBB126_410
; %bb.409:
	s_lshl_b32 s0, s0, 4
	s_add_i32 s0, s0, 16
	scratch_load_dwordx4 v[2:5], off, s0
	scratch_load_dwordx4 v[6:9], off, s50
	s_waitcnt vmcnt(1)
	scratch_store_dwordx4 off, v[2:5], s50
	s_waitcnt vmcnt(1)
	scratch_store_dwordx4 off, v[6:9], s0
.LBB126_410:
	global_load_dword v0, v0, s[12:13] offset:232
	s_waitcnt vmcnt(0)
	v_readfirstlane_b32 s0, v0
	s_add_i32 s0, s0, -1
	s_cmp_eq_u32 s0, 58
	s_cbranch_scc1 .LBB126_412
; %bb.411:
	s_lshl_b32 s0, s0, 4
	s_add_i32 s0, s0, 16
	scratch_load_dwordx4 v[0:3], off, s0
	scratch_load_dwordx4 v[4:7], off, s89
	s_waitcnt vmcnt(1)
	scratch_store_dwordx4 off, v[0:3], s89
	s_waitcnt vmcnt(1)
	scratch_store_dwordx4 off, v[4:7], s0
.LBB126_412:
	v_mov_b32_e32 v0, 0
	global_load_dword v1, v0, s[12:13] offset:228
	s_waitcnt vmcnt(0)
	v_readfirstlane_b32 s0, v1
	s_add_i32 s0, s0, -1
	s_cmp_eq_u32 s0, 57
	s_cbranch_scc1 .LBB126_414
; %bb.413:
	s_lshl_b32 s0, s0, 4
	s_add_i32 s0, s0, 16
	scratch_load_dwordx4 v[2:5], off, s0
	scratch_load_dwordx4 v[6:9], off, s90
	s_waitcnt vmcnt(1)
	scratch_store_dwordx4 off, v[2:5], s90
	s_waitcnt vmcnt(1)
	scratch_store_dwordx4 off, v[6:9], s0
.LBB126_414:
	;; [unrolled: 33-line block ×30, first 2 shown]
	global_load_dword v0, v0, s[12:13]
	s_waitcnt vmcnt(0)
	v_readfirstlane_b32 s0, v0
	s_add_i32 s0, s0, -1
	s_cmp_eq_u32 s0, 0
	s_cbranch_scc1 .LBB126_528
; %bb.527:
	s_lshl_b32 s0, s0, 4
	s_add_i32 s0, s0, 16
	scratch_load_dwordx4 v[0:3], off, s0
	scratch_load_dwordx4 v[4:7], off, off offset:16
	s_waitcnt vmcnt(1)
	scratch_store_dwordx4 off, v[0:3], off offset:16
	s_waitcnt vmcnt(1)
	scratch_store_dwordx4 off, v[4:7], s0
.LBB126_528:
	scratch_load_dwordx4 v[0:3], off, off offset:16
	s_nop 0
	v_accvgpr_read_b32 v5, a3
	v_accvgpr_read_b32 v4, a2
	s_waitcnt vmcnt(0)
	flat_store_dwordx4 v[4:5], v[0:3]
	scratch_load_dwordx4 v[0:3], off, s88
	v_accvgpr_read_b32 v4, a4
	v_accvgpr_read_b32 v5, a5
	s_waitcnt vmcnt(0)
	flat_store_dwordx4 v[4:5], v[0:3]
	scratch_load_dwordx4 v[0:3], off, s87
	;; [unrolled: 5-line block ×62, first 2 shown]
	v_accvgpr_read_b32 v4, a126
	v_accvgpr_read_b32 v5, a127
	s_waitcnt vmcnt(0)
	flat_store_dwordx4 v[4:5], v[0:3]
	s_endpgm
	.section	.rodata,"a",@progbits
	.p2align	6, 0x0
	.amdhsa_kernel _ZN9rocsolver6v33100L18getri_kernel_smallILi63E19rocblas_complex_numIdEPKPS3_EEvT1_iilPiilS8_bb
		.amdhsa_group_segment_fixed_size 2024
		.amdhsa_private_segment_fixed_size 1040
		.amdhsa_kernarg_size 60
		.amdhsa_user_sgpr_count 2
		.amdhsa_user_sgpr_dispatch_ptr 0
		.amdhsa_user_sgpr_queue_ptr 0
		.amdhsa_user_sgpr_kernarg_segment_ptr 1
		.amdhsa_user_sgpr_dispatch_id 0
		.amdhsa_user_sgpr_kernarg_preload_length 0
		.amdhsa_user_sgpr_kernarg_preload_offset 0
		.amdhsa_user_sgpr_private_segment_size 0
		.amdhsa_uses_dynamic_stack 0
		.amdhsa_enable_private_segment 1
		.amdhsa_system_sgpr_workgroup_id_x 1
		.amdhsa_system_sgpr_workgroup_id_y 0
		.amdhsa_system_sgpr_workgroup_id_z 0
		.amdhsa_system_sgpr_workgroup_info 0
		.amdhsa_system_vgpr_workitem_id 0
		.amdhsa_next_free_vgpr 432
		.amdhsa_next_free_sgpr 98
		.amdhsa_accum_offset 256
		.amdhsa_reserve_vcc 1
		.amdhsa_float_round_mode_32 0
		.amdhsa_float_round_mode_16_64 0
		.amdhsa_float_denorm_mode_32 3
		.amdhsa_float_denorm_mode_16_64 3
		.amdhsa_dx10_clamp 1
		.amdhsa_ieee_mode 1
		.amdhsa_fp16_overflow 0
		.amdhsa_tg_split 0
		.amdhsa_exception_fp_ieee_invalid_op 0
		.amdhsa_exception_fp_denorm_src 0
		.amdhsa_exception_fp_ieee_div_zero 0
		.amdhsa_exception_fp_ieee_overflow 0
		.amdhsa_exception_fp_ieee_underflow 0
		.amdhsa_exception_fp_ieee_inexact 0
		.amdhsa_exception_int_div_zero 0
	.end_amdhsa_kernel
	.section	.text._ZN9rocsolver6v33100L18getri_kernel_smallILi63E19rocblas_complex_numIdEPKPS3_EEvT1_iilPiilS8_bb,"axG",@progbits,_ZN9rocsolver6v33100L18getri_kernel_smallILi63E19rocblas_complex_numIdEPKPS3_EEvT1_iilPiilS8_bb,comdat
.Lfunc_end126:
	.size	_ZN9rocsolver6v33100L18getri_kernel_smallILi63E19rocblas_complex_numIdEPKPS3_EEvT1_iilPiilS8_bb, .Lfunc_end126-_ZN9rocsolver6v33100L18getri_kernel_smallILi63E19rocblas_complex_numIdEPKPS3_EEvT1_iilPiilS8_bb
                                        ; -- End function
	.set _ZN9rocsolver6v33100L18getri_kernel_smallILi63E19rocblas_complex_numIdEPKPS3_EEvT1_iilPiilS8_bb.num_vgpr, 256
	.set _ZN9rocsolver6v33100L18getri_kernel_smallILi63E19rocblas_complex_numIdEPKPS3_EEvT1_iilPiilS8_bb.num_agpr, 176
	.set _ZN9rocsolver6v33100L18getri_kernel_smallILi63E19rocblas_complex_numIdEPKPS3_EEvT1_iilPiilS8_bb.numbered_sgpr, 98
	.set _ZN9rocsolver6v33100L18getri_kernel_smallILi63E19rocblas_complex_numIdEPKPS3_EEvT1_iilPiilS8_bb.num_named_barrier, 0
	.set _ZN9rocsolver6v33100L18getri_kernel_smallILi63E19rocblas_complex_numIdEPKPS3_EEvT1_iilPiilS8_bb.private_seg_size, 1040
	.set _ZN9rocsolver6v33100L18getri_kernel_smallILi63E19rocblas_complex_numIdEPKPS3_EEvT1_iilPiilS8_bb.uses_vcc, 1
	.set _ZN9rocsolver6v33100L18getri_kernel_smallILi63E19rocblas_complex_numIdEPKPS3_EEvT1_iilPiilS8_bb.uses_flat_scratch, 0
	.set _ZN9rocsolver6v33100L18getri_kernel_smallILi63E19rocblas_complex_numIdEPKPS3_EEvT1_iilPiilS8_bb.has_dyn_sized_stack, 0
	.set _ZN9rocsolver6v33100L18getri_kernel_smallILi63E19rocblas_complex_numIdEPKPS3_EEvT1_iilPiilS8_bb.has_recursion, 0
	.set _ZN9rocsolver6v33100L18getri_kernel_smallILi63E19rocblas_complex_numIdEPKPS3_EEvT1_iilPiilS8_bb.has_indirect_call, 0
	.section	.AMDGPU.csdata,"",@progbits
; Kernel info:
; codeLenInByte = 168384
; TotalNumSgprs: 104
; NumVgprs: 256
; NumAgprs: 176
; TotalNumVgprs: 432
; ScratchSize: 1040
; MemoryBound: 0
; FloatMode: 240
; IeeeMode: 1
; LDSByteSize: 2024 bytes/workgroup (compile time only)
; SGPRBlocks: 12
; VGPRBlocks: 53
; NumSGPRsForWavesPerEU: 104
; NumVGPRsForWavesPerEU: 432
; AccumOffset: 256
; Occupancy: 1
; WaveLimiterHint : 1
; COMPUTE_PGM_RSRC2:SCRATCH_EN: 1
; COMPUTE_PGM_RSRC2:USER_SGPR: 2
; COMPUTE_PGM_RSRC2:TRAP_HANDLER: 0
; COMPUTE_PGM_RSRC2:TGID_X_EN: 1
; COMPUTE_PGM_RSRC2:TGID_Y_EN: 0
; COMPUTE_PGM_RSRC2:TGID_Z_EN: 0
; COMPUTE_PGM_RSRC2:TIDIG_COMP_CNT: 0
; COMPUTE_PGM_RSRC3_GFX90A:ACCUM_OFFSET: 63
; COMPUTE_PGM_RSRC3_GFX90A:TG_SPLIT: 0
	.section	.text._ZN9rocsolver6v33100L18getri_kernel_smallILi64E19rocblas_complex_numIdEPKPS3_EEvT1_iilPiilS8_bb,"axG",@progbits,_ZN9rocsolver6v33100L18getri_kernel_smallILi64E19rocblas_complex_numIdEPKPS3_EEvT1_iilPiilS8_bb,comdat
	.globl	_ZN9rocsolver6v33100L18getri_kernel_smallILi64E19rocblas_complex_numIdEPKPS3_EEvT1_iilPiilS8_bb ; -- Begin function _ZN9rocsolver6v33100L18getri_kernel_smallILi64E19rocblas_complex_numIdEPKPS3_EEvT1_iilPiilS8_bb
	.p2align	8
	.type	_ZN9rocsolver6v33100L18getri_kernel_smallILi64E19rocblas_complex_numIdEPKPS3_EEvT1_iilPiilS8_bb,@function
_ZN9rocsolver6v33100L18getri_kernel_smallILi64E19rocblas_complex_numIdEPKPS3_EEvT1_iilPiilS8_bb: ; @_ZN9rocsolver6v33100L18getri_kernel_smallILi64E19rocblas_complex_numIdEPKPS3_EEvT1_iilPiilS8_bb
; %bb.0:
	v_cmp_gt_u32_e32 vcc, 64, v0
	s_and_saveexec_b64 s[4:5], vcc
	s_cbranch_execz .LBB127_282
; %bb.1:
	s_load_dword s12, s[0:1], 0x38
	s_load_dwordx2 s[4:5], s[0:1], 0x0
	s_load_dwordx4 s[8:11], s[0:1], 0x28
                                        ; implicit-def: $vgpr255 : SGPR spill to VGPR lane
	s_waitcnt lgkmcnt(0)
	s_bitcmp1_b32 s12, 8
	s_cselect_b64 s[6:7], -1, 0
	v_writelane_b32 v255, s6, 0
	s_ashr_i32 s3, s2, 31
	s_nop 0
	v_writelane_b32 v255, s7, 1
	s_lshl_b64 s[6:7], s[2:3], 3
	s_add_u32 s4, s4, s6
	s_addc_u32 s5, s5, s7
	s_load_dwordx2 s[6:7], s[4:5], 0x0
	s_bfe_u32 s4, s12, 0x10008
	s_cmp_eq_u32 s4, 0
                                        ; implicit-def: $sgpr12_sgpr13
	s_cbranch_scc1 .LBB127_3
; %bb.2:
	s_load_dword s4, s[0:1], 0x20
	s_load_dwordx2 s[12:13], s[0:1], 0x18
	s_mul_i32 s5, s8, s3
	s_mul_hi_u32 s16, s8, s2
	s_add_i32 s16, s16, s5
	s_mul_i32 s9, s9, s2
	s_add_i32 s9, s16, s9
	s_mul_i32 s8, s8, s2
	s_waitcnt lgkmcnt(0)
	s_ashr_i32 s5, s4, 31
	s_lshl_b64 s[8:9], s[8:9], 2
	s_add_u32 s8, s12, s8
	s_addc_u32 s9, s13, s9
	s_lshl_b64 s[4:5], s[4:5], 2
	s_add_u32 s12, s8, s4
	s_addc_u32 s13, s9, s5
.LBB127_3:
	s_load_dwordx2 s[4:5], s[0:1], 0x8
	s_load_dword s8, s[0:1], 0x38
	v_lshlrev_b32_e32 v14, 4, v0
	v_mov_b32_e32 v15, 0
	s_movk_i32 s9, 0x80
	s_waitcnt lgkmcnt(0)
	s_ashr_i32 s1, s4, 31
	s_mov_b32 s0, s4
	s_lshl_b64 s[0:1], s[0:1], 4
	s_add_u32 s0, s6, s0
	s_addc_u32 s1, s7, s1
	v_lshl_add_u64 v[6:7], s[0:1], 0, v[14:15]
	flat_load_dwordx4 v[2:5], v[6:7]
	s_mov_b32 s6, s5
	s_ashr_i32 s7, s5, 31
	v_accvgpr_write_b32 a0, v6
	v_accvgpr_write_b32 a1, v7
	v_lshl_add_u64 v[6:7], s[6:7], 4, v[6:7]
	v_accvgpr_write_b32 a2, v6
	s_add_i32 s4, s5, s5
	v_accvgpr_write_b32 a3, v7
	s_movk_i32 s6, 0x60
	s_movk_i32 s7, 0x70
	;; [unrolled: 1-line block ×43, first 2 shown]
	s_movk_i32 vcc_lo, 0x350
	s_movk_i32 vcc_hi, 0x360
	s_movk_i32 s14, 0x370
	s_movk_i32 s15, 0x380
	;; [unrolled: 1-line block ×9, first 2 shown]
	s_add_i32 s84, s6, 16
	s_add_i32 s83, s7, 16
	;; [unrolled: 1-line block ×17, first 2 shown]
	s_waitcnt vmcnt(0) lgkmcnt(0)
	scratch_store_dwordx4 off, v[2:5], off offset:16
	flat_load_dwordx4 v[2:5], v[6:7]
	v_add_u32_e32 v6, s4, v0
	v_ashrrev_i32_e32 v7, 31, v6
	v_lshl_add_u64 v[8:9], v[6:7], 4, s[0:1]
	v_add_u32_e32 v6, s5, v6
	v_accvgpr_write_b32 a4, v8
	v_ashrrev_i32_e32 v7, 31, v6
	v_accvgpr_write_b32 a5, v9
	s_movk_i32 s4, 0x50
	s_add_i32 s85, s4, 16
	s_add_i32 s67, s30, 16
	;; [unrolled: 1-line block ×28, first 2 shown]
	s_add_i32 s37, vcc_lo, 16
	s_add_i32 s36, vcc_hi, 16
	s_add_i32 s35, s14, 16
	s_add_i32 s34, s15, 16
	;; [unrolled: 1-line block ×9, first 2 shown]
	s_mov_b32 s89, 32
	s_mov_b32 s88, 48
	s_mov_b32 s87, 64
	s_movk_i32 s86, 0x50
	s_waitcnt vmcnt(0) lgkmcnt(0)
	scratch_store_dwordx4 off, v[2:5], off offset:32
	flat_load_dwordx4 v[2:5], v[8:9]
	v_lshl_add_u64 v[8:9], v[6:7], 4, s[0:1]
	v_add_u32_e32 v6, s5, v6
	v_accvgpr_write_b32 a6, v8
	v_ashrrev_i32_e32 v7, 31, v6
	v_accvgpr_write_b32 a7, v9
	s_waitcnt vmcnt(0) lgkmcnt(0)
	scratch_store_dwordx4 off, v[2:5], off offset:48
	flat_load_dwordx4 v[2:5], v[8:9]
	v_lshl_add_u64 v[8:9], v[6:7], 4, s[0:1]
	v_add_u32_e32 v6, s5, v6
	v_accvgpr_write_b32 a8, v8
	v_ashrrev_i32_e32 v7, 31, v6
	v_accvgpr_write_b32 a9, v9
	;; [unrolled: 8-line block ×59, first 2 shown]
	s_waitcnt vmcnt(0) lgkmcnt(0)
	scratch_store_dwordx4 off, v[2:5], off offset:976
	flat_load_dwordx4 v[2:5], v[8:9]
	v_lshl_add_u64 v[8:9], v[6:7], 4, s[0:1]
	v_add_u32_e32 v6, s5, v6
	v_ashrrev_i32_e32 v7, 31, v6
	v_lshl_add_u64 v[6:7], v[6:7], 4, s[0:1]
	s_movk_i32 s0, 0x310
	s_movk_i32 s1, 0x320
	;; [unrolled: 1-line block ×3, first 2 shown]
	v_accvgpr_write_b32 a125, v9
	v_accvgpr_write_b32 a127, v7
	s_add_i32 s41, s0, 16
	s_add_i32 s40, s1, 16
	;; [unrolled: 1-line block ×3, first 2 shown]
	v_accvgpr_write_b32 a124, v8
	v_accvgpr_write_b32 a126, v6
	s_bitcmp0_b32 s8, 0
	s_mov_b64 s[4:5], -1
	s_waitcnt vmcnt(0) lgkmcnt(0)
	scratch_store_dwordx4 off, v[2:5], off offset:992
	flat_load_dwordx4 v[2:5], v[8:9]
	s_waitcnt vmcnt(0) lgkmcnt(0)
	scratch_store_dwordx4 off, v[2:5], off offset:1008
	flat_load_dwordx4 v[2:5], v[6:7]
	s_waitcnt vmcnt(0) lgkmcnt(0)
	scratch_store_dwordx4 off, v[2:5], off offset:1024
	s_cbranch_scc1 .LBB127_280
; %bb.4:
	v_cmp_eq_u32_e64 s[0:1], 0, v0
	s_and_saveexec_b64 s[4:5], s[0:1]
; %bb.5:
	v_mov_b32_e32 v1, 0
	ds_write_b32 v1, v1 offset:2048
; %bb.6:
	s_or_b64 exec, exec, s[4:5]
	s_waitcnt lgkmcnt(0)
	; wave barrier
	scratch_load_dwordx4 v[2:5], v14, off offset:16
	s_waitcnt vmcnt(0)
	v_cmp_eq_f64_e32 vcc, 0, v[2:3]
	v_cmp_eq_f64_e64 s[4:5], 0, v[4:5]
	s_and_b64 s[4:5], vcc, s[4:5]
	s_and_saveexec_b64 s[6:7], s[4:5]
	s_cbranch_execz .LBB127_10
; %bb.7:
	v_mov_b32_e32 v1, 0
	ds_read_b32 v3, v1 offset:2048
	v_add_u32_e32 v2, 1, v0
	s_waitcnt lgkmcnt(0)
	v_readfirstlane_b32 s4, v3
	s_cmp_eq_u32 s4, 0
	s_cselect_b64 s[8:9], -1, 0
	v_cmp_gt_i32_e32 vcc, s4, v2
	s_or_b64 s[8:9], s[8:9], vcc
	s_and_b64 exec, exec, s[8:9]
	s_cbranch_execz .LBB127_10
; %bb.8:
	s_mov_b64 s[8:9], 0
	v_mov_b32_e32 v3, s4
.LBB127_9:                              ; =>This Inner Loop Header: Depth=1
	ds_cmpst_rtn_b32 v3, v1, v3, v2 offset:2048
	s_waitcnt lgkmcnt(0)
	v_cmp_ne_u32_e32 vcc, 0, v3
	v_cmp_le_i32_e64 s[4:5], v3, v2
	s_and_b64 s[4:5], vcc, s[4:5]
	s_and_b64 s[4:5], exec, s[4:5]
	s_or_b64 s[8:9], s[4:5], s[8:9]
	s_andn2_b64 exec, exec, s[8:9]
	s_cbranch_execnz .LBB127_9
.LBB127_10:
	s_or_b64 exec, exec, s[6:7]
	v_mov_b32_e32 v2, 0
	; wave barrier
	ds_read_b32 v1, v2 offset:2048
	s_and_saveexec_b64 s[4:5], s[0:1]
	s_cbranch_execz .LBB127_12
; %bb.11:
	s_lshl_b64 s[6:7], s[2:3], 2
	s_add_u32 s6, s10, s6
	s_addc_u32 s7, s11, s7
	s_waitcnt lgkmcnt(0)
	global_store_dword v2, v1, s[6:7]
.LBB127_12:
	s_or_b64 exec, exec, s[4:5]
	s_waitcnt lgkmcnt(0)
	v_cmp_ne_u32_e32 vcc, 0, v1
	s_mov_b64 s[4:5], 0
	s_cbranch_vccnz .LBB127_280
; %bb.13:
	v_add_u32_e32 v15, 16, v14
	scratch_load_dwordx4 v[2:5], v15, off
                                        ; implicit-def: $vgpr6_vgpr7
                                        ; implicit-def: $vgpr10_vgpr11
	s_waitcnt vmcnt(0)
	v_cmp_ngt_f64_e64 s[4:5], |v[2:3]|, |v[4:5]|
	s_and_saveexec_b64 s[6:7], s[4:5]
	s_xor_b64 s[4:5], exec, s[6:7]
	s_cbranch_execz .LBB127_15
; %bb.14:
	v_div_scale_f64 v[6:7], s[6:7], v[4:5], v[4:5], v[2:3]
	v_rcp_f64_e32 v[8:9], v[6:7]
	v_div_scale_f64 v[10:11], vcc, v[2:3], v[4:5], v[2:3]
	v_fma_f64 v[12:13], -v[6:7], v[8:9], 1.0
	v_fmac_f64_e32 v[8:9], v[8:9], v[12:13]
	v_fma_f64 v[12:13], -v[6:7], v[8:9], 1.0
	v_fmac_f64_e32 v[8:9], v[8:9], v[12:13]
	v_mul_f64 v[12:13], v[10:11], v[8:9]
	v_fma_f64 v[6:7], -v[6:7], v[12:13], v[10:11]
	v_div_fmas_f64 v[6:7], v[6:7], v[8:9], v[12:13]
	v_div_fixup_f64 v[6:7], v[6:7], v[4:5], v[2:3]
	v_fmac_f64_e32 v[4:5], v[2:3], v[6:7]
	v_div_scale_f64 v[2:3], s[6:7], v[4:5], v[4:5], 1.0
	v_rcp_f64_e32 v[8:9], v[2:3]
	s_nop 0
	v_fma_f64 v[10:11], -v[2:3], v[8:9], 1.0
	v_fmac_f64_e32 v[8:9], v[8:9], v[10:11]
	v_fma_f64 v[10:11], -v[2:3], v[8:9], 1.0
	v_fmac_f64_e32 v[8:9], v[8:9], v[10:11]
	v_div_scale_f64 v[10:11], vcc, 1.0, v[4:5], 1.0
	v_mul_f64 v[12:13], v[10:11], v[8:9]
	v_fma_f64 v[2:3], -v[2:3], v[12:13], v[10:11]
	s_nop 1
	v_div_fmas_f64 v[2:3], v[2:3], v[8:9], v[12:13]
	v_div_fixup_f64 v[8:9], v[2:3], v[4:5], 1.0
	v_mul_f64 v[6:7], v[6:7], v[8:9]
	v_xor_b32_e32 v9, 0x80000000, v9
	v_xor_b32_e32 v11, 0x80000000, v7
	v_mov_b32_e32 v10, v6
                                        ; implicit-def: $vgpr2_vgpr3
.LBB127_15:
	s_andn2_saveexec_b64 s[4:5], s[4:5]
	s_cbranch_execz .LBB127_17
; %bb.16:
	v_div_scale_f64 v[6:7], s[6:7], v[2:3], v[2:3], v[4:5]
	v_rcp_f64_e32 v[8:9], v[6:7]
	v_div_scale_f64 v[10:11], vcc, v[4:5], v[2:3], v[4:5]
	v_fma_f64 v[12:13], -v[6:7], v[8:9], 1.0
	v_fmac_f64_e32 v[8:9], v[8:9], v[12:13]
	v_fma_f64 v[12:13], -v[6:7], v[8:9], 1.0
	v_fmac_f64_e32 v[8:9], v[8:9], v[12:13]
	v_mul_f64 v[12:13], v[10:11], v[8:9]
	v_fma_f64 v[6:7], -v[6:7], v[12:13], v[10:11]
	v_div_fmas_f64 v[6:7], v[6:7], v[8:9], v[12:13]
	v_div_fixup_f64 v[8:9], v[6:7], v[2:3], v[4:5]
	v_fmac_f64_e32 v[2:3], v[4:5], v[8:9]
	v_div_scale_f64 v[4:5], s[6:7], v[2:3], v[2:3], 1.0
	v_rcp_f64_e32 v[6:7], v[4:5]
	s_nop 0
	v_fma_f64 v[10:11], -v[4:5], v[6:7], 1.0
	v_fmac_f64_e32 v[6:7], v[6:7], v[10:11]
	v_fma_f64 v[10:11], -v[4:5], v[6:7], 1.0
	v_fmac_f64_e32 v[6:7], v[6:7], v[10:11]
	v_div_scale_f64 v[10:11], vcc, 1.0, v[2:3], 1.0
	v_mul_f64 v[12:13], v[10:11], v[6:7]
	v_fma_f64 v[4:5], -v[4:5], v[12:13], v[10:11]
	s_nop 1
	v_div_fmas_f64 v[4:5], v[4:5], v[6:7], v[12:13]
	v_div_fixup_f64 v[6:7], v[4:5], v[2:3], 1.0
	v_xor_b32_e32 v11, 0x80000000, v7
	v_mov_b32_e32 v10, v6
	v_mul_f64 v[8:9], v[8:9], -v[6:7]
.LBB127_17:
	s_or_b64 exec, exec, s[4:5]
	scratch_store_dwordx4 v15, v[6:9], off
	scratch_load_dwordx4 v[2:5], off, s89
	v_xor_b32_e32 v13, 0x80000000, v9
	v_mov_b32_e32 v12, v8
	v_or_b32_e32 v1, 0x400, v14
	ds_write_b128 v14, v[10:13]
	s_waitcnt vmcnt(0)
	ds_write_b128 v14, v[2:5] offset:1024
	s_waitcnt lgkmcnt(0)
	; wave barrier
	s_and_saveexec_b64 s[4:5], s[0:1]
	s_cbranch_execz .LBB127_19
; %bb.18:
	scratch_load_dwordx4 v[2:5], v15, off
	ds_read_b128 v[6:9], v1
	v_mov_b32_e32 v10, 0
	ds_read_b128 v[10:13], v10 offset:16
	s_waitcnt vmcnt(0) lgkmcnt(1)
	v_mul_f64 v[16:17], v[8:9], v[4:5]
	v_mul_f64 v[4:5], v[6:7], v[4:5]
	v_fma_f64 v[6:7], v[6:7], v[2:3], -v[16:17]
	v_fmac_f64_e32 v[4:5], v[8:9], v[2:3]
	v_add_f64 v[2:3], v[6:7], 0
	v_add_f64 v[6:7], v[4:5], 0
	s_waitcnt lgkmcnt(0)
	v_mul_f64 v[8:9], v[6:7], v[12:13]
	v_mul_f64 v[4:5], v[2:3], v[12:13]
	v_fma_f64 v[2:3], v[2:3], v[10:11], -v[8:9]
	v_fmac_f64_e32 v[4:5], v[6:7], v[10:11]
	scratch_store_dwordx4 off, v[2:5], off offset:32
.LBB127_19:
	s_or_b64 exec, exec, s[4:5]
	; wave barrier
	scratch_load_dwordx4 v[2:5], off, s88
	v_cmp_gt_u32_e32 vcc, 2, v0
	s_waitcnt vmcnt(0)
	ds_write_b128 v1, v[2:5]
	s_waitcnt lgkmcnt(0)
	; wave barrier
	s_and_saveexec_b64 s[4:5], vcc
	s_cbranch_execz .LBB127_23
; %bb.20:
	scratch_load_dwordx4 v[2:5], v15, off
	ds_read_b128 v[6:9], v1
	s_waitcnt vmcnt(0) lgkmcnt(0)
	v_mul_f64 v[10:11], v[8:9], v[4:5]
	v_mul_f64 v[12:13], v[6:7], v[4:5]
	v_fma_f64 v[4:5], v[6:7], v[2:3], -v[10:11]
	v_fmac_f64_e32 v[12:13], v[8:9], v[2:3]
	v_add_f64 v[4:5], v[4:5], 0
	v_add_f64 v[2:3], v[12:13], 0
	s_and_saveexec_b64 s[6:7], s[0:1]
	s_cbranch_execz .LBB127_22
; %bb.21:
	scratch_load_dwordx4 v[6:9], off, off offset:32
	v_mov_b32_e32 v10, 0
	ds_read_b128 v[10:13], v10 offset:1040
	s_waitcnt vmcnt(0) lgkmcnt(0)
	v_mul_f64 v[16:17], v[10:11], v[8:9]
	v_mul_f64 v[8:9], v[12:13], v[8:9]
	v_fmac_f64_e32 v[16:17], v[12:13], v[6:7]
	v_fma_f64 v[6:7], v[10:11], v[6:7], -v[8:9]
	v_add_f64 v[2:3], v[2:3], v[16:17]
	v_add_f64 v[4:5], v[4:5], v[6:7]
.LBB127_22:
	s_or_b64 exec, exec, s[6:7]
	v_mov_b32_e32 v6, 0
	ds_read_b128 v[6:9], v6 offset:32
	s_waitcnt lgkmcnt(0)
	v_mul_f64 v[12:13], v[2:3], v[8:9]
	v_mul_f64 v[10:11], v[4:5], v[8:9]
	v_fma_f64 v[8:9], v[4:5], v[6:7], -v[12:13]
	v_fmac_f64_e32 v[10:11], v[2:3], v[6:7]
	scratch_store_dwordx4 off, v[8:11], off offset:48
.LBB127_23:
	s_or_b64 exec, exec, s[4:5]
	; wave barrier
	scratch_load_dwordx4 v[2:5], off, s87
	v_cmp_gt_u32_e64 s[4:5], 3, v0
	v_add_u32_e32 v6, -1, v0
	s_waitcnt vmcnt(0)
	ds_write_b128 v1, v[2:5]
	s_waitcnt lgkmcnt(0)
	; wave barrier
	s_and_saveexec_b64 s[6:7], s[4:5]
	s_cbranch_execz .LBB127_27
; %bb.24:
	v_add_u32_e32 v7, -1, v0
	v_or_b32_e32 v8, 0x400, v14
	v_add_u32_e32 v9, 16, v14
	v_mov_b64_e32 v[2:3], 0
	s_mov_b64 s[8:9], 0
	v_mov_b64_e32 v[4:5], 0
.LBB127_25:                             ; =>This Inner Loop Header: Depth=1
	scratch_load_dwordx4 v[10:13], v9, off
	ds_read_b128 v[16:19], v8
	v_add_u32_e32 v7, 1, v7
	v_cmp_lt_u32_e64 s[4:5], 1, v7
	v_add_u32_e32 v8, 16, v8
	v_add_u32_e32 v9, 16, v9
	s_or_b64 s[8:9], s[4:5], s[8:9]
	s_waitcnt vmcnt(0) lgkmcnt(0)
	v_mul_f64 v[20:21], v[18:19], v[12:13]
	v_mul_f64 v[12:13], v[16:17], v[12:13]
	v_fma_f64 v[16:17], v[16:17], v[10:11], -v[20:21]
	v_fmac_f64_e32 v[12:13], v[18:19], v[10:11]
	v_add_f64 v[4:5], v[4:5], v[16:17]
	v_add_f64 v[2:3], v[2:3], v[12:13]
	s_andn2_b64 exec, exec, s[8:9]
	s_cbranch_execnz .LBB127_25
; %bb.26:
	s_or_b64 exec, exec, s[8:9]
	v_mov_b32_e32 v7, 0
	ds_read_b128 v[8:11], v7 offset:48
	s_waitcnt lgkmcnt(0)
	v_mul_f64 v[16:17], v[2:3], v[10:11]
	v_mul_f64 v[12:13], v[4:5], v[10:11]
	v_fma_f64 v[10:11], v[4:5], v[8:9], -v[16:17]
	v_fmac_f64_e32 v[12:13], v[2:3], v[8:9]
	scratch_store_dwordx4 off, v[10:13], off offset:64
.LBB127_27:
	s_or_b64 exec, exec, s[6:7]
	; wave barrier
	scratch_load_dwordx4 v[2:5], off, s86
	v_cmp_gt_u32_e64 s[4:5], 4, v0
	s_waitcnt vmcnt(0)
	ds_write_b128 v1, v[2:5]
	s_waitcnt lgkmcnt(0)
	; wave barrier
	s_and_saveexec_b64 s[8:9], s[4:5]
	s_cbranch_execz .LBB127_31
; %bb.28:
	v_add_u32_e32 v7, -1, v0
	v_or_b32_e32 v8, 0x400, v14
	v_add_u32_e32 v9, 16, v14
	v_mov_b64_e32 v[2:3], 0
	s_mov_b64 s[16:17], 0
	v_mov_b64_e32 v[4:5], 0
.LBB127_29:                             ; =>This Inner Loop Header: Depth=1
	scratch_load_dwordx4 v[10:13], v9, off
	ds_read_b128 v[16:19], v8
	v_add_u32_e32 v7, 1, v7
	v_cmp_lt_u32_e64 s[6:7], 2, v7
	v_add_u32_e32 v8, 16, v8
	v_add_u32_e32 v9, 16, v9
	s_or_b64 s[16:17], s[6:7], s[16:17]
	s_waitcnt vmcnt(0) lgkmcnt(0)
	v_mul_f64 v[20:21], v[18:19], v[12:13]
	v_mul_f64 v[12:13], v[16:17], v[12:13]
	v_fma_f64 v[16:17], v[16:17], v[10:11], -v[20:21]
	v_fmac_f64_e32 v[12:13], v[18:19], v[10:11]
	v_add_f64 v[4:5], v[4:5], v[16:17]
	v_add_f64 v[2:3], v[2:3], v[12:13]
	s_andn2_b64 exec, exec, s[16:17]
	s_cbranch_execnz .LBB127_29
; %bb.30:
	s_or_b64 exec, exec, s[16:17]
	v_mov_b32_e32 v7, 0
	ds_read_b128 v[8:11], v7 offset:64
	s_waitcnt lgkmcnt(0)
	v_mul_f64 v[16:17], v[2:3], v[10:11]
	v_mul_f64 v[12:13], v[4:5], v[10:11]
	v_fma_f64 v[10:11], v[4:5], v[8:9], -v[16:17]
	v_fmac_f64_e32 v[12:13], v[2:3], v[8:9]
	scratch_store_dwordx4 off, v[10:13], off offset:80
.LBB127_31:
	s_or_b64 exec, exec, s[8:9]
	; wave barrier
	scratch_load_dwordx4 v[2:5], off, s85
	v_cmp_gt_u32_e64 s[6:7], 5, v0
	s_waitcnt vmcnt(0)
	ds_write_b128 v1, v[2:5]
	s_waitcnt lgkmcnt(0)
	; wave barrier
	s_and_saveexec_b64 s[8:9], s[6:7]
	s_cbranch_execz .LBB127_35
; %bb.32:
	v_add_u32_e32 v7, -1, v0
	v_or_b32_e32 v8, 0x400, v14
	v_add_u32_e32 v9, 16, v14
	v_mov_b64_e32 v[2:3], 0
	s_mov_b64 s[16:17], 0
	v_mov_b64_e32 v[4:5], 0
.LBB127_33:                             ; =>This Inner Loop Header: Depth=1
	scratch_load_dwordx4 v[10:13], v9, off
	ds_read_b128 v[16:19], v8
	v_add_u32_e32 v7, 1, v7
	v_cmp_lt_u32_e64 s[6:7], 3, v7
	v_add_u32_e32 v8, 16, v8
	v_add_u32_e32 v9, 16, v9
	s_or_b64 s[16:17], s[6:7], s[16:17]
	s_waitcnt vmcnt(0) lgkmcnt(0)
	v_mul_f64 v[20:21], v[18:19], v[12:13]
	v_mul_f64 v[12:13], v[16:17], v[12:13]
	v_fma_f64 v[16:17], v[16:17], v[10:11], -v[20:21]
	v_fmac_f64_e32 v[12:13], v[18:19], v[10:11]
	v_add_f64 v[4:5], v[4:5], v[16:17]
	v_add_f64 v[2:3], v[2:3], v[12:13]
	s_andn2_b64 exec, exec, s[16:17]
	s_cbranch_execnz .LBB127_33
; %bb.34:
	s_or_b64 exec, exec, s[16:17]
	v_mov_b32_e32 v7, 0
	ds_read_b128 v[8:11], v7 offset:80
	s_waitcnt lgkmcnt(0)
	v_mul_f64 v[16:17], v[2:3], v[10:11]
	v_mul_f64 v[12:13], v[4:5], v[10:11]
	v_fma_f64 v[10:11], v[4:5], v[8:9], -v[16:17]
	v_fmac_f64_e32 v[12:13], v[2:3], v[8:9]
	scratch_store_dwordx4 off, v[10:13], off offset:96
.LBB127_35:
	s_or_b64 exec, exec, s[8:9]
	; wave barrier
	scratch_load_dwordx4 v[2:5], off, s84
	v_cmp_gt_u32_e64 s[6:7], 6, v0
	s_waitcnt vmcnt(0)
	ds_write_b128 v1, v[2:5]
	s_waitcnt lgkmcnt(0)
	; wave barrier
	s_and_saveexec_b64 s[16:17], s[6:7]
	s_cbranch_execz .LBB127_39
; %bb.36:
	v_add_u32_e32 v7, -1, v0
	v_or_b32_e32 v8, 0x400, v14
	v_add_u32_e32 v9, 16, v14
	v_mov_b64_e32 v[2:3], 0
	s_mov_b64 s[18:19], 0
	v_mov_b64_e32 v[4:5], 0
.LBB127_37:                             ; =>This Inner Loop Header: Depth=1
	scratch_load_dwordx4 v[10:13], v9, off
	ds_read_b128 v[16:19], v8
	v_add_u32_e32 v7, 1, v7
	v_cmp_lt_u32_e64 s[8:9], 4, v7
	v_add_u32_e32 v8, 16, v8
	v_add_u32_e32 v9, 16, v9
	s_or_b64 s[18:19], s[8:9], s[18:19]
	s_waitcnt vmcnt(0) lgkmcnt(0)
	v_mul_f64 v[20:21], v[18:19], v[12:13]
	v_mul_f64 v[12:13], v[16:17], v[12:13]
	v_fma_f64 v[16:17], v[16:17], v[10:11], -v[20:21]
	v_fmac_f64_e32 v[12:13], v[18:19], v[10:11]
	v_add_f64 v[4:5], v[4:5], v[16:17]
	v_add_f64 v[2:3], v[2:3], v[12:13]
	s_andn2_b64 exec, exec, s[18:19]
	s_cbranch_execnz .LBB127_37
; %bb.38:
	s_or_b64 exec, exec, s[18:19]
	v_mov_b32_e32 v7, 0
	ds_read_b128 v[8:11], v7 offset:96
	s_waitcnt lgkmcnt(0)
	v_mul_f64 v[16:17], v[2:3], v[10:11]
	v_mul_f64 v[12:13], v[4:5], v[10:11]
	v_fma_f64 v[10:11], v[4:5], v[8:9], -v[16:17]
	v_fmac_f64_e32 v[12:13], v[2:3], v[8:9]
	scratch_store_dwordx4 off, v[10:13], off offset:112
.LBB127_39:
	s_or_b64 exec, exec, s[16:17]
	; wave barrier
	scratch_load_dwordx4 v[2:5], off, s83
	v_cmp_gt_u32_e64 s[8:9], 7, v0
	s_waitcnt vmcnt(0)
	ds_write_b128 v1, v[2:5]
	s_waitcnt lgkmcnt(0)
	; wave barrier
	s_and_saveexec_b64 s[16:17], s[8:9]
	s_cbranch_execz .LBB127_43
; %bb.40:
	v_add_u32_e32 v7, -1, v0
	v_or_b32_e32 v8, 0x400, v14
	v_add_u32_e32 v9, 16, v14
	v_mov_b64_e32 v[2:3], 0
	s_mov_b64 s[18:19], 0
	v_mov_b64_e32 v[4:5], 0
.LBB127_41:                             ; =>This Inner Loop Header: Depth=1
	scratch_load_dwordx4 v[10:13], v9, off
	ds_read_b128 v[16:19], v8
	v_add_u32_e32 v7, 1, v7
	v_cmp_lt_u32_e64 s[8:9], 5, v7
	v_add_u32_e32 v8, 16, v8
	v_add_u32_e32 v9, 16, v9
	s_or_b64 s[18:19], s[8:9], s[18:19]
	s_waitcnt vmcnt(0) lgkmcnt(0)
	v_mul_f64 v[20:21], v[18:19], v[12:13]
	v_mul_f64 v[12:13], v[16:17], v[12:13]
	v_fma_f64 v[16:17], v[16:17], v[10:11], -v[20:21]
	v_fmac_f64_e32 v[12:13], v[18:19], v[10:11]
	v_add_f64 v[4:5], v[4:5], v[16:17]
	v_add_f64 v[2:3], v[2:3], v[12:13]
	s_andn2_b64 exec, exec, s[18:19]
	s_cbranch_execnz .LBB127_41
; %bb.42:
	s_or_b64 exec, exec, s[18:19]
	v_mov_b32_e32 v7, 0
	ds_read_b128 v[8:11], v7 offset:112
	s_waitcnt lgkmcnt(0)
	v_mul_f64 v[16:17], v[2:3], v[10:11]
	v_mul_f64 v[12:13], v[4:5], v[10:11]
	v_fma_f64 v[10:11], v[4:5], v[8:9], -v[16:17]
	v_fmac_f64_e32 v[12:13], v[2:3], v[8:9]
	scratch_store_dwordx4 off, v[10:13], off offset:128
.LBB127_43:
	s_or_b64 exec, exec, s[16:17]
	; wave barrier
	scratch_load_dwordx4 v[2:5], off, s82
	v_cmp_gt_u32_e64 s[8:9], 8, v0
	s_waitcnt vmcnt(0)
	ds_write_b128 v1, v[2:5]
	s_waitcnt lgkmcnt(0)
	; wave barrier
	s_and_saveexec_b64 s[16:17], s[8:9]
	s_cbranch_execz .LBB127_59
; %bb.44:
	scratch_load_dwordx4 v[2:5], v15, off
	ds_read_b128 v[8:11], v1
	v_cmp_ne_u32_e64 s[8:9], 7, v0
	s_waitcnt vmcnt(0) lgkmcnt(0)
	v_mul_f64 v[12:13], v[10:11], v[4:5]
	v_mul_f64 v[16:17], v[8:9], v[4:5]
	v_fma_f64 v[4:5], v[8:9], v[2:3], -v[12:13]
	v_fmac_f64_e32 v[16:17], v[10:11], v[2:3]
	v_add_f64 v[4:5], v[4:5], 0
	v_add_f64 v[2:3], v[16:17], 0
	s_and_saveexec_b64 s[18:19], s[8:9]
	s_cbranch_execz .LBB127_58
; %bb.45:
	scratch_load_dwordx4 v[8:11], v15, off offset:16
	ds_read_b128 v[16:19], v1 offset:16
	s_waitcnt vmcnt(0) lgkmcnt(0)
	v_mul_f64 v[12:13], v[18:19], v[10:11]
	v_mul_f64 v[10:11], v[16:17], v[10:11]
	v_fma_f64 v[12:13], v[16:17], v[8:9], -v[12:13]
	v_fmac_f64_e32 v[10:11], v[18:19], v[8:9]
	v_add_f64 v[4:5], v[4:5], v[12:13]
	v_add_f64 v[2:3], v[2:3], v[10:11]
	s_and_saveexec_b64 s[8:9], s[6:7]
	s_cbranch_execz .LBB127_57
; %bb.46:
	scratch_load_dwordx4 v[8:11], v15, off offset:32
	ds_read_b128 v[16:19], v1 offset:32
	v_cmp_ne_u32_e64 s[6:7], 5, v0
	s_waitcnt vmcnt(0) lgkmcnt(0)
	v_mul_f64 v[12:13], v[18:19], v[10:11]
	v_mul_f64 v[10:11], v[16:17], v[10:11]
	v_fma_f64 v[12:13], v[16:17], v[8:9], -v[12:13]
	v_fmac_f64_e32 v[10:11], v[18:19], v[8:9]
	v_add_f64 v[4:5], v[4:5], v[12:13]
	v_add_f64 v[2:3], v[2:3], v[10:11]
	s_and_saveexec_b64 s[20:21], s[6:7]
	s_cbranch_execz .LBB127_56
; %bb.47:
	scratch_load_dwordx4 v[8:11], v15, off offset:48
	ds_read_b128 v[16:19], v1 offset:48
	s_waitcnt vmcnt(0) lgkmcnt(0)
	v_mul_f64 v[12:13], v[18:19], v[10:11]
	v_mul_f64 v[10:11], v[16:17], v[10:11]
	v_fma_f64 v[12:13], v[16:17], v[8:9], -v[12:13]
	v_fmac_f64_e32 v[10:11], v[18:19], v[8:9]
	v_add_f64 v[4:5], v[4:5], v[12:13]
	v_add_f64 v[2:3], v[2:3], v[10:11]
	s_and_saveexec_b64 s[6:7], s[4:5]
	s_cbranch_execz .LBB127_55
; %bb.48:
	scratch_load_dwordx4 v[8:11], v15, off offset:64
	ds_read_b128 v[16:19], v1 offset:64
	v_cmp_ne_u32_e64 s[4:5], 3, v0
	s_waitcnt vmcnt(0) lgkmcnt(0)
	v_mul_f64 v[12:13], v[18:19], v[10:11]
	v_mul_f64 v[10:11], v[16:17], v[10:11]
	v_fma_f64 v[12:13], v[16:17], v[8:9], -v[12:13]
	v_fmac_f64_e32 v[10:11], v[18:19], v[8:9]
	v_add_f64 v[4:5], v[4:5], v[12:13]
	v_add_f64 v[2:3], v[2:3], v[10:11]
	s_and_saveexec_b64 s[22:23], s[4:5]
	s_cbranch_execz .LBB127_54
; %bb.49:
	scratch_load_dwordx4 v[8:11], v15, off offset:80
	ds_read_b128 v[16:19], v1 offset:80
	s_waitcnt vmcnt(0) lgkmcnt(0)
	v_mul_f64 v[12:13], v[18:19], v[10:11]
	v_mul_f64 v[10:11], v[16:17], v[10:11]
	v_fma_f64 v[12:13], v[16:17], v[8:9], -v[12:13]
	v_fmac_f64_e32 v[10:11], v[18:19], v[8:9]
	v_add_f64 v[4:5], v[4:5], v[12:13]
	v_add_f64 v[2:3], v[2:3], v[10:11]
	s_and_saveexec_b64 s[4:5], vcc
	s_cbranch_execz .LBB127_53
; %bb.50:
	scratch_load_dwordx4 v[8:11], v15, off offset:96
	ds_read_b128 v[16:19], v1 offset:96
	s_waitcnt vmcnt(0) lgkmcnt(0)
	v_mul_f64 v[12:13], v[18:19], v[10:11]
	v_mul_f64 v[10:11], v[16:17], v[10:11]
	v_fma_f64 v[12:13], v[16:17], v[8:9], -v[12:13]
	v_fmac_f64_e32 v[10:11], v[18:19], v[8:9]
	v_add_f64 v[4:5], v[4:5], v[12:13]
	v_add_f64 v[2:3], v[2:3], v[10:11]
	s_and_saveexec_b64 s[24:25], s[0:1]
	s_cbranch_execz .LBB127_52
; %bb.51:
	scratch_load_dwordx4 v[8:11], v15, off offset:112
	ds_read_b128 v[16:19], v1 offset:112
	s_waitcnt vmcnt(0) lgkmcnt(0)
	v_mul_f64 v[12:13], v[18:19], v[10:11]
	v_mul_f64 v[10:11], v[16:17], v[10:11]
	v_fma_f64 v[12:13], v[16:17], v[8:9], -v[12:13]
	v_fmac_f64_e32 v[10:11], v[18:19], v[8:9]
	v_add_f64 v[4:5], v[4:5], v[12:13]
	v_add_f64 v[2:3], v[2:3], v[10:11]
.LBB127_52:
	s_or_b64 exec, exec, s[24:25]
.LBB127_53:
	s_or_b64 exec, exec, s[4:5]
.LBB127_54:
	s_or_b64 exec, exec, s[22:23]
.LBB127_55:
	s_or_b64 exec, exec, s[6:7]
.LBB127_56:
	s_or_b64 exec, exec, s[20:21]
.LBB127_57:
	s_or_b64 exec, exec, s[8:9]
.LBB127_58:
	s_or_b64 exec, exec, s[18:19]
	v_mov_b32_e32 v7, 0
	ds_read_b128 v[8:11], v7 offset:128
	s_waitcnt lgkmcnt(0)
	v_mul_f64 v[16:17], v[2:3], v[10:11]
	v_mul_f64 v[12:13], v[4:5], v[10:11]
	v_fma_f64 v[10:11], v[4:5], v[8:9], -v[16:17]
	v_fmac_f64_e32 v[12:13], v[2:3], v[8:9]
	scratch_store_dwordx4 off, v[10:13], off offset:144
.LBB127_59:
	s_or_b64 exec, exec, s[16:17]
	; wave barrier
	scratch_load_dwordx4 v[2:5], off, s81
	v_cmp_gt_u32_e32 vcc, 9, v0
	s_waitcnt vmcnt(0)
	ds_write_b128 v1, v[2:5]
	s_waitcnt lgkmcnt(0)
	; wave barrier
	s_and_saveexec_b64 s[0:1], vcc
	s_cbranch_execz .LBB127_63
; %bb.60:
	v_add_u32_e32 v7, -1, v0
	v_or_b32_e32 v8, 0x400, v14
	v_add_u32_e32 v9, 16, v14
	v_mov_b64_e32 v[2:3], 0
	s_mov_b64 s[4:5], 0
	v_mov_b64_e32 v[4:5], 0
.LBB127_61:                             ; =>This Inner Loop Header: Depth=1
	scratch_load_dwordx4 v[10:13], v9, off
	ds_read_b128 v[16:19], v8
	v_add_u32_e32 v7, 1, v7
	v_cmp_lt_u32_e32 vcc, 7, v7
	v_add_u32_e32 v8, 16, v8
	v_add_u32_e32 v9, 16, v9
	s_or_b64 s[4:5], vcc, s[4:5]
	s_waitcnt vmcnt(0) lgkmcnt(0)
	v_mul_f64 v[20:21], v[18:19], v[12:13]
	v_mul_f64 v[12:13], v[16:17], v[12:13]
	v_fma_f64 v[16:17], v[16:17], v[10:11], -v[20:21]
	v_fmac_f64_e32 v[12:13], v[18:19], v[10:11]
	v_add_f64 v[4:5], v[4:5], v[16:17]
	v_add_f64 v[2:3], v[2:3], v[12:13]
	s_andn2_b64 exec, exec, s[4:5]
	s_cbranch_execnz .LBB127_61
; %bb.62:
	s_or_b64 exec, exec, s[4:5]
	v_mov_b32_e32 v7, 0
	ds_read_b128 v[8:11], v7 offset:144
	s_waitcnt lgkmcnt(0)
	v_mul_f64 v[16:17], v[2:3], v[10:11]
	v_mul_f64 v[12:13], v[4:5], v[10:11]
	v_fma_f64 v[10:11], v[4:5], v[8:9], -v[16:17]
	v_fmac_f64_e32 v[12:13], v[2:3], v[8:9]
	scratch_store_dwordx4 off, v[10:13], off offset:160
.LBB127_63:
	s_or_b64 exec, exec, s[0:1]
	; wave barrier
	scratch_load_dwordx4 v[2:5], off, s80
	v_cmp_gt_u32_e32 vcc, 10, v0
	s_waitcnt vmcnt(0)
	ds_write_b128 v1, v[2:5]
	s_waitcnt lgkmcnt(0)
	; wave barrier
	s_and_saveexec_b64 s[0:1], vcc
	s_cbranch_execz .LBB127_67
; %bb.64:
	v_add_u32_e32 v7, -1, v0
	v_or_b32_e32 v8, 0x400, v14
	v_add_u32_e32 v9, 16, v14
	v_mov_b64_e32 v[2:3], 0
	s_mov_b64 s[4:5], 0
	v_mov_b64_e32 v[4:5], 0
.LBB127_65:                             ; =>This Inner Loop Header: Depth=1
	scratch_load_dwordx4 v[10:13], v9, off
	ds_read_b128 v[16:19], v8
	v_add_u32_e32 v7, 1, v7
	v_cmp_lt_u32_e32 vcc, 8, v7
	v_add_u32_e32 v8, 16, v8
	v_add_u32_e32 v9, 16, v9
	s_or_b64 s[4:5], vcc, s[4:5]
	s_waitcnt vmcnt(0) lgkmcnt(0)
	v_mul_f64 v[20:21], v[18:19], v[12:13]
	v_mul_f64 v[12:13], v[16:17], v[12:13]
	v_fma_f64 v[16:17], v[16:17], v[10:11], -v[20:21]
	v_fmac_f64_e32 v[12:13], v[18:19], v[10:11]
	v_add_f64 v[4:5], v[4:5], v[16:17]
	v_add_f64 v[2:3], v[2:3], v[12:13]
	s_andn2_b64 exec, exec, s[4:5]
	s_cbranch_execnz .LBB127_65
; %bb.66:
	s_or_b64 exec, exec, s[4:5]
	v_mov_b32_e32 v7, 0
	ds_read_b128 v[8:11], v7 offset:160
	s_waitcnt lgkmcnt(0)
	v_mul_f64 v[16:17], v[2:3], v[10:11]
	v_mul_f64 v[12:13], v[4:5], v[10:11]
	v_fma_f64 v[10:11], v[4:5], v[8:9], -v[16:17]
	v_fmac_f64_e32 v[12:13], v[2:3], v[8:9]
	scratch_store_dwordx4 off, v[10:13], off offset:176
.LBB127_67:
	;; [unrolled: 45-line block ×10, first 2 shown]
	s_or_b64 exec, exec, s[0:1]
	; wave barrier
	scratch_load_dwordx4 v[2:5], off, s71
	v_cmp_gt_u32_e32 vcc, 19, v0
	s_waitcnt vmcnt(0)
	ds_write_b128 v1, v[2:5]
	s_waitcnt lgkmcnt(0)
	; wave barrier
	s_and_saveexec_b64 s[0:1], vcc
	s_cbranch_execz .LBB127_103
; %bb.100:
	v_add_u32_e32 v7, -1, v0
	v_or_b32_e32 v8, 0x400, v14
	v_add_u32_e32 v9, 16, v14
	v_mov_b64_e32 v[2:3], 0
	s_mov_b64 s[4:5], 0
	v_mov_b64_e32 v[4:5], 0
.LBB127_101:                            ; =>This Inner Loop Header: Depth=1
	scratch_load_dwordx4 v[10:13], v9, off
	ds_read_b128 v[16:19], v8
	v_add_u32_e32 v7, 1, v7
	v_cmp_lt_u32_e32 vcc, 17, v7
	v_add_u32_e32 v8, 16, v8
	v_add_u32_e32 v9, 16, v9
	s_or_b64 s[4:5], vcc, s[4:5]
	s_waitcnt vmcnt(0) lgkmcnt(0)
	v_mul_f64 v[20:21], v[18:19], v[12:13]
	v_mul_f64 v[12:13], v[16:17], v[12:13]
	v_fma_f64 v[16:17], v[16:17], v[10:11], -v[20:21]
	v_fmac_f64_e32 v[12:13], v[18:19], v[10:11]
	v_add_f64 v[4:5], v[4:5], v[16:17]
	v_add_f64 v[2:3], v[2:3], v[12:13]
	s_andn2_b64 exec, exec, s[4:5]
	s_cbranch_execnz .LBB127_101
; %bb.102:
	s_or_b64 exec, exec, s[4:5]
	v_mov_b32_e32 v7, 0
	ds_read_b128 v[8:11], v7 offset:304
	s_waitcnt lgkmcnt(0)
	v_mul_f64 v[16:17], v[2:3], v[10:11]
	v_mul_f64 v[12:13], v[4:5], v[10:11]
	v_fma_f64 v[10:11], v[4:5], v[8:9], -v[16:17]
	v_fmac_f64_e32 v[12:13], v[2:3], v[8:9]
	scratch_store_dwordx4 off, v[10:13], off offset:320
.LBB127_103:
	s_or_b64 exec, exec, s[0:1]
	; wave barrier
	scratch_load_dwordx4 v[2:5], off, s70
	v_cmp_gt_u32_e32 vcc, 20, v0
	s_waitcnt vmcnt(0)
	ds_write_b128 v1, v[2:5]
	s_waitcnt lgkmcnt(0)
	; wave barrier
	s_and_saveexec_b64 s[0:1], vcc
	s_cbranch_execz .LBB127_107
; %bb.104:
	v_add_u32_e32 v7, -1, v0
	v_or_b32_e32 v8, 0x400, v14
	v_add_u32_e32 v9, 16, v14
	v_mov_b64_e32 v[2:3], 0
	s_mov_b64 s[4:5], 0
	v_mov_b64_e32 v[4:5], 0
.LBB127_105:                            ; =>This Inner Loop Header: Depth=1
	scratch_load_dwordx4 v[10:13], v9, off
	ds_read_b128 v[16:19], v8
	v_add_u32_e32 v7, 1, v7
	v_cmp_lt_u32_e32 vcc, 18, v7
	v_add_u32_e32 v8, 16, v8
	v_add_u32_e32 v9, 16, v9
	s_or_b64 s[4:5], vcc, s[4:5]
	s_waitcnt vmcnt(0) lgkmcnt(0)
	v_mul_f64 v[20:21], v[18:19], v[12:13]
	v_mul_f64 v[12:13], v[16:17], v[12:13]
	v_fma_f64 v[16:17], v[16:17], v[10:11], -v[20:21]
	v_fmac_f64_e32 v[12:13], v[18:19], v[10:11]
	v_add_f64 v[4:5], v[4:5], v[16:17]
	v_add_f64 v[2:3], v[2:3], v[12:13]
	s_andn2_b64 exec, exec, s[4:5]
	s_cbranch_execnz .LBB127_105
; %bb.106:
	s_or_b64 exec, exec, s[4:5]
	v_mov_b32_e32 v7, 0
	ds_read_b128 v[8:11], v7 offset:320
	s_waitcnt lgkmcnt(0)
	v_mul_f64 v[16:17], v[2:3], v[10:11]
	v_mul_f64 v[12:13], v[4:5], v[10:11]
	v_fma_f64 v[10:11], v[4:5], v[8:9], -v[16:17]
	v_fmac_f64_e32 v[12:13], v[2:3], v[8:9]
	scratch_store_dwordx4 off, v[10:13], off offset:336
.LBB127_107:
	;; [unrolled: 45-line block ×44, first 2 shown]
	s_or_b64 exec, exec, s[0:1]
	; wave barrier
	scratch_load_dwordx4 v[2:5], off, s14
	v_cmp_ne_u32_e32 vcc, 63, v0
	s_waitcnt vmcnt(0)
	ds_write_b128 v1, v[2:5]
	s_waitcnt lgkmcnt(0)
	; wave barrier
	s_and_saveexec_b64 s[0:1], vcc
	s_cbranch_execz .LBB127_279
; %bb.276:
	v_or_b32_e32 v1, 0x400, v14
	v_add_u32_e32 v7, 16, v14
	v_mov_b64_e32 v[2:3], 0
	s_mov_b64 s[4:5], 0
	v_mov_b64_e32 v[4:5], 0
.LBB127_277:                            ; =>This Inner Loop Header: Depth=1
	scratch_load_dwordx4 v[8:11], v7, off
	ds_read_b128 v[12:15], v1
	v_add_u32_e32 v6, 1, v6
	v_cmp_lt_u32_e32 vcc, 61, v6
	v_add_u32_e32 v1, 16, v1
	v_add_u32_e32 v7, 16, v7
	s_or_b64 s[4:5], vcc, s[4:5]
	s_waitcnt vmcnt(0) lgkmcnt(0)
	v_mul_f64 v[16:17], v[14:15], v[10:11]
	v_mul_f64 v[10:11], v[12:13], v[10:11]
	v_fma_f64 v[12:13], v[12:13], v[8:9], -v[16:17]
	v_fmac_f64_e32 v[10:11], v[14:15], v[8:9]
	v_add_f64 v[4:5], v[4:5], v[12:13]
	v_add_f64 v[2:3], v[2:3], v[10:11]
	s_andn2_b64 exec, exec, s[4:5]
	s_cbranch_execnz .LBB127_277
; %bb.278:
	s_or_b64 exec, exec, s[4:5]
	v_mov_b32_e32 v1, 0
	ds_read_b128 v[6:9], v1 offset:1008
	s_waitcnt lgkmcnt(0)
	v_mul_f64 v[12:13], v[2:3], v[8:9]
	v_mul_f64 v[10:11], v[4:5], v[8:9]
	v_fma_f64 v[8:9], v[4:5], v[6:7], -v[12:13]
	v_fmac_f64_e32 v[10:11], v[2:3], v[6:7]
	scratch_store_dwordx4 off, v[8:11], off offset:1024
.LBB127_279:
	s_or_b64 exec, exec, s[0:1]
	s_mov_b64 s[4:5], -1
	; wave barrier
.LBB127_280:
	s_and_b64 vcc, exec, s[4:5]
	s_cbranch_vccz .LBB127_282
; %bb.281:
	s_lshl_b64 s[0:1], s[2:3], 2
	s_add_u32 s0, s10, s0
	s_addc_u32 s1, s11, s1
	v_mov_b32_e32 v1, 0
	global_load_dword v1, v1, s[0:1]
	s_waitcnt vmcnt(0)
	v_cmp_ne_u32_e32 vcc, 0, v1
	s_cbranch_vccz .LBB127_283
.LBB127_282:
	s_endpgm
.LBB127_283:
	v_mov_b32_e32 v1, 0x400
	v_lshl_or_b32 v1, v0, 4, v1
	v_accvgpr_write_b32 a128, v1
	v_cmp_eq_u32_e32 vcc, 63, v0
	s_and_saveexec_b64 s[0:1], vcc
	s_cbranch_execz .LBB127_285
; %bb.284:
	scratch_load_dwordx4 v[2:5], off, s15
	v_mov_b32_e32 v6, 0
	v_mov_b32_e32 v7, v6
	;; [unrolled: 1-line block ×4, first 2 shown]
	v_accvgpr_read_b32 v1, a128
	scratch_store_dwordx4 off, v[6:9], off offset:1008
	s_waitcnt vmcnt(1)
	ds_write_b128 v1, v[2:5]
.LBB127_285:
	s_or_b64 exec, exec, s[0:1]
	s_waitcnt lgkmcnt(0)
	; wave barrier
	scratch_load_dwordx4 v[4:7], off, off offset:1024
	scratch_load_dwordx4 v[8:11], off, off offset:1008
	v_mov_b32_e32 v2, 0
	ds_read_b128 v[12:15], v2 offset:2032
	v_cmp_lt_u32_e32 vcc, 61, v0
	s_waitcnt vmcnt(1) lgkmcnt(0)
	v_mul_f64 v[16:17], v[12:13], v[6:7]
	v_mul_f64 v[6:7], v[14:15], v[6:7]
	v_fmac_f64_e32 v[16:17], v[14:15], v[4:5]
	v_fma_f64 v[4:5], v[12:13], v[4:5], -v[6:7]
	v_add_f64 v[6:7], v[16:17], 0
	v_add_f64 v[4:5], v[4:5], 0
	s_waitcnt vmcnt(0)
	v_add_f64 v[4:5], v[8:9], -v[4:5]
	v_add_f64 v[6:7], v[10:11], -v[6:7]
	scratch_store_dwordx4 off, v[4:7], off offset:1008
	s_and_saveexec_b64 s[0:1], vcc
	s_cbranch_execz .LBB127_287
; %bb.286:
	scratch_load_dwordx4 v[6:9], off, s50
	v_mov_b32_e32 v3, v2
	v_mov_b32_e32 v4, v2
	;; [unrolled: 1-line block ×3, first 2 shown]
	v_accvgpr_read_b32 v1, a128
	scratch_store_dwordx4 off, v[2:5], off offset:992
	s_waitcnt vmcnt(1)
	ds_write_b128 v1, v[6:9]
.LBB127_287:
	s_or_b64 exec, exec, s[0:1]
	s_waitcnt lgkmcnt(0)
	; wave barrier
	scratch_load_dwordx4 v[4:7], off, off offset:1008
	scratch_load_dwordx4 v[8:11], off, off offset:1024
	;; [unrolled: 1-line block ×3, first 2 shown]
	ds_read_b128 v[16:19], v2 offset:2016
	ds_read_b128 v[20:23], v2 offset:2032
	v_cmp_lt_u32_e32 vcc, 60, v0
	s_waitcnt vmcnt(2) lgkmcnt(1)
	v_mul_f64 v[2:3], v[16:17], v[6:7]
	v_mul_f64 v[6:7], v[18:19], v[6:7]
	s_waitcnt vmcnt(1) lgkmcnt(0)
	v_mul_f64 v[24:25], v[20:21], v[10:11]
	v_mul_f64 v[10:11], v[22:23], v[10:11]
	v_fmac_f64_e32 v[2:3], v[18:19], v[4:5]
	v_fma_f64 v[4:5], v[16:17], v[4:5], -v[6:7]
	v_fmac_f64_e32 v[24:25], v[22:23], v[8:9]
	v_fma_f64 v[6:7], v[20:21], v[8:9], -v[10:11]
	v_add_f64 v[2:3], v[2:3], 0
	v_add_f64 v[4:5], v[4:5], 0
	;; [unrolled: 1-line block ×4, first 2 shown]
	s_waitcnt vmcnt(0)
	v_add_f64 v[2:3], v[12:13], -v[2:3]
	v_add_f64 v[4:5], v[14:15], -v[8:9]
	scratch_store_dwordx4 off, v[2:5], off offset:992
	s_and_saveexec_b64 s[0:1], vcc
	s_cbranch_execz .LBB127_289
; %bb.288:
	scratch_load_dwordx4 v[2:5], off, s51
	v_mov_b32_e32 v6, 0
	v_mov_b32_e32 v7, v6
	;; [unrolled: 1-line block ×4, first 2 shown]
	v_accvgpr_read_b32 v1, a128
	scratch_store_dwordx4 off, v[6:9], off offset:976
	s_waitcnt vmcnt(1)
	ds_write_b128 v1, v[2:5]
.LBB127_289:
	s_or_b64 exec, exec, s[0:1]
	s_waitcnt lgkmcnt(0)
	; wave barrier
	scratch_load_dwordx4 v[4:7], off, off offset:992
	scratch_load_dwordx4 v[8:11], off, off offset:1008
	scratch_load_dwordx4 v[12:15], off, off offset:1024
	scratch_load_dwordx4 v[16:19], off, off offset:976
	v_mov_b32_e32 v2, 0
	ds_read_b128 v[20:23], v2 offset:2000
	ds_read_b128 v[24:27], v2 offset:2016
	;; [unrolled: 1-line block ×3, first 2 shown]
	v_cmp_lt_u32_e32 vcc, 59, v0
	s_waitcnt vmcnt(3) lgkmcnt(2)
	v_mul_f64 v[32:33], v[20:21], v[6:7]
	v_mul_f64 v[6:7], v[22:23], v[6:7]
	s_waitcnt vmcnt(2) lgkmcnt(1)
	v_mul_f64 v[34:35], v[24:25], v[10:11]
	v_mul_f64 v[10:11], v[26:27], v[10:11]
	v_fmac_f64_e32 v[32:33], v[22:23], v[4:5]
	v_fma_f64 v[4:5], v[20:21], v[4:5], -v[6:7]
	s_waitcnt vmcnt(1) lgkmcnt(0)
	v_mul_f64 v[36:37], v[28:29], v[14:15]
	v_mul_f64 v[14:15], v[30:31], v[14:15]
	v_fmac_f64_e32 v[34:35], v[26:27], v[8:9]
	v_fma_f64 v[6:7], v[24:25], v[8:9], -v[10:11]
	v_add_f64 v[10:11], v[32:33], 0
	v_add_f64 v[4:5], v[4:5], 0
	v_fmac_f64_e32 v[36:37], v[30:31], v[12:13]
	v_fma_f64 v[8:9], v[28:29], v[12:13], -v[14:15]
	v_add_f64 v[10:11], v[10:11], v[34:35]
	v_add_f64 v[4:5], v[4:5], v[6:7]
	;; [unrolled: 1-line block ×4, first 2 shown]
	s_waitcnt vmcnt(0)
	v_add_f64 v[4:5], v[16:17], -v[4:5]
	v_add_f64 v[6:7], v[18:19], -v[6:7]
	scratch_store_dwordx4 off, v[4:7], off offset:976
	s_and_saveexec_b64 s[0:1], vcc
	s_cbranch_execz .LBB127_291
; %bb.290:
	scratch_load_dwordx4 v[6:9], off, s52
	v_mov_b32_e32 v3, v2
	v_mov_b32_e32 v4, v2
	v_mov_b32_e32 v5, v2
	v_accvgpr_read_b32 v1, a128
	scratch_store_dwordx4 off, v[2:5], off offset:960
	s_waitcnt vmcnt(1)
	ds_write_b128 v1, v[6:9]
.LBB127_291:
	s_or_b64 exec, exec, s[0:1]
	s_waitcnt lgkmcnt(0)
	; wave barrier
	ds_read_b128 v[4:7], v2 offset:1984
	ds_read_b128 v[8:11], v2 offset:2000
	;; [unrolled: 1-line block ×4, first 2 shown]
	scratch_load_dwordx4 v[20:23], off, off offset:976
	scratch_load_dwordx4 v[24:27], off, off offset:992
	v_cmp_lt_u32_e32 vcc, 58, v0
	s_waitcnt vmcnt(1) lgkmcnt(3)
	v_mul_f64 v[2:3], v[4:5], v[22:23]
	v_fmac_f64_e32 v[2:3], v[6:7], v[20:21]
	s_waitcnt vmcnt(0) lgkmcnt(2)
	v_mul_f64 v[28:29], v[8:9], v[26:27]
	v_add_f64 v[2:3], v[2:3], 0
	v_fmac_f64_e32 v[28:29], v[10:11], v[24:25]
	v_add_f64 v[2:3], v[2:3], v[28:29]
	scratch_load_dwordx4 v[28:31], off, off offset:1008
	s_waitcnt vmcnt(0) lgkmcnt(1)
	v_mul_f64 v[32:33], v[12:13], v[30:31]
	v_fmac_f64_e32 v[32:33], v[14:15], v[28:29]
	v_add_f64 v[2:3], v[2:3], v[32:33]
	scratch_load_dwordx4 v[32:35], off, off offset:1024
	s_waitcnt vmcnt(0) lgkmcnt(0)
	v_mul_f64 v[36:37], v[16:17], v[34:35]
	v_fmac_f64_e32 v[36:37], v[18:19], v[32:33]
	v_add_f64 v[36:37], v[2:3], v[36:37]
	v_mul_f64 v[2:3], v[6:7], v[22:23]
	v_fma_f64 v[2:3], v[4:5], v[20:21], -v[2:3]
	v_mul_f64 v[4:5], v[10:11], v[26:27]
	v_add_f64 v[2:3], v[2:3], 0
	v_fma_f64 v[4:5], v[8:9], v[24:25], -v[4:5]
	v_add_f64 v[2:3], v[2:3], v[4:5]
	v_mul_f64 v[4:5], v[14:15], v[30:31]
	v_fma_f64 v[4:5], v[12:13], v[28:29], -v[4:5]
	v_add_f64 v[2:3], v[2:3], v[4:5]
	v_mul_f64 v[4:5], v[18:19], v[34:35]
	v_fma_f64 v[4:5], v[16:17], v[32:33], -v[4:5]
	v_add_f64 v[6:7], v[2:3], v[4:5]
	scratch_load_dwordx4 v[2:5], off, off offset:960
	s_waitcnt vmcnt(0)
	v_add_f64 v[2:3], v[2:3], -v[6:7]
	v_add_f64 v[4:5], v[4:5], -v[36:37]
	scratch_store_dwordx4 off, v[2:5], off offset:960
	s_and_saveexec_b64 s[0:1], vcc
	s_cbranch_execz .LBB127_293
; %bb.292:
	scratch_load_dwordx4 v[2:5], off, s90
	v_mov_b32_e32 v6, 0
	v_mov_b32_e32 v7, v6
	;; [unrolled: 1-line block ×4, first 2 shown]
	v_accvgpr_read_b32 v1, a128
	scratch_store_dwordx4 off, v[6:9], off offset:944
	s_waitcnt vmcnt(1)
	ds_write_b128 v1, v[2:5]
.LBB127_293:
	s_or_b64 exec, exec, s[0:1]
	s_waitcnt lgkmcnt(0)
	; wave barrier
	scratch_load_dwordx4 v[4:7], off, off offset:960
	scratch_load_dwordx4 v[8:11], off, off offset:976
	;; [unrolled: 1-line block ×6, first 2 shown]
	v_mov_b32_e32 v2, 0
	ds_read_b128 v[28:31], v2 offset:1968
	ds_read_b128 v[32:35], v2 offset:1984
	;; [unrolled: 1-line block ×5, first 2 shown]
	v_cmp_lt_u32_e32 vcc, 57, v0
	s_waitcnt vmcnt(5) lgkmcnt(4)
	v_mul_f64 v[48:49], v[28:29], v[6:7]
	v_mul_f64 v[6:7], v[30:31], v[6:7]
	s_waitcnt vmcnt(4) lgkmcnt(3)
	v_mul_f64 v[50:51], v[32:33], v[10:11]
	s_waitcnt vmcnt(3) lgkmcnt(2)
	v_mul_f64 v[52:53], v[36:37], v[14:15]
	v_mul_f64 v[10:11], v[34:35], v[10:11]
	v_mul_f64 v[14:15], v[38:39], v[14:15]
	v_fmac_f64_e32 v[48:49], v[30:31], v[4:5]
	v_fma_f64 v[4:5], v[28:29], v[4:5], -v[6:7]
	v_fmac_f64_e32 v[50:51], v[34:35], v[8:9]
	v_fma_f64 v[6:7], v[32:33], v[8:9], -v[10:11]
	v_fma_f64 v[8:9], v[36:37], v[12:13], -v[14:15]
	v_add_f64 v[14:15], v[48:49], 0
	v_add_f64 v[4:5], v[4:5], 0
	s_waitcnt vmcnt(2) lgkmcnt(1)
	v_mul_f64 v[54:55], v[40:41], v[18:19]
	v_mul_f64 v[18:19], v[42:43], v[18:19]
	v_fmac_f64_e32 v[52:53], v[38:39], v[12:13]
	v_add_f64 v[14:15], v[14:15], v[50:51]
	v_add_f64 v[4:5], v[4:5], v[6:7]
	s_waitcnt vmcnt(1) lgkmcnt(0)
	v_mul_f64 v[56:57], v[44:45], v[22:23]
	v_mul_f64 v[22:23], v[46:47], v[22:23]
	v_fmac_f64_e32 v[54:55], v[42:43], v[16:17]
	v_fma_f64 v[10:11], v[40:41], v[16:17], -v[18:19]
	v_add_f64 v[6:7], v[14:15], v[52:53]
	v_add_f64 v[4:5], v[4:5], v[8:9]
	v_fmac_f64_e32 v[56:57], v[46:47], v[20:21]
	v_fma_f64 v[12:13], v[44:45], v[20:21], -v[22:23]
	v_add_f64 v[6:7], v[6:7], v[54:55]
	v_add_f64 v[4:5], v[4:5], v[10:11]
	;; [unrolled: 1-line block ×4, first 2 shown]
	s_waitcnt vmcnt(0)
	v_add_f64 v[4:5], v[24:25], -v[4:5]
	v_add_f64 v[6:7], v[26:27], -v[6:7]
	scratch_store_dwordx4 off, v[4:7], off offset:944
	s_and_saveexec_b64 s[0:1], vcc
	s_cbranch_execz .LBB127_295
; %bb.294:
	scratch_load_dwordx4 v[6:9], off, s91
	v_mov_b32_e32 v3, v2
	v_mov_b32_e32 v4, v2
	;; [unrolled: 1-line block ×3, first 2 shown]
	v_accvgpr_read_b32 v1, a128
	scratch_store_dwordx4 off, v[2:5], off offset:928
	s_waitcnt vmcnt(1)
	ds_write_b128 v1, v[6:9]
.LBB127_295:
	s_or_b64 exec, exec, s[0:1]
	s_waitcnt lgkmcnt(0)
	; wave barrier
	scratch_load_dwordx4 v[4:7], off, off offset:944
	scratch_load_dwordx4 v[8:11], off, off offset:960
	;; [unrolled: 1-line block ×7, first 2 shown]
	ds_read_b128 v[32:35], v2 offset:1952
	ds_read_b128 v[36:39], v2 offset:1968
	;; [unrolled: 1-line block ×6, first 2 shown]
	v_cmp_lt_u32_e32 vcc, 56, v0
	s_waitcnt vmcnt(6) lgkmcnt(5)
	v_mul_f64 v[2:3], v[32:33], v[6:7]
	v_mul_f64 v[6:7], v[34:35], v[6:7]
	s_waitcnt vmcnt(5) lgkmcnt(4)
	v_mul_f64 v[56:57], v[36:37], v[10:11]
	v_mul_f64 v[10:11], v[38:39], v[10:11]
	v_fmac_f64_e32 v[2:3], v[34:35], v[4:5]
	v_fma_f64 v[4:5], v[32:33], v[4:5], -v[6:7]
	s_waitcnt vmcnt(4) lgkmcnt(3)
	v_mul_f64 v[58:59], v[40:41], v[14:15]
	v_mul_f64 v[14:15], v[42:43], v[14:15]
	v_fmac_f64_e32 v[56:57], v[38:39], v[8:9]
	v_fma_f64 v[6:7], v[36:37], v[8:9], -v[10:11]
	v_add_f64 v[2:3], v[2:3], 0
	v_add_f64 v[4:5], v[4:5], 0
	s_waitcnt vmcnt(3) lgkmcnt(2)
	v_mul_f64 v[60:61], v[44:45], v[18:19]
	v_mul_f64 v[18:19], v[46:47], v[18:19]
	v_fmac_f64_e32 v[58:59], v[42:43], v[12:13]
	v_fma_f64 v[8:9], v[40:41], v[12:13], -v[14:15]
	v_add_f64 v[2:3], v[2:3], v[56:57]
	v_add_f64 v[4:5], v[4:5], v[6:7]
	;; [unrolled: 7-line block ×4, first 2 shown]
	v_fmac_f64_e32 v[64:65], v[54:55], v[24:25]
	v_fma_f64 v[14:15], v[52:53], v[24:25], -v[26:27]
	v_add_f64 v[2:3], v[2:3], v[62:63]
	v_add_f64 v[4:5], v[4:5], v[12:13]
	;; [unrolled: 1-line block ×4, first 2 shown]
	s_waitcnt vmcnt(0)
	v_add_f64 v[2:3], v[28:29], -v[2:3]
	v_add_f64 v[4:5], v[30:31], -v[6:7]
	scratch_store_dwordx4 off, v[2:5], off offset:928
	s_and_saveexec_b64 s[0:1], vcc
	s_cbranch_execz .LBB127_297
; %bb.296:
	scratch_load_dwordx4 v[2:5], off, s34
	v_mov_b32_e32 v6, 0
	v_mov_b32_e32 v7, v6
	;; [unrolled: 1-line block ×4, first 2 shown]
	v_accvgpr_read_b32 v1, a128
	scratch_store_dwordx4 off, v[6:9], off offset:912
	s_waitcnt vmcnt(1)
	ds_write_b128 v1, v[2:5]
.LBB127_297:
	s_or_b64 exec, exec, s[0:1]
	s_waitcnt lgkmcnt(0)
	; wave barrier
	scratch_load_dwordx4 v[4:7], off, off offset:928
	scratch_load_dwordx4 v[8:11], off, off offset:944
	;; [unrolled: 1-line block ×8, first 2 shown]
	v_mov_b32_e32 v2, 0
	ds_read_b128 v[36:39], v2 offset:1936
	ds_read_b128 v[40:43], v2 offset:1952
	;; [unrolled: 1-line block ×7, first 2 shown]
	v_cmp_lt_u32_e32 vcc, 55, v0
	s_waitcnt vmcnt(7) lgkmcnt(6)
	v_mul_f64 v[64:65], v[36:37], v[6:7]
	v_mul_f64 v[6:7], v[38:39], v[6:7]
	s_waitcnt vmcnt(6) lgkmcnt(5)
	v_mul_f64 v[66:67], v[40:41], v[10:11]
	s_waitcnt vmcnt(4) lgkmcnt(3)
	v_mul_f64 v[70:71], v[48:49], v[18:19]
	v_mul_f64 v[10:11], v[42:43], v[10:11]
	;; [unrolled: 1-line block ×3, first 2 shown]
	v_fmac_f64_e32 v[64:65], v[38:39], v[4:5]
	v_fma_f64 v[4:5], v[36:37], v[4:5], -v[6:7]
	v_mul_f64 v[68:69], v[44:45], v[14:15]
	v_mul_f64 v[14:15], v[46:47], v[14:15]
	v_fmac_f64_e32 v[66:67], v[42:43], v[8:9]
	v_fma_f64 v[6:7], v[40:41], v[8:9], -v[10:11]
	v_fma_f64 v[10:11], v[48:49], v[16:17], -v[18:19]
	v_add_f64 v[18:19], v[64:65], 0
	v_add_f64 v[4:5], v[4:5], 0
	v_fmac_f64_e32 v[68:69], v[46:47], v[12:13]
	v_fma_f64 v[8:9], v[44:45], v[12:13], -v[14:15]
	v_add_f64 v[18:19], v[18:19], v[66:67]
	v_add_f64 v[4:5], v[4:5], v[6:7]
	s_waitcnt vmcnt(3) lgkmcnt(2)
	v_mul_f64 v[72:73], v[52:53], v[22:23]
	v_mul_f64 v[22:23], v[54:55], v[22:23]
	v_fmac_f64_e32 v[70:71], v[50:51], v[16:17]
	v_add_f64 v[6:7], v[18:19], v[68:69]
	v_add_f64 v[4:5], v[4:5], v[8:9]
	s_waitcnt vmcnt(2) lgkmcnt(1)
	v_mul_f64 v[74:75], v[56:57], v[26:27]
	v_mul_f64 v[26:27], v[58:59], v[26:27]
	v_fmac_f64_e32 v[72:73], v[54:55], v[20:21]
	v_fma_f64 v[12:13], v[52:53], v[20:21], -v[22:23]
	v_add_f64 v[6:7], v[6:7], v[70:71]
	v_add_f64 v[4:5], v[4:5], v[10:11]
	s_waitcnt vmcnt(1) lgkmcnt(0)
	v_mul_f64 v[76:77], v[60:61], v[30:31]
	v_mul_f64 v[30:31], v[62:63], v[30:31]
	v_fmac_f64_e32 v[74:75], v[58:59], v[24:25]
	v_fma_f64 v[14:15], v[56:57], v[24:25], -v[26:27]
	v_add_f64 v[6:7], v[6:7], v[72:73]
	v_add_f64 v[4:5], v[4:5], v[12:13]
	v_fmac_f64_e32 v[76:77], v[62:63], v[28:29]
	v_fma_f64 v[16:17], v[60:61], v[28:29], -v[30:31]
	v_add_f64 v[6:7], v[6:7], v[74:75]
	v_add_f64 v[4:5], v[4:5], v[14:15]
	;; [unrolled: 1-line block ×4, first 2 shown]
	s_waitcnt vmcnt(0)
	v_add_f64 v[4:5], v[32:33], -v[4:5]
	v_add_f64 v[6:7], v[34:35], -v[6:7]
	scratch_store_dwordx4 off, v[4:7], off offset:912
	s_and_saveexec_b64 s[0:1], vcc
	s_cbranch_execz .LBB127_299
; %bb.298:
	scratch_load_dwordx4 v[6:9], off, s35
	v_mov_b32_e32 v3, v2
	v_mov_b32_e32 v4, v2
	;; [unrolled: 1-line block ×3, first 2 shown]
	v_accvgpr_read_b32 v1, a128
	scratch_store_dwordx4 off, v[2:5], off offset:896
	s_waitcnt vmcnt(1)
	ds_write_b128 v1, v[6:9]
.LBB127_299:
	s_or_b64 exec, exec, s[0:1]
	s_waitcnt lgkmcnt(0)
	; wave barrier
	scratch_load_dwordx4 v[4:7], off, off offset:912
	scratch_load_dwordx4 v[8:11], off, off offset:928
	;; [unrolled: 1-line block ×9, first 2 shown]
	ds_read_b128 v[40:43], v2 offset:1920
	ds_read_b128 v[44:47], v2 offset:1936
	;; [unrolled: 1-line block ×8, first 2 shown]
	v_cmp_lt_u32_e32 vcc, 54, v0
	s_waitcnt vmcnt(8) lgkmcnt(7)
	v_mul_f64 v[2:3], v[40:41], v[6:7]
	v_mul_f64 v[6:7], v[42:43], v[6:7]
	s_waitcnt vmcnt(7) lgkmcnt(6)
	v_mul_f64 v[72:73], v[44:45], v[10:11]
	v_mul_f64 v[10:11], v[46:47], v[10:11]
	v_fmac_f64_e32 v[2:3], v[42:43], v[4:5]
	v_fma_f64 v[4:5], v[40:41], v[4:5], -v[6:7]
	s_waitcnt vmcnt(6) lgkmcnt(5)
	v_mul_f64 v[74:75], v[48:49], v[14:15]
	v_mul_f64 v[14:15], v[50:51], v[14:15]
	v_fmac_f64_e32 v[72:73], v[46:47], v[8:9]
	v_fma_f64 v[6:7], v[44:45], v[8:9], -v[10:11]
	v_add_f64 v[2:3], v[2:3], 0
	v_add_f64 v[4:5], v[4:5], 0
	s_waitcnt vmcnt(5) lgkmcnt(4)
	v_mul_f64 v[76:77], v[52:53], v[18:19]
	v_mul_f64 v[18:19], v[54:55], v[18:19]
	v_fmac_f64_e32 v[74:75], v[50:51], v[12:13]
	v_fma_f64 v[8:9], v[48:49], v[12:13], -v[14:15]
	v_add_f64 v[2:3], v[2:3], v[72:73]
	v_add_f64 v[4:5], v[4:5], v[6:7]
	;; [unrolled: 7-line block ×6, first 2 shown]
	v_fmac_f64_e32 v[84:85], v[70:71], v[32:33]
	v_fma_f64 v[18:19], v[68:69], v[32:33], -v[34:35]
	v_add_f64 v[2:3], v[2:3], v[82:83]
	v_add_f64 v[4:5], v[4:5], v[16:17]
	;; [unrolled: 1-line block ×4, first 2 shown]
	s_waitcnt vmcnt(0)
	v_add_f64 v[2:3], v[36:37], -v[2:3]
	v_add_f64 v[4:5], v[38:39], -v[6:7]
	scratch_store_dwordx4 off, v[2:5], off offset:896
	s_and_saveexec_b64 s[0:1], vcc
	s_cbranch_execz .LBB127_301
; %bb.300:
	scratch_load_dwordx4 v[2:5], off, s36
	v_mov_b32_e32 v6, 0
	v_mov_b32_e32 v7, v6
	v_mov_b32_e32 v8, v6
	v_mov_b32_e32 v9, v6
	v_accvgpr_read_b32 v1, a128
	scratch_store_dwordx4 off, v[6:9], off offset:880
	s_waitcnt vmcnt(1)
	ds_write_b128 v1, v[2:5]
.LBB127_301:
	s_or_b64 exec, exec, s[0:1]
	s_waitcnt lgkmcnt(0)
	; wave barrier
	scratch_load_dwordx4 v[4:7], off, off offset:896
	scratch_load_dwordx4 v[8:11], off, off offset:912
	;; [unrolled: 1-line block ×10, first 2 shown]
	v_mov_b32_e32 v2, 0
	ds_read_b128 v[44:47], v2 offset:1904
	ds_read_b128 v[48:51], v2 offset:1920
	ds_read_b128 v[52:55], v2 offset:1936
	ds_read_b128 v[56:59], v2 offset:1952
	ds_read_b128 v[60:63], v2 offset:1968
	ds_read_b128 v[64:67], v2 offset:1984
	ds_read_b128 v[68:71], v2 offset:2000
	ds_read_b128 v[72:75], v2 offset:2016
	ds_read_b128 v[76:79], v2 offset:2032
	v_cmp_lt_u32_e32 vcc, 53, v0
	s_waitcnt vmcnt(9) lgkmcnt(8)
	v_mul_f64 v[80:81], v[44:45], v[6:7]
	v_mul_f64 v[6:7], v[46:47], v[6:7]
	s_waitcnt vmcnt(8) lgkmcnt(7)
	v_mul_f64 v[82:83], v[48:49], v[10:11]
	s_waitcnt vmcnt(7) lgkmcnt(6)
	v_mul_f64 v[84:85], v[52:53], v[14:15]
	s_waitcnt vmcnt(5) lgkmcnt(4)
	v_mul_f64 v[88:89], v[60:61], v[22:23]
	v_mul_f64 v[10:11], v[50:51], v[10:11]
	;; [unrolled: 1-line block ×4, first 2 shown]
	v_fmac_f64_e32 v[80:81], v[46:47], v[4:5]
	v_fma_f64 v[4:5], v[44:45], v[4:5], -v[6:7]
	v_fmac_f64_e32 v[82:83], v[50:51], v[8:9]
	v_fmac_f64_e32 v[84:85], v[54:55], v[12:13]
	v_fma_f64 v[6:7], v[48:49], v[8:9], -v[10:11]
	v_fma_f64 v[8:9], v[52:53], v[12:13], -v[14:15]
	v_fma_f64 v[12:13], v[60:61], v[20:21], -v[22:23]
	v_add_f64 v[22:23], v[80:81], 0
	v_add_f64 v[4:5], v[4:5], 0
	v_mul_f64 v[86:87], v[56:57], v[18:19]
	v_mul_f64 v[18:19], v[58:59], v[18:19]
	v_add_f64 v[22:23], v[22:23], v[82:83]
	v_add_f64 v[4:5], v[4:5], v[6:7]
	v_fmac_f64_e32 v[86:87], v[58:59], v[16:17]
	v_fma_f64 v[10:11], v[56:57], v[16:17], -v[18:19]
	v_add_f64 v[6:7], v[22:23], v[84:85]
	v_add_f64 v[4:5], v[4:5], v[8:9]
	s_waitcnt vmcnt(4) lgkmcnt(3)
	v_mul_f64 v[90:91], v[64:65], v[26:27]
	v_mul_f64 v[26:27], v[66:67], v[26:27]
	v_fmac_f64_e32 v[88:89], v[62:63], v[20:21]
	v_add_f64 v[6:7], v[6:7], v[86:87]
	v_add_f64 v[4:5], v[4:5], v[10:11]
	s_waitcnt vmcnt(3) lgkmcnt(2)
	v_mul_f64 v[92:93], v[68:69], v[30:31]
	v_mul_f64 v[30:31], v[70:71], v[30:31]
	v_fmac_f64_e32 v[90:91], v[66:67], v[24:25]
	v_fma_f64 v[14:15], v[64:65], v[24:25], -v[26:27]
	v_add_f64 v[6:7], v[6:7], v[88:89]
	v_add_f64 v[4:5], v[4:5], v[12:13]
	s_waitcnt vmcnt(2) lgkmcnt(1)
	v_mul_f64 v[94:95], v[72:73], v[34:35]
	v_mul_f64 v[34:35], v[74:75], v[34:35]
	v_fmac_f64_e32 v[92:93], v[70:71], v[28:29]
	v_fma_f64 v[16:17], v[68:69], v[28:29], -v[30:31]
	v_add_f64 v[6:7], v[6:7], v[90:91]
	v_add_f64 v[4:5], v[4:5], v[14:15]
	s_waitcnt vmcnt(1) lgkmcnt(0)
	v_mul_f64 v[96:97], v[76:77], v[38:39]
	v_mul_f64 v[38:39], v[78:79], v[38:39]
	v_fmac_f64_e32 v[94:95], v[74:75], v[32:33]
	v_fma_f64 v[18:19], v[72:73], v[32:33], -v[34:35]
	v_add_f64 v[6:7], v[6:7], v[92:93]
	v_add_f64 v[4:5], v[4:5], v[16:17]
	v_fmac_f64_e32 v[96:97], v[78:79], v[36:37]
	v_fma_f64 v[20:21], v[76:77], v[36:37], -v[38:39]
	v_add_f64 v[6:7], v[6:7], v[94:95]
	v_add_f64 v[4:5], v[4:5], v[18:19]
	;; [unrolled: 1-line block ×4, first 2 shown]
	s_waitcnt vmcnt(0)
	v_add_f64 v[4:5], v[40:41], -v[4:5]
	v_add_f64 v[6:7], v[42:43], -v[6:7]
	scratch_store_dwordx4 off, v[4:7], off offset:880
	s_and_saveexec_b64 s[0:1], vcc
	s_cbranch_execz .LBB127_303
; %bb.302:
	scratch_load_dwordx4 v[6:9], off, s37
	v_mov_b32_e32 v3, v2
	v_mov_b32_e32 v4, v2
	;; [unrolled: 1-line block ×3, first 2 shown]
	v_accvgpr_read_b32 v1, a128
	scratch_store_dwordx4 off, v[2:5], off offset:864
	s_waitcnt vmcnt(1)
	ds_write_b128 v1, v[6:9]
.LBB127_303:
	s_or_b64 exec, exec, s[0:1]
	s_waitcnt lgkmcnt(0)
	; wave barrier
	scratch_load_dwordx4 v[4:7], off, off offset:880
	scratch_load_dwordx4 v[8:11], off, off offset:896
	;; [unrolled: 1-line block ×11, first 2 shown]
	ds_read_b128 v[48:51], v2 offset:1888
	ds_read_b128 v[52:55], v2 offset:1904
	ds_read_b128 v[56:59], v2 offset:1920
	ds_read_b128 v[60:63], v2 offset:1936
	ds_read_b128 v[64:67], v2 offset:1952
	ds_read_b128 v[68:71], v2 offset:1968
	ds_read_b128 v[72:75], v2 offset:1984
	ds_read_b128 v[76:79], v2 offset:2000
	ds_read_b128 v[80:83], v2 offset:2016
	ds_read_b128 v[84:87], v2 offset:2032
	v_cmp_lt_u32_e32 vcc, 52, v0
	s_waitcnt vmcnt(10) lgkmcnt(9)
	v_mul_f64 v[2:3], v[48:49], v[6:7]
	v_mul_f64 v[6:7], v[50:51], v[6:7]
	s_waitcnt vmcnt(9) lgkmcnt(8)
	v_mul_f64 v[88:89], v[52:53], v[10:11]
	v_mul_f64 v[10:11], v[54:55], v[10:11]
	v_fmac_f64_e32 v[2:3], v[50:51], v[4:5]
	v_fma_f64 v[4:5], v[48:49], v[4:5], -v[6:7]
	s_waitcnt vmcnt(8) lgkmcnt(7)
	v_mul_f64 v[90:91], v[56:57], v[14:15]
	v_mul_f64 v[14:15], v[58:59], v[14:15]
	v_fmac_f64_e32 v[88:89], v[54:55], v[8:9]
	v_fma_f64 v[6:7], v[52:53], v[8:9], -v[10:11]
	v_add_f64 v[2:3], v[2:3], 0
	v_add_f64 v[4:5], v[4:5], 0
	s_waitcnt vmcnt(7) lgkmcnt(6)
	v_mul_f64 v[92:93], v[60:61], v[18:19]
	v_mul_f64 v[18:19], v[62:63], v[18:19]
	v_fmac_f64_e32 v[90:91], v[58:59], v[12:13]
	v_fma_f64 v[8:9], v[56:57], v[12:13], -v[14:15]
	v_add_f64 v[2:3], v[2:3], v[88:89]
	v_add_f64 v[4:5], v[4:5], v[6:7]
	;; [unrolled: 7-line block ×8, first 2 shown]
	v_fmac_f64_e32 v[104:105], v[86:87], v[40:41]
	v_fma_f64 v[22:23], v[84:85], v[40:41], -v[42:43]
	v_add_f64 v[2:3], v[2:3], v[102:103]
	v_add_f64 v[4:5], v[4:5], v[20:21]
	v_add_f64 v[6:7], v[2:3], v[104:105]
	v_add_f64 v[2:3], v[4:5], v[22:23]
	s_waitcnt vmcnt(0)
	v_add_f64 v[2:3], v[44:45], -v[2:3]
	v_add_f64 v[4:5], v[46:47], -v[6:7]
	scratch_store_dwordx4 off, v[2:5], off offset:864
	s_and_saveexec_b64 s[0:1], vcc
	s_cbranch_execz .LBB127_305
; %bb.304:
	scratch_load_dwordx4 v[2:5], off, s38
	v_mov_b32_e32 v6, 0
	v_mov_b32_e32 v7, v6
	;; [unrolled: 1-line block ×4, first 2 shown]
	v_accvgpr_read_b32 v1, a128
	scratch_store_dwordx4 off, v[6:9], off offset:848
	s_waitcnt vmcnt(1)
	ds_write_b128 v1, v[2:5]
.LBB127_305:
	s_or_b64 exec, exec, s[0:1]
	s_waitcnt lgkmcnt(0)
	; wave barrier
	scratch_load_dwordx4 v[4:7], off, off offset:864
	scratch_load_dwordx4 v[8:11], off, off offset:880
	;; [unrolled: 1-line block ×12, first 2 shown]
	v_mov_b32_e32 v2, 0
	ds_read_b128 v[52:55], v2 offset:1872
	ds_read_b128 v[56:59], v2 offset:1888
	;; [unrolled: 1-line block ×11, first 2 shown]
	v_cmp_lt_u32_e32 vcc, 51, v0
	s_waitcnt vmcnt(11) lgkmcnt(10)
	v_mul_f64 v[96:97], v[52:53], v[6:7]
	v_mul_f64 v[6:7], v[54:55], v[6:7]
	s_waitcnt vmcnt(10) lgkmcnt(9)
	v_mul_f64 v[98:99], v[56:57], v[10:11]
	s_waitcnt vmcnt(9) lgkmcnt(8)
	v_mul_f64 v[100:101], v[60:61], v[14:15]
	v_mul_f64 v[10:11], v[58:59], v[10:11]
	s_waitcnt vmcnt(6) lgkmcnt(5)
	v_mul_f64 v[106:107], v[72:73], v[26:27]
	v_mul_f64 v[14:15], v[62:63], v[14:15]
	;; [unrolled: 1-line block ×3, first 2 shown]
	v_fmac_f64_e32 v[96:97], v[54:55], v[4:5]
	v_fma_f64 v[4:5], v[52:53], v[4:5], -v[6:7]
	v_fmac_f64_e32 v[98:99], v[58:59], v[8:9]
	v_fma_f64 v[6:7], v[56:57], v[8:9], -v[10:11]
	v_fma_f64 v[8:9], v[60:61], v[12:13], -v[14:15]
	v_fma_f64 v[14:15], v[72:73], v[24:25], -v[26:27]
	v_add_f64 v[26:27], v[96:97], 0
	v_add_f64 v[4:5], v[4:5], 0
	v_mul_f64 v[102:103], v[64:65], v[18:19]
	v_mul_f64 v[18:19], v[66:67], v[18:19]
	v_fmac_f64_e32 v[100:101], v[62:63], v[12:13]
	v_add_f64 v[26:27], v[26:27], v[98:99]
	v_add_f64 v[4:5], v[4:5], v[6:7]
	v_mul_f64 v[104:105], v[68:69], v[22:23]
	v_mul_f64 v[22:23], v[70:71], v[22:23]
	v_fmac_f64_e32 v[102:103], v[66:67], v[16:17]
	v_fma_f64 v[10:11], v[64:65], v[16:17], -v[18:19]
	v_add_f64 v[6:7], v[26:27], v[100:101]
	v_add_f64 v[4:5], v[4:5], v[8:9]
	v_fmac_f64_e32 v[104:105], v[70:71], v[20:21]
	v_fma_f64 v[12:13], v[68:69], v[20:21], -v[22:23]
	v_add_f64 v[6:7], v[6:7], v[102:103]
	v_add_f64 v[4:5], v[4:5], v[10:11]
	s_waitcnt vmcnt(5) lgkmcnt(4)
	v_mul_f64 v[108:109], v[76:77], v[30:31]
	v_mul_f64 v[30:31], v[78:79], v[30:31]
	v_fmac_f64_e32 v[106:107], v[74:75], v[24:25]
	v_add_f64 v[6:7], v[6:7], v[104:105]
	v_add_f64 v[4:5], v[4:5], v[12:13]
	s_waitcnt vmcnt(4) lgkmcnt(3)
	v_mul_f64 v[110:111], v[80:81], v[34:35]
	v_mul_f64 v[34:35], v[82:83], v[34:35]
	v_fmac_f64_e32 v[108:109], v[78:79], v[28:29]
	v_fma_f64 v[16:17], v[76:77], v[28:29], -v[30:31]
	v_add_f64 v[6:7], v[6:7], v[106:107]
	v_add_f64 v[4:5], v[4:5], v[14:15]
	s_waitcnt vmcnt(3) lgkmcnt(2)
	v_mul_f64 v[112:113], v[84:85], v[38:39]
	v_mul_f64 v[38:39], v[86:87], v[38:39]
	v_fmac_f64_e32 v[110:111], v[82:83], v[32:33]
	v_fma_f64 v[18:19], v[80:81], v[32:33], -v[34:35]
	;; [unrolled: 7-line block ×4, first 2 shown]
	v_add_f64 v[6:7], v[6:7], v[112:113]
	v_add_f64 v[4:5], v[4:5], v[20:21]
	v_fmac_f64_e32 v[116:117], v[94:95], v[44:45]
	v_fma_f64 v[24:25], v[92:93], v[44:45], -v[46:47]
	v_add_f64 v[6:7], v[6:7], v[114:115]
	v_add_f64 v[4:5], v[4:5], v[22:23]
	;; [unrolled: 1-line block ×4, first 2 shown]
	s_waitcnt vmcnt(0)
	v_add_f64 v[4:5], v[48:49], -v[4:5]
	v_add_f64 v[6:7], v[50:51], -v[6:7]
	scratch_store_dwordx4 off, v[4:7], off offset:848
	s_and_saveexec_b64 s[0:1], vcc
	s_cbranch_execz .LBB127_307
; %bb.306:
	scratch_load_dwordx4 v[6:9], off, s39
	v_mov_b32_e32 v3, v2
	v_mov_b32_e32 v4, v2
	;; [unrolled: 1-line block ×3, first 2 shown]
	v_accvgpr_read_b32 v1, a128
	scratch_store_dwordx4 off, v[2:5], off offset:832
	s_waitcnt vmcnt(1)
	ds_write_b128 v1, v[6:9]
.LBB127_307:
	s_or_b64 exec, exec, s[0:1]
	s_waitcnt lgkmcnt(0)
	; wave barrier
	scratch_load_dwordx4 v[4:7], off, off offset:848
	scratch_load_dwordx4 v[8:11], off, off offset:864
	;; [unrolled: 1-line block ×12, first 2 shown]
	ds_read_b128 v[52:55], v2 offset:1856
	ds_read_b128 v[56:59], v2 offset:1872
	;; [unrolled: 1-line block ×4, first 2 shown]
	scratch_load_dwordx4 v[68:71], off, off offset:832
	ds_read_b128 v[72:75], v2 offset:1920
	ds_read_b128 v[76:79], v2 offset:1936
	;; [unrolled: 1-line block ×8, first 2 shown]
	v_cmp_lt_u32_e32 vcc, 50, v0
	s_waitcnt vmcnt(12) lgkmcnt(11)
	v_mul_f64 v[2:3], v[52:53], v[6:7]
	s_waitcnt vmcnt(11) lgkmcnt(10)
	v_mul_f64 v[104:105], v[56:57], v[10:11]
	v_fmac_f64_e32 v[2:3], v[54:55], v[4:5]
	s_waitcnt vmcnt(10) lgkmcnt(9)
	v_mul_f64 v[106:107], v[60:61], v[14:15]
	v_mul_f64 v[6:7], v[54:55], v[6:7]
	v_fmac_f64_e32 v[104:105], v[58:59], v[8:9]
	v_add_f64 v[2:3], v[2:3], 0
	s_waitcnt vmcnt(9) lgkmcnt(8)
	v_mul_f64 v[108:109], v[64:65], v[18:19]
	v_mul_f64 v[10:11], v[58:59], v[10:11]
	v_fmac_f64_e32 v[106:107], v[62:63], v[12:13]
	v_fma_f64 v[4:5], v[52:53], v[4:5], -v[6:7]
	v_add_f64 v[2:3], v[2:3], v[104:105]
	s_waitcnt vmcnt(8) lgkmcnt(7)
	v_mul_f64 v[110:111], v[72:73], v[22:23]
	v_mul_f64 v[14:15], v[62:63], v[14:15]
	v_fmac_f64_e32 v[108:109], v[66:67], v[16:17]
	v_fma_f64 v[6:7], v[56:57], v[8:9], -v[10:11]
	v_add_f64 v[4:5], v[4:5], 0
	v_add_f64 v[2:3], v[2:3], v[106:107]
	s_waitcnt vmcnt(7) lgkmcnt(6)
	v_mul_f64 v[112:113], v[76:77], v[26:27]
	v_mul_f64 v[18:19], v[66:67], v[18:19]
	v_fmac_f64_e32 v[110:111], v[74:75], v[20:21]
	v_fma_f64 v[8:9], v[60:61], v[12:13], -v[14:15]
	v_add_f64 v[4:5], v[4:5], v[6:7]
	;; [unrolled: 7-line block ×8, first 2 shown]
	v_add_f64 v[2:3], v[2:3], v[120:121]
	v_mul_f64 v[46:47], v[98:99], v[46:47]
	v_fmac_f64_e32 v[124:125], v[102:103], v[48:49]
	v_fma_f64 v[22:23], v[92:93], v[40:41], -v[42:43]
	v_add_f64 v[4:5], v[4:5], v[20:21]
	v_add_f64 v[2:3], v[2:3], v[122:123]
	;; [unrolled: 1-line block ×4, first 2 shown]
	v_fma_f64 v[2:3], v[96:97], v[44:45], -v[46:47]
	v_add_f64 v[2:3], v[4:5], v[2:3]
	v_mul_f64 v[4:5], v[102:103], v[50:51]
	v_fma_f64 v[4:5], v[100:101], v[48:49], -v[4:5]
	v_add_f64 v[2:3], v[2:3], v[4:5]
	s_waitcnt vmcnt(0)
	v_add_f64 v[2:3], v[68:69], -v[2:3]
	v_add_f64 v[4:5], v[70:71], -v[6:7]
	scratch_store_dwordx4 off, v[2:5], off offset:832
	s_and_saveexec_b64 s[0:1], vcc
	s_cbranch_execz .LBB127_309
; %bb.308:
	scratch_load_dwordx4 v[2:5], off, s40
	v_mov_b32_e32 v6, 0
	v_mov_b32_e32 v7, v6
	;; [unrolled: 1-line block ×4, first 2 shown]
	v_accvgpr_read_b32 v1, a128
	scratch_store_dwordx4 off, v[6:9], off offset:816
	s_waitcnt vmcnt(1)
	ds_write_b128 v1, v[2:5]
.LBB127_309:
	s_or_b64 exec, exec, s[0:1]
	v_mov_b32_e32 v2, 0
	s_waitcnt lgkmcnt(0)
	; wave barrier
	ds_read_b128 v[16:19], v2 offset:1840
	ds_read_b128 v[12:15], v2 offset:1856
	;; [unrolled: 1-line block ×4, first 2 shown]
	scratch_load_dwordx4 v[20:23], off, off offset:832
	scratch_load_dwordx4 v[42:45], off, off offset:896
	;; [unrolled: 1-line block ×7, first 2 shown]
	v_cmp_lt_u32_e32 vcc, 49, v0
	scratch_load_dwordx4 v[50:53], off, off offset:912
	scratch_load_dwordx4 v[58:61], off, off offset:928
	;; [unrolled: 1-line block ×3, first 2 shown]
	s_waitcnt vmcnt(9) lgkmcnt(3)
	v_mul_f64 v[24:25], v[16:17], v[22:23]
	v_fmac_f64_e32 v[24:25], v[18:19], v[20:21]
	v_add_f64 v[28:29], v[24:25], 0
	scratch_load_dwordx4 v[24:27], off, off offset:848
	v_mul_f64 v[18:19], v[18:19], v[22:23]
	v_fma_f64 v[16:17], v[16:17], v[20:21], -v[18:19]
	v_add_f64 v[16:17], v[16:17], 0
	s_waitcnt vmcnt(0) lgkmcnt(2)
	v_mul_f64 v[30:31], v[12:13], v[26:27]
	v_fmac_f64_e32 v[30:31], v[14:15], v[24:25]
	v_add_f64 v[32:33], v[28:29], v[30:31]
	scratch_load_dwordx4 v[28:31], off, off offset:864
	v_mul_f64 v[14:15], v[14:15], v[26:27]
	v_fma_f64 v[12:13], v[12:13], v[24:25], -v[14:15]
	v_add_f64 v[12:13], v[16:17], v[12:13]
	;; [unrolled: 8-line block ×3, first 2 shown]
	s_waitcnt vmcnt(0) lgkmcnt(0)
	v_mul_f64 v[38:39], v[4:5], v[36:37]
	v_fmac_f64_e32 v[38:39], v[6:7], v[34:35]
	v_add_f64 v[32:33], v[32:33], v[38:39]
	ds_read_b128 v[38:41], v2 offset:1904
	v_mul_f64 v[6:7], v[6:7], v[36:37]
	v_fma_f64 v[4:5], v[4:5], v[34:35], -v[6:7]
	v_add_f64 v[4:5], v[8:9], v[4:5]
	s_waitcnt lgkmcnt(0)
	v_mul_f64 v[46:47], v[38:39], v[44:45]
	v_fmac_f64_e32 v[46:47], v[40:41], v[42:43]
	v_add_f64 v[32:33], v[32:33], v[46:47]
	ds_read_b128 v[46:49], v2 offset:1920
	v_mul_f64 v[6:7], v[40:41], v[44:45]
	v_fma_f64 v[6:7], v[38:39], v[42:43], -v[6:7]
	v_add_f64 v[4:5], v[4:5], v[6:7]
	s_waitcnt lgkmcnt(0)
	v_mul_f64 v[54:55], v[46:47], v[52:53]
	v_fmac_f64_e32 v[54:55], v[48:49], v[50:51]
	v_add_f64 v[32:33], v[32:33], v[54:55]
	ds_read_b128 v[54:57], v2 offset:1936
	v_mul_f64 v[6:7], v[48:49], v[52:53]
	v_fma_f64 v[6:7], v[46:47], v[50:51], -v[6:7]
	v_add_f64 v[4:5], v[4:5], v[6:7]
	s_waitcnt lgkmcnt(0)
	v_mul_f64 v[62:63], v[54:55], v[60:61]
	v_fmac_f64_e32 v[62:63], v[56:57], v[58:59]
	v_add_f64 v[32:33], v[32:33], v[62:63]
	ds_read_b128 v[62:65], v2 offset:1952
	v_mul_f64 v[6:7], v[56:57], v[60:61]
	v_fma_f64 v[6:7], v[54:55], v[58:59], -v[6:7]
	v_add_f64 v[4:5], v[4:5], v[6:7]
	s_waitcnt lgkmcnt(0)
	v_mul_f64 v[70:71], v[62:63], v[68:69]
	v_fmac_f64_e32 v[70:71], v[64:65], v[66:67]
	v_add_f64 v[32:33], v[32:33], v[70:71]
	ds_read_b128 v[70:73], v2 offset:1968
	v_mul_f64 v[6:7], v[64:65], v[68:69]
	v_fma_f64 v[6:7], v[62:63], v[66:67], -v[6:7]
	v_add_f64 v[4:5], v[4:5], v[6:7]
	s_waitcnt lgkmcnt(0)
	v_mul_f64 v[78:79], v[70:71], v[76:77]
	v_fmac_f64_e32 v[78:79], v[72:73], v[74:75]
	v_add_f64 v[32:33], v[32:33], v[78:79]
	ds_read_b128 v[78:81], v2 offset:1984
	v_mul_f64 v[6:7], v[72:73], v[76:77]
	v_fma_f64 v[6:7], v[70:71], v[74:75], -v[6:7]
	v_add_f64 v[4:5], v[4:5], v[6:7]
	s_waitcnt lgkmcnt(0)
	v_mul_f64 v[86:87], v[78:79], v[84:85]
	v_fmac_f64_e32 v[86:87], v[80:81], v[82:83]
	v_add_f64 v[32:33], v[32:33], v[86:87]
	ds_read_b128 v[86:89], v2 offset:2000
	v_mul_f64 v[6:7], v[80:81], v[84:85]
	v_fma_f64 v[6:7], v[78:79], v[82:83], -v[6:7]
	v_add_f64 v[4:5], v[4:5], v[6:7]
	s_waitcnt lgkmcnt(0)
	v_mul_f64 v[94:95], v[86:87], v[92:93]
	v_fmac_f64_e32 v[94:95], v[88:89], v[90:91]
	v_add_f64 v[32:33], v[32:33], v[94:95]
	ds_read_b128 v[94:97], v2 offset:2016
	v_mul_f64 v[6:7], v[88:89], v[92:93]
	v_fma_f64 v[6:7], v[86:87], v[90:91], -v[6:7]
	v_add_f64 v[4:5], v[4:5], v[6:7]
	s_waitcnt lgkmcnt(0)
	v_mul_f64 v[102:103], v[94:95], v[100:101]
	v_fmac_f64_e32 v[102:103], v[96:97], v[98:99]
	v_add_f64 v[32:33], v[32:33], v[102:103]
	ds_read_b128 v[102:105], v2 offset:2032
	v_mul_f64 v[6:7], v[96:97], v[100:101]
	v_fma_f64 v[6:7], v[94:95], v[98:99], -v[6:7]
	v_add_f64 v[4:5], v[4:5], v[6:7]
	s_waitcnt lgkmcnt(0)
	v_mul_f64 v[6:7], v[104:105], v[108:109]
	v_fma_f64 v[6:7], v[102:103], v[106:107], -v[6:7]
	v_add_f64 v[8:9], v[4:5], v[6:7]
	scratch_load_dwordx4 v[4:7], off, off offset:816
	v_mul_f64 v[110:111], v[102:103], v[108:109]
	v_fmac_f64_e32 v[110:111], v[104:105], v[106:107]
	v_add_f64 v[32:33], v[32:33], v[110:111]
	s_waitcnt vmcnt(0)
	v_add_f64 v[4:5], v[4:5], -v[8:9]
	v_add_f64 v[6:7], v[6:7], -v[32:33]
	scratch_store_dwordx4 off, v[4:7], off offset:816
	s_and_saveexec_b64 s[0:1], vcc
	s_cbranch_execz .LBB127_311
; %bb.310:
	scratch_load_dwordx4 v[6:9], off, s41
	v_mov_b32_e32 v3, v2
	v_mov_b32_e32 v4, v2
	;; [unrolled: 1-line block ×3, first 2 shown]
	v_accvgpr_read_b32 v1, a128
	scratch_store_dwordx4 off, v[2:5], off offset:800
	s_waitcnt vmcnt(1)
	ds_write_b128 v1, v[6:9]
.LBB127_311:
	s_or_b64 exec, exec, s[0:1]
	s_waitcnt lgkmcnt(0)
	; wave barrier
	ds_read_b128 v[16:19], v2 offset:1824
	ds_read_b128 v[12:15], v2 offset:1840
	;; [unrolled: 1-line block ×4, first 2 shown]
	scratch_load_dwordx4 v[20:23], off, off offset:816
	scratch_load_dwordx4 v[42:45], off, off offset:880
	;; [unrolled: 1-line block ×8, first 2 shown]
	v_cmp_lt_u32_e32 vcc, 48, v0
	scratch_load_dwordx4 v[50:53], off, off offset:896
	scratch_load_dwordx4 v[58:61], off, off offset:912
	;; [unrolled: 1-line block ×3, first 2 shown]
	s_waitcnt vmcnt(10) lgkmcnt(3)
	v_mul_f64 v[24:25], v[16:17], v[22:23]
	v_fmac_f64_e32 v[24:25], v[18:19], v[20:21]
	v_add_f64 v[28:29], v[24:25], 0
	scratch_load_dwordx4 v[24:27], off, off offset:832
	s_waitcnt vmcnt(0) lgkmcnt(2)
	v_mul_f64 v[30:31], v[12:13], v[26:27]
	v_fmac_f64_e32 v[30:31], v[14:15], v[24:25]
	v_add_f64 v[32:33], v[28:29], v[30:31]
	scratch_load_dwordx4 v[28:31], off, off offset:848
	v_mul_f64 v[14:15], v[14:15], v[26:27]
	v_fma_f64 v[12:13], v[12:13], v[24:25], -v[14:15]
	s_waitcnt vmcnt(0) lgkmcnt(1)
	v_mul_f64 v[34:35], v[8:9], v[30:31]
	v_fmac_f64_e32 v[34:35], v[10:11], v[28:29]
	v_add_f64 v[36:37], v[32:33], v[34:35]
	scratch_load_dwordx4 v[32:35], off, off offset:864
	v_mul_f64 v[10:11], v[10:11], v[30:31]
	v_fma_f64 v[8:9], v[8:9], v[28:29], -v[10:11]
	s_waitcnt vmcnt(0) lgkmcnt(0)
	v_mul_f64 v[38:39], v[4:5], v[34:35]
	v_fmac_f64_e32 v[38:39], v[6:7], v[32:33]
	v_add_f64 v[40:41], v[36:37], v[38:39]
	ds_read_b128 v[36:39], v2 offset:1888
	v_mul_f64 v[6:7], v[6:7], v[34:35]
	v_fma_f64 v[4:5], v[4:5], v[32:33], -v[6:7]
	s_waitcnt lgkmcnt(0)
	v_mul_f64 v[46:47], v[36:37], v[44:45]
	v_fmac_f64_e32 v[46:47], v[38:39], v[42:43]
	v_add_f64 v[40:41], v[40:41], v[46:47]
	ds_read_b128 v[46:49], v2 offset:1904
	s_waitcnt lgkmcnt(0)
	v_mul_f64 v[54:55], v[46:47], v[52:53]
	v_fmac_f64_e32 v[54:55], v[48:49], v[50:51]
	v_add_f64 v[40:41], v[40:41], v[54:55]
	ds_read_b128 v[54:57], v2 offset:1920
	;; [unrolled: 5-line block ×9, first 2 shown]
	s_waitcnt lgkmcnt(0)
	v_mul_f64 v[2:3], v[110:111], v[116:117]
	v_fmac_f64_e32 v[2:3], v[112:113], v[114:115]
	v_add_f64 v[40:41], v[40:41], v[2:3]
	v_mul_f64 v[2:3], v[18:19], v[22:23]
	v_fma_f64 v[2:3], v[16:17], v[20:21], -v[2:3]
	v_add_f64 v[2:3], v[2:3], 0
	v_add_f64 v[2:3], v[2:3], v[12:13]
	;; [unrolled: 1-line block ×4, first 2 shown]
	v_mul_f64 v[4:5], v[38:39], v[44:45]
	v_fma_f64 v[4:5], v[36:37], v[42:43], -v[4:5]
	v_add_f64 v[2:3], v[2:3], v[4:5]
	v_mul_f64 v[4:5], v[48:49], v[52:53]
	v_fma_f64 v[4:5], v[46:47], v[50:51], -v[4:5]
	v_add_f64 v[2:3], v[2:3], v[4:5]
	;; [unrolled: 3-line block ×10, first 2 shown]
	scratch_load_dwordx4 v[2:5], off, off offset:800
	s_waitcnt vmcnt(0)
	v_add_f64 v[2:3], v[2:3], -v[6:7]
	v_add_f64 v[4:5], v[4:5], -v[40:41]
	scratch_store_dwordx4 off, v[2:5], off offset:800
	s_and_saveexec_b64 s[0:1], vcc
	s_cbranch_execz .LBB127_313
; %bb.312:
	scratch_load_dwordx4 v[2:5], off, s42
	v_mov_b32_e32 v6, 0
	v_mov_b32_e32 v7, v6
	v_mov_b32_e32 v8, v6
	v_mov_b32_e32 v9, v6
	v_accvgpr_read_b32 v1, a128
	scratch_store_dwordx4 off, v[6:9], off offset:784
	s_waitcnt vmcnt(1)
	ds_write_b128 v1, v[2:5]
.LBB127_313:
	s_or_b64 exec, exec, s[0:1]
	v_mov_b32_e32 v2, 0
	s_waitcnt lgkmcnt(0)
	; wave barrier
	ds_read_b128 v[16:19], v2 offset:1808
	ds_read_b128 v[12:15], v2 offset:1824
	;; [unrolled: 1-line block ×4, first 2 shown]
	scratch_load_dwordx4 v[20:23], off, off offset:800
	scratch_load_dwordx4 v[40:43], off, off offset:864
	;; [unrolled: 1-line block ×9, first 2 shown]
	v_cmp_lt_u32_e32 vcc, 47, v0
	scratch_load_dwordx4 v[48:51], off, off offset:880
	scratch_load_dwordx4 v[58:61], off, off offset:896
	;; [unrolled: 1-line block ×3, first 2 shown]
	s_waitcnt vmcnt(11) lgkmcnt(3)
	v_mul_f64 v[24:25], v[16:17], v[22:23]
	v_fmac_f64_e32 v[24:25], v[18:19], v[20:21]
	v_add_f64 v[28:29], v[24:25], 0
	scratch_load_dwordx4 v[24:27], off, off offset:816
	v_mul_f64 v[18:19], v[18:19], v[22:23]
	v_fma_f64 v[16:17], v[16:17], v[20:21], -v[18:19]
	v_add_f64 v[16:17], v[16:17], 0
	s_waitcnt vmcnt(0) lgkmcnt(2)
	v_mul_f64 v[30:31], v[12:13], v[26:27]
	v_fmac_f64_e32 v[30:31], v[14:15], v[24:25]
	v_add_f64 v[32:33], v[28:29], v[30:31]
	scratch_load_dwordx4 v[28:31], off, off offset:832
	v_mul_f64 v[14:15], v[14:15], v[26:27]
	v_fma_f64 v[12:13], v[12:13], v[24:25], -v[14:15]
	v_add_f64 v[12:13], v[16:17], v[12:13]
	;; [unrolled: 8-line block ×3, first 2 shown]
	s_waitcnt vmcnt(0) lgkmcnt(0)
	v_mul_f64 v[38:39], v[4:5], v[34:35]
	v_fmac_f64_e32 v[38:39], v[6:7], v[32:33]
	v_add_f64 v[44:45], v[36:37], v[38:39]
	ds_read_b128 v[36:39], v2 offset:1872
	v_mul_f64 v[6:7], v[6:7], v[34:35]
	v_fma_f64 v[4:5], v[4:5], v[32:33], -v[6:7]
	v_add_f64 v[4:5], v[8:9], v[4:5]
	s_waitcnt lgkmcnt(0)
	v_mul_f64 v[46:47], v[36:37], v[42:43]
	v_fmac_f64_e32 v[46:47], v[38:39], v[40:41]
	v_add_f64 v[52:53], v[44:45], v[46:47]
	ds_read_b128 v[44:47], v2 offset:1888
	v_mul_f64 v[6:7], v[38:39], v[42:43]
	v_fma_f64 v[6:7], v[36:37], v[40:41], -v[6:7]
	v_add_f64 v[4:5], v[4:5], v[6:7]
	s_waitcnt lgkmcnt(0)
	;; [unrolled: 8-line block ×11, first 2 shown]
	v_mul_f64 v[6:7], v[120:121], v[124:125]
	v_fma_f64 v[6:7], v[118:119], v[122:123], -v[6:7]
	v_add_f64 v[8:9], v[4:5], v[6:7]
	scratch_load_dwordx4 v[4:7], off, off offset:784
	v_mul_f64 v[126:127], v[118:119], v[124:125]
	v_fmac_f64_e32 v[126:127], v[120:121], v[122:123]
	v_add_f64 v[56:57], v[56:57], v[126:127]
	s_waitcnt vmcnt(0)
	v_add_f64 v[4:5], v[4:5], -v[8:9]
	v_add_f64 v[6:7], v[6:7], -v[56:57]
	scratch_store_dwordx4 off, v[4:7], off offset:784
	s_and_saveexec_b64 s[0:1], vcc
	s_cbranch_execz .LBB127_315
; %bb.314:
	scratch_load_dwordx4 v[6:9], off, s43
	v_mov_b32_e32 v3, v2
	v_mov_b32_e32 v4, v2
	;; [unrolled: 1-line block ×3, first 2 shown]
	v_accvgpr_read_b32 v1, a128
	scratch_store_dwordx4 off, v[2:5], off offset:768
	s_waitcnt vmcnt(1)
	ds_write_b128 v1, v[6:9]
.LBB127_315:
	s_or_b64 exec, exec, s[0:1]
	s_waitcnt lgkmcnt(0)
	; wave barrier
	ds_read_b128 v[16:19], v2 offset:1792
	ds_read_b128 v[12:15], v2 offset:1808
	;; [unrolled: 1-line block ×4, first 2 shown]
	scratch_load_dwordx4 v[20:23], off, off offset:784
	scratch_load_dwordx4 v[40:43], off, off offset:848
	;; [unrolled: 1-line block ×10, first 2 shown]
	v_cmp_lt_u32_e32 vcc, 46, v0
	scratch_load_dwordx4 v[48:51], off, off offset:864
	scratch_load_dwordx4 v[56:59], off, off offset:880
	;; [unrolled: 1-line block ×3, first 2 shown]
	s_waitcnt vmcnt(12) lgkmcnt(3)
	v_mul_f64 v[24:25], v[16:17], v[22:23]
	v_fmac_f64_e32 v[24:25], v[18:19], v[20:21]
	v_add_f64 v[28:29], v[24:25], 0
	scratch_load_dwordx4 v[24:27], off, off offset:800
	s_waitcnt vmcnt(0) lgkmcnt(2)
	v_mul_f64 v[30:31], v[12:13], v[26:27]
	v_fmac_f64_e32 v[30:31], v[14:15], v[24:25]
	v_add_f64 v[32:33], v[28:29], v[30:31]
	scratch_load_dwordx4 v[28:31], off, off offset:816
	v_mul_f64 v[14:15], v[14:15], v[26:27]
	v_fma_f64 v[12:13], v[12:13], v[24:25], -v[14:15]
	s_waitcnt vmcnt(0) lgkmcnt(1)
	v_mul_f64 v[34:35], v[8:9], v[30:31]
	v_fmac_f64_e32 v[34:35], v[10:11], v[28:29]
	v_add_f64 v[36:37], v[32:33], v[34:35]
	scratch_load_dwordx4 v[32:35], off, off offset:832
	v_mul_f64 v[10:11], v[10:11], v[30:31]
	v_fma_f64 v[8:9], v[8:9], v[28:29], -v[10:11]
	s_waitcnt vmcnt(0) lgkmcnt(0)
	v_mul_f64 v[38:39], v[4:5], v[34:35]
	v_fmac_f64_e32 v[38:39], v[6:7], v[32:33]
	v_add_f64 v[44:45], v[36:37], v[38:39]
	ds_read_b128 v[36:39], v2 offset:1856
	v_mul_f64 v[6:7], v[6:7], v[34:35]
	v_fma_f64 v[4:5], v[4:5], v[32:33], -v[6:7]
	s_waitcnt lgkmcnt(0)
	v_mul_f64 v[46:47], v[36:37], v[42:43]
	v_fmac_f64_e32 v[46:47], v[38:39], v[40:41]
	v_add_f64 v[52:53], v[44:45], v[46:47]
	ds_read_b128 v[44:47], v2 offset:1872
	s_waitcnt lgkmcnt(0)
	v_mul_f64 v[54:55], v[44:45], v[50:51]
	v_fmac_f64_e32 v[54:55], v[46:47], v[48:49]
	v_add_f64 v[60:61], v[52:53], v[54:55]
	ds_read_b128 v[52:55], v2 offset:1888
	;; [unrolled: 5-line block ×11, first 2 shown]
	s_waitcnt lgkmcnt(0)
	v_mul_f64 v[2:3], v[126:127], v[132:133]
	v_fmac_f64_e32 v[2:3], v[128:129], v[130:131]
	v_add_f64 v[64:65], v[64:65], v[2:3]
	v_mul_f64 v[2:3], v[18:19], v[22:23]
	v_fma_f64 v[2:3], v[16:17], v[20:21], -v[2:3]
	v_add_f64 v[2:3], v[2:3], 0
	v_add_f64 v[2:3], v[2:3], v[12:13]
	;; [unrolled: 1-line block ×4, first 2 shown]
	v_mul_f64 v[4:5], v[38:39], v[42:43]
	v_fma_f64 v[4:5], v[36:37], v[40:41], -v[4:5]
	v_add_f64 v[2:3], v[2:3], v[4:5]
	v_mul_f64 v[4:5], v[46:47], v[50:51]
	v_fma_f64 v[4:5], v[44:45], v[48:49], -v[4:5]
	v_add_f64 v[2:3], v[2:3], v[4:5]
	;; [unrolled: 3-line block ×12, first 2 shown]
	scratch_load_dwordx4 v[2:5], off, off offset:768
	s_waitcnt vmcnt(0)
	v_add_f64 v[2:3], v[2:3], -v[6:7]
	v_add_f64 v[4:5], v[4:5], -v[64:65]
	scratch_store_dwordx4 off, v[2:5], off offset:768
	s_and_saveexec_b64 s[0:1], vcc
	s_cbranch_execz .LBB127_317
; %bb.316:
	scratch_load_dwordx4 v[2:5], off, s44
	v_mov_b32_e32 v6, 0
	v_mov_b32_e32 v7, v6
	;; [unrolled: 1-line block ×4, first 2 shown]
	v_accvgpr_read_b32 v1, a128
	scratch_store_dwordx4 off, v[6:9], off offset:752
	s_waitcnt vmcnt(1)
	ds_write_b128 v1, v[2:5]
.LBB127_317:
	s_or_b64 exec, exec, s[0:1]
	v_mov_b32_e32 v2, 0
	s_waitcnt lgkmcnt(0)
	; wave barrier
	ds_read_b128 v[16:19], v2 offset:1776
	ds_read_b128 v[12:15], v2 offset:1792
	;; [unrolled: 1-line block ×4, first 2 shown]
	scratch_load_dwordx4 v[20:23], off, off offset:768
	scratch_load_dwordx4 v[40:43], off, off offset:832
	;; [unrolled: 1-line block ×11, first 2 shown]
	v_cmp_lt_u32_e32 vcc, 45, v0
	scratch_load_dwordx4 v[48:51], off, off offset:848
	scratch_load_dwordx4 v[56:59], off, off offset:864
	;; [unrolled: 1-line block ×3, first 2 shown]
	s_waitcnt vmcnt(13) lgkmcnt(3)
	v_mul_f64 v[24:25], v[16:17], v[22:23]
	v_fmac_f64_e32 v[24:25], v[18:19], v[20:21]
	v_add_f64 v[28:29], v[24:25], 0
	scratch_load_dwordx4 v[24:27], off, off offset:784
	v_mul_f64 v[18:19], v[18:19], v[22:23]
	v_fma_f64 v[16:17], v[16:17], v[20:21], -v[18:19]
	v_add_f64 v[16:17], v[16:17], 0
	s_waitcnt vmcnt(0) lgkmcnt(2)
	v_mul_f64 v[30:31], v[12:13], v[26:27]
	v_fmac_f64_e32 v[30:31], v[14:15], v[24:25]
	v_add_f64 v[32:33], v[28:29], v[30:31]
	scratch_load_dwordx4 v[28:31], off, off offset:800
	v_mul_f64 v[14:15], v[14:15], v[26:27]
	v_fma_f64 v[12:13], v[12:13], v[24:25], -v[14:15]
	v_add_f64 v[12:13], v[16:17], v[12:13]
	;; [unrolled: 8-line block ×3, first 2 shown]
	s_waitcnt vmcnt(0) lgkmcnt(0)
	v_mul_f64 v[38:39], v[4:5], v[34:35]
	v_fmac_f64_e32 v[38:39], v[6:7], v[32:33]
	v_add_f64 v[44:45], v[36:37], v[38:39]
	ds_read_b128 v[36:39], v2 offset:1840
	v_mul_f64 v[6:7], v[6:7], v[34:35]
	v_fma_f64 v[4:5], v[4:5], v[32:33], -v[6:7]
	v_add_f64 v[4:5], v[8:9], v[4:5]
	s_waitcnt lgkmcnt(0)
	v_mul_f64 v[46:47], v[36:37], v[42:43]
	v_fmac_f64_e32 v[46:47], v[38:39], v[40:41]
	v_add_f64 v[52:53], v[44:45], v[46:47]
	ds_read_b128 v[44:47], v2 offset:1856
	v_mul_f64 v[6:7], v[38:39], v[42:43]
	v_fma_f64 v[6:7], v[36:37], v[40:41], -v[6:7]
	v_add_f64 v[4:5], v[4:5], v[6:7]
	s_waitcnt lgkmcnt(0)
	;; [unrolled: 8-line block ×13, first 2 shown]
	v_mul_f64 v[6:7], v[136:137], v[140:141]
	v_fma_f64 v[6:7], v[134:135], v[138:139], -v[6:7]
	v_add_f64 v[8:9], v[4:5], v[6:7]
	scratch_load_dwordx4 v[4:7], off, off offset:752
	v_mul_f64 v[142:143], v[134:135], v[140:141]
	v_fmac_f64_e32 v[142:143], v[136:137], v[138:139]
	v_add_f64 v[72:73], v[72:73], v[142:143]
	s_waitcnt vmcnt(0)
	v_add_f64 v[4:5], v[4:5], -v[8:9]
	v_add_f64 v[6:7], v[6:7], -v[72:73]
	scratch_store_dwordx4 off, v[4:7], off offset:752
	s_and_saveexec_b64 s[0:1], vcc
	s_cbranch_execz .LBB127_319
; %bb.318:
	scratch_load_dwordx4 v[6:9], off, s45
	v_mov_b32_e32 v3, v2
	v_mov_b32_e32 v4, v2
	;; [unrolled: 1-line block ×3, first 2 shown]
	v_accvgpr_read_b32 v1, a128
	scratch_store_dwordx4 off, v[2:5], off offset:736
	s_waitcnt vmcnt(1)
	ds_write_b128 v1, v[6:9]
.LBB127_319:
	s_or_b64 exec, exec, s[0:1]
	s_waitcnt lgkmcnt(0)
	; wave barrier
	ds_read_b128 v[16:19], v2 offset:1760
	ds_read_b128 v[12:15], v2 offset:1776
	ds_read_b128 v[8:11], v2 offset:1792
	ds_read_b128 v[4:7], v2 offset:1808
	scratch_load_dwordx4 v[20:23], off, off offset:752
	scratch_load_dwordx4 v[40:43], off, off offset:816
	;; [unrolled: 1-line block ×12, first 2 shown]
	v_cmp_lt_u32_e32 vcc, 44, v0
	scratch_load_dwordx4 v[48:51], off, off offset:832
	scratch_load_dwordx4 v[56:59], off, off offset:848
	;; [unrolled: 1-line block ×3, first 2 shown]
	s_waitcnt vmcnt(14) lgkmcnt(3)
	v_mul_f64 v[24:25], v[16:17], v[22:23]
	v_fmac_f64_e32 v[24:25], v[18:19], v[20:21]
	v_add_f64 v[28:29], v[24:25], 0
	scratch_load_dwordx4 v[24:27], off, off offset:768
	s_waitcnt vmcnt(0) lgkmcnt(2)
	v_mul_f64 v[30:31], v[12:13], v[26:27]
	v_fmac_f64_e32 v[30:31], v[14:15], v[24:25]
	v_add_f64 v[32:33], v[28:29], v[30:31]
	scratch_load_dwordx4 v[28:31], off, off offset:784
	v_mul_f64 v[14:15], v[14:15], v[26:27]
	v_fma_f64 v[12:13], v[12:13], v[24:25], -v[14:15]
	s_waitcnt vmcnt(0) lgkmcnt(1)
	v_mul_f64 v[34:35], v[8:9], v[30:31]
	v_fmac_f64_e32 v[34:35], v[10:11], v[28:29]
	v_add_f64 v[36:37], v[32:33], v[34:35]
	scratch_load_dwordx4 v[32:35], off, off offset:800
	v_mul_f64 v[10:11], v[10:11], v[30:31]
	v_fma_f64 v[8:9], v[8:9], v[28:29], -v[10:11]
	s_waitcnt vmcnt(0) lgkmcnt(0)
	v_mul_f64 v[38:39], v[4:5], v[34:35]
	v_fmac_f64_e32 v[38:39], v[6:7], v[32:33]
	v_add_f64 v[44:45], v[36:37], v[38:39]
	ds_read_b128 v[36:39], v2 offset:1824
	v_mul_f64 v[6:7], v[6:7], v[34:35]
	v_fma_f64 v[4:5], v[4:5], v[32:33], -v[6:7]
	s_waitcnt lgkmcnt(0)
	v_mul_f64 v[46:47], v[36:37], v[42:43]
	v_fmac_f64_e32 v[46:47], v[38:39], v[40:41]
	v_add_f64 v[52:53], v[44:45], v[46:47]
	ds_read_b128 v[44:47], v2 offset:1840
	s_waitcnt lgkmcnt(0)
	v_mul_f64 v[54:55], v[44:45], v[50:51]
	v_fmac_f64_e32 v[54:55], v[46:47], v[48:49]
	v_add_f64 v[60:61], v[52:53], v[54:55]
	ds_read_b128 v[52:55], v2 offset:1856
	s_waitcnt lgkmcnt(0)
	v_mul_f64 v[62:63], v[52:53], v[58:59]
	v_fmac_f64_e32 v[62:63], v[54:55], v[56:57]
	v_add_f64 v[68:69], v[60:61], v[62:63]
	ds_read_b128 v[60:63], v2 offset:1872
	s_waitcnt lgkmcnt(0)
	v_mul_f64 v[70:71], v[60:61], v[66:67]
	v_fmac_f64_e32 v[70:71], v[62:63], v[64:65]
	v_add_f64 v[76:77], v[68:69], v[70:71]
	ds_read_b128 v[68:71], v2 offset:1888
	s_waitcnt lgkmcnt(0)
	v_mul_f64 v[78:79], v[68:69], v[74:75]
	v_fmac_f64_e32 v[78:79], v[70:71], v[72:73]
	v_add_f64 v[80:81], v[76:77], v[78:79]
	ds_read_b128 v[76:79], v2 offset:1904
	s_waitcnt lgkmcnt(0)
	v_mul_f64 v[86:87], v[76:77], v[84:85]
	v_fmac_f64_e32 v[86:87], v[78:79], v[82:83]
	v_add_f64 v[80:81], v[80:81], v[86:87]
	ds_read_b128 v[86:89], v2 offset:1920
	s_waitcnt lgkmcnt(0)
	v_mul_f64 v[94:95], v[86:87], v[92:93]
	v_fmac_f64_e32 v[94:95], v[88:89], v[90:91]
	v_add_f64 v[80:81], v[80:81], v[94:95]
	ds_read_b128 v[94:97], v2 offset:1936
	s_waitcnt lgkmcnt(0)
	v_mul_f64 v[102:103], v[94:95], v[100:101]
	v_fmac_f64_e32 v[102:103], v[96:97], v[98:99]
	v_add_f64 v[80:81], v[80:81], v[102:103]
	ds_read_b128 v[102:105], v2 offset:1952
	s_waitcnt lgkmcnt(0)
	v_mul_f64 v[110:111], v[102:103], v[108:109]
	v_fmac_f64_e32 v[110:111], v[104:105], v[106:107]
	v_add_f64 v[80:81], v[80:81], v[110:111]
	ds_read_b128 v[110:113], v2 offset:1968
	s_waitcnt lgkmcnt(0)
	v_mul_f64 v[118:119], v[110:111], v[116:117]
	v_fmac_f64_e32 v[118:119], v[112:113], v[114:115]
	v_add_f64 v[80:81], v[80:81], v[118:119]
	ds_read_b128 v[118:121], v2 offset:1984
	s_waitcnt lgkmcnt(0)
	v_mul_f64 v[126:127], v[118:119], v[124:125]
	v_fmac_f64_e32 v[126:127], v[120:121], v[122:123]
	v_add_f64 v[80:81], v[80:81], v[126:127]
	ds_read_b128 v[126:129], v2 offset:2000
	s_waitcnt lgkmcnt(0)
	v_mul_f64 v[134:135], v[126:127], v[132:133]
	v_fmac_f64_e32 v[134:135], v[128:129], v[130:131]
	v_add_f64 v[80:81], v[80:81], v[134:135]
	ds_read_b128 v[134:137], v2 offset:2016
	s_waitcnt lgkmcnt(0)
	v_mul_f64 v[142:143], v[134:135], v[140:141]
	v_fmac_f64_e32 v[142:143], v[136:137], v[138:139]
	v_add_f64 v[80:81], v[80:81], v[142:143]
	ds_read_b128 v[142:145], v2 offset:2032
	s_waitcnt lgkmcnt(0)
	v_mul_f64 v[2:3], v[142:143], v[148:149]
	v_fmac_f64_e32 v[2:3], v[144:145], v[146:147]
	v_add_f64 v[80:81], v[80:81], v[2:3]
	v_mul_f64 v[2:3], v[18:19], v[22:23]
	v_fma_f64 v[2:3], v[16:17], v[20:21], -v[2:3]
	v_add_f64 v[2:3], v[2:3], 0
	v_add_f64 v[2:3], v[2:3], v[12:13]
	;; [unrolled: 1-line block ×4, first 2 shown]
	v_mul_f64 v[4:5], v[38:39], v[42:43]
	v_fma_f64 v[4:5], v[36:37], v[40:41], -v[4:5]
	v_add_f64 v[2:3], v[2:3], v[4:5]
	v_mul_f64 v[4:5], v[46:47], v[50:51]
	v_fma_f64 v[4:5], v[44:45], v[48:49], -v[4:5]
	v_add_f64 v[2:3], v[2:3], v[4:5]
	;; [unrolled: 3-line block ×14, first 2 shown]
	scratch_load_dwordx4 v[2:5], off, off offset:736
	s_waitcnt vmcnt(0)
	v_add_f64 v[2:3], v[2:3], -v[6:7]
	v_add_f64 v[4:5], v[4:5], -v[80:81]
	scratch_store_dwordx4 off, v[2:5], off offset:736
	s_and_saveexec_b64 s[0:1], vcc
	s_cbranch_execz .LBB127_321
; %bb.320:
	scratch_load_dwordx4 v[2:5], off, s46
	v_mov_b32_e32 v6, 0
	v_mov_b32_e32 v7, v6
	v_mov_b32_e32 v8, v6
	v_mov_b32_e32 v9, v6
	v_accvgpr_read_b32 v1, a128
	scratch_store_dwordx4 off, v[6:9], off offset:720
	s_waitcnt vmcnt(1)
	ds_write_b128 v1, v[2:5]
.LBB127_321:
	s_or_b64 exec, exec, s[0:1]
	v_mov_b32_e32 v2, 0
	s_waitcnt lgkmcnt(0)
	; wave barrier
	ds_read_b128 v[16:19], v2 offset:1744
	ds_read_b128 v[12:15], v2 offset:1760
	;; [unrolled: 1-line block ×4, first 2 shown]
	scratch_load_dwordx4 v[20:23], off, off offset:736
	scratch_load_dwordx4 v[40:43], off, off offset:800
	;; [unrolled: 1-line block ×13, first 2 shown]
	v_cmp_lt_u32_e32 vcc, 43, v0
	scratch_load_dwordx4 v[48:51], off, off offset:816
	scratch_load_dwordx4 v[56:59], off, off offset:832
	;; [unrolled: 1-line block ×3, first 2 shown]
	s_waitcnt vmcnt(15) lgkmcnt(3)
	v_mul_f64 v[24:25], v[16:17], v[22:23]
	v_fmac_f64_e32 v[24:25], v[18:19], v[20:21]
	v_add_f64 v[28:29], v[24:25], 0
	scratch_load_dwordx4 v[24:27], off, off offset:752
	v_mul_f64 v[18:19], v[18:19], v[22:23]
	v_fma_f64 v[16:17], v[16:17], v[20:21], -v[18:19]
	v_add_f64 v[16:17], v[16:17], 0
	s_waitcnt vmcnt(0) lgkmcnt(2)
	v_mul_f64 v[30:31], v[12:13], v[26:27]
	v_fmac_f64_e32 v[30:31], v[14:15], v[24:25]
	v_add_f64 v[32:33], v[28:29], v[30:31]
	scratch_load_dwordx4 v[28:31], off, off offset:768
	v_mul_f64 v[14:15], v[14:15], v[26:27]
	v_fma_f64 v[12:13], v[12:13], v[24:25], -v[14:15]
	v_add_f64 v[12:13], v[16:17], v[12:13]
	;; [unrolled: 8-line block ×3, first 2 shown]
	s_waitcnt vmcnt(0) lgkmcnt(0)
	v_mul_f64 v[38:39], v[4:5], v[34:35]
	v_fmac_f64_e32 v[38:39], v[6:7], v[32:33]
	v_add_f64 v[44:45], v[36:37], v[38:39]
	ds_read_b128 v[36:39], v2 offset:1808
	v_mul_f64 v[6:7], v[6:7], v[34:35]
	v_fma_f64 v[4:5], v[4:5], v[32:33], -v[6:7]
	v_add_f64 v[4:5], v[8:9], v[4:5]
	s_waitcnt lgkmcnt(0)
	v_mul_f64 v[46:47], v[36:37], v[42:43]
	v_fmac_f64_e32 v[46:47], v[38:39], v[40:41]
	v_add_f64 v[52:53], v[44:45], v[46:47]
	ds_read_b128 v[44:47], v2 offset:1824
	v_mul_f64 v[6:7], v[38:39], v[42:43]
	v_fma_f64 v[6:7], v[36:37], v[40:41], -v[6:7]
	v_add_f64 v[4:5], v[4:5], v[6:7]
	s_waitcnt lgkmcnt(0)
	;; [unrolled: 8-line block ×15, first 2 shown]
	v_mul_f64 v[6:7], v[152:153], v[156:157]
	v_fma_f64 v[6:7], v[150:151], v[154:155], -v[6:7]
	v_add_f64 v[8:9], v[4:5], v[6:7]
	scratch_load_dwordx4 v[4:7], off, off offset:720
	v_mul_f64 v[158:159], v[150:151], v[156:157]
	v_fmac_f64_e32 v[158:159], v[152:153], v[154:155]
	v_add_f64 v[88:89], v[88:89], v[158:159]
	s_waitcnt vmcnt(0)
	v_add_f64 v[4:5], v[4:5], -v[8:9]
	v_add_f64 v[6:7], v[6:7], -v[88:89]
	scratch_store_dwordx4 off, v[4:7], off offset:720
	s_and_saveexec_b64 s[0:1], vcc
	s_cbranch_execz .LBB127_323
; %bb.322:
	scratch_load_dwordx4 v[6:9], off, s47
	v_mov_b32_e32 v3, v2
	v_mov_b32_e32 v4, v2
	;; [unrolled: 1-line block ×3, first 2 shown]
	v_accvgpr_read_b32 v1, a128
	scratch_store_dwordx4 off, v[2:5], off offset:704
	s_waitcnt vmcnt(1)
	ds_write_b128 v1, v[6:9]
.LBB127_323:
	s_or_b64 exec, exec, s[0:1]
	s_waitcnt lgkmcnt(0)
	; wave barrier
	ds_read_b128 v[16:19], v2 offset:1728
	ds_read_b128 v[12:15], v2 offset:1744
	;; [unrolled: 1-line block ×4, first 2 shown]
	scratch_load_dwordx4 v[20:23], off, off offset:720
	scratch_load_dwordx4 v[40:43], off, off offset:784
	;; [unrolled: 1-line block ×14, first 2 shown]
	v_cmp_lt_u32_e32 vcc, 42, v0
	scratch_load_dwordx4 v[48:51], off, off offset:800
	scratch_load_dwordx4 v[56:59], off, off offset:816
	;; [unrolled: 1-line block ×3, first 2 shown]
	s_waitcnt vmcnt(16) lgkmcnt(3)
	v_mul_f64 v[24:25], v[16:17], v[22:23]
	v_fmac_f64_e32 v[24:25], v[18:19], v[20:21]
	v_add_f64 v[28:29], v[24:25], 0
	scratch_load_dwordx4 v[24:27], off, off offset:736
	s_waitcnt vmcnt(0) lgkmcnt(2)
	v_mul_f64 v[30:31], v[12:13], v[26:27]
	v_fmac_f64_e32 v[30:31], v[14:15], v[24:25]
	v_add_f64 v[32:33], v[28:29], v[30:31]
	scratch_load_dwordx4 v[28:31], off, off offset:752
	v_mul_f64 v[14:15], v[14:15], v[26:27]
	v_fma_f64 v[12:13], v[12:13], v[24:25], -v[14:15]
	s_waitcnt vmcnt(0) lgkmcnt(1)
	v_mul_f64 v[34:35], v[8:9], v[30:31]
	v_fmac_f64_e32 v[34:35], v[10:11], v[28:29]
	v_add_f64 v[36:37], v[32:33], v[34:35]
	scratch_load_dwordx4 v[32:35], off, off offset:768
	v_mul_f64 v[10:11], v[10:11], v[30:31]
	v_fma_f64 v[8:9], v[8:9], v[28:29], -v[10:11]
	s_waitcnt vmcnt(0) lgkmcnt(0)
	v_mul_f64 v[38:39], v[4:5], v[34:35]
	v_fmac_f64_e32 v[38:39], v[6:7], v[32:33]
	v_add_f64 v[44:45], v[36:37], v[38:39]
	ds_read_b128 v[36:39], v2 offset:1792
	v_mul_f64 v[6:7], v[6:7], v[34:35]
	v_fma_f64 v[4:5], v[4:5], v[32:33], -v[6:7]
	s_waitcnt lgkmcnt(0)
	v_mul_f64 v[46:47], v[36:37], v[42:43]
	v_fmac_f64_e32 v[46:47], v[38:39], v[40:41]
	v_add_f64 v[52:53], v[44:45], v[46:47]
	ds_read_b128 v[44:47], v2 offset:1808
	s_waitcnt lgkmcnt(0)
	v_mul_f64 v[54:55], v[44:45], v[50:51]
	v_fmac_f64_e32 v[54:55], v[46:47], v[48:49]
	v_add_f64 v[60:61], v[52:53], v[54:55]
	ds_read_b128 v[52:55], v2 offset:1824
	;; [unrolled: 5-line block ×15, first 2 shown]
	s_waitcnt lgkmcnt(0)
	v_mul_f64 v[2:3], v[158:159], v[164:165]
	v_fmac_f64_e32 v[2:3], v[160:161], v[162:163]
	v_add_f64 v[96:97], v[96:97], v[2:3]
	v_mul_f64 v[2:3], v[18:19], v[22:23]
	v_fma_f64 v[2:3], v[16:17], v[20:21], -v[2:3]
	v_add_f64 v[2:3], v[2:3], 0
	v_add_f64 v[2:3], v[2:3], v[12:13]
	;; [unrolled: 1-line block ×4, first 2 shown]
	v_mul_f64 v[4:5], v[38:39], v[42:43]
	v_fma_f64 v[4:5], v[36:37], v[40:41], -v[4:5]
	v_add_f64 v[2:3], v[2:3], v[4:5]
	v_mul_f64 v[4:5], v[46:47], v[50:51]
	v_fma_f64 v[4:5], v[44:45], v[48:49], -v[4:5]
	v_add_f64 v[2:3], v[2:3], v[4:5]
	;; [unrolled: 3-line block ×16, first 2 shown]
	scratch_load_dwordx4 v[2:5], off, off offset:704
	s_waitcnt vmcnt(0)
	v_add_f64 v[2:3], v[2:3], -v[6:7]
	v_add_f64 v[4:5], v[4:5], -v[96:97]
	scratch_store_dwordx4 off, v[2:5], off offset:704
	s_and_saveexec_b64 s[0:1], vcc
	s_cbranch_execz .LBB127_325
; %bb.324:
	scratch_load_dwordx4 v[2:5], off, s48
	v_mov_b32_e32 v6, 0
	v_mov_b32_e32 v7, v6
	;; [unrolled: 1-line block ×4, first 2 shown]
	v_accvgpr_read_b32 v1, a128
	scratch_store_dwordx4 off, v[6:9], off offset:688
	s_waitcnt vmcnt(1)
	ds_write_b128 v1, v[2:5]
.LBB127_325:
	s_or_b64 exec, exec, s[0:1]
	v_mov_b32_e32 v2, 0
	s_waitcnt lgkmcnt(0)
	; wave barrier
	ds_read_b128 v[16:19], v2 offset:1712
	ds_read_b128 v[12:15], v2 offset:1728
	;; [unrolled: 1-line block ×4, first 2 shown]
	scratch_load_dwordx4 v[20:23], off, off offset:704
	scratch_load_dwordx4 v[40:43], off, off offset:768
	;; [unrolled: 1-line block ×15, first 2 shown]
	v_cmp_lt_u32_e32 vcc, 41, v0
	scratch_load_dwordx4 v[48:51], off, off offset:784
	scratch_load_dwordx4 v[56:59], off, off offset:800
	;; [unrolled: 1-line block ×3, first 2 shown]
	s_waitcnt vmcnt(17) lgkmcnt(3)
	v_mul_f64 v[24:25], v[16:17], v[22:23]
	v_fmac_f64_e32 v[24:25], v[18:19], v[20:21]
	v_add_f64 v[28:29], v[24:25], 0
	scratch_load_dwordx4 v[24:27], off, off offset:720
	v_mul_f64 v[18:19], v[18:19], v[22:23]
	v_fma_f64 v[16:17], v[16:17], v[20:21], -v[18:19]
	v_add_f64 v[16:17], v[16:17], 0
	s_waitcnt vmcnt(0) lgkmcnt(2)
	v_mul_f64 v[30:31], v[12:13], v[26:27]
	v_fmac_f64_e32 v[30:31], v[14:15], v[24:25]
	v_add_f64 v[32:33], v[28:29], v[30:31]
	scratch_load_dwordx4 v[28:31], off, off offset:736
	v_mul_f64 v[14:15], v[14:15], v[26:27]
	v_fma_f64 v[12:13], v[12:13], v[24:25], -v[14:15]
	v_add_f64 v[12:13], v[16:17], v[12:13]
	s_waitcnt vmcnt(0) lgkmcnt(1)
	v_mul_f64 v[34:35], v[8:9], v[30:31]
	v_fmac_f64_e32 v[34:35], v[10:11], v[28:29]
	v_add_f64 v[36:37], v[32:33], v[34:35]
	scratch_load_dwordx4 v[32:35], off, off offset:752
	v_mul_f64 v[10:11], v[10:11], v[30:31]
	v_fma_f64 v[8:9], v[8:9], v[28:29], -v[10:11]
	v_add_f64 v[8:9], v[12:13], v[8:9]
	s_waitcnt vmcnt(0) lgkmcnt(0)
	v_mul_f64 v[38:39], v[4:5], v[34:35]
	v_fmac_f64_e32 v[38:39], v[6:7], v[32:33]
	v_add_f64 v[44:45], v[36:37], v[38:39]
	ds_read_b128 v[36:39], v2 offset:1776
	v_mul_f64 v[6:7], v[6:7], v[34:35]
	v_fma_f64 v[4:5], v[4:5], v[32:33], -v[6:7]
	v_add_f64 v[4:5], v[8:9], v[4:5]
	s_waitcnt lgkmcnt(0)
	v_mul_f64 v[46:47], v[36:37], v[42:43]
	v_fmac_f64_e32 v[46:47], v[38:39], v[40:41]
	v_add_f64 v[52:53], v[44:45], v[46:47]
	ds_read_b128 v[44:47], v2 offset:1792
	v_mul_f64 v[6:7], v[38:39], v[42:43]
	v_fma_f64 v[6:7], v[36:37], v[40:41], -v[6:7]
	v_add_f64 v[4:5], v[4:5], v[6:7]
	s_waitcnt lgkmcnt(0)
	;; [unrolled: 8-line block ×17, first 2 shown]
	v_mul_f64 v[6:7], v[168:169], v[172:173]
	v_fma_f64 v[6:7], v[166:167], v[170:171], -v[6:7]
	v_add_f64 v[8:9], v[4:5], v[6:7]
	scratch_load_dwordx4 v[4:7], off, off offset:688
	v_mul_f64 v[174:175], v[166:167], v[172:173]
	v_fmac_f64_e32 v[174:175], v[168:169], v[170:171]
	v_add_f64 v[104:105], v[104:105], v[174:175]
	s_waitcnt vmcnt(0)
	v_add_f64 v[4:5], v[4:5], -v[8:9]
	v_add_f64 v[6:7], v[6:7], -v[104:105]
	scratch_store_dwordx4 off, v[4:7], off offset:688
	s_and_saveexec_b64 s[0:1], vcc
	s_cbranch_execz .LBB127_327
; %bb.326:
	scratch_load_dwordx4 v[6:9], off, s49
	v_mov_b32_e32 v3, v2
	v_mov_b32_e32 v4, v2
	;; [unrolled: 1-line block ×3, first 2 shown]
	v_accvgpr_read_b32 v1, a128
	scratch_store_dwordx4 off, v[2:5], off offset:672
	s_waitcnt vmcnt(1)
	ds_write_b128 v1, v[6:9]
.LBB127_327:
	s_or_b64 exec, exec, s[0:1]
	s_waitcnt lgkmcnt(0)
	; wave barrier
	ds_read_b128 v[16:19], v2 offset:1696
	ds_read_b128 v[12:15], v2 offset:1712
	;; [unrolled: 1-line block ×4, first 2 shown]
	scratch_load_dwordx4 v[20:23], off, off offset:688
	scratch_load_dwordx4 v[40:43], off, off offset:752
	;; [unrolled: 1-line block ×16, first 2 shown]
	v_cmp_lt_u32_e32 vcc, 40, v0
	scratch_load_dwordx4 v[48:51], off, off offset:768
	scratch_load_dwordx4 v[56:59], off, off offset:784
	;; [unrolled: 1-line block ×3, first 2 shown]
	s_waitcnt vmcnt(18) lgkmcnt(3)
	v_mul_f64 v[24:25], v[16:17], v[22:23]
	v_fmac_f64_e32 v[24:25], v[18:19], v[20:21]
	v_add_f64 v[28:29], v[24:25], 0
	scratch_load_dwordx4 v[24:27], off, off offset:704
	s_waitcnt vmcnt(0) lgkmcnt(2)
	v_mul_f64 v[30:31], v[12:13], v[26:27]
	v_fmac_f64_e32 v[30:31], v[14:15], v[24:25]
	v_add_f64 v[32:33], v[28:29], v[30:31]
	scratch_load_dwordx4 v[28:31], off, off offset:720
	v_mul_f64 v[14:15], v[14:15], v[26:27]
	v_fma_f64 v[12:13], v[12:13], v[24:25], -v[14:15]
	s_waitcnt vmcnt(0) lgkmcnt(1)
	v_mul_f64 v[34:35], v[8:9], v[30:31]
	v_fmac_f64_e32 v[34:35], v[10:11], v[28:29]
	v_add_f64 v[36:37], v[32:33], v[34:35]
	scratch_load_dwordx4 v[32:35], off, off offset:736
	v_mul_f64 v[10:11], v[10:11], v[30:31]
	v_fma_f64 v[8:9], v[8:9], v[28:29], -v[10:11]
	s_waitcnt vmcnt(0) lgkmcnt(0)
	v_mul_f64 v[38:39], v[4:5], v[34:35]
	v_fmac_f64_e32 v[38:39], v[6:7], v[32:33]
	v_add_f64 v[44:45], v[36:37], v[38:39]
	ds_read_b128 v[36:39], v2 offset:1760
	v_mul_f64 v[6:7], v[6:7], v[34:35]
	v_fma_f64 v[4:5], v[4:5], v[32:33], -v[6:7]
	s_waitcnt lgkmcnt(0)
	v_mul_f64 v[46:47], v[36:37], v[42:43]
	v_fmac_f64_e32 v[46:47], v[38:39], v[40:41]
	v_add_f64 v[52:53], v[44:45], v[46:47]
	ds_read_b128 v[44:47], v2 offset:1776
	s_waitcnt lgkmcnt(0)
	v_mul_f64 v[54:55], v[44:45], v[50:51]
	v_fmac_f64_e32 v[54:55], v[46:47], v[48:49]
	v_add_f64 v[60:61], v[52:53], v[54:55]
	ds_read_b128 v[52:55], v2 offset:1792
	;; [unrolled: 5-line block ×17, first 2 shown]
	s_waitcnt lgkmcnt(0)
	v_mul_f64 v[2:3], v[174:175], v[180:181]
	v_fmac_f64_e32 v[2:3], v[176:177], v[178:179]
	v_add_f64 v[120:121], v[120:121], v[2:3]
	v_mul_f64 v[2:3], v[18:19], v[22:23]
	v_fma_f64 v[2:3], v[16:17], v[20:21], -v[2:3]
	v_add_f64 v[2:3], v[2:3], 0
	v_add_f64 v[2:3], v[2:3], v[12:13]
	;; [unrolled: 1-line block ×4, first 2 shown]
	v_mul_f64 v[4:5], v[38:39], v[42:43]
	v_fma_f64 v[4:5], v[36:37], v[40:41], -v[4:5]
	v_add_f64 v[2:3], v[2:3], v[4:5]
	v_mul_f64 v[4:5], v[46:47], v[50:51]
	v_fma_f64 v[4:5], v[44:45], v[48:49], -v[4:5]
	v_add_f64 v[2:3], v[2:3], v[4:5]
	;; [unrolled: 3-line block ×18, first 2 shown]
	scratch_load_dwordx4 v[2:5], off, off offset:672
	s_waitcnt vmcnt(0)
	v_add_f64 v[2:3], v[2:3], -v[6:7]
	v_add_f64 v[4:5], v[4:5], -v[120:121]
	scratch_store_dwordx4 off, v[2:5], off offset:672
	s_and_saveexec_b64 s[0:1], vcc
	s_cbranch_execz .LBB127_329
; %bb.328:
	scratch_load_dwordx4 v[2:5], off, s26
	v_mov_b32_e32 v6, 0
	v_mov_b32_e32 v7, v6
	;; [unrolled: 1-line block ×4, first 2 shown]
	v_accvgpr_read_b32 v1, a128
	scratch_store_dwordx4 off, v[6:9], off offset:656
	s_waitcnt vmcnt(1)
	ds_write_b128 v1, v[2:5]
.LBB127_329:
	s_or_b64 exec, exec, s[0:1]
	v_mov_b32_e32 v2, 0
	s_waitcnt lgkmcnt(0)
	; wave barrier
	ds_read_b128 v[16:19], v2 offset:1680
	ds_read_b128 v[12:15], v2 offset:1696
	;; [unrolled: 1-line block ×4, first 2 shown]
	scratch_load_dwordx4 v[20:23], off, off offset:672
	scratch_load_dwordx4 v[40:43], off, off offset:736
	;; [unrolled: 1-line block ×17, first 2 shown]
	v_cmp_lt_u32_e32 vcc, 39, v0
	scratch_load_dwordx4 v[48:51], off, off offset:752
	scratch_load_dwordx4 v[56:59], off, off offset:768
	;; [unrolled: 1-line block ×3, first 2 shown]
	s_waitcnt vmcnt(19) lgkmcnt(3)
	v_mul_f64 v[24:25], v[16:17], v[22:23]
	v_fmac_f64_e32 v[24:25], v[18:19], v[20:21]
	v_add_f64 v[28:29], v[24:25], 0
	scratch_load_dwordx4 v[24:27], off, off offset:688
	v_mul_f64 v[18:19], v[18:19], v[22:23]
	v_fma_f64 v[16:17], v[16:17], v[20:21], -v[18:19]
	v_add_f64 v[16:17], v[16:17], 0
	s_waitcnt vmcnt(0) lgkmcnt(2)
	v_mul_f64 v[30:31], v[12:13], v[26:27]
	v_fmac_f64_e32 v[30:31], v[14:15], v[24:25]
	v_add_f64 v[32:33], v[28:29], v[30:31]
	scratch_load_dwordx4 v[28:31], off, off offset:704
	v_mul_f64 v[14:15], v[14:15], v[26:27]
	v_fma_f64 v[12:13], v[12:13], v[24:25], -v[14:15]
	v_add_f64 v[12:13], v[16:17], v[12:13]
	s_waitcnt vmcnt(0) lgkmcnt(1)
	v_mul_f64 v[34:35], v[8:9], v[30:31]
	v_fmac_f64_e32 v[34:35], v[10:11], v[28:29]
	v_add_f64 v[36:37], v[32:33], v[34:35]
	scratch_load_dwordx4 v[32:35], off, off offset:720
	v_mul_f64 v[10:11], v[10:11], v[30:31]
	v_fma_f64 v[8:9], v[8:9], v[28:29], -v[10:11]
	v_add_f64 v[8:9], v[12:13], v[8:9]
	s_waitcnt vmcnt(0) lgkmcnt(0)
	v_mul_f64 v[38:39], v[4:5], v[34:35]
	v_fmac_f64_e32 v[38:39], v[6:7], v[32:33]
	v_add_f64 v[44:45], v[36:37], v[38:39]
	ds_read_b128 v[36:39], v2 offset:1744
	v_mul_f64 v[6:7], v[6:7], v[34:35]
	v_fma_f64 v[4:5], v[4:5], v[32:33], -v[6:7]
	v_add_f64 v[4:5], v[8:9], v[4:5]
	s_waitcnt lgkmcnt(0)
	v_mul_f64 v[46:47], v[36:37], v[42:43]
	v_fmac_f64_e32 v[46:47], v[38:39], v[40:41]
	v_add_f64 v[52:53], v[44:45], v[46:47]
	ds_read_b128 v[44:47], v2 offset:1760
	v_mul_f64 v[6:7], v[38:39], v[42:43]
	v_fma_f64 v[6:7], v[36:37], v[40:41], -v[6:7]
	v_add_f64 v[4:5], v[4:5], v[6:7]
	s_waitcnt lgkmcnt(0)
	;; [unrolled: 8-line block ×19, first 2 shown]
	v_mul_f64 v[6:7], v[184:185], v[188:189]
	v_fma_f64 v[6:7], v[182:183], v[186:187], -v[6:7]
	v_add_f64 v[8:9], v[4:5], v[6:7]
	scratch_load_dwordx4 v[4:7], off, off offset:656
	v_mul_f64 v[190:191], v[182:183], v[188:189]
	v_fmac_f64_e32 v[190:191], v[184:185], v[186:187]
	v_add_f64 v[128:129], v[128:129], v[190:191]
	s_waitcnt vmcnt(0)
	v_add_f64 v[4:5], v[4:5], -v[8:9]
	v_add_f64 v[6:7], v[6:7], -v[128:129]
	scratch_store_dwordx4 off, v[4:7], off offset:656
	s_and_saveexec_b64 s[0:1], vcc
	s_cbranch_execz .LBB127_331
; %bb.330:
	scratch_load_dwordx4 v[6:9], off, s27
	v_mov_b32_e32 v3, v2
	v_mov_b32_e32 v4, v2
	;; [unrolled: 1-line block ×3, first 2 shown]
	v_accvgpr_read_b32 v1, a128
	scratch_store_dwordx4 off, v[2:5], off offset:640
	s_waitcnt vmcnt(1)
	ds_write_b128 v1, v[6:9]
.LBB127_331:
	s_or_b64 exec, exec, s[0:1]
	s_waitcnt lgkmcnt(0)
	; wave barrier
	ds_read_b128 v[16:19], v2 offset:1664
	ds_read_b128 v[12:15], v2 offset:1680
	;; [unrolled: 1-line block ×4, first 2 shown]
	scratch_load_dwordx4 v[20:23], off, off offset:656
	scratch_load_dwordx4 v[40:43], off, off offset:720
	;; [unrolled: 1-line block ×18, first 2 shown]
	v_cmp_lt_u32_e32 vcc, 38, v0
	scratch_load_dwordx4 v[48:51], off, off offset:736
	scratch_load_dwordx4 v[56:59], off, off offset:752
	;; [unrolled: 1-line block ×3, first 2 shown]
	s_waitcnt vmcnt(20) lgkmcnt(3)
	v_mul_f64 v[24:25], v[16:17], v[22:23]
	v_fmac_f64_e32 v[24:25], v[18:19], v[20:21]
	v_add_f64 v[28:29], v[24:25], 0
	scratch_load_dwordx4 v[24:27], off, off offset:672
	s_waitcnt vmcnt(0) lgkmcnt(2)
	v_mul_f64 v[30:31], v[12:13], v[26:27]
	v_fmac_f64_e32 v[30:31], v[14:15], v[24:25]
	v_add_f64 v[32:33], v[28:29], v[30:31]
	scratch_load_dwordx4 v[28:31], off, off offset:688
	v_mul_f64 v[14:15], v[14:15], v[26:27]
	v_fma_f64 v[12:13], v[12:13], v[24:25], -v[14:15]
	s_waitcnt vmcnt(0) lgkmcnt(1)
	v_mul_f64 v[34:35], v[8:9], v[30:31]
	v_fmac_f64_e32 v[34:35], v[10:11], v[28:29]
	v_add_f64 v[36:37], v[32:33], v[34:35]
	scratch_load_dwordx4 v[32:35], off, off offset:704
	v_mul_f64 v[10:11], v[10:11], v[30:31]
	v_fma_f64 v[8:9], v[8:9], v[28:29], -v[10:11]
	s_waitcnt vmcnt(0) lgkmcnt(0)
	v_mul_f64 v[38:39], v[4:5], v[34:35]
	v_fmac_f64_e32 v[38:39], v[6:7], v[32:33]
	v_add_f64 v[44:45], v[36:37], v[38:39]
	ds_read_b128 v[36:39], v2 offset:1728
	v_mul_f64 v[6:7], v[6:7], v[34:35]
	v_fma_f64 v[4:5], v[4:5], v[32:33], -v[6:7]
	s_waitcnt lgkmcnt(0)
	v_mul_f64 v[46:47], v[36:37], v[42:43]
	v_fmac_f64_e32 v[46:47], v[38:39], v[40:41]
	v_add_f64 v[52:53], v[44:45], v[46:47]
	ds_read_b128 v[44:47], v2 offset:1744
	s_waitcnt lgkmcnt(0)
	v_mul_f64 v[54:55], v[44:45], v[50:51]
	v_fmac_f64_e32 v[54:55], v[46:47], v[48:49]
	v_add_f64 v[60:61], v[52:53], v[54:55]
	ds_read_b128 v[52:55], v2 offset:1760
	;; [unrolled: 5-line block ×19, first 2 shown]
	s_waitcnt lgkmcnt(0)
	v_mul_f64 v[2:3], v[190:191], v[196:197]
	v_fmac_f64_e32 v[2:3], v[192:193], v[194:195]
	v_add_f64 v[152:153], v[152:153], v[2:3]
	v_mul_f64 v[2:3], v[18:19], v[22:23]
	v_fma_f64 v[2:3], v[16:17], v[20:21], -v[2:3]
	v_add_f64 v[2:3], v[2:3], 0
	v_add_f64 v[2:3], v[2:3], v[12:13]
	;; [unrolled: 1-line block ×4, first 2 shown]
	v_mul_f64 v[4:5], v[38:39], v[42:43]
	v_fma_f64 v[4:5], v[36:37], v[40:41], -v[4:5]
	v_add_f64 v[2:3], v[2:3], v[4:5]
	v_mul_f64 v[4:5], v[46:47], v[50:51]
	v_fma_f64 v[4:5], v[44:45], v[48:49], -v[4:5]
	v_add_f64 v[2:3], v[2:3], v[4:5]
	;; [unrolled: 3-line block ×20, first 2 shown]
	scratch_load_dwordx4 v[2:5], off, off offset:640
	s_waitcnt vmcnt(0)
	v_add_f64 v[2:3], v[2:3], -v[6:7]
	v_add_f64 v[4:5], v[4:5], -v[152:153]
	scratch_store_dwordx4 off, v[2:5], off offset:640
	s_and_saveexec_b64 s[0:1], vcc
	s_cbranch_execz .LBB127_333
; %bb.332:
	scratch_load_dwordx4 v[2:5], off, s28
	v_mov_b32_e32 v6, 0
	v_mov_b32_e32 v7, v6
	;; [unrolled: 1-line block ×4, first 2 shown]
	v_accvgpr_read_b32 v1, a128
	scratch_store_dwordx4 off, v[6:9], off offset:624
	s_waitcnt vmcnt(1)
	ds_write_b128 v1, v[2:5]
.LBB127_333:
	s_or_b64 exec, exec, s[0:1]
	v_mov_b32_e32 v2, 0
	s_waitcnt lgkmcnt(0)
	; wave barrier
	ds_read_b128 v[16:19], v2 offset:1648
	ds_read_b128 v[12:15], v2 offset:1664
	;; [unrolled: 1-line block ×4, first 2 shown]
	scratch_load_dwordx4 v[20:23], off, off offset:640
	scratch_load_dwordx4 v[40:43], off, off offset:704
	;; [unrolled: 1-line block ×19, first 2 shown]
	v_cmp_lt_u32_e32 vcc, 37, v0
	scratch_load_dwordx4 v[48:51], off, off offset:720
	scratch_load_dwordx4 v[56:59], off, off offset:736
	;; [unrolled: 1-line block ×3, first 2 shown]
	s_waitcnt vmcnt(21) lgkmcnt(3)
	v_mul_f64 v[24:25], v[16:17], v[22:23]
	v_fmac_f64_e32 v[24:25], v[18:19], v[20:21]
	v_add_f64 v[28:29], v[24:25], 0
	scratch_load_dwordx4 v[24:27], off, off offset:656
	v_mul_f64 v[18:19], v[18:19], v[22:23]
	v_fma_f64 v[16:17], v[16:17], v[20:21], -v[18:19]
	v_add_f64 v[16:17], v[16:17], 0
	s_waitcnt vmcnt(0) lgkmcnt(2)
	v_mul_f64 v[30:31], v[12:13], v[26:27]
	v_fmac_f64_e32 v[30:31], v[14:15], v[24:25]
	v_add_f64 v[32:33], v[28:29], v[30:31]
	scratch_load_dwordx4 v[28:31], off, off offset:672
	v_mul_f64 v[14:15], v[14:15], v[26:27]
	v_fma_f64 v[12:13], v[12:13], v[24:25], -v[14:15]
	v_add_f64 v[12:13], v[16:17], v[12:13]
	;; [unrolled: 8-line block ×3, first 2 shown]
	s_waitcnt vmcnt(0) lgkmcnt(0)
	v_mul_f64 v[38:39], v[4:5], v[34:35]
	v_fmac_f64_e32 v[38:39], v[6:7], v[32:33]
	v_add_f64 v[44:45], v[36:37], v[38:39]
	ds_read_b128 v[36:39], v2 offset:1712
	v_mul_f64 v[6:7], v[6:7], v[34:35]
	v_fma_f64 v[4:5], v[4:5], v[32:33], -v[6:7]
	v_add_f64 v[4:5], v[8:9], v[4:5]
	s_waitcnt lgkmcnt(0)
	v_mul_f64 v[46:47], v[36:37], v[42:43]
	v_fmac_f64_e32 v[46:47], v[38:39], v[40:41]
	v_add_f64 v[52:53], v[44:45], v[46:47]
	ds_read_b128 v[44:47], v2 offset:1728
	v_mul_f64 v[6:7], v[38:39], v[42:43]
	v_fma_f64 v[6:7], v[36:37], v[40:41], -v[6:7]
	v_add_f64 v[4:5], v[4:5], v[6:7]
	s_waitcnt lgkmcnt(0)
	;; [unrolled: 8-line block ×21, first 2 shown]
	v_mul_f64 v[6:7], v[200:201], v[204:205]
	v_fma_f64 v[6:7], v[198:199], v[202:203], -v[6:7]
	v_add_f64 v[8:9], v[4:5], v[6:7]
	scratch_load_dwordx4 v[4:7], off, off offset:624
	v_mul_f64 v[206:207], v[198:199], v[204:205]
	v_fmac_f64_e32 v[206:207], v[200:201], v[202:203]
	v_add_f64 v[144:145], v[144:145], v[206:207]
	s_waitcnt vmcnt(0)
	v_add_f64 v[4:5], v[4:5], -v[8:9]
	v_add_f64 v[6:7], v[6:7], -v[144:145]
	scratch_store_dwordx4 off, v[4:7], off offset:624
	s_and_saveexec_b64 s[0:1], vcc
	s_cbranch_execz .LBB127_335
; %bb.334:
	scratch_load_dwordx4 v[6:9], off, s29
	v_mov_b32_e32 v3, v2
	v_mov_b32_e32 v4, v2
	;; [unrolled: 1-line block ×3, first 2 shown]
	v_accvgpr_read_b32 v1, a128
	scratch_store_dwordx4 off, v[2:5], off offset:608
	s_waitcnt vmcnt(1)
	ds_write_b128 v1, v[6:9]
.LBB127_335:
	s_or_b64 exec, exec, s[0:1]
	s_waitcnt lgkmcnt(0)
	; wave barrier
	ds_read_b128 v[16:19], v2 offset:1632
	ds_read_b128 v[12:15], v2 offset:1648
	;; [unrolled: 1-line block ×4, first 2 shown]
	scratch_load_dwordx4 v[20:23], off, off offset:624
	scratch_load_dwordx4 v[40:43], off, off offset:688
	;; [unrolled: 1-line block ×20, first 2 shown]
	v_cmp_lt_u32_e32 vcc, 36, v0
	scratch_load_dwordx4 v[48:51], off, off offset:704
	scratch_load_dwordx4 v[56:59], off, off offset:720
	scratch_load_dwordx4 v[64:67], off, off offset:736
	s_waitcnt vmcnt(22) lgkmcnt(3)
	v_mul_f64 v[24:25], v[16:17], v[22:23]
	v_fmac_f64_e32 v[24:25], v[18:19], v[20:21]
	v_add_f64 v[28:29], v[24:25], 0
	scratch_load_dwordx4 v[24:27], off, off offset:640
	s_waitcnt vmcnt(0) lgkmcnt(2)
	v_mul_f64 v[30:31], v[12:13], v[26:27]
	v_fmac_f64_e32 v[30:31], v[14:15], v[24:25]
	v_add_f64 v[32:33], v[28:29], v[30:31]
	scratch_load_dwordx4 v[28:31], off, off offset:656
	v_mul_f64 v[14:15], v[14:15], v[26:27]
	v_fma_f64 v[12:13], v[12:13], v[24:25], -v[14:15]
	s_waitcnt vmcnt(0) lgkmcnt(1)
	v_mul_f64 v[34:35], v[8:9], v[30:31]
	v_fmac_f64_e32 v[34:35], v[10:11], v[28:29]
	v_add_f64 v[36:37], v[32:33], v[34:35]
	scratch_load_dwordx4 v[32:35], off, off offset:672
	v_mul_f64 v[10:11], v[10:11], v[30:31]
	v_fma_f64 v[8:9], v[8:9], v[28:29], -v[10:11]
	s_waitcnt vmcnt(0) lgkmcnt(0)
	v_mul_f64 v[38:39], v[4:5], v[34:35]
	v_fmac_f64_e32 v[38:39], v[6:7], v[32:33]
	v_add_f64 v[44:45], v[36:37], v[38:39]
	ds_read_b128 v[36:39], v2 offset:1696
	v_mul_f64 v[6:7], v[6:7], v[34:35]
	v_fma_f64 v[4:5], v[4:5], v[32:33], -v[6:7]
	s_waitcnt lgkmcnt(0)
	v_mul_f64 v[46:47], v[36:37], v[42:43]
	v_fmac_f64_e32 v[46:47], v[38:39], v[40:41]
	v_add_f64 v[52:53], v[44:45], v[46:47]
	ds_read_b128 v[44:47], v2 offset:1712
	s_waitcnt lgkmcnt(0)
	v_mul_f64 v[54:55], v[44:45], v[50:51]
	v_fmac_f64_e32 v[54:55], v[46:47], v[48:49]
	v_add_f64 v[60:61], v[52:53], v[54:55]
	ds_read_b128 v[52:55], v2 offset:1728
	;; [unrolled: 5-line block ×21, first 2 shown]
	s_waitcnt lgkmcnt(0)
	v_mul_f64 v[2:3], v[206:207], v[212:213]
	v_fmac_f64_e32 v[2:3], v[208:209], v[210:211]
	v_add_f64 v[168:169], v[168:169], v[2:3]
	v_mul_f64 v[2:3], v[18:19], v[22:23]
	v_fma_f64 v[2:3], v[16:17], v[20:21], -v[2:3]
	v_add_f64 v[2:3], v[2:3], 0
	v_add_f64 v[2:3], v[2:3], v[12:13]
	;; [unrolled: 1-line block ×4, first 2 shown]
	v_mul_f64 v[4:5], v[38:39], v[42:43]
	v_fma_f64 v[4:5], v[36:37], v[40:41], -v[4:5]
	v_add_f64 v[2:3], v[2:3], v[4:5]
	v_mul_f64 v[4:5], v[46:47], v[50:51]
	v_fma_f64 v[4:5], v[44:45], v[48:49], -v[4:5]
	v_add_f64 v[2:3], v[2:3], v[4:5]
	v_mul_f64 v[4:5], v[54:55], v[58:59]
	v_fma_f64 v[4:5], v[52:53], v[56:57], -v[4:5]
	v_add_f64 v[2:3], v[2:3], v[4:5]
	v_mul_f64 v[4:5], v[62:63], v[66:67]
	v_fma_f64 v[4:5], v[60:61], v[64:65], -v[4:5]
	v_add_f64 v[2:3], v[2:3], v[4:5]
	v_mul_f64 v[4:5], v[70:71], v[74:75]
	v_fma_f64 v[4:5], v[68:69], v[72:73], -v[4:5]
	v_add_f64 v[2:3], v[2:3], v[4:5]
	v_mul_f64 v[4:5], v[78:79], v[82:83]
	v_fma_f64 v[4:5], v[76:77], v[80:81], -v[4:5]
	v_add_f64 v[2:3], v[2:3], v[4:5]
	v_mul_f64 v[4:5], v[86:87], v[90:91]
	v_fma_f64 v[4:5], v[84:85], v[88:89], -v[4:5]
	v_add_f64 v[2:3], v[2:3], v[4:5]
	v_mul_f64 v[4:5], v[94:95], v[98:99]
	v_fma_f64 v[4:5], v[92:93], v[96:97], -v[4:5]
	v_add_f64 v[2:3], v[2:3], v[4:5]
	v_mul_f64 v[4:5], v[102:103], v[106:107]
	v_fma_f64 v[4:5], v[100:101], v[104:105], -v[4:5]
	v_add_f64 v[2:3], v[2:3], v[4:5]
	v_mul_f64 v[4:5], v[110:111], v[114:115]
	v_fma_f64 v[4:5], v[108:109], v[112:113], -v[4:5]
	v_add_f64 v[2:3], v[2:3], v[4:5]
	v_mul_f64 v[4:5], v[118:119], v[122:123]
	v_fma_f64 v[4:5], v[116:117], v[120:121], -v[4:5]
	v_add_f64 v[2:3], v[2:3], v[4:5]
	v_mul_f64 v[4:5], v[126:127], v[130:131]
	v_fma_f64 v[4:5], v[124:125], v[128:129], -v[4:5]
	v_add_f64 v[2:3], v[2:3], v[4:5]
	v_mul_f64 v[4:5], v[134:135], v[138:139]
	v_fma_f64 v[4:5], v[132:133], v[136:137], -v[4:5]
	v_add_f64 v[2:3], v[2:3], v[4:5]
	v_mul_f64 v[4:5], v[142:143], v[146:147]
	v_fma_f64 v[4:5], v[140:141], v[144:145], -v[4:5]
	v_add_f64 v[2:3], v[2:3], v[4:5]
	v_mul_f64 v[4:5], v[150:151], v[154:155]
	v_fma_f64 v[4:5], v[148:149], v[152:153], -v[4:5]
	v_add_f64 v[2:3], v[2:3], v[4:5]
	v_mul_f64 v[4:5], v[158:159], v[162:163]
	v_fma_f64 v[4:5], v[156:157], v[160:161], -v[4:5]
	v_add_f64 v[2:3], v[2:3], v[4:5]
	v_mul_f64 v[4:5], v[166:167], v[172:173]
	v_fma_f64 v[4:5], v[164:165], v[170:171], -v[4:5]
	v_add_f64 v[2:3], v[2:3], v[4:5]
	v_mul_f64 v[4:5], v[176:177], v[180:181]
	v_fma_f64 v[4:5], v[174:175], v[178:179], -v[4:5]
	v_add_f64 v[2:3], v[2:3], v[4:5]
	v_mul_f64 v[4:5], v[184:185], v[188:189]
	v_fma_f64 v[4:5], v[182:183], v[186:187], -v[4:5]
	v_add_f64 v[2:3], v[2:3], v[4:5]
	v_mul_f64 v[4:5], v[192:193], v[196:197]
	v_fma_f64 v[4:5], v[190:191], v[194:195], -v[4:5]
	v_add_f64 v[2:3], v[2:3], v[4:5]
	v_mul_f64 v[4:5], v[200:201], v[204:205]
	v_fma_f64 v[4:5], v[198:199], v[202:203], -v[4:5]
	v_add_f64 v[2:3], v[2:3], v[4:5]
	v_mul_f64 v[4:5], v[208:209], v[212:213]
	v_fma_f64 v[4:5], v[206:207], v[210:211], -v[4:5]
	v_add_f64 v[6:7], v[2:3], v[4:5]
	scratch_load_dwordx4 v[2:5], off, off offset:608
	s_waitcnt vmcnt(0)
	v_add_f64 v[2:3], v[2:3], -v[6:7]
	v_add_f64 v[4:5], v[4:5], -v[168:169]
	scratch_store_dwordx4 off, v[2:5], off offset:608
	s_and_saveexec_b64 s[0:1], vcc
	s_cbranch_execz .LBB127_337
; %bb.336:
	scratch_load_dwordx4 v[2:5], off, s30
	v_mov_b32_e32 v6, 0
	v_mov_b32_e32 v7, v6
	;; [unrolled: 1-line block ×4, first 2 shown]
	v_accvgpr_read_b32 v1, a128
	scratch_store_dwordx4 off, v[6:9], off offset:592
	s_waitcnt vmcnt(1)
	ds_write_b128 v1, v[2:5]
.LBB127_337:
	s_or_b64 exec, exec, s[0:1]
	v_mov_b32_e32 v2, 0
	s_waitcnt lgkmcnt(0)
	; wave barrier
	ds_read_b128 v[16:19], v2 offset:1616
	ds_read_b128 v[12:15], v2 offset:1632
	;; [unrolled: 1-line block ×4, first 2 shown]
	scratch_load_dwordx4 v[20:23], off, off offset:608
	scratch_load_dwordx4 v[40:43], off, off offset:672
	;; [unrolled: 1-line block ×21, first 2 shown]
	v_cmp_lt_u32_e32 vcc, 35, v0
	scratch_load_dwordx4 v[48:51], off, off offset:688
	scratch_load_dwordx4 v[56:59], off, off offset:704
	;; [unrolled: 1-line block ×3, first 2 shown]
	s_waitcnt vmcnt(23) lgkmcnt(3)
	v_mul_f64 v[24:25], v[16:17], v[22:23]
	v_fmac_f64_e32 v[24:25], v[18:19], v[20:21]
	v_add_f64 v[28:29], v[24:25], 0
	scratch_load_dwordx4 v[24:27], off, off offset:624
	v_mul_f64 v[18:19], v[18:19], v[22:23]
	v_fma_f64 v[16:17], v[16:17], v[20:21], -v[18:19]
	v_add_f64 v[16:17], v[16:17], 0
	s_waitcnt vmcnt(0) lgkmcnt(2)
	v_mul_f64 v[30:31], v[12:13], v[26:27]
	v_fmac_f64_e32 v[30:31], v[14:15], v[24:25]
	v_add_f64 v[32:33], v[28:29], v[30:31]
	scratch_load_dwordx4 v[28:31], off, off offset:640
	v_mul_f64 v[14:15], v[14:15], v[26:27]
	v_fma_f64 v[12:13], v[12:13], v[24:25], -v[14:15]
	v_add_f64 v[12:13], v[16:17], v[12:13]
	;; [unrolled: 8-line block ×3, first 2 shown]
	s_waitcnt vmcnt(0) lgkmcnt(0)
	v_mul_f64 v[38:39], v[4:5], v[34:35]
	v_fmac_f64_e32 v[38:39], v[6:7], v[32:33]
	v_add_f64 v[44:45], v[36:37], v[38:39]
	ds_read_b128 v[36:39], v2 offset:1680
	v_mul_f64 v[6:7], v[6:7], v[34:35]
	v_fma_f64 v[4:5], v[4:5], v[32:33], -v[6:7]
	v_add_f64 v[4:5], v[8:9], v[4:5]
	s_waitcnt lgkmcnt(0)
	v_mul_f64 v[46:47], v[36:37], v[42:43]
	v_fmac_f64_e32 v[46:47], v[38:39], v[40:41]
	v_add_f64 v[52:53], v[44:45], v[46:47]
	ds_read_b128 v[44:47], v2 offset:1696
	v_mul_f64 v[6:7], v[38:39], v[42:43]
	v_fma_f64 v[6:7], v[36:37], v[40:41], -v[6:7]
	v_add_f64 v[4:5], v[4:5], v[6:7]
	s_waitcnt lgkmcnt(0)
	;; [unrolled: 8-line block ×23, first 2 shown]
	v_mul_f64 v[6:7], v[216:217], v[220:221]
	v_fma_f64 v[6:7], v[214:215], v[218:219], -v[6:7]
	v_add_f64 v[8:9], v[4:5], v[6:7]
	scratch_load_dwordx4 v[4:7], off, off offset:592
	v_mul_f64 v[222:223], v[214:215], v[220:221]
	v_fmac_f64_e32 v[222:223], v[216:217], v[218:219]
	v_add_f64 v[160:161], v[160:161], v[222:223]
	s_waitcnt vmcnt(0)
	v_add_f64 v[4:5], v[4:5], -v[8:9]
	v_add_f64 v[6:7], v[6:7], -v[160:161]
	scratch_store_dwordx4 off, v[4:7], off offset:592
	s_and_saveexec_b64 s[0:1], vcc
	s_cbranch_execz .LBB127_339
; %bb.338:
	scratch_load_dwordx4 v[6:9], off, s31
	v_mov_b32_e32 v3, v2
	v_mov_b32_e32 v4, v2
	;; [unrolled: 1-line block ×3, first 2 shown]
	v_accvgpr_read_b32 v1, a128
	scratch_store_dwordx4 off, v[2:5], off offset:576
	s_waitcnt vmcnt(1)
	ds_write_b128 v1, v[6:9]
.LBB127_339:
	s_or_b64 exec, exec, s[0:1]
	s_waitcnt lgkmcnt(0)
	; wave barrier
	ds_read_b128 v[16:19], v2 offset:1600
	ds_read_b128 v[12:15], v2 offset:1616
	ds_read_b128 v[8:11], v2 offset:1632
	ds_read_b128 v[4:7], v2 offset:1648
	scratch_load_dwordx4 v[20:23], off, off offset:592
	scratch_load_dwordx4 v[40:43], off, off offset:656
	;; [unrolled: 1-line block ×22, first 2 shown]
	v_cmp_lt_u32_e32 vcc, 34, v0
	scratch_load_dwordx4 v[48:51], off, off offset:672
	scratch_load_dwordx4 v[56:59], off, off offset:688
	;; [unrolled: 1-line block ×3, first 2 shown]
	s_waitcnt vmcnt(24) lgkmcnt(3)
	v_mul_f64 v[24:25], v[16:17], v[22:23]
	v_fmac_f64_e32 v[24:25], v[18:19], v[20:21]
	v_add_f64 v[28:29], v[24:25], 0
	scratch_load_dwordx4 v[24:27], off, off offset:608
	s_waitcnt vmcnt(0) lgkmcnt(2)
	v_mul_f64 v[30:31], v[12:13], v[26:27]
	v_fmac_f64_e32 v[30:31], v[14:15], v[24:25]
	v_add_f64 v[32:33], v[28:29], v[30:31]
	scratch_load_dwordx4 v[28:31], off, off offset:624
	v_mul_f64 v[14:15], v[14:15], v[26:27]
	v_fma_f64 v[12:13], v[12:13], v[24:25], -v[14:15]
	s_waitcnt vmcnt(0) lgkmcnt(1)
	v_mul_f64 v[34:35], v[8:9], v[30:31]
	v_fmac_f64_e32 v[34:35], v[10:11], v[28:29]
	v_add_f64 v[36:37], v[32:33], v[34:35]
	scratch_load_dwordx4 v[32:35], off, off offset:640
	v_mul_f64 v[10:11], v[10:11], v[30:31]
	v_fma_f64 v[8:9], v[8:9], v[28:29], -v[10:11]
	s_waitcnt vmcnt(0) lgkmcnt(0)
	v_mul_f64 v[38:39], v[4:5], v[34:35]
	v_fmac_f64_e32 v[38:39], v[6:7], v[32:33]
	v_add_f64 v[44:45], v[36:37], v[38:39]
	ds_read_b128 v[36:39], v2 offset:1664
	v_mul_f64 v[6:7], v[6:7], v[34:35]
	v_fma_f64 v[4:5], v[4:5], v[32:33], -v[6:7]
	s_waitcnt lgkmcnt(0)
	v_mul_f64 v[46:47], v[36:37], v[42:43]
	v_fmac_f64_e32 v[46:47], v[38:39], v[40:41]
	v_add_f64 v[52:53], v[44:45], v[46:47]
	ds_read_b128 v[44:47], v2 offset:1680
	s_waitcnt lgkmcnt(0)
	v_mul_f64 v[54:55], v[44:45], v[50:51]
	v_fmac_f64_e32 v[54:55], v[46:47], v[48:49]
	v_add_f64 v[60:61], v[52:53], v[54:55]
	ds_read_b128 v[52:55], v2 offset:1696
	;; [unrolled: 5-line block ×23, first 2 shown]
	s_waitcnt lgkmcnt(0)
	v_mul_f64 v[2:3], v[222:223], v[228:229]
	v_fmac_f64_e32 v[2:3], v[224:225], v[226:227]
	v_add_f64 v[176:177], v[176:177], v[2:3]
	v_mul_f64 v[2:3], v[18:19], v[22:23]
	v_fma_f64 v[2:3], v[16:17], v[20:21], -v[2:3]
	v_add_f64 v[2:3], v[2:3], 0
	v_add_f64 v[2:3], v[2:3], v[12:13]
	;; [unrolled: 1-line block ×4, first 2 shown]
	v_mul_f64 v[4:5], v[38:39], v[42:43]
	v_fma_f64 v[4:5], v[36:37], v[40:41], -v[4:5]
	v_add_f64 v[2:3], v[2:3], v[4:5]
	v_mul_f64 v[4:5], v[46:47], v[50:51]
	v_fma_f64 v[4:5], v[44:45], v[48:49], -v[4:5]
	v_add_f64 v[2:3], v[2:3], v[4:5]
	;; [unrolled: 3-line block ×24, first 2 shown]
	scratch_load_dwordx4 v[2:5], off, off offset:576
	s_waitcnt vmcnt(0)
	v_add_f64 v[2:3], v[2:3], -v[6:7]
	v_add_f64 v[4:5], v[4:5], -v[176:177]
	scratch_store_dwordx4 off, v[2:5], off offset:576
	s_and_saveexec_b64 s[0:1], vcc
	s_cbranch_execz .LBB127_341
; %bb.340:
	scratch_load_dwordx4 v[2:5], off, s33
	v_mov_b32_e32 v6, 0
	v_mov_b32_e32 v7, v6
	;; [unrolled: 1-line block ×4, first 2 shown]
	v_accvgpr_read_b32 v1, a128
	scratch_store_dwordx4 off, v[6:9], off offset:560
	s_waitcnt vmcnt(1)
	ds_write_b128 v1, v[2:5]
.LBB127_341:
	s_or_b64 exec, exec, s[0:1]
	v_mov_b32_e32 v2, 0
	s_waitcnt lgkmcnt(0)
	; wave barrier
	ds_read_b128 v[16:19], v2 offset:1584
	ds_read_b128 v[12:15], v2 offset:1600
	;; [unrolled: 1-line block ×4, first 2 shown]
	scratch_load_dwordx4 v[20:23], off, off offset:576
	scratch_load_dwordx4 v[40:43], off, off offset:640
	;; [unrolled: 1-line block ×23, first 2 shown]
	v_cmp_lt_u32_e32 vcc, 33, v0
	scratch_load_dwordx4 v[48:51], off, off offset:656
	scratch_load_dwordx4 v[56:59], off, off offset:672
	;; [unrolled: 1-line block ×3, first 2 shown]
	s_waitcnt vmcnt(25) lgkmcnt(3)
	v_mul_f64 v[24:25], v[16:17], v[22:23]
	v_fmac_f64_e32 v[24:25], v[18:19], v[20:21]
	v_add_f64 v[28:29], v[24:25], 0
	scratch_load_dwordx4 v[24:27], off, off offset:592
	v_mul_f64 v[18:19], v[18:19], v[22:23]
	v_fma_f64 v[16:17], v[16:17], v[20:21], -v[18:19]
	v_add_f64 v[16:17], v[16:17], 0
	s_waitcnt vmcnt(0) lgkmcnt(2)
	v_mul_f64 v[30:31], v[12:13], v[26:27]
	v_fmac_f64_e32 v[30:31], v[14:15], v[24:25]
	v_add_f64 v[32:33], v[28:29], v[30:31]
	scratch_load_dwordx4 v[28:31], off, off offset:608
	v_mul_f64 v[14:15], v[14:15], v[26:27]
	v_fma_f64 v[12:13], v[12:13], v[24:25], -v[14:15]
	v_add_f64 v[12:13], v[16:17], v[12:13]
	;; [unrolled: 8-line block ×3, first 2 shown]
	s_waitcnt vmcnt(0) lgkmcnt(0)
	v_mul_f64 v[38:39], v[4:5], v[34:35]
	v_fmac_f64_e32 v[38:39], v[6:7], v[32:33]
	v_add_f64 v[44:45], v[36:37], v[38:39]
	ds_read_b128 v[36:39], v2 offset:1648
	v_mul_f64 v[6:7], v[6:7], v[34:35]
	v_fma_f64 v[4:5], v[4:5], v[32:33], -v[6:7]
	v_add_f64 v[4:5], v[8:9], v[4:5]
	s_waitcnt lgkmcnt(0)
	v_mul_f64 v[46:47], v[36:37], v[42:43]
	v_fmac_f64_e32 v[46:47], v[38:39], v[40:41]
	v_add_f64 v[52:53], v[44:45], v[46:47]
	ds_read_b128 v[44:47], v2 offset:1664
	v_mul_f64 v[6:7], v[38:39], v[42:43]
	v_fma_f64 v[6:7], v[36:37], v[40:41], -v[6:7]
	v_add_f64 v[4:5], v[4:5], v[6:7]
	s_waitcnt lgkmcnt(0)
	;; [unrolled: 8-line block ×25, first 2 shown]
	v_mul_f64 v[6:7], v[232:233], v[236:237]
	v_fma_f64 v[6:7], v[230:231], v[234:235], -v[6:7]
	v_add_f64 v[8:9], v[4:5], v[6:7]
	scratch_load_dwordx4 v[4:7], off, off offset:560
	v_mul_f64 v[238:239], v[230:231], v[236:237]
	v_fmac_f64_e32 v[238:239], v[232:233], v[234:235]
	v_add_f64 v[176:177], v[176:177], v[238:239]
	s_waitcnt vmcnt(0)
	v_add_f64 v[4:5], v[4:5], -v[8:9]
	v_add_f64 v[6:7], v[6:7], -v[176:177]
	scratch_store_dwordx4 off, v[4:7], off offset:560
	s_and_saveexec_b64 s[0:1], vcc
	s_cbranch_execz .LBB127_343
; %bb.342:
	scratch_load_dwordx4 v[6:9], off, s57
	v_mov_b32_e32 v3, v2
	v_mov_b32_e32 v4, v2
	;; [unrolled: 1-line block ×3, first 2 shown]
	v_accvgpr_read_b32 v1, a128
	scratch_store_dwordx4 off, v[2:5], off offset:544
	s_waitcnt vmcnt(1)
	ds_write_b128 v1, v[6:9]
.LBB127_343:
	s_or_b64 exec, exec, s[0:1]
	s_waitcnt lgkmcnt(0)
	; wave barrier
	ds_read_b128 v[16:19], v2 offset:1568
	ds_read_b128 v[12:15], v2 offset:1584
	;; [unrolled: 1-line block ×4, first 2 shown]
	scratch_load_dwordx4 v[20:23], off, off offset:560
	scratch_load_dwordx4 v[40:43], off, off offset:624
	;; [unrolled: 1-line block ×24, first 2 shown]
	v_cmp_lt_u32_e32 vcc, 32, v0
	scratch_load_dwordx4 v[48:51], off, off offset:640
	scratch_load_dwordx4 v[56:59], off, off offset:656
	;; [unrolled: 1-line block ×3, first 2 shown]
	ds_read_b128 v[248:251], v2 offset:2032
	s_waitcnt vmcnt(26) lgkmcnt(4)
	v_mul_f64 v[24:25], v[16:17], v[22:23]
	v_fmac_f64_e32 v[24:25], v[18:19], v[20:21]
	v_add_f64 v[28:29], v[24:25], 0
	scratch_load_dwordx4 v[24:27], off, off offset:576
	s_waitcnt vmcnt(0) lgkmcnt(3)
	v_mul_f64 v[30:31], v[12:13], v[26:27]
	v_fmac_f64_e32 v[30:31], v[14:15], v[24:25]
	v_add_f64 v[32:33], v[28:29], v[30:31]
	scratch_load_dwordx4 v[28:31], off, off offset:592
	v_mul_f64 v[14:15], v[14:15], v[26:27]
	v_fma_f64 v[12:13], v[12:13], v[24:25], -v[14:15]
	s_waitcnt vmcnt(0) lgkmcnt(2)
	v_mul_f64 v[34:35], v[8:9], v[30:31]
	v_fmac_f64_e32 v[34:35], v[10:11], v[28:29]
	v_add_f64 v[36:37], v[32:33], v[34:35]
	scratch_load_dwordx4 v[32:35], off, off offset:608
	v_mul_f64 v[10:11], v[10:11], v[30:31]
	v_fma_f64 v[8:9], v[8:9], v[28:29], -v[10:11]
	s_waitcnt vmcnt(0) lgkmcnt(1)
	v_mul_f64 v[38:39], v[4:5], v[34:35]
	v_fmac_f64_e32 v[38:39], v[6:7], v[32:33]
	v_add_f64 v[44:45], v[36:37], v[38:39]
	ds_read_b128 v[36:39], v2 offset:1632
	v_mul_f64 v[6:7], v[6:7], v[34:35]
	v_fma_f64 v[4:5], v[4:5], v[32:33], -v[6:7]
	s_waitcnt lgkmcnt(0)
	v_mul_f64 v[46:47], v[36:37], v[42:43]
	v_fmac_f64_e32 v[46:47], v[38:39], v[40:41]
	v_add_f64 v[52:53], v[44:45], v[46:47]
	ds_read_b128 v[44:47], v2 offset:1648
	s_waitcnt lgkmcnt(0)
	v_mul_f64 v[54:55], v[44:45], v[50:51]
	v_fmac_f64_e32 v[54:55], v[46:47], v[48:49]
	v_add_f64 v[60:61], v[52:53], v[54:55]
	ds_read_b128 v[52:55], v2 offset:1664
	;; [unrolled: 5-line block ×24, first 2 shown]
	v_mul_f64 v[2:3], v[248:249], v[244:245]
	v_fmac_f64_e32 v[2:3], v[250:251], v[242:243]
	s_waitcnt lgkmcnt(0)
	v_mul_f64 v[238:239], v[230:231], v[236:237]
	v_fmac_f64_e32 v[238:239], v[232:233], v[234:235]
	v_add_f64 v[188:189], v[188:189], v[238:239]
	v_add_f64 v[188:189], v[188:189], v[2:3]
	v_mul_f64 v[2:3], v[18:19], v[22:23]
	v_fma_f64 v[2:3], v[16:17], v[20:21], -v[2:3]
	v_add_f64 v[2:3], v[2:3], 0
	v_add_f64 v[2:3], v[2:3], v[12:13]
	;; [unrolled: 1-line block ×4, first 2 shown]
	v_mul_f64 v[4:5], v[38:39], v[42:43]
	v_fma_f64 v[4:5], v[36:37], v[40:41], -v[4:5]
	v_add_f64 v[2:3], v[2:3], v[4:5]
	v_mul_f64 v[4:5], v[46:47], v[50:51]
	v_fma_f64 v[4:5], v[44:45], v[48:49], -v[4:5]
	v_add_f64 v[2:3], v[2:3], v[4:5]
	;; [unrolled: 3-line block ×26, first 2 shown]
	scratch_load_dwordx4 v[2:5], off, off offset:544
	s_waitcnt vmcnt(0)
	v_add_f64 v[2:3], v[2:3], -v[6:7]
	v_add_f64 v[4:5], v[4:5], -v[188:189]
	scratch_store_dwordx4 off, v[2:5], off offset:544
	s_and_saveexec_b64 s[0:1], vcc
	s_cbranch_execz .LBB127_345
; %bb.344:
	scratch_load_dwordx4 v[2:5], off, s58
	v_mov_b32_e32 v6, 0
	v_mov_b32_e32 v7, v6
	;; [unrolled: 1-line block ×4, first 2 shown]
	v_accvgpr_read_b32 v1, a128
	scratch_store_dwordx4 off, v[6:9], off offset:528
	s_waitcnt vmcnt(1)
	ds_write_b128 v1, v[2:5]
.LBB127_345:
	s_or_b64 exec, exec, s[0:1]
	s_waitcnt lgkmcnt(0)
	; wave barrier
	scratch_load_dwordx4 v[16:19], off, off offset:544
	scratch_load_dwordx4 v[12:15], off, off offset:560
	;; [unrolled: 1-line block ×32, first 2 shown]
	v_mov_b32_e32 v2, 0
	ds_read_b128 v[132:135], v2 offset:1552
	ds_read_b128 v[136:139], v2 offset:1568
	;; [unrolled: 1-line block ×17, first 2 shown]
	v_cmp_lt_u32_e32 vcc, 31, v0
	s_waitcnt vmcnt(31) lgkmcnt(14)
	v_mul_f64 v[200:201], v[132:133], v[18:19]
	s_waitcnt vmcnt(30)
	v_mul_f64 v[202:203], v[136:137], v[14:15]
	v_fmac_f64_e32 v[200:201], v[134:135], v[16:17]
	s_waitcnt vmcnt(29)
	v_mul_f64 v[204:205], v[140:141], v[10:11]
	v_fmac_f64_e32 v[202:203], v[138:139], v[12:13]
	v_add_f64 v[200:201], v[200:201], 0
	s_waitcnt vmcnt(28) lgkmcnt(13)
	v_mul_f64 v[206:207], v[144:145], v[6:7]
	v_fmac_f64_e32 v[204:205], v[142:143], v[8:9]
	v_add_f64 v[200:201], v[200:201], v[202:203]
	s_waitcnt vmcnt(27) lgkmcnt(12)
	;; [unrolled: 4-line block ×12, first 2 shown]
	v_mul_f64 v[228:229], v[188:189], v[62:63]
	v_fmac_f64_e32 v[226:227], v[186:187], v[56:57]
	v_add_f64 v[200:201], v[200:201], v[224:225]
	v_fmac_f64_e32 v[228:229], v[190:191], v[60:61]
	v_add_f64 v[200:201], v[200:201], v[226:227]
	s_waitcnt vmcnt(16) lgkmcnt(1)
	v_mul_f64 v[202:203], v[192:193], v[66:67]
	v_add_f64 v[200:201], v[200:201], v[228:229]
	v_fmac_f64_e32 v[202:203], v[194:195], v[64:65]
	s_waitcnt vmcnt(15) lgkmcnt(0)
	v_mul_f64 v[206:207], v[196:197], v[70:71]
	v_add_f64 v[204:205], v[200:201], v[202:203]
	ds_read_b128 v[200:203], v2 offset:1824
	v_fmac_f64_e32 v[206:207], v[198:199], v[68:69]
	v_add_f64 v[208:209], v[204:205], v[206:207]
	ds_read_b128 v[204:207], v2 offset:1840
	v_mul_f64 v[18:19], v[134:135], v[18:19]
	s_waitcnt vmcnt(14) lgkmcnt(1)
	v_mul_f64 v[210:211], v[200:201], v[74:75]
	v_fmac_f64_e32 v[210:211], v[202:203], v[72:73]
	v_add_f64 v[212:213], v[208:209], v[210:211]
	s_waitcnt vmcnt(13) lgkmcnt(0)
	v_mul_f64 v[214:215], v[204:205], v[78:79]
	ds_read_b128 v[208:211], v2 offset:1856
	v_fmac_f64_e32 v[214:215], v[206:207], v[76:77]
	v_add_f64 v[216:217], v[212:213], v[214:215]
	ds_read_b128 v[212:215], v2 offset:1872
	v_fma_f64 v[244:245], v[132:133], v[16:17], -v[18:19]
	s_waitcnt vmcnt(12) lgkmcnt(1)
	v_mul_f64 v[218:219], v[208:209], v[82:83]
	v_fmac_f64_e32 v[218:219], v[210:211], v[80:81]
	v_add_f64 v[220:221], v[216:217], v[218:219]
	s_waitcnt vmcnt(11) lgkmcnt(0)
	v_mul_f64 v[222:223], v[212:213], v[86:87]
	ds_read_b128 v[216:219], v2 offset:1888
	v_fmac_f64_e32 v[222:223], v[214:215], v[84:85]
	v_add_f64 v[224:225], v[220:221], v[222:223]
	ds_read_b128 v[220:223], v2 offset:1904
	ds_read_b128 v[16:19], v2 offset:1984
	s_waitcnt vmcnt(10) lgkmcnt(2)
	v_mul_f64 v[226:227], v[216:217], v[90:91]
	v_fmac_f64_e32 v[226:227], v[218:219], v[88:89]
	v_add_f64 v[228:229], v[224:225], v[226:227]
	s_waitcnt vmcnt(9) lgkmcnt(1)
	v_mul_f64 v[230:231], v[220:221], v[94:95]
	ds_read_b128 v[224:227], v2 offset:1920
	v_fmac_f64_e32 v[230:231], v[222:223], v[92:93]
	v_add_f64 v[232:233], v[228:229], v[230:231]
	ds_read_b128 v[228:231], v2 offset:1936
	v_mul_f64 v[14:15], v[138:139], v[14:15]
	s_waitcnt vmcnt(8) lgkmcnt(1)
	v_mul_f64 v[234:235], v[224:225], v[98:99]
	v_fmac_f64_e32 v[234:235], v[226:227], v[96:97]
	v_add_f64 v[236:237], v[232:233], v[234:235]
	s_waitcnt vmcnt(7) lgkmcnt(0)
	v_mul_f64 v[238:239], v[228:229], v[102:103]
	ds_read_b128 v[232:235], v2 offset:1952
	v_fmac_f64_e32 v[238:239], v[230:231], v[100:101]
	v_add_f64 v[242:243], v[236:237], v[238:239]
	ds_read_b128 v[236:239], v2 offset:1968
	v_fma_f64 v[136:137], v[136:137], v[12:13], -v[14:15]
	s_waitcnt vmcnt(6) lgkmcnt(1)
	v_mul_f64 v[132:133], v[232:233], v[106:107]
	v_fmac_f64_e32 v[132:133], v[234:235], v[104:105]
	v_add_f64 v[132:133], v[242:243], v[132:133]
	s_waitcnt vmcnt(5) lgkmcnt(0)
	v_mul_f64 v[134:135], v[236:237], v[110:111]
	v_fmac_f64_e32 v[134:135], v[238:239], v[108:109]
	v_add_f64 v[132:133], v[132:133], v[134:135]
	ds_read_b128 v[12:15], v2 offset:2000
	s_waitcnt vmcnt(4)
	v_mul_f64 v[134:135], v[16:17], v[114:115]
	v_fmac_f64_e32 v[134:135], v[18:19], v[112:113]
	v_add_f64 v[138:139], v[132:133], v[134:135]
	ds_read_b128 v[132:135], v2 offset:2016
	v_mul_f64 v[10:11], v[142:143], v[10:11]
	v_fma_f64 v[140:141], v[140:141], v[8:9], -v[10:11]
	ds_read_b128 v[8:11], v2 offset:2032
	s_waitcnt vmcnt(3) lgkmcnt(2)
	v_mul_f64 v[142:143], v[12:13], v[118:119]
	v_fmac_f64_e32 v[142:143], v[14:15], v[116:117]
	v_add_f64 v[138:139], v[138:139], v[142:143]
	s_waitcnt vmcnt(2) lgkmcnt(1)
	v_mul_f64 v[142:143], v[132:133], v[122:123]
	v_fmac_f64_e32 v[142:143], v[134:135], v[120:121]
	v_add_f64 v[138:139], v[138:139], v[142:143]
	;; [unrolled: 4-line block ×3, first 2 shown]
	v_add_f64 v[142:143], v[244:245], 0
	v_add_f64 v[136:137], v[142:143], v[136:137]
	v_mul_f64 v[6:7], v[146:147], v[6:7]
	v_add_f64 v[136:137], v[136:137], v[140:141]
	v_fma_f64 v[4:5], v[144:145], v[4:5], -v[6:7]
	v_mul_f64 v[6:7], v[150:151], v[22:23]
	v_add_f64 v[4:5], v[136:137], v[4:5]
	v_fma_f64 v[6:7], v[148:149], v[20:21], -v[6:7]
	v_add_f64 v[4:5], v[4:5], v[6:7]
	v_mul_f64 v[6:7], v[154:155], v[26:27]
	v_fma_f64 v[6:7], v[152:153], v[24:25], -v[6:7]
	v_add_f64 v[4:5], v[4:5], v[6:7]
	v_mul_f64 v[6:7], v[158:159], v[30:31]
	;; [unrolled: 3-line block ×26, first 2 shown]
	v_fma_f64 v[6:7], v[8:9], v[124:125], -v[6:7]
	v_add_f64 v[4:5], v[4:5], v[6:7]
	s_waitcnt vmcnt(0)
	v_add_f64 v[4:5], v[128:129], -v[4:5]
	v_add_f64 v[6:7], v[130:131], -v[138:139]
	scratch_store_dwordx4 off, v[4:7], off offset:528
	s_and_saveexec_b64 s[0:1], vcc
	s_cbranch_execz .LBB127_347
; %bb.346:
	scratch_load_dwordx4 v[6:9], off, s59
	v_mov_b32_e32 v3, v2
	v_mov_b32_e32 v4, v2
	;; [unrolled: 1-line block ×3, first 2 shown]
	v_accvgpr_read_b32 v1, a128
	scratch_store_dwordx4 off, v[2:5], off offset:512
	s_waitcnt vmcnt(1)
	ds_write_b128 v1, v[6:9]
.LBB127_347:
	s_or_b64 exec, exec, s[0:1]
	s_waitcnt lgkmcnt(0)
	; wave barrier
	scratch_load_dwordx4 v[140:143], off, off offset:528
	scratch_load_dwordx4 v[148:151], off, off offset:544
	;; [unrolled: 1-line block ×16, first 2 shown]
	ds_read_b128 v[188:191], v2 offset:1536
	ds_read_b128 v[184:187], v2 offset:1552
	scratch_load_dwordx4 v[56:59], off, off offset:784
	ds_read_b128 v[192:195], v2 offset:1568
	ds_read_b128 v[68:71], v2 offset:1584
	scratch_load_dwordx4 v[60:63], off, off offset:800
	ds_read_b128 v[88:91], v2 offset:1600
	ds_read_b128 v[84:87], v2 offset:1616
	;; [unrolled: 1-line block ×4, first 2 shown]
	scratch_load_dwordx4 v[64:67], off, off offset:816
	ds_read_b128 v[100:103], v2 offset:1664
	ds_read_b128 v[96:99], v2 offset:1680
	scratch_load_dwordx4 v[72:75], off, off offset:832
	ds_read_b128 v[116:119], v2 offset:1696
	ds_read_b128 v[112:115], v2 offset:1712
	;; [unrolled: 1-line block ×4, first 2 shown]
	scratch_load_dwordx4 v[92:95], off, off offset:848
	ds_read_b128 v[132:135], v2 offset:1760
	ds_read_b128 v[128:131], v2 offset:1776
	;; [unrolled: 1-line block ×3, first 2 shown]
	scratch_load_dwordx4 v[120:123], off, off offset:864
	scratch_load_dwordx4 v[136:139], off, off offset:880
	;; [unrolled: 1-line block ×11, first 2 shown]
	v_cmp_lt_u32_e32 vcc, 30, v0
	s_waitcnt vmcnt(31) lgkmcnt(14)
	v_mul_f64 v[200:201], v[188:189], v[142:143]
	s_waitcnt vmcnt(30)
	v_mul_f64 v[202:203], v[184:185], v[150:151]
	v_fmac_f64_e32 v[200:201], v[190:191], v[140:141]
	s_waitcnt vmcnt(29)
	v_mul_f64 v[204:205], v[192:193], v[154:155]
	v_fmac_f64_e32 v[202:203], v[186:187], v[148:149]
	v_add_f64 v[200:201], v[200:201], 0
	s_waitcnt vmcnt(28) lgkmcnt(13)
	v_mul_f64 v[206:207], v[68:69], v[6:7]
	v_fmac_f64_e32 v[204:205], v[194:195], v[152:153]
	v_add_f64 v[200:201], v[200:201], v[202:203]
	s_waitcnt vmcnt(27) lgkmcnt(12)
	;; [unrolled: 4-line block ×13, first 2 shown]
	v_mul_f64 v[230:231], v[128:129], v[54:55]
	v_fmac_f64_e32 v[228:229], v[134:135], v[48:49]
	v_add_f64 v[200:201], v[200:201], v[226:227]
	v_add_f64 v[200:201], v[200:201], v[228:229]
	v_fmac_f64_e32 v[230:231], v[130:131], v[52:53]
	s_waitcnt vmcnt(15) lgkmcnt(0)
	v_mul_f64 v[206:207], v[124:125], v[58:59]
	v_add_f64 v[204:205], v[200:201], v[230:231]
	ds_read_b128 v[200:203], v2 offset:1808
	v_fmac_f64_e32 v[206:207], v[126:127], v[56:57]
	v_add_f64 v[208:209], v[204:205], v[206:207]
	ds_read_b128 v[204:207], v2 offset:1824
	v_mul_f64 v[142:143], v[190:191], v[142:143]
	s_waitcnt vmcnt(14) lgkmcnt(1)
	v_mul_f64 v[210:211], v[200:201], v[62:63]
	v_fmac_f64_e32 v[210:211], v[202:203], v[60:61]
	v_add_f64 v[212:213], v[208:209], v[210:211]
	s_waitcnt vmcnt(13) lgkmcnt(0)
	v_mul_f64 v[214:215], v[204:205], v[66:67]
	ds_read_b128 v[208:211], v2 offset:1840
	v_fmac_f64_e32 v[214:215], v[206:207], v[64:65]
	v_add_f64 v[216:217], v[212:213], v[214:215]
	ds_read_b128 v[212:215], v2 offset:1856
	v_fma_f64 v[248:249], v[188:189], v[140:141], -v[142:143]
	s_waitcnt vmcnt(12) lgkmcnt(1)
	v_mul_f64 v[218:219], v[208:209], v[74:75]
	v_fmac_f64_e32 v[218:219], v[210:211], v[72:73]
	v_add_f64 v[220:221], v[216:217], v[218:219]
	s_waitcnt vmcnt(11) lgkmcnt(0)
	v_mul_f64 v[222:223], v[212:213], v[94:95]
	ds_read_b128 v[216:219], v2 offset:1872
	v_fmac_f64_e32 v[222:223], v[214:215], v[92:93]
	v_add_f64 v[224:225], v[220:221], v[222:223]
	ds_read_b128 v[220:223], v2 offset:1888
	ds_read_b128 v[140:143], v2 offset:1968
	s_waitcnt vmcnt(10) lgkmcnt(2)
	v_mul_f64 v[226:227], v[216:217], v[122:123]
	v_fmac_f64_e32 v[226:227], v[218:219], v[120:121]
	v_add_f64 v[228:229], v[224:225], v[226:227]
	s_waitcnt vmcnt(9) lgkmcnt(1)
	v_mul_f64 v[230:231], v[220:221], v[138:139]
	ds_read_b128 v[224:227], v2 offset:1904
	v_fmac_f64_e32 v[230:231], v[222:223], v[136:137]
	v_add_f64 v[232:233], v[228:229], v[230:231]
	ds_read_b128 v[228:231], v2 offset:1920
	v_mul_f64 v[150:151], v[186:187], v[150:151]
	s_waitcnt vmcnt(8) lgkmcnt(1)
	v_mul_f64 v[234:235], v[224:225], v[146:147]
	v_fmac_f64_e32 v[234:235], v[226:227], v[144:145]
	v_add_f64 v[236:237], v[232:233], v[234:235]
	s_waitcnt vmcnt(7) lgkmcnt(0)
	v_mul_f64 v[238:239], v[228:229], v[158:159]
	ds_read_b128 v[232:235], v2 offset:1936
	v_fmac_f64_e32 v[238:239], v[230:231], v[156:157]
	v_add_f64 v[242:243], v[236:237], v[238:239]
	ds_read_b128 v[236:239], v2 offset:1952
	v_fma_f64 v[250:251], v[184:185], v[148:149], -v[150:151]
	s_waitcnt vmcnt(6) lgkmcnt(1)
	v_mul_f64 v[244:245], v[232:233], v[162:163]
	v_fmac_f64_e32 v[244:245], v[234:235], v[160:161]
	ds_read_b128 v[148:151], v2 offset:1984
	s_waitcnt vmcnt(5) lgkmcnt(1)
	v_mul_f64 v[188:189], v[236:237], v[166:167]
	v_add_f64 v[242:243], v[242:243], v[244:245]
	v_fmac_f64_e32 v[188:189], v[238:239], v[164:165]
	s_waitcnt vmcnt(4)
	v_mul_f64 v[184:185], v[140:141], v[170:171]
	v_add_f64 v[188:189], v[242:243], v[188:189]
	v_fmac_f64_e32 v[184:185], v[142:143], v[168:169]
	v_add_f64 v[188:189], v[188:189], v[184:185]
	ds_read_b128 v[184:187], v2 offset:2000
	v_mul_f64 v[154:155], v[194:195], v[154:155]
	s_waitcnt vmcnt(3) lgkmcnt(1)
	v_mul_f64 v[190:191], v[148:149], v[174:175]
	v_fma_f64 v[244:245], v[192:193], v[152:153], -v[154:155]
	ds_read_b128 v[152:155], v2 offset:2016
	v_fmac_f64_e32 v[190:191], v[150:151], v[172:173]
	v_add_f64 v[242:243], v[188:189], v[190:191]
	ds_read_b128 v[188:191], v2 offset:2032
	s_waitcnt vmcnt(2) lgkmcnt(2)
	v_mul_f64 v[192:193], v[184:185], v[178:179]
	v_fmac_f64_e32 v[192:193], v[186:187], v[176:177]
	v_add_f64 v[2:3], v[242:243], v[192:193]
	s_waitcnt vmcnt(1) lgkmcnt(1)
	v_mul_f64 v[192:193], v[152:153], v[182:183]
	v_fmac_f64_e32 v[192:193], v[154:155], v[180:181]
	v_add_f64 v[2:3], v[2:3], v[192:193]
	;; [unrolled: 4-line block ×3, first 2 shown]
	scratch_load_dwordx4 v[192:195], off, off offset:512
	v_add_f64 v[242:243], v[248:249], 0
	v_add_f64 v[242:243], v[242:243], v[250:251]
	v_mul_f64 v[6:7], v[70:71], v[6:7]
	v_add_f64 v[242:243], v[242:243], v[244:245]
	v_fma_f64 v[4:5], v[68:69], v[4:5], -v[6:7]
	v_mul_f64 v[6:7], v[90:91], v[10:11]
	v_add_f64 v[4:5], v[242:243], v[4:5]
	v_fma_f64 v[6:7], v[88:89], v[8:9], -v[6:7]
	v_add_f64 v[4:5], v[4:5], v[6:7]
	v_mul_f64 v[6:7], v[86:87], v[14:15]
	v_fma_f64 v[6:7], v[84:85], v[12:13], -v[6:7]
	v_add_f64 v[4:5], v[4:5], v[6:7]
	v_mul_f64 v[6:7], v[82:83], v[18:19]
	;; [unrolled: 3-line block ×27, first 2 shown]
	v_fma_f64 v[6:7], v[188:189], v[196:197], -v[6:7]
	v_add_f64 v[4:5], v[4:5], v[6:7]
	s_waitcnt vmcnt(0)
	v_add_f64 v[4:5], v[192:193], -v[4:5]
	v_add_f64 v[6:7], v[194:195], -v[2:3]
	scratch_store_dwordx4 off, v[4:7], off offset:512
	s_and_saveexec_b64 s[0:1], vcc
	s_cbranch_execz .LBB127_349
; %bb.348:
	scratch_load_dwordx4 v[2:5], off, s60
	v_mov_b32_e32 v6, 0
	v_mov_b32_e32 v7, v6
	;; [unrolled: 1-line block ×4, first 2 shown]
	v_accvgpr_read_b32 v1, a128
	scratch_store_dwordx4 off, v[6:9], off offset:496
	s_waitcnt vmcnt(1)
	ds_write_b128 v1, v[2:5]
.LBB127_349:
	s_or_b64 exec, exec, s[0:1]
	s_waitcnt lgkmcnt(0)
	; wave barrier
	scratch_load_dwordx4 v[108:111], off, off offset:512
	scratch_load_dwordx4 v[116:119], off, off offset:528
	scratch_load_dwordx4 v[120:123], off, off offset:544
	scratch_load_dwordx4 v[124:127], off, off offset:560
	scratch_load_dwordx4 v[128:131], off, off offset:576
	scratch_load_dwordx4 v[4:7], off, off offset:592
	scratch_load_dwordx4 v[8:11], off, off offset:608
	scratch_load_dwordx4 v[12:15], off, off offset:624
	scratch_load_dwordx4 v[16:19], off, off offset:640
	scratch_load_dwordx4 v[20:23], off, off offset:656
	scratch_load_dwordx4 v[24:27], off, off offset:672
	scratch_load_dwordx4 v[28:31], off, off offset:688
	scratch_load_dwordx4 v[32:35], off, off offset:704
	scratch_load_dwordx4 v[36:39], off, off offset:720
	scratch_load_dwordx4 v[40:43], off, off offset:736
	scratch_load_dwordx4 v[44:47], off, off offset:752
	scratch_load_dwordx4 v[48:51], off, off offset:768
	scratch_load_dwordx4 v[52:55], off, off offset:784
	scratch_load_dwordx4 v[56:59], off, off offset:800
	scratch_load_dwordx4 v[60:63], off, off offset:816
	scratch_load_dwordx4 v[64:67], off, off offset:832
	scratch_load_dwordx4 v[68:71], off, off offset:848
	scratch_load_dwordx4 v[72:75], off, off offset:864
	scratch_load_dwordx4 v[76:79], off, off offset:880
	scratch_load_dwordx4 v[80:83], off, off offset:896
	scratch_load_dwordx4 v[84:87], off, off offset:912
	scratch_load_dwordx4 v[88:91], off, off offset:928
	scratch_load_dwordx4 v[92:95], off, off offset:944
	scratch_load_dwordx4 v[96:99], off, off offset:960
	scratch_load_dwordx4 v[100:103], off, off offset:976
	scratch_load_dwordx4 v[104:107], off, off offset:992
	scratch_load_dwordx4 v[112:115], off, off offset:1008
	scratch_load_dwordx4 v[132:135], off, off offset:1024
	v_mov_b32_e32 v2, 0
	ds_read_b128 v[220:223], v2 offset:1520
	ds_read_b128 v[224:227], v2 offset:1536
	;; [unrolled: 1-line block ×16, first 2 shown]
	v_cmp_lt_u32_e32 vcc, 29, v0
	s_waitcnt vmcnt(32) lgkmcnt(14)
	v_mul_f64 v[180:181], v[220:221], v[110:111]
	s_waitcnt vmcnt(31)
	v_mul_f64 v[182:183], v[224:225], v[118:119]
	v_fmac_f64_e32 v[180:181], v[222:223], v[108:109]
	s_waitcnt vmcnt(30) lgkmcnt(13)
	v_mul_f64 v[184:185], v[234:235], v[122:123]
	v_fmac_f64_e32 v[182:183], v[226:227], v[116:117]
	v_add_f64 v[180:181], v[180:181], 0
	s_waitcnt vmcnt(29) lgkmcnt(12)
	v_mul_f64 v[186:187], v[242:243], v[126:127]
	v_fmac_f64_e32 v[184:185], v[236:237], v[120:121]
	v_add_f64 v[180:181], v[180:181], v[182:183]
	;; [unrolled: 4-line block ×13, first 2 shown]
	v_fmac_f64_e32 v[208:209], v[142:143], v[40:41]
	v_add_f64 v[180:181], v[180:181], v[206:207]
	v_add_f64 v[184:185], v[180:181], v[208:209]
	ds_read_b128 v[180:183], v2 offset:1776
	s_waitcnt vmcnt(17) lgkmcnt(1)
	v_mul_f64 v[186:187], v[136:137], v[46:47]
	v_fmac_f64_e32 v[186:187], v[138:139], v[44:45]
	v_add_f64 v[188:189], v[184:185], v[186:187]
	ds_read_b128 v[184:187], v2 offset:1792
	s_waitcnt vmcnt(16) lgkmcnt(1)
	v_mul_f64 v[190:191], v[180:181], v[50:51]
	v_fmac_f64_e32 v[190:191], v[182:183], v[48:49]
	;; [unrolled: 5-line block ×10, first 2 shown]
	v_mul_f64 v[110:111], v[222:223], v[110:111]
	v_add_f64 v[228:229], v[228:229], v[230:231]
	v_fma_f64 v[230:231], v[220:221], v[108:109], -v[110:111]
	ds_read_b128 v[108:111], v2 offset:1936
	s_waitcnt vmcnt(7) lgkmcnt(1)
	v_mul_f64 v[220:221], v[216:217], v[86:87]
	v_mul_f64 v[118:119], v[226:227], v[118:119]
	v_fmac_f64_e32 v[220:221], v[218:219], v[84:85]
	v_fma_f64 v[232:233], v[224:225], v[116:117], -v[118:119]
	ds_read_b128 v[116:119], v2 offset:1952
	s_waitcnt vmcnt(6) lgkmcnt(1)
	v_mul_f64 v[222:223], v[108:109], v[90:91]
	v_add_f64 v[220:221], v[228:229], v[220:221]
	v_fmac_f64_e32 v[222:223], v[110:111], v[88:89]
	v_add_f64 v[224:225], v[220:221], v[222:223]
	ds_read_b128 v[220:223], v2 offset:1968
	v_mul_f64 v[122:123], v[236:237], v[122:123]
	v_fma_f64 v[234:235], v[234:235], v[120:121], -v[122:123]
	ds_read_b128 v[120:123], v2 offset:1984
	s_waitcnt vmcnt(5) lgkmcnt(2)
	v_mul_f64 v[226:227], v[116:117], v[94:95]
	v_fmac_f64_e32 v[226:227], v[118:119], v[92:93]
	v_mul_f64 v[126:127], v[244:245], v[126:127]
	v_add_f64 v[224:225], v[224:225], v[226:227]
	s_waitcnt vmcnt(4) lgkmcnt(1)
	v_mul_f64 v[226:227], v[220:221], v[98:99]
	v_fma_f64 v[236:237], v[242:243], v[124:125], -v[126:127]
	ds_read_b128 v[124:127], v2 offset:2000
	v_fmac_f64_e32 v[226:227], v[222:223], v[96:97]
	v_add_f64 v[228:229], v[224:225], v[226:227]
	s_waitcnt vmcnt(3) lgkmcnt(1)
	v_mul_f64 v[238:239], v[120:121], v[102:103]
	ds_read_b128 v[224:227], v2 offset:2016
	v_fmac_f64_e32 v[238:239], v[122:123], v[100:101]
	v_mul_f64 v[130:131], v[250:251], v[130:131]
	v_add_f64 v[228:229], v[228:229], v[238:239]
	v_fma_f64 v[238:239], v[248:249], v[128:129], -v[130:131]
	ds_read_b128 v[128:131], v2 offset:2032
	s_waitcnt vmcnt(2) lgkmcnt(2)
	v_mul_f64 v[242:243], v[124:125], v[106:107]
	v_fmac_f64_e32 v[242:243], v[126:127], v[104:105]
	v_add_f64 v[228:229], v[228:229], v[242:243]
	s_waitcnt vmcnt(1) lgkmcnt(1)
	v_mul_f64 v[242:243], v[224:225], v[114:115]
	v_fmac_f64_e32 v[242:243], v[226:227], v[112:113]
	v_add_f64 v[228:229], v[228:229], v[242:243]
	;; [unrolled: 4-line block ×3, first 2 shown]
	scratch_load_dwordx4 v[242:245], off, off offset:496
	v_add_f64 v[230:231], v[230:231], 0
	v_add_f64 v[230:231], v[230:231], v[232:233]
	;; [unrolled: 1-line block ×4, first 2 shown]
	v_mul_f64 v[6:7], v[178:179], v[6:7]
	v_add_f64 v[230:231], v[230:231], v[238:239]
	v_fma_f64 v[4:5], v[176:177], v[4:5], -v[6:7]
	v_mul_f64 v[6:7], v[174:175], v[10:11]
	v_add_f64 v[4:5], v[230:231], v[4:5]
	v_fma_f64 v[6:7], v[172:173], v[8:9], -v[6:7]
	v_add_f64 v[4:5], v[4:5], v[6:7]
	v_mul_f64 v[6:7], v[170:171], v[14:15]
	v_fma_f64 v[6:7], v[168:169], v[12:13], -v[6:7]
	v_add_f64 v[4:5], v[4:5], v[6:7]
	v_mul_f64 v[6:7], v[166:167], v[18:19]
	;; [unrolled: 3-line block ×26, first 2 shown]
	v_fma_f64 v[6:7], v[128:129], v[132:133], -v[6:7]
	v_add_f64 v[4:5], v[4:5], v[6:7]
	s_waitcnt vmcnt(0)
	v_add_f64 v[4:5], v[242:243], -v[4:5]
	v_add_f64 v[6:7], v[244:245], -v[228:229]
	scratch_store_dwordx4 off, v[4:7], off offset:496
	s_and_saveexec_b64 s[0:1], vcc
	s_cbranch_execz .LBB127_351
; %bb.350:
	scratch_load_dwordx4 v[6:9], off, s61
	v_mov_b32_e32 v3, v2
	v_mov_b32_e32 v4, v2
	;; [unrolled: 1-line block ×3, first 2 shown]
	v_accvgpr_read_b32 v1, a128
	scratch_store_dwordx4 off, v[2:5], off offset:480
	s_waitcnt vmcnt(1)
	ds_write_b128 v1, v[6:9]
.LBB127_351:
	s_or_b64 exec, exec, s[0:1]
	s_waitcnt lgkmcnt(0)
	; wave barrier
	scratch_load_dwordx4 v[144:147], off, off offset:496
	scratch_load_dwordx4 v[152:155], off, off offset:512
	;; [unrolled: 1-line block ×16, first 2 shown]
	ds_read_b128 v[196:199], v2 offset:1504
	ds_read_b128 v[188:191], v2 offset:1520
	ds_read_b128 v[180:183], v2 offset:1536
	scratch_load_dwordx4 v[48:51], off, off offset:752
	ds_read_b128 v[192:195], v2 offset:1552
	ds_read_b128 v[184:187], v2 offset:1568
	ds_read_b128 v[64:67], v2 offset:1584
	scratch_load_dwordx4 v[52:55], off, off offset:768
	;; [unrolled: 4-line block ×5, first 2 shown]
	ds_read_b128 v[116:119], v2 offset:1744
	ds_read_b128 v[112:115], v2 offset:1760
	scratch_load_dwordx4 v[108:111], off, off offset:832
	scratch_load_dwordx4 v[120:123], off, off offset:848
	;; [unrolled: 1-line block ×12, first 2 shown]
	v_cmp_lt_u32_e32 vcc, 28, v0
	s_waitcnt vmcnt(32) lgkmcnt(14)
	v_mul_f64 v[204:205], v[196:197], v[146:147]
	s_waitcnt vmcnt(31)
	v_mul_f64 v[206:207], v[188:189], v[154:155]
	v_fmac_f64_e32 v[204:205], v[198:199], v[144:145]
	s_waitcnt vmcnt(30)
	v_mul_f64 v[208:209], v[180:181], v[158:159]
	v_fmac_f64_e32 v[206:207], v[190:191], v[152:153]
	v_add_f64 v[204:205], v[204:205], 0
	s_waitcnt vmcnt(29) lgkmcnt(13)
	v_mul_f64 v[210:211], v[192:193], v[162:163]
	v_fmac_f64_e32 v[208:209], v[182:183], v[156:157]
	v_add_f64 v[204:205], v[204:205], v[206:207]
	s_waitcnt vmcnt(28) lgkmcnt(12)
	v_mul_f64 v[212:213], v[184:185], v[170:171]
	v_fmac_f64_e32 v[210:211], v[194:195], v[160:161]
	v_add_f64 v[204:205], v[204:205], v[208:209]
	s_waitcnt vmcnt(27) lgkmcnt(11)
	v_mul_f64 v[214:215], v[64:65], v[6:7]
	v_fmac_f64_e32 v[212:213], v[186:187], v[168:169]
	v_add_f64 v[204:205], v[204:205], v[210:211]
	s_waitcnt vmcnt(26) lgkmcnt(10)
	v_mul_f64 v[216:217], v[76:77], v[10:11]
	v_fmac_f64_e32 v[214:215], v[66:67], v[4:5]
	v_add_f64 v[204:205], v[204:205], v[212:213]
	s_waitcnt vmcnt(25) lgkmcnt(9)
	v_mul_f64 v[218:219], v[72:73], v[14:15]
	v_fmac_f64_e32 v[216:217], v[78:79], v[8:9]
	v_add_f64 v[204:205], v[204:205], v[214:215]
	s_waitcnt vmcnt(24) lgkmcnt(8)
	v_mul_f64 v[220:221], v[68:69], v[18:19]
	v_fmac_f64_e32 v[218:219], v[74:75], v[12:13]
	v_add_f64 v[204:205], v[204:205], v[216:217]
	s_waitcnt vmcnt(23) lgkmcnt(7)
	v_mul_f64 v[222:223], v[88:89], v[22:23]
	v_fmac_f64_e32 v[220:221], v[70:71], v[16:17]
	v_add_f64 v[204:205], v[204:205], v[218:219]
	s_waitcnt vmcnt(22) lgkmcnt(6)
	v_mul_f64 v[224:225], v[84:85], v[26:27]
	v_fmac_f64_e32 v[222:223], v[90:91], v[20:21]
	v_add_f64 v[204:205], v[204:205], v[220:221]
	s_waitcnt vmcnt(21) lgkmcnt(5)
	v_mul_f64 v[226:227], v[80:81], v[30:31]
	v_fmac_f64_e32 v[224:225], v[86:87], v[24:25]
	v_add_f64 v[204:205], v[204:205], v[222:223]
	s_waitcnt vmcnt(20) lgkmcnt(4)
	v_mul_f64 v[228:229], v[104:105], v[34:35]
	v_fmac_f64_e32 v[226:227], v[82:83], v[28:29]
	v_add_f64 v[204:205], v[204:205], v[224:225]
	s_waitcnt vmcnt(19) lgkmcnt(3)
	v_mul_f64 v[230:231], v[100:101], v[38:39]
	v_fmac_f64_e32 v[228:229], v[106:107], v[32:33]
	v_add_f64 v[204:205], v[204:205], v[226:227]
	s_waitcnt vmcnt(18) lgkmcnt(2)
	v_mul_f64 v[232:233], v[96:97], v[42:43]
	v_fmac_f64_e32 v[230:231], v[102:103], v[36:37]
	v_add_f64 v[204:205], v[204:205], v[228:229]
	v_fmac_f64_e32 v[232:233], v[98:99], v[40:41]
	v_add_f64 v[204:205], v[204:205], v[230:231]
	s_waitcnt vmcnt(17) lgkmcnt(1)
	v_mul_f64 v[206:207], v[116:117], v[46:47]
	v_add_f64 v[204:205], v[204:205], v[232:233]
	v_fmac_f64_e32 v[206:207], v[118:119], v[44:45]
	s_waitcnt vmcnt(16) lgkmcnt(0)
	v_mul_f64 v[210:211], v[112:113], v[50:51]
	v_add_f64 v[208:209], v[204:205], v[206:207]
	ds_read_b128 v[204:207], v2 offset:1776
	v_fmac_f64_e32 v[210:211], v[114:115], v[48:49]
	v_add_f64 v[212:213], v[208:209], v[210:211]
	ds_read_b128 v[208:211], v2 offset:1792
	v_mul_f64 v[146:147], v[198:199], v[146:147]
	s_waitcnt vmcnt(15) lgkmcnt(1)
	v_mul_f64 v[214:215], v[204:205], v[54:55]
	v_fmac_f64_e32 v[214:215], v[206:207], v[52:53]
	v_add_f64 v[216:217], v[212:213], v[214:215]
	s_waitcnt vmcnt(14) lgkmcnt(0)
	v_mul_f64 v[218:219], v[208:209], v[58:59]
	ds_read_b128 v[212:215], v2 offset:1808
	v_fmac_f64_e32 v[218:219], v[210:211], v[56:57]
	v_add_f64 v[220:221], v[216:217], v[218:219]
	ds_read_b128 v[216:219], v2 offset:1824
	v_mul_f64 v[154:155], v[190:191], v[154:155]
	s_waitcnt vmcnt(13) lgkmcnt(1)
	v_mul_f64 v[222:223], v[212:213], v[62:63]
	v_fmac_f64_e32 v[222:223], v[214:215], v[60:61]
	v_add_f64 v[224:225], v[220:221], v[222:223]
	s_waitcnt vmcnt(12) lgkmcnt(0)
	v_mul_f64 v[226:227], v[216:217], v[94:95]
	ds_read_b128 v[220:223], v2 offset:1840
	v_fmac_f64_e32 v[226:227], v[218:219], v[92:93]
	v_add_f64 v[228:229], v[224:225], v[226:227]
	ds_read_b128 v[224:227], v2 offset:1856
	v_fma_f64 v[248:249], v[188:189], v[152:153], -v[154:155]
	s_waitcnt vmcnt(11) lgkmcnt(1)
	v_mul_f64 v[230:231], v[220:221], v[110:111]
	v_fmac_f64_e32 v[230:231], v[222:223], v[108:109]
	v_add_f64 v[232:233], v[228:229], v[230:231]
	s_waitcnt vmcnt(10) lgkmcnt(0)
	v_mul_f64 v[234:235], v[224:225], v[122:123]
	ds_read_b128 v[228:231], v2 offset:1872
	v_fmac_f64_e32 v[234:235], v[226:227], v[120:121]
	v_add_f64 v[236:237], v[232:233], v[234:235]
	ds_read_b128 v[232:235], v2 offset:1888
	ds_read_b128 v[152:155], v2 offset:1936
	s_waitcnt vmcnt(9) lgkmcnt(2)
	v_mul_f64 v[238:239], v[228:229], v[126:127]
	v_fmac_f64_e32 v[238:239], v[230:231], v[124:125]
	v_add_f64 v[242:243], v[236:237], v[238:239]
	s_waitcnt vmcnt(8) lgkmcnt(1)
	v_mul_f64 v[244:245], v[232:233], v[130:131]
	ds_read_b128 v[236:239], v2 offset:1904
	v_fmac_f64_e32 v[244:245], v[234:235], v[128:129]
	v_add_f64 v[242:243], v[242:243], v[244:245]
	v_fma_f64 v[244:245], v[196:197], v[144:145], -v[146:147]
	ds_read_b128 v[144:147], v2 offset:1920
	s_waitcnt vmcnt(7) lgkmcnt(1)
	v_mul_f64 v[196:197], v[236:237], v[134:135]
	v_fmac_f64_e32 v[196:197], v[238:239], v[132:133]
	v_add_f64 v[188:189], v[242:243], v[196:197]
	v_mul_f64 v[158:159], v[182:183], v[158:159]
	s_waitcnt vmcnt(6) lgkmcnt(0)
	v_mul_f64 v[190:191], v[144:145], v[138:139]
	v_fmac_f64_e32 v[190:191], v[146:147], v[136:137]
	v_add_f64 v[196:197], v[188:189], v[190:191]
	ds_read_b128 v[188:191], v2 offset:1952
	v_fma_f64 v[242:243], v[180:181], v[156:157], -v[158:159]
	ds_read_b128 v[156:159], v2 offset:1968
	s_waitcnt vmcnt(5)
	v_mul_f64 v[198:199], v[152:153], v[142:143]
	v_fmac_f64_e32 v[198:199], v[154:155], v[140:141]
	s_waitcnt vmcnt(4) lgkmcnt(1)
	v_mul_f64 v[180:181], v[188:189], v[150:151]
	v_add_f64 v[196:197], v[196:197], v[198:199]
	v_fmac_f64_e32 v[180:181], v[190:191], v[148:149]
	v_mul_f64 v[162:163], v[194:195], v[162:163]
	v_add_f64 v[198:199], v[196:197], v[180:181]
	v_fma_f64 v[196:197], v[192:193], v[160:161], -v[162:163]
	ds_read_b128 v[160:163], v2 offset:1984
	s_waitcnt vmcnt(3) lgkmcnt(1)
	v_mul_f64 v[192:193], v[156:157], v[166:167]
	ds_read_b128 v[180:183], v2 offset:2000
	v_fmac_f64_e32 v[192:193], v[158:159], v[164:165]
	v_mul_f64 v[170:171], v[186:187], v[170:171]
	v_add_f64 v[192:193], v[198:199], v[192:193]
	v_fma_f64 v[198:199], v[184:185], v[168:169], -v[170:171]
	ds_read_b128 v[168:171], v2 offset:2016
	s_waitcnt vmcnt(2) lgkmcnt(2)
	v_mul_f64 v[184:185], v[160:161], v[174:175]
	v_fmac_f64_e32 v[184:185], v[162:163], v[172:173]
	s_waitcnt vmcnt(1) lgkmcnt(1)
	v_mul_f64 v[186:187], v[180:181], v[178:179]
	v_add_f64 v[184:185], v[192:193], v[184:185]
	v_fmac_f64_e32 v[186:187], v[182:183], v[176:177]
	v_add_f64 v[184:185], v[184:185], v[186:187]
	s_waitcnt vmcnt(0) lgkmcnt(0)
	v_mul_f64 v[186:187], v[168:169], v[202:203]
	v_fmac_f64_e32 v[186:187], v[170:171], v[200:201]
	v_add_f64 v[250:251], v[184:185], v[186:187]
	scratch_load_dwordx4 v[184:187], off, off offset:1024
	v_add_f64 v[244:245], v[244:245], 0
	v_add_f64 v[244:245], v[244:245], v[248:249]
	;; [unrolled: 1-line block ×3, first 2 shown]
	scratch_load_dwordx4 v[242:245], off, off offset:480
	v_add_f64 v[196:197], v[248:249], v[196:197]
	v_mul_f64 v[6:7], v[66:67], v[6:7]
	v_add_f64 v[196:197], v[196:197], v[198:199]
	v_fma_f64 v[4:5], v[64:65], v[4:5], -v[6:7]
	v_mul_f64 v[6:7], v[78:79], v[10:11]
	v_add_f64 v[4:5], v[196:197], v[4:5]
	v_fma_f64 v[6:7], v[76:77], v[8:9], -v[6:7]
	v_add_f64 v[4:5], v[4:5], v[6:7]
	v_mul_f64 v[6:7], v[74:75], v[14:15]
	v_fma_f64 v[6:7], v[72:73], v[12:13], -v[6:7]
	v_add_f64 v[4:5], v[4:5], v[6:7]
	v_mul_f64 v[6:7], v[70:71], v[18:19]
	;; [unrolled: 3-line block ×24, first 2 shown]
	ds_read_b128 v[192:195], v2 offset:2032
	v_fma_f64 v[6:7], v[160:161], v[172:173], -v[6:7]
	v_add_f64 v[4:5], v[4:5], v[6:7]
	v_mul_f64 v[6:7], v[182:183], v[178:179]
	v_fma_f64 v[6:7], v[180:181], v[176:177], -v[6:7]
	v_add_f64 v[4:5], v[4:5], v[6:7]
	v_mul_f64 v[6:7], v[170:171], v[202:203]
	v_fma_f64 v[6:7], v[168:169], v[200:201], -v[6:7]
	s_waitcnt vmcnt(1) lgkmcnt(0)
	v_mul_f64 v[2:3], v[192:193], v[186:187]
	v_add_f64 v[4:5], v[4:5], v[6:7]
	v_mul_f64 v[6:7], v[194:195], v[186:187]
	v_fmac_f64_e32 v[2:3], v[194:195], v[184:185]
	v_fma_f64 v[6:7], v[192:193], v[184:185], -v[6:7]
	v_add_f64 v[2:3], v[250:251], v[2:3]
	v_add_f64 v[4:5], v[4:5], v[6:7]
	s_waitcnt vmcnt(0)
	v_add_f64 v[4:5], v[242:243], -v[4:5]
	v_add_f64 v[6:7], v[244:245], -v[2:3]
	scratch_store_dwordx4 off, v[4:7], off offset:480
	s_and_saveexec_b64 s[0:1], vcc
	s_cbranch_execz .LBB127_353
; %bb.352:
	scratch_load_dwordx4 v[2:5], off, s62
	v_mov_b32_e32 v6, 0
	v_mov_b32_e32 v7, v6
	v_mov_b32_e32 v8, v6
	v_mov_b32_e32 v9, v6
	v_accvgpr_read_b32 v1, a128
	scratch_store_dwordx4 off, v[6:9], off offset:464
	s_waitcnt vmcnt(1)
	ds_write_b128 v1, v[2:5]
.LBB127_353:
	s_or_b64 exec, exec, s[0:1]
	s_waitcnt lgkmcnt(0)
	; wave barrier
	scratch_load_dwordx4 v[184:187], off, off offset:480
	scratch_load_dwordx4 v[188:191], off, off offset:496
	;; [unrolled: 1-line block ×32, first 2 shown]
	v_mov_b32_e32 v2, 0
	ds_read_b128 v[192:195], v2 offset:1488
	ds_read_b128 v[204:207], v2 offset:1504
	;; [unrolled: 1-line block ×16, first 2 shown]
	v_cmp_lt_u32_e32 vcc, 27, v0
	s_waitcnt vmcnt(31) lgkmcnt(14)
	v_mul_f64 v[104:105], v[192:193], v[186:187]
	s_waitcnt vmcnt(30)
	v_mul_f64 v[106:107], v[204:205], v[190:191]
	v_fmac_f64_e32 v[104:105], v[194:195], v[184:185]
	s_waitcnt vmcnt(29) lgkmcnt(13)
	v_mul_f64 v[112:113], v[216:217], v[198:199]
	v_fmac_f64_e32 v[106:107], v[206:207], v[188:189]
	v_add_f64 v[104:105], v[104:105], 0
	s_waitcnt vmcnt(28) lgkmcnt(12)
	v_mul_f64 v[114:115], v[224:225], v[202:203]
	v_fmac_f64_e32 v[112:113], v[218:219], v[196:197]
	v_add_f64 v[104:105], v[104:105], v[106:107]
	;; [unrolled: 4-line block ×10, first 2 shown]
	ds_read_b128 v[152:155], v2 offset:1744
	ds_read_b128 v[156:159], v2 offset:1760
	s_waitcnt vmcnt(19) lgkmcnt(5)
	v_mul_f64 v[164:165], v[124:125], v[26:27]
	v_fmac_f64_e32 v[162:163], v[134:135], v[20:21]
	v_add_f64 v[104:105], v[104:105], v[160:161]
	s_waitcnt vmcnt(18) lgkmcnt(4)
	v_mul_f64 v[166:167], v[120:121], v[30:31]
	v_fmac_f64_e32 v[164:165], v[126:127], v[24:25]
	v_add_f64 v[104:105], v[104:105], v[162:163]
	;; [unrolled: 4-line block ×4, first 2 shown]
	v_add_f64 v[112:113], v[104:105], v[168:169]
	v_fmac_f64_e32 v[170:171], v[110:111], v[36:37]
	scratch_load_dwordx4 v[104:107], off, off offset:992
	s_waitcnt vmcnt(16) lgkmcnt(1)
	v_mul_f64 v[114:115], v[152:153], v[42:43]
	v_add_f64 v[112:113], v[112:113], v[170:171]
	v_fmac_f64_e32 v[114:115], v[154:155], v[40:41]
	v_add_f64 v[128:129], v[112:113], v[114:115]
	scratch_load_dwordx4 v[112:115], off, off offset:1008
	s_waitcnt vmcnt(16) lgkmcnt(0)
	v_mul_f64 v[130:131], v[156:157], v[46:47]
	v_fmac_f64_e32 v[130:131], v[158:159], v[44:45]
	v_add_f64 v[168:169], v[128:129], v[130:131]
	scratch_load_dwordx4 v[128:131], off, off offset:1024
	ds_read_b128 v[160:163], v2 offset:1776
	ds_read_b128 v[164:167], v2 offset:1792
	v_mul_f64 v[186:187], v[194:195], v[186:187]
	v_fma_f64 v[252:253], v[192:193], v[184:185], -v[186:187]
	ds_read_b128 v[184:187], v2 offset:1872
	s_waitcnt vmcnt(16) lgkmcnt(2)
	v_mul_f64 v[170:171], v[160:161], v[50:51]
	v_fmac_f64_e32 v[170:171], v[162:163], v[48:49]
	s_waitcnt vmcnt(15) lgkmcnt(1)
	v_mul_f64 v[174:175], v[164:165], v[54:55]
	v_add_f64 v[172:173], v[168:169], v[170:171]
	ds_read_b128 v[168:171], v2 offset:1808
	v_fmac_f64_e32 v[174:175], v[166:167], v[52:53]
	v_add_f64 v[176:177], v[172:173], v[174:175]
	ds_read_b128 v[172:175], v2 offset:1824
	v_mul_f64 v[190:191], v[206:207], v[190:191]
	s_waitcnt vmcnt(14) lgkmcnt(1)
	v_mul_f64 v[178:179], v[168:169], v[58:59]
	v_fmac_f64_e32 v[178:179], v[170:171], v[56:57]
	v_add_f64 v[180:181], v[176:177], v[178:179]
	s_waitcnt vmcnt(13) lgkmcnt(0)
	v_mul_f64 v[182:183], v[172:173], v[62:63]
	ds_read_b128 v[176:179], v2 offset:1840
	v_fmac_f64_e32 v[182:183], v[174:175], v[60:61]
	v_add_f64 v[232:233], v[180:181], v[182:183]
	ds_read_b128 v[180:183], v2 offset:1856
	v_fma_f64 v[246:247], v[204:205], v[188:189], -v[190:191]
	s_waitcnt vmcnt(12) lgkmcnt(1)
	v_mul_f64 v[234:235], v[176:177], v[66:67]
	v_fmac_f64_e32 v[234:235], v[178:179], v[64:65]
	v_add_f64 v[232:233], v[232:233], v[234:235]
	s_waitcnt vmcnt(11) lgkmcnt(0)
	v_mul_f64 v[192:193], v[180:181], v[70:71]
	v_fmac_f64_e32 v[192:193], v[182:183], v[68:69]
	ds_read_b128 v[188:191], v2 offset:1888
	s_waitcnt vmcnt(10)
	v_mul_f64 v[194:195], v[184:185], v[74:75]
	v_add_f64 v[192:193], v[232:233], v[192:193]
	v_fmac_f64_e32 v[194:195], v[186:187], v[72:73]
	v_add_f64 v[204:205], v[192:193], v[194:195]
	ds_read_b128 v[192:195], v2 offset:1904
	v_mul_f64 v[198:199], v[218:219], v[198:199]
	v_fma_f64 v[240:241], v[216:217], v[196:197], -v[198:199]
	ds_read_b128 v[196:199], v2 offset:1920
	s_waitcnt vmcnt(9) lgkmcnt(2)
	v_mul_f64 v[206:207], v[188:189], v[78:79]
	v_fmac_f64_e32 v[206:207], v[190:191], v[76:77]
	v_add_f64 v[204:205], v[204:205], v[206:207]
	s_waitcnt vmcnt(8) lgkmcnt(1)
	v_mul_f64 v[206:207], v[192:193], v[82:83]
	v_fmac_f64_e32 v[206:207], v[194:195], v[80:81]
	v_mul_f64 v[202:203], v[226:227], v[202:203]
	v_add_f64 v[204:205], v[204:205], v[206:207]
	v_fma_f64 v[234:235], v[224:225], v[200:201], -v[202:203]
	ds_read_b128 v[200:203], v2 offset:1936
	s_waitcnt vmcnt(7) lgkmcnt(1)
	v_mul_f64 v[206:207], v[196:197], v[86:87]
	v_fmac_f64_e32 v[206:207], v[198:199], v[84:85]
	v_add_f64 v[216:217], v[204:205], v[206:207]
	ds_read_b128 v[204:207], v2 offset:1952
	v_mul_f64 v[210:211], v[230:231], v[210:211]
	v_fma_f64 v[236:237], v[228:229], v[208:209], -v[210:211]
	ds_read_b128 v[208:211], v2 offset:1968
	s_waitcnt vmcnt(6) lgkmcnt(2)
	v_mul_f64 v[218:219], v[200:201], v[90:91]
	v_fmac_f64_e32 v[218:219], v[202:203], v[88:89]
	v_add_f64 v[216:217], v[216:217], v[218:219]
	s_waitcnt vmcnt(5) lgkmcnt(1)
	v_mul_f64 v[218:219], v[204:205], v[94:95]
	v_fmac_f64_e32 v[218:219], v[206:207], v[92:93]
	v_mul_f64 v[214:215], v[244:245], v[214:215]
	v_fma_f64 v[238:239], v[242:243], v[212:213], -v[214:215]
	ds_read_b128 v[212:215], v2 offset:1984
	v_add_f64 v[216:217], v[216:217], v[218:219]
	s_waitcnt vmcnt(4) lgkmcnt(1)
	v_mul_f64 v[218:219], v[208:209], v[102:103]
	v_fmac_f64_e32 v[218:219], v[210:211], v[100:101]
	v_add_f64 v[224:225], v[216:217], v[218:219]
	ds_read_b128 v[216:219], v2 offset:2000
	v_mul_f64 v[222:223], v[250:251], v[222:223]
	v_fma_f64 v[248:249], v[248:249], v[220:221], -v[222:223]
	ds_read_b128 v[220:223], v2 offset:2016
	s_waitcnt vmcnt(3) lgkmcnt(2)
	v_mul_f64 v[226:227], v[212:213], v[98:99]
	v_fmac_f64_e32 v[226:227], v[214:215], v[96:97]
	v_add_f64 v[224:225], v[224:225], v[226:227]
	s_waitcnt vmcnt(2) lgkmcnt(1)
	v_mul_f64 v[226:227], v[216:217], v[106:107]
	v_fmac_f64_e32 v[226:227], v[218:219], v[104:105]
	v_add_f64 v[224:225], v[224:225], v[226:227]
	;; [unrolled: 4-line block ×3, first 2 shown]
	ds_read_b128 v[224:227], v2 offset:2032
	v_mul_f64 v[6:7], v[150:151], v[6:7]
	v_fma_f64 v[4:5], v[148:149], v[4:5], -v[6:7]
	v_mul_f64 v[6:7], v[146:147], v[10:11]
	v_fma_f64 v[6:7], v[144:145], v[8:9], -v[6:7]
	s_waitcnt vmcnt(0) lgkmcnt(0)
	v_mul_f64 v[230:231], v[224:225], v[130:131]
	v_fmac_f64_e32 v[230:231], v[226:227], v[128:129]
	v_add_f64 v[232:233], v[228:229], v[230:231]
	v_add_f64 v[228:229], v[252:253], 0
	;; [unrolled: 1-line block ×4, first 2 shown]
	scratch_load_dwordx4 v[228:231], off, off offset:464
	v_add_f64 v[234:235], v[250:251], v[234:235]
	v_add_f64 v[234:235], v[234:235], v[236:237]
	;; [unrolled: 1-line block ×6, first 2 shown]
	v_mul_f64 v[6:7], v[142:143], v[14:15]
	v_fma_f64 v[6:7], v[140:141], v[12:13], -v[6:7]
	v_add_f64 v[4:5], v[4:5], v[6:7]
	v_mul_f64 v[6:7], v[138:139], v[18:19]
	v_fma_f64 v[6:7], v[136:137], v[16:17], -v[6:7]
	v_add_f64 v[4:5], v[4:5], v[6:7]
	;; [unrolled: 3-line block ×26, first 2 shown]
	s_waitcnt vmcnt(0)
	v_add_f64 v[4:5], v[228:229], -v[4:5]
	v_add_f64 v[6:7], v[230:231], -v[232:233]
	scratch_store_dwordx4 off, v[4:7], off offset:464
	s_and_saveexec_b64 s[0:1], vcc
	s_cbranch_execz .LBB127_355
; %bb.354:
	scratch_load_dwordx4 v[6:9], off, s63
	v_mov_b32_e32 v3, v2
	v_mov_b32_e32 v4, v2
	;; [unrolled: 1-line block ×3, first 2 shown]
	v_accvgpr_read_b32 v1, a128
	scratch_store_dwordx4 off, v[2:5], off offset:448
	s_waitcnt vmcnt(1)
	ds_write_b128 v1, v[6:9]
.LBB127_355:
	s_or_b64 exec, exec, s[0:1]
	s_waitcnt lgkmcnt(0)
	; wave barrier
	scratch_load_dwordx4 v[140:143], off, off offset:464
	scratch_load_dwordx4 v[144:147], off, off offset:480
	;; [unrolled: 1-line block ×16, first 2 shown]
	ds_read_b128 v[208:211], v2 offset:1472
	ds_read_b128 v[200:203], v2 offset:1488
	;; [unrolled: 1-line block ×3, first 2 shown]
	scratch_load_dwordx4 v[40:43], off, off offset:720
	ds_read_b128 v[204:207], v2 offset:1520
	ds_read_b128 v[192:195], v2 offset:1536
	;; [unrolled: 1-line block ×3, first 2 shown]
	scratch_load_dwordx4 v[44:47], off, off offset:736
	ds_read_b128 v[196:199], v2 offset:1568
	ds_read_b128 v[64:67], v2 offset:1584
	ds_read_b128 v[60:63], v2 offset:1600
	ds_read_b128 v[52:55], v2 offset:1616
	scratch_load_dwordx4 v[48:51], off, off offset:752
	ds_read_b128 v[72:75], v2 offset:1632
	ds_read_b128 v[68:71], v2 offset:1648
	scratch_load_dwordx4 v[56:59], off, off offset:768
	ds_read_b128 v[92:95], v2 offset:1664
	ds_read_b128 v[88:91], v2 offset:1680
	;; [unrolled: 1-line block ×4, first 2 shown]
	scratch_load_dwordx4 v[76:79], off, off offset:784
	scratch_load_dwordx4 v[96:99], off, off offset:800
	scratch_load_dwordx4 v[100:103], off, off offset:816
	scratch_load_dwordx4 v[104:107], off, off offset:832
	scratch_load_dwordx4 v[108:111], off, off offset:848
	scratch_load_dwordx4 v[112:115], off, off offset:864
	scratch_load_dwordx4 v[116:119], off, off offset:880
	scratch_load_dwordx4 v[120:123], off, off offset:896
	scratch_load_dwordx4 v[124:127], off, off offset:912
	scratch_load_dwordx4 v[128:131], off, off offset:928
	scratch_load_dwordx4 v[136:139], off, off offset:944
	scratch_load_dwordx4 v[132:135], off, off offset:960
	ds_read_b128 v[168:171], v2 offset:1728
	v_mov_b32_e32 v254, v0
	v_cmp_lt_u32_e32 vcc, 26, v0
	s_waitcnt vmcnt(31) lgkmcnt(14)
	v_mul_f64 v[172:173], v[208:209], v[142:143]
	s_waitcnt vmcnt(30)
	v_mul_f64 v[174:175], v[200:201], v[146:147]
	v_fmac_f64_e32 v[172:173], v[210:211], v[140:141]
	s_waitcnt vmcnt(29)
	v_mul_f64 v[176:177], v[188:189], v[150:151]
	v_fmac_f64_e32 v[174:175], v[202:203], v[144:145]
	v_add_f64 v[172:173], v[172:173], 0
	s_waitcnt vmcnt(28) lgkmcnt(13)
	v_mul_f64 v[178:179], v[204:205], v[154:155]
	v_fmac_f64_e32 v[176:177], v[190:191], v[148:149]
	v_add_f64 v[172:173], v[172:173], v[174:175]
	s_waitcnt vmcnt(27) lgkmcnt(12)
	v_mul_f64 v[180:181], v[192:193], v[158:159]
	v_fmac_f64_e32 v[178:179], v[206:207], v[152:153]
	v_add_f64 v[172:173], v[172:173], v[176:177]
	s_waitcnt vmcnt(26) lgkmcnt(11)
	v_mul_f64 v[182:183], v[184:185], v[162:163]
	v_fmac_f64_e32 v[180:181], v[194:195], v[156:157]
	v_add_f64 v[172:173], v[172:173], v[178:179]
	s_waitcnt vmcnt(25) lgkmcnt(10)
	v_mul_f64 v[212:213], v[196:197], v[166:167]
	v_fmac_f64_e32 v[182:183], v[186:187], v[160:161]
	v_add_f64 v[172:173], v[172:173], v[180:181]
	s_waitcnt vmcnt(24) lgkmcnt(9)
	v_mul_f64 v[214:215], v[64:65], v[6:7]
	v_fmac_f64_e32 v[212:213], v[198:199], v[164:165]
	v_add_f64 v[172:173], v[172:173], v[182:183]
	s_waitcnt vmcnt(23) lgkmcnt(8)
	v_mul_f64 v[216:217], v[60:61], v[10:11]
	v_fmac_f64_e32 v[214:215], v[66:67], v[4:5]
	v_add_f64 v[172:173], v[172:173], v[212:213]
	s_waitcnt vmcnt(22) lgkmcnt(7)
	v_mul_f64 v[218:219], v[52:53], v[14:15]
	v_fmac_f64_e32 v[216:217], v[62:63], v[8:9]
	v_add_f64 v[172:173], v[172:173], v[214:215]
	s_waitcnt vmcnt(21) lgkmcnt(6)
	v_mul_f64 v[220:221], v[72:73], v[18:19]
	v_fmac_f64_e32 v[218:219], v[54:55], v[12:13]
	v_add_f64 v[172:173], v[172:173], v[216:217]
	s_waitcnt vmcnt(20) lgkmcnt(5)
	v_mul_f64 v[222:223], v[68:69], v[22:23]
	v_fmac_f64_e32 v[220:221], v[74:75], v[16:17]
	v_add_f64 v[172:173], v[172:173], v[218:219]
	s_waitcnt vmcnt(19) lgkmcnt(4)
	v_mul_f64 v[224:225], v[92:93], v[26:27]
	v_fmac_f64_e32 v[222:223], v[70:71], v[20:21]
	v_add_f64 v[172:173], v[172:173], v[220:221]
	ds_read_b128 v[212:215], v2 offset:1744
	s_waitcnt vmcnt(18) lgkmcnt(4)
	v_mul_f64 v[226:227], v[88:89], v[30:31]
	v_fmac_f64_e32 v[224:225], v[94:95], v[24:25]
	v_add_f64 v[172:173], v[172:173], v[222:223]
	ds_read_b128 v[216:219], v2 offset:1760
	ds_read_b128 v[220:223], v2 offset:1776
	s_waitcnt vmcnt(17) lgkmcnt(5)
	v_mul_f64 v[228:229], v[84:85], v[34:35]
	v_fmac_f64_e32 v[226:227], v[90:91], v[28:29]
	v_add_f64 v[172:173], v[172:173], v[224:225]
	s_waitcnt vmcnt(16) lgkmcnt(4)
	v_mul_f64 v[230:231], v[80:81], v[38:39]
	v_fmac_f64_e32 v[228:229], v[86:87], v[32:33]
	v_add_f64 v[172:173], v[172:173], v[226:227]
	v_add_f64 v[176:177], v[172:173], v[228:229]
	v_fmac_f64_e32 v[230:231], v[82:83], v[36:37]
	s_waitcnt vmcnt(15) lgkmcnt(3)
	v_mul_f64 v[178:179], v[168:169], v[42:43]
	v_add_f64 v[176:177], v[176:177], v[230:231]
	v_fmac_f64_e32 v[178:179], v[170:171], v[40:41]
	s_waitcnt vmcnt(14) lgkmcnt(2)
	v_mul_f64 v[182:183], v[212:213], v[46:47]
	;; [unrolled: 4-line block ×3, first 2 shown]
	v_add_f64 v[224:225], v[180:181], v[182:183]
	v_fmac_f64_e32 v[226:227], v[218:219], v[48:49]
	v_add_f64 v[228:229], v[224:225], v[226:227]
	ds_read_b128 v[224:227], v2 offset:1792
	s_waitcnt vmcnt(12) lgkmcnt(1)
	v_mul_f64 v[230:231], v[220:221], v[58:59]
	v_fmac_f64_e32 v[230:231], v[222:223], v[56:57]
	v_add_f64 v[232:233], v[228:229], v[230:231]
	ds_read_b128 v[228:231], v2 offset:1808
	s_waitcnt vmcnt(11) lgkmcnt(1)
	v_mul_f64 v[234:235], v[224:225], v[78:79]
	;; [unrolled: 5-line block ×4, first 2 shown]
	v_fmac_f64_e32 v[242:243], v[234:235], v[100:101]
	v_mul_f64 v[142:143], v[210:211], v[142:143]
	v_add_f64 v[240:241], v[240:241], v[242:243]
	v_fma_f64 v[242:243], v[208:209], v[140:141], -v[142:143]
	ds_read_b128 v[140:143], v2 offset:1856
	s_waitcnt vmcnt(8) lgkmcnt(1)
	v_mul_f64 v[208:209], v[236:237], v[106:107]
	v_fmac_f64_e32 v[208:209], v[238:239], v[104:105]
	v_mul_f64 v[146:147], v[202:203], v[146:147]
	v_add_f64 v[208:209], v[240:241], v[208:209]
	v_fma_f64 v[240:241], v[200:201], v[144:145], -v[146:147]
	ds_read_b128 v[144:147], v2 offset:1872
	s_waitcnt vmcnt(7) lgkmcnt(1)
	v_mul_f64 v[200:201], v[140:141], v[110:111]
	scratch_load_dwordx4 v[172:175], off, off offset:976
	v_fmac_f64_e32 v[200:201], v[142:143], v[108:109]
	v_add_f64 v[208:209], v[208:209], v[200:201]
	ds_read_b128 v[200:203], v2 offset:1888
	v_mul_f64 v[150:151], v[190:191], v[150:151]
	scratch_load_dwordx4 v[176:179], off, off offset:992
	scratch_load_dwordx4 v[180:183], off, off offset:1008
	v_fma_f64 v[244:245], v[188:189], v[148:149], -v[150:151]
	ds_read_b128 v[148:151], v2 offset:1904
	s_waitcnt vmcnt(9) lgkmcnt(2)
	v_mul_f64 v[210:211], v[144:145], v[114:115]
	v_fmac_f64_e32 v[210:211], v[146:147], v[112:113]
	s_waitcnt vmcnt(8) lgkmcnt(1)
	v_mul_f64 v[188:189], v[200:201], v[118:119]
	v_add_f64 v[208:209], v[208:209], v[210:211]
	v_fmac_f64_e32 v[188:189], v[202:203], v[116:117]
	v_mul_f64 v[154:155], v[206:207], v[154:155]
	s_waitcnt vmcnt(7) lgkmcnt(0)
	v_mul_f64 v[190:191], v[148:149], v[122:123]
	v_add_f64 v[188:189], v[208:209], v[188:189]
	v_fma_f64 v[246:247], v[204:205], v[152:153], -v[154:155]
	ds_read_b128 v[152:155], v2 offset:1920
	v_fmac_f64_e32 v[190:191], v[150:151], v[120:121]
	v_add_f64 v[204:205], v[188:189], v[190:191]
	ds_read_b128 v[188:191], v2 offset:1936
	v_mul_f64 v[158:159], v[194:195], v[158:159]
	s_waitcnt vmcnt(6) lgkmcnt(1)
	v_mul_f64 v[206:207], v[152:153], v[126:127]
	v_fmac_f64_e32 v[206:207], v[154:155], v[124:125]
	v_fma_f64 v[248:249], v[192:193], v[156:157], -v[158:159]
	s_waitcnt vmcnt(5) lgkmcnt(0)
	v_mul_f64 v[192:193], v[188:189], v[130:131]
	v_add_f64 v[204:205], v[204:205], v[206:207]
	v_fmac_f64_e32 v[192:193], v[190:191], v[128:129]
	v_mul_f64 v[162:163], v[186:187], v[162:163]
	v_fma_f64 v[208:209], v[184:185], v[160:161], -v[162:163]
	v_add_f64 v[184:185], v[204:205], v[192:193]
	scratch_load_dwordx4 v[204:207], off, off offset:1024
	v_add_f64 v[242:243], v[242:243], 0
	v_add_f64 v[240:241], v[242:243], v[240:241]
	;; [unrolled: 1-line block ×3, first 2 shown]
	scratch_load_dwordx4 v[242:245], off, off offset:448
	v_add_f64 v[240:241], v[240:241], v[246:247]
	v_mul_f64 v[166:167], v[198:199], v[166:167]
	v_add_f64 v[248:249], v[240:241], v[248:249]
	v_fma_f64 v[210:211], v[196:197], v[164:165], -v[166:167]
	v_add_f64 v[208:209], v[248:249], v[208:209]
	v_mul_f64 v[6:7], v[66:67], v[6:7]
	v_add_f64 v[208:209], v[208:209], v[210:211]
	v_fma_f64 v[4:5], v[64:65], v[4:5], -v[6:7]
	v_mul_f64 v[6:7], v[62:63], v[10:11]
	v_add_f64 v[4:5], v[208:209], v[4:5]
	v_fma_f64 v[6:7], v[60:61], v[8:9], -v[6:7]
	v_add_f64 v[4:5], v[4:5], v[6:7]
	v_mul_f64 v[6:7], v[54:55], v[14:15]
	v_fma_f64 v[6:7], v[52:53], v[12:13], -v[6:7]
	v_add_f64 v[4:5], v[4:5], v[6:7]
	v_mul_f64 v[6:7], v[74:75], v[18:19]
	;; [unrolled: 3-line block ×12, first 2 shown]
	v_fma_f64 v[6:7], v[224:225], v[76:77], -v[6:7]
	ds_read_b128 v[156:159], v2 offset:1952
	ds_read_b128 v[160:163], v2 offset:1968
	v_add_f64 v[4:5], v[4:5], v[6:7]
	v_mul_f64 v[6:7], v[230:231], v[98:99]
	v_fma_f64 v[6:7], v[228:229], v[96:97], -v[6:7]
	v_add_f64 v[4:5], v[4:5], v[6:7]
	v_mul_f64 v[6:7], v[234:235], v[102:103]
	v_fma_f64 v[6:7], v[232:233], v[100:101], -v[6:7]
	v_add_f64 v[4:5], v[4:5], v[6:7]
	v_mul_f64 v[6:7], v[238:239], v[106:107]
	s_waitcnt vmcnt(6) lgkmcnt(1)
	v_mul_f64 v[186:187], v[156:157], v[138:139]
	v_fma_f64 v[6:7], v[236:237], v[104:105], -v[6:7]
	v_fmac_f64_e32 v[186:187], v[158:159], v[136:137]
	v_add_f64 v[4:5], v[4:5], v[6:7]
	v_mul_f64 v[6:7], v[142:143], v[110:111]
	v_add_f64 v[192:193], v[184:185], v[186:187]
	ds_read_b128 v[184:187], v2 offset:1984
	ds_read_b128 v[164:167], v2 offset:2000
	v_fma_f64 v[6:7], v[140:141], v[108:109], -v[6:7]
	v_add_f64 v[4:5], v[4:5], v[6:7]
	v_mul_f64 v[6:7], v[146:147], v[114:115]
	v_fma_f64 v[6:7], v[144:145], v[112:113], -v[6:7]
	s_waitcnt vmcnt(5) lgkmcnt(2)
	v_mul_f64 v[194:195], v[160:161], v[134:135]
	v_add_f64 v[4:5], v[4:5], v[6:7]
	v_mul_f64 v[6:7], v[202:203], v[118:119]
	v_fmac_f64_e32 v[194:195], v[162:163], v[132:133]
	v_fma_f64 v[6:7], v[200:201], v[116:117], -v[6:7]
	v_add_f64 v[192:193], v[192:193], v[194:195]
	s_waitcnt vmcnt(4) lgkmcnt(1)
	v_mul_f64 v[194:195], v[184:185], v[174:175]
	v_add_f64 v[4:5], v[4:5], v[6:7]
	v_mul_f64 v[6:7], v[150:151], v[122:123]
	v_fmac_f64_e32 v[194:195], v[186:187], v[172:173]
	v_fma_f64 v[6:7], v[148:149], v[120:121], -v[6:7]
	v_add_f64 v[192:193], v[192:193], v[194:195]
	;; [unrolled: 7-line block ×3, first 2 shown]
	ds_read_b128 v[192:195], v2 offset:2016
	v_add_f64 v[4:5], v[4:5], v[6:7]
	v_mul_f64 v[6:7], v[190:191], v[130:131]
	v_fma_f64 v[6:7], v[188:189], v[128:129], -v[6:7]
	v_add_f64 v[4:5], v[4:5], v[6:7]
	v_mul_f64 v[6:7], v[158:159], v[138:139]
	v_fma_f64 v[6:7], v[156:157], v[136:137], -v[6:7]
	v_add_f64 v[4:5], v[4:5], v[6:7]
	v_mul_f64 v[6:7], v[162:163], v[134:135]
	s_waitcnt vmcnt(2) lgkmcnt(0)
	v_mul_f64 v[198:199], v[192:193], v[182:183]
	v_fma_f64 v[6:7], v[160:161], v[132:133], -v[6:7]
	v_fmac_f64_e32 v[198:199], v[194:195], v[180:181]
	v_add_f64 v[4:5], v[4:5], v[6:7]
	v_mul_f64 v[6:7], v[186:187], v[174:175]
	v_add_f64 v[250:251], v[196:197], v[198:199]
	ds_read_b128 v[196:199], v2 offset:2032
	v_fma_f64 v[6:7], v[184:185], v[172:173], -v[6:7]
	v_add_f64 v[4:5], v[4:5], v[6:7]
	v_mul_f64 v[6:7], v[166:167], v[178:179]
	v_fma_f64 v[6:7], v[164:165], v[176:177], -v[6:7]
	v_add_f64 v[4:5], v[4:5], v[6:7]
	v_mul_f64 v[6:7], v[194:195], v[182:183]
	v_fma_f64 v[6:7], v[192:193], v[180:181], -v[6:7]
	s_waitcnt vmcnt(1) lgkmcnt(0)
	v_mul_f64 v[2:3], v[196:197], v[206:207]
	v_add_f64 v[4:5], v[4:5], v[6:7]
	v_mul_f64 v[6:7], v[198:199], v[206:207]
	v_fmac_f64_e32 v[2:3], v[198:199], v[204:205]
	v_fma_f64 v[6:7], v[196:197], v[204:205], -v[6:7]
	v_add_f64 v[2:3], v[250:251], v[2:3]
	v_add_f64 v[4:5], v[4:5], v[6:7]
	s_waitcnt vmcnt(0)
	v_add_f64 v[4:5], v[242:243], -v[4:5]
	v_add_f64 v[6:7], v[244:245], -v[2:3]
	scratch_store_dwordx4 off, v[4:7], off offset:448
	s_and_saveexec_b64 s[0:1], vcc
	s_cbranch_execz .LBB127_357
; %bb.356:
	scratch_load_dwordx4 v[2:5], off, s64
	v_mov_b32_e32 v6, 0
	v_mov_b32_e32 v7, v6
	;; [unrolled: 1-line block ×4, first 2 shown]
	v_accvgpr_read_b32 v0, a128
	scratch_store_dwordx4 off, v[6:9], off offset:432
	s_waitcnt vmcnt(1)
	ds_write_b128 v0, v[2:5]
.LBB127_357:
	s_or_b64 exec, exec, s[0:1]
	s_waitcnt lgkmcnt(0)
	; wave barrier
	scratch_load_dwordx4 v[168:171], off, off offset:448
	scratch_load_dwordx4 v[172:175], off, off offset:464
	;; [unrolled: 1-line block ×32, first 2 shown]
	v_mov_b32_e32 v10, 0
	ds_read_b128 v[176:179], v10 offset:1456
	ds_read_b128 v[188:191], v10 offset:1472
	;; [unrolled: 1-line block ×17, first 2 shown]
	v_cmp_lt_u32_e32 vcc, 25, v254
	s_waitcnt vmcnt(31) lgkmcnt(14)
	v_mul_f64 v[104:105], v[176:177], v[170:171]
	s_waitcnt vmcnt(30)
	v_mul_f64 v[106:107], v[188:189], v[174:175]
	v_fmac_f64_e32 v[104:105], v[178:179], v[168:169]
	s_waitcnt vmcnt(29)
	v_mul_f64 v[108:109], v[200:201], v[182:183]
	v_fmac_f64_e32 v[106:107], v[190:191], v[172:173]
	v_add_f64 v[104:105], v[104:105], 0
	s_waitcnt vmcnt(28) lgkmcnt(13)
	v_mul_f64 v[110:111], v[212:213], v[186:187]
	v_fmac_f64_e32 v[108:109], v[202:203], v[180:181]
	v_add_f64 v[104:105], v[104:105], v[106:107]
	s_waitcnt vmcnt(27) lgkmcnt(12)
	v_mul_f64 v[120:121], v[220:221], v[194:195]
	v_fmac_f64_e32 v[110:111], v[214:215], v[184:185]
	v_add_f64 v[104:105], v[104:105], v[108:109]
	s_waitcnt vmcnt(26) lgkmcnt(11)
	v_mul_f64 v[122:123], v[224:225], v[198:199]
	v_fmac_f64_e32 v[120:121], v[222:223], v[192:193]
	v_add_f64 v[104:105], v[104:105], v[110:111]
	s_waitcnt vmcnt(25) lgkmcnt(10)
	v_mul_f64 v[132:133], v[228:229], v[206:207]
	v_fmac_f64_e32 v[122:123], v[226:227], v[196:197]
	v_add_f64 v[104:105], v[104:105], v[120:121]
	s_waitcnt vmcnt(24) lgkmcnt(9)
	v_mul_f64 v[134:135], v[242:243], v[210:211]
	v_fmac_f64_e32 v[132:133], v[230:231], v[204:205]
	v_add_f64 v[104:105], v[104:105], v[122:123]
	s_waitcnt vmcnt(23) lgkmcnt(8)
	v_mul_f64 v[144:145], v[248:249], v[218:219]
	v_fmac_f64_e32 v[134:135], v[244:245], v[208:209]
	v_add_f64 v[104:105], v[104:105], v[132:133]
	s_waitcnt vmcnt(22) lgkmcnt(7)
	v_mul_f64 v[146:147], v[140:141], v[6:7]
	v_fmac_f64_e32 v[144:145], v[250:251], v[216:217]
	v_add_f64 v[104:105], v[104:105], v[134:135]
	s_waitcnt vmcnt(21) lgkmcnt(6)
	v_mul_f64 v[148:149], v[136:137], v[14:15]
	v_fmac_f64_e32 v[146:147], v[142:143], v[4:5]
	v_add_f64 v[104:105], v[104:105], v[144:145]
	s_waitcnt vmcnt(20) lgkmcnt(5)
	v_mul_f64 v[150:151], v[128:129], v[2:3]
	v_fmac_f64_e32 v[148:149], v[138:139], v[12:13]
	v_add_f64 v[104:105], v[104:105], v[146:147]
	s_waitcnt vmcnt(19) lgkmcnt(4)
	v_mul_f64 v[152:153], v[124:125], v[18:19]
	v_fmac_f64_e32 v[150:151], v[130:131], v[0:1]
	v_add_f64 v[104:105], v[104:105], v[148:149]
	s_waitcnt vmcnt(18) lgkmcnt(3)
	v_mul_f64 v[154:155], v[116:117], v[22:23]
	v_fmac_f64_e32 v[152:153], v[126:127], v[16:17]
	v_add_f64 v[104:105], v[104:105], v[150:151]
	s_waitcnt vmcnt(17) lgkmcnt(2)
	v_mul_f64 v[156:157], v[112:113], v[26:27]
	v_fmac_f64_e32 v[154:155], v[118:119], v[20:21]
	v_add_f64 v[104:105], v[104:105], v[152:153]
	v_fmac_f64_e32 v[156:157], v[114:115], v[24:25]
	v_add_f64 v[104:105], v[104:105], v[154:155]
	s_waitcnt vmcnt(16) lgkmcnt(1)
	v_mul_f64 v[106:107], v[100:101], v[30:31]
	v_add_f64 v[104:105], v[104:105], v[156:157]
	v_fmac_f64_e32 v[106:107], v[102:103], v[28:29]
	v_add_f64 v[108:109], v[104:105], v[106:107]
	ds_read_b128 v[144:147], v10 offset:1728
	ds_read_b128 v[148:151], v10 offset:1744
	scratch_load_dwordx4 v[104:107], off, off offset:960
	s_waitcnt vmcnt(16) lgkmcnt(2)
	v_mul_f64 v[110:111], v[96:97], v[34:35]
	v_fmac_f64_e32 v[110:111], v[98:99], v[32:33]
	v_add_f64 v[120:121], v[108:109], v[110:111]
	scratch_load_dwordx4 v[108:111], off, off offset:976
	s_waitcnt vmcnt(16) lgkmcnt(1)
	v_mul_f64 v[122:123], v[144:145], v[38:39]
	v_fmac_f64_e32 v[122:123], v[146:147], v[36:37]
	v_add_f64 v[132:133], v[120:121], v[122:123]
	s_waitcnt vmcnt(15) lgkmcnt(0)
	v_mul_f64 v[134:135], v[148:149], v[42:43]
	scratch_load_dwordx4 v[120:123], off, off offset:992
	v_fmac_f64_e32 v[134:135], v[150:151], v[40:41]
	v_add_f64 v[160:161], v[132:133], v[134:135]
	scratch_load_dwordx4 v[132:135], off, off offset:1008
	ds_read_b128 v[152:155], v10 offset:1760
	ds_read_b128 v[156:159], v10 offset:1776
	v_mul_f64 v[170:171], v[178:179], v[170:171]
	v_fma_f64 v[240:241], v[176:177], v[168:169], -v[170:171]
	ds_read_b128 v[168:171], v10 offset:1824
	s_waitcnt vmcnt(16) lgkmcnt(2)
	v_mul_f64 v[162:163], v[152:153], v[46:47]
	v_fmac_f64_e32 v[162:163], v[154:155], v[44:45]
	s_waitcnt vmcnt(15) lgkmcnt(1)
	v_mul_f64 v[166:167], v[156:157], v[50:51]
	v_add_f64 v[164:165], v[160:161], v[162:163]
	ds_read_b128 v[160:163], v10 offset:1792
	v_fmac_f64_e32 v[166:167], v[158:159], v[48:49]
	v_add_f64 v[232:233], v[164:165], v[166:167]
	ds_read_b128 v[164:167], v10 offset:1808
	v_mul_f64 v[174:175], v[190:191], v[174:175]
	s_waitcnt vmcnt(14) lgkmcnt(1)
	v_mul_f64 v[234:235], v[160:161], v[54:55]
	v_fmac_f64_e32 v[234:235], v[162:163], v[52:53]
	v_add_f64 v[232:233], v[232:233], v[234:235]
	s_waitcnt vmcnt(13) lgkmcnt(0)
	v_mul_f64 v[176:177], v[164:165], v[58:59]
	v_fmac_f64_e32 v[176:177], v[166:167], v[56:57]
	v_fma_f64 v[246:247], v[188:189], v[172:173], -v[174:175]
	ds_read_b128 v[172:175], v10 offset:1840
	s_waitcnt vmcnt(12)
	v_mul_f64 v[178:179], v[168:169], v[62:63]
	v_add_f64 v[176:177], v[232:233], v[176:177]
	v_fmac_f64_e32 v[178:179], v[170:171], v[60:61]
	v_add_f64 v[188:189], v[176:177], v[178:179]
	ds_read_b128 v[176:179], v10 offset:1856
	v_mul_f64 v[182:183], v[202:203], v[182:183]
	v_fma_f64 v[252:253], v[200:201], v[180:181], -v[182:183]
	ds_read_b128 v[180:183], v10 offset:1872
	s_waitcnt vmcnt(11) lgkmcnt(2)
	v_mul_f64 v[190:191], v[172:173], v[66:67]
	v_fmac_f64_e32 v[190:191], v[174:175], v[64:65]
	v_add_f64 v[188:189], v[188:189], v[190:191]
	s_waitcnt vmcnt(10) lgkmcnt(1)
	v_mul_f64 v[190:191], v[176:177], v[70:71]
	v_fmac_f64_e32 v[190:191], v[178:179], v[68:69]
	v_mul_f64 v[186:187], v[214:215], v[186:187]
	v_fma_f64 v[232:233], v[212:213], v[184:185], -v[186:187]
	ds_read_b128 v[184:187], v10 offset:1888
	v_add_f64 v[188:189], v[188:189], v[190:191]
	s_waitcnt vmcnt(9) lgkmcnt(1)
	v_mul_f64 v[190:191], v[180:181], v[74:75]
	v_fmac_f64_e32 v[190:191], v[182:183], v[72:73]
	v_add_f64 v[200:201], v[188:189], v[190:191]
	ds_read_b128 v[188:191], v10 offset:1904
	v_mul_f64 v[194:195], v[222:223], v[194:195]
	v_fma_f64 v[238:239], v[220:221], v[192:193], -v[194:195]
	ds_read_b128 v[192:195], v10 offset:1920
	s_waitcnt vmcnt(8) lgkmcnt(2)
	v_mul_f64 v[202:203], v[184:185], v[78:79]
	v_fmac_f64_e32 v[202:203], v[186:187], v[76:77]
	v_add_f64 v[200:201], v[200:201], v[202:203]
	s_waitcnt vmcnt(7) lgkmcnt(1)
	v_mul_f64 v[202:203], v[188:189], v[82:83]
	v_fmac_f64_e32 v[202:203], v[190:191], v[80:81]
	v_mul_f64 v[198:199], v[226:227], v[198:199]
	v_add_f64 v[200:201], v[200:201], v[202:203]
	v_fma_f64 v[234:235], v[224:225], v[196:197], -v[198:199]
	ds_read_b128 v[196:199], v10 offset:1936
	s_waitcnt vmcnt(6) lgkmcnt(1)
	v_mul_f64 v[202:203], v[192:193], v[86:87]
	v_fmac_f64_e32 v[202:203], v[194:195], v[84:85]
	v_add_f64 v[212:213], v[200:201], v[202:203]
	ds_read_b128 v[200:203], v10 offset:1952
	v_mul_f64 v[206:207], v[230:231], v[206:207]
	v_fma_f64 v[236:237], v[228:229], v[204:205], -v[206:207]
	ds_read_b128 v[204:207], v10 offset:1968
	s_waitcnt vmcnt(5) lgkmcnt(2)
	v_mul_f64 v[214:215], v[196:197], v[94:95]
	v_fmac_f64_e32 v[214:215], v[198:199], v[92:93]
	v_add_f64 v[212:213], v[212:213], v[214:215]
	s_waitcnt vmcnt(4) lgkmcnt(1)
	v_mul_f64 v[214:215], v[200:201], v[90:91]
	v_fmac_f64_e32 v[214:215], v[202:203], v[88:89]
	v_mul_f64 v[210:211], v[244:245], v[210:211]
	v_fma_f64 v[244:245], v[242:243], v[208:209], -v[210:211]
	ds_read_b128 v[208:211], v10 offset:1984
	v_add_f64 v[212:213], v[212:213], v[214:215]
	s_waitcnt vmcnt(3) lgkmcnt(1)
	v_mul_f64 v[214:215], v[204:205], v[106:107]
	v_fmac_f64_e32 v[214:215], v[206:207], v[104:105]
	v_add_f64 v[220:221], v[212:213], v[214:215]
	ds_read_b128 v[212:215], v10 offset:2000
	v_mul_f64 v[218:219], v[250:251], v[218:219]
	v_fma_f64 v[248:249], v[248:249], v[216:217], -v[218:219]
	ds_read_b128 v[216:219], v10 offset:2016
	ds_read_b128 v[224:227], v10 offset:2032
	s_waitcnt vmcnt(2) lgkmcnt(3)
	v_mul_f64 v[222:223], v[208:209], v[110:111]
	v_fmac_f64_e32 v[222:223], v[210:211], v[108:109]
	v_add_f64 v[220:221], v[220:221], v[222:223]
	s_waitcnt vmcnt(1) lgkmcnt(2)
	v_mul_f64 v[222:223], v[212:213], v[122:123]
	v_fmac_f64_e32 v[222:223], v[214:215], v[120:121]
	v_add_f64 v[220:221], v[220:221], v[222:223]
	;; [unrolled: 4-line block ×3, first 2 shown]
	scratch_load_dwordx4 v[220:223], off, off offset:1024
	v_mul_f64 v[6:7], v[142:143], v[6:7]
	v_fma_f64 v[4:5], v[140:141], v[4:5], -v[6:7]
	v_mul_f64 v[6:7], v[138:139], v[14:15]
	v_fma_f64 v[6:7], v[136:137], v[12:13], -v[6:7]
	s_waitcnt vmcnt(0) lgkmcnt(0)
	v_mul_f64 v[230:231], v[224:225], v[222:223]
	v_fmac_f64_e32 v[230:231], v[226:227], v[220:221]
	v_add_f64 v[242:243], v[228:229], v[230:231]
	v_add_f64 v[228:229], v[240:241], 0
	;; [unrolled: 1-line block ×6, first 2 shown]
	scratch_load_dwordx4 v[228:231], off, off offset:432
	v_add_f64 v[232:233], v[250:251], v[234:235]
	v_add_f64 v[232:233], v[232:233], v[236:237]
	v_add_f64 v[232:233], v[232:233], v[244:245]
	v_add_f64 v[232:233], v[232:233], v[248:249]
	v_add_f64 v[4:5], v[232:233], v[4:5]
	v_add_f64 v[4:5], v[4:5], v[6:7]
	v_mul_f64 v[6:7], v[130:131], v[2:3]
	v_fma_f64 v[6:7], v[128:129], v[0:1], -v[6:7]
	v_add_f64 v[4:5], v[4:5], v[6:7]
	v_mul_f64 v[6:7], v[126:127], v[18:19]
	v_fma_f64 v[6:7], v[124:125], v[16:17], -v[6:7]
	v_add_f64 v[4:5], v[4:5], v[6:7]
	v_mul_f64 v[6:7], v[118:119], v[22:23]
	v_fma_f64 v[6:7], v[116:117], v[20:21], -v[6:7]
	v_add_f64 v[4:5], v[4:5], v[6:7]
	v_mul_f64 v[6:7], v[114:115], v[26:27]
	v_fma_f64 v[6:7], v[112:113], v[24:25], -v[6:7]
	v_add_f64 v[4:5], v[4:5], v[6:7]
	v_mul_f64 v[6:7], v[102:103], v[30:31]
	v_fma_f64 v[6:7], v[100:101], v[28:29], -v[6:7]
	v_add_f64 v[4:5], v[4:5], v[6:7]
	v_mul_f64 v[6:7], v[98:99], v[34:35]
	v_fma_f64 v[6:7], v[96:97], v[32:33], -v[6:7]
	v_add_f64 v[4:5], v[4:5], v[6:7]
	v_mul_f64 v[6:7], v[146:147], v[38:39]
	v_fma_f64 v[6:7], v[144:145], v[36:37], -v[6:7]
	v_add_f64 v[4:5], v[4:5], v[6:7]
	v_mul_f64 v[6:7], v[150:151], v[42:43]
	v_fma_f64 v[6:7], v[148:149], v[40:41], -v[6:7]
	v_add_f64 v[4:5], v[4:5], v[6:7]
	v_mul_f64 v[6:7], v[154:155], v[46:47]
	v_fma_f64 v[6:7], v[152:153], v[44:45], -v[6:7]
	v_add_f64 v[4:5], v[4:5], v[6:7]
	v_mul_f64 v[6:7], v[158:159], v[50:51]
	v_fma_f64 v[6:7], v[156:157], v[48:49], -v[6:7]
	v_add_f64 v[4:5], v[4:5], v[6:7]
	v_mul_f64 v[6:7], v[162:163], v[54:55]
	v_fma_f64 v[6:7], v[160:161], v[52:53], -v[6:7]
	v_add_f64 v[4:5], v[4:5], v[6:7]
	v_mul_f64 v[6:7], v[166:167], v[58:59]
	v_fma_f64 v[6:7], v[164:165], v[56:57], -v[6:7]
	v_add_f64 v[4:5], v[4:5], v[6:7]
	v_mul_f64 v[6:7], v[170:171], v[62:63]
	v_fma_f64 v[6:7], v[168:169], v[60:61], -v[6:7]
	v_add_f64 v[4:5], v[4:5], v[6:7]
	v_mul_f64 v[6:7], v[174:175], v[66:67]
	v_fma_f64 v[6:7], v[172:173], v[64:65], -v[6:7]
	v_add_f64 v[4:5], v[4:5], v[6:7]
	v_mul_f64 v[6:7], v[178:179], v[70:71]
	v_fma_f64 v[6:7], v[176:177], v[68:69], -v[6:7]
	v_add_f64 v[4:5], v[4:5], v[6:7]
	v_mul_f64 v[6:7], v[182:183], v[74:75]
	v_fma_f64 v[6:7], v[180:181], v[72:73], -v[6:7]
	v_add_f64 v[4:5], v[4:5], v[6:7]
	v_mul_f64 v[6:7], v[186:187], v[78:79]
	v_fma_f64 v[6:7], v[184:185], v[76:77], -v[6:7]
	v_add_f64 v[4:5], v[4:5], v[6:7]
	v_mul_f64 v[6:7], v[190:191], v[82:83]
	v_fma_f64 v[6:7], v[188:189], v[80:81], -v[6:7]
	v_add_f64 v[4:5], v[4:5], v[6:7]
	v_mul_f64 v[6:7], v[194:195], v[86:87]
	v_fma_f64 v[6:7], v[192:193], v[84:85], -v[6:7]
	v_add_f64 v[4:5], v[4:5], v[6:7]
	v_mul_f64 v[6:7], v[198:199], v[94:95]
	v_fma_f64 v[6:7], v[196:197], v[92:93], -v[6:7]
	v_add_f64 v[4:5], v[4:5], v[6:7]
	v_mul_f64 v[6:7], v[202:203], v[90:91]
	v_fma_f64 v[6:7], v[200:201], v[88:89], -v[6:7]
	v_add_f64 v[4:5], v[4:5], v[6:7]
	v_mul_f64 v[6:7], v[206:207], v[106:107]
	v_fma_f64 v[6:7], v[204:205], v[104:105], -v[6:7]
	v_add_f64 v[4:5], v[4:5], v[6:7]
	v_mul_f64 v[6:7], v[210:211], v[110:111]
	v_fma_f64 v[6:7], v[208:209], v[108:109], -v[6:7]
	v_add_f64 v[4:5], v[4:5], v[6:7]
	v_mul_f64 v[6:7], v[214:215], v[122:123]
	v_fma_f64 v[6:7], v[212:213], v[120:121], -v[6:7]
	v_add_f64 v[4:5], v[4:5], v[6:7]
	v_mul_f64 v[6:7], v[218:219], v[134:135]
	v_fma_f64 v[6:7], v[216:217], v[132:133], -v[6:7]
	v_add_f64 v[4:5], v[4:5], v[6:7]
	v_mul_f64 v[6:7], v[226:227], v[222:223]
	v_fma_f64 v[6:7], v[224:225], v[220:221], -v[6:7]
	v_add_f64 v[4:5], v[4:5], v[6:7]
	s_waitcnt vmcnt(0)
	v_add_f64 v[4:5], v[228:229], -v[4:5]
	v_add_f64 v[6:7], v[230:231], -v[242:243]
	scratch_store_dwordx4 off, v[4:7], off offset:432
	s_and_saveexec_b64 s[0:1], vcc
	s_cbranch_execz .LBB127_359
; %bb.358:
	scratch_load_dwordx4 v[6:9], off, s65
	v_mov_b32_e32 v11, v10
	v_mov_b32_e32 v12, v10
	;; [unrolled: 1-line block ×3, first 2 shown]
	v_accvgpr_read_b32 v0, a128
	scratch_store_dwordx4 off, v[10:13], off offset:416
	s_waitcnt vmcnt(1)
	ds_write_b128 v0, v[6:9]
.LBB127_359:
	s_or_b64 exec, exec, s[0:1]
	s_waitcnt lgkmcnt(0)
	; wave barrier
	scratch_load_dwordx4 v[168:171], off, off offset:432
	scratch_load_dwordx4 v[172:175], off, off offset:448
	;; [unrolled: 1-line block ×16, first 2 shown]
	ds_read_b128 v[232:235], v10 offset:1440
	ds_read_b128 v[176:179], v10 offset:1456
	scratch_load_dwordx4 v[32:35], off, off offset:688
	ds_read_b128 v[236:239], v10 offset:1472
	ds_read_b128 v[188:191], v10 offset:1488
	;; [unrolled: 1-line block ×5, first 2 shown]
	scratch_load_dwordx4 v[36:39], off, off offset:704
	ds_read_b128 v[224:227], v10 offset:1552
	ds_read_b128 v[220:223], v10 offset:1568
	;; [unrolled: 1-line block ×3, first 2 shown]
	scratch_load_dwordx4 v[40:43], off, off offset:720
	ds_read_b128 v[64:67], v10 offset:1600
	ds_read_b128 v[60:63], v10 offset:1616
	;; [unrolled: 1-line block ×4, first 2 shown]
	scratch_load_dwordx4 v[48:51], off, off offset:736
	ds_read_b128 v[80:83], v10 offset:1664
	ds_read_b128 v[72:75], v10 offset:1680
	;; [unrolled: 1-line block ×3, first 2 shown]
	scratch_load_dwordx4 v[76:79], off, off offset:752
	scratch_load_dwordx4 v[84:87], off, off offset:768
	;; [unrolled: 1-line block ×12, first 2 shown]
	v_cmp_lt_u32_e32 vcc, 24, v254
	s_waitcnt vmcnt(31) lgkmcnt(14)
	v_mul_f64 v[128:129], v[232:233], v[170:171]
	s_waitcnt vmcnt(30)
	v_mul_f64 v[130:131], v[176:177], v[174:175]
	v_fmac_f64_e32 v[128:129], v[234:235], v[168:169]
	s_waitcnt vmcnt(29)
	v_mul_f64 v[132:133], v[236:237], v[182:183]
	v_fmac_f64_e32 v[130:131], v[178:179], v[172:173]
	v_add_f64 v[128:129], v[128:129], 0
	s_waitcnt vmcnt(28) lgkmcnt(13)
	v_mul_f64 v[134:135], v[188:189], v[186:187]
	v_fmac_f64_e32 v[132:133], v[238:239], v[180:181]
	v_add_f64 v[128:129], v[128:129], v[130:131]
	s_waitcnt vmcnt(27) lgkmcnt(12)
	;; [unrolled: 4-line block ×13, first 2 shown]
	v_mul_f64 v[158:159], v[72:73], v[30:31]
	v_fmac_f64_e32 v[156:157], v[82:83], v[24:25]
	v_add_f64 v[128:129], v[128:129], v[154:155]
	v_add_f64 v[128:129], v[128:129], v[156:157]
	v_fmac_f64_e32 v[158:159], v[74:75], v[28:29]
	v_add_f64 v[132:133], v[128:129], v[158:159]
	ds_read_b128 v[144:147], v10 offset:1712
	ds_read_b128 v[148:151], v10 offset:1728
	scratch_load_dwordx4 v[128:131], off, off offset:944
	s_waitcnt vmcnt(16) lgkmcnt(2)
	v_mul_f64 v[134:135], v[68:69], v[34:35]
	v_fmac_f64_e32 v[134:135], v[70:71], v[32:33]
	s_waitcnt vmcnt(15) lgkmcnt(1)
	v_mul_f64 v[138:139], v[144:145], v[38:39]
	v_add_f64 v[136:137], v[132:133], v[134:135]
	scratch_load_dwordx4 v[132:135], off, off offset:960
	v_fmac_f64_e32 v[138:139], v[146:147], v[36:37]
	v_add_f64 v[140:141], v[136:137], v[138:139]
	s_waitcnt vmcnt(15) lgkmcnt(0)
	v_mul_f64 v[142:143], v[148:149], v[42:43]
	scratch_load_dwordx4 v[136:139], off, off offset:976
	v_fmac_f64_e32 v[142:143], v[150:151], v[40:41]
	v_add_f64 v[160:161], v[140:141], v[142:143]
	scratch_load_dwordx4 v[140:143], off, off offset:992
	ds_read_b128 v[152:155], v10 offset:1744
	ds_read_b128 v[156:159], v10 offset:1760
	v_mul_f64 v[170:171], v[234:235], v[170:171]
	v_mul_f64 v[174:175], v[178:179], v[174:175]
	;; [unrolled: 1-line block ×3, first 2 shown]
	s_waitcnt vmcnt(16) lgkmcnt(1)
	v_mul_f64 v[162:163], v[152:153], v[50:51]
	v_fmac_f64_e32 v[162:163], v[154:155], v[48:49]
	v_add_f64 v[164:165], v[160:161], v[162:163]
	ds_read_b128 v[160:163], v10 offset:1776
	s_waitcnt vmcnt(15) lgkmcnt(1)
	v_mul_f64 v[166:167], v[156:157], v[78:79]
	v_fmac_f64_e32 v[166:167], v[158:159], v[76:77]
	v_add_f64 v[240:241], v[164:165], v[166:167]
	ds_read_b128 v[164:167], v10 offset:1792
	s_waitcnt vmcnt(14) lgkmcnt(1)
	v_mul_f64 v[242:243], v[160:161], v[86:87]
	v_fmac_f64_e32 v[242:243], v[162:163], v[84:85]
	v_add_f64 v[240:241], v[240:241], v[242:243]
	v_fma_f64 v[242:243], v[232:233], v[168:169], -v[170:171]
	ds_read_b128 v[168:171], v10 offset:1808
	s_waitcnt vmcnt(13) lgkmcnt(1)
	v_mul_f64 v[232:233], v[164:165], v[90:91]
	v_fmac_f64_e32 v[232:233], v[166:167], v[88:89]
	v_add_f64 v[232:233], v[240:241], v[232:233]
	v_fma_f64 v[240:241], v[176:177], v[172:173], -v[174:175]
	ds_read_b128 v[172:175], v10 offset:1824
	s_waitcnt vmcnt(12) lgkmcnt(1)
	v_mul_f64 v[176:177], v[168:169], v[94:95]
	v_fmac_f64_e32 v[176:177], v[170:171], v[92:93]
	v_add_f64 v[232:233], v[232:233], v[176:177]
	ds_read_b128 v[176:179], v10 offset:1840
	v_fma_f64 v[236:237], v[236:237], v[180:181], -v[182:183]
	ds_read_b128 v[180:183], v10 offset:1856
	s_waitcnt vmcnt(11) lgkmcnt(2)
	v_mul_f64 v[234:235], v[172:173], v[98:99]
	v_fmac_f64_e32 v[234:235], v[174:175], v[96:97]
	v_add_f64 v[232:233], v[232:233], v[234:235]
	s_waitcnt vmcnt(10) lgkmcnt(1)
	v_mul_f64 v[234:235], v[176:177], v[102:103]
	v_fmac_f64_e32 v[234:235], v[178:179], v[100:101]
	v_mul_f64 v[186:187], v[190:191], v[186:187]
	s_waitcnt vmcnt(9) lgkmcnt(0)
	v_mul_f64 v[190:191], v[180:181], v[106:107]
	v_fma_f64 v[238:239], v[188:189], v[184:185], -v[186:187]
	ds_read_b128 v[184:187], v10 offset:1872
	v_add_f64 v[188:189], v[232:233], v[234:235]
	v_fmac_f64_e32 v[190:191], v[182:183], v[104:105]
	v_add_f64 v[232:233], v[188:189], v[190:191]
	ds_read_b128 v[188:191], v10 offset:1888
	v_mul_f64 v[194:195], v[230:231], v[194:195]
	v_fma_f64 v[244:245], v[228:229], v[192:193], -v[194:195]
	ds_read_b128 v[192:195], v10 offset:1904
	s_waitcnt vmcnt(8) lgkmcnt(2)
	v_mul_f64 v[234:235], v[184:185], v[110:111]
	v_fmac_f64_e32 v[234:235], v[186:187], v[108:109]
	s_waitcnt vmcnt(7) lgkmcnt(1)
	v_mul_f64 v[228:229], v[188:189], v[114:115]
	v_mul_f64 v[198:199], v[202:203], v[198:199]
	v_add_f64 v[232:233], v[232:233], v[234:235]
	v_fmac_f64_e32 v[228:229], v[190:191], v[112:113]
	v_fma_f64 v[246:247], v[200:201], v[196:197], -v[198:199]
	ds_read_b128 v[196:199], v10 offset:1920
	s_waitcnt vmcnt(6) lgkmcnt(1)
	v_mul_f64 v[200:201], v[192:193], v[118:119]
	v_add_f64 v[228:229], v[232:233], v[228:229]
	v_fmac_f64_e32 v[200:201], v[194:195], v[116:117]
	v_add_f64 v[228:229], v[228:229], v[200:201]
	ds_read_b128 v[200:203], v10 offset:1936
	v_mul_f64 v[206:207], v[214:215], v[206:207]
	v_fma_f64 v[252:253], v[212:213], v[204:205], -v[206:207]
	ds_read_b128 v[204:207], v10 offset:1952
	s_waitcnt vmcnt(5) lgkmcnt(2)
	v_mul_f64 v[230:231], v[196:197], v[126:127]
	v_fmac_f64_e32 v[230:231], v[198:199], v[124:125]
	s_waitcnt vmcnt(4) lgkmcnt(1)
	v_mul_f64 v[212:213], v[200:201], v[122:123]
	v_add_f64 v[228:229], v[228:229], v[230:231]
	v_fmac_f64_e32 v[212:213], v[202:203], v[120:121]
	v_mul_f64 v[210:211], v[226:227], v[210:211]
	s_waitcnt vmcnt(3) lgkmcnt(0)
	v_mul_f64 v[214:215], v[204:205], v[130:131]
	v_fma_f64 v[0:1], v[224:225], v[208:209], -v[210:211]
	ds_read_b128 v[208:211], v10 offset:1968
	v_add_f64 v[212:213], v[228:229], v[212:213]
	v_fmac_f64_e32 v[214:215], v[206:207], v[128:129]
	v_add_f64 v[224:225], v[212:213], v[214:215]
	ds_read_b128 v[212:215], v10 offset:1984
	v_mul_f64 v[218:219], v[222:223], v[218:219]
	v_fma_f64 v[8:9], v[220:221], v[216:217], -v[218:219]
	ds_read_b128 v[216:219], v10 offset:2000
	s_waitcnt vmcnt(2) lgkmcnt(2)
	v_mul_f64 v[220:221], v[208:209], v[134:135]
	v_fmac_f64_e32 v[220:221], v[210:211], v[132:133]
	s_waitcnt vmcnt(1) lgkmcnt(1)
	v_mul_f64 v[222:223], v[212:213], v[138:139]
	v_add_f64 v[220:221], v[224:225], v[220:221]
	v_fmac_f64_e32 v[222:223], v[214:215], v[136:137]
	v_add_f64 v[220:221], v[220:221], v[222:223]
	ds_read_b128 v[224:227], v10 offset:2016
	s_waitcnt vmcnt(0) lgkmcnt(1)
	v_mul_f64 v[222:223], v[216:217], v[142:143]
	v_fmac_f64_e32 v[222:223], v[218:219], v[140:141]
	v_add_f64 v[228:229], v[220:221], v[222:223]
	scratch_load_dwordx4 v[220:223], off, off offset:1008
	scratch_load_dwordx4 v[232:235], off, off offset:1024
	v_mul_f64 v[6:7], v[46:47], v[6:7]
	v_fma_f64 v[4:5], v[44:45], v[4:5], -v[6:7]
	s_waitcnt vmcnt(1) lgkmcnt(0)
	v_mul_f64 v[230:231], v[224:225], v[222:223]
	v_fmac_f64_e32 v[230:231], v[226:227], v[220:221]
	v_add_f64 v[2:3], v[228:229], v[230:231]
	ds_read_b128 v[228:231], v10 offset:2032
	s_waitcnt vmcnt(0) lgkmcnt(0)
	v_mul_f64 v[10:11], v[228:229], v[234:235]
	v_fmac_f64_e32 v[10:11], v[230:231], v[232:233]
	v_add_f64 v[2:3], v[2:3], v[10:11]
	v_add_f64 v[10:11], v[242:243], 0
	;; [unrolled: 1-line block ×5, first 2 shown]
	scratch_load_dwordx4 v[236:239], off, off offset:416
	v_add_f64 v[10:11], v[10:11], v[244:245]
	v_add_f64 v[10:11], v[10:11], v[246:247]
	;; [unrolled: 1-line block ×6, first 2 shown]
	v_mul_f64 v[4:5], v[66:67], v[14:15]
	v_fma_f64 v[4:5], v[64:65], v[12:13], -v[4:5]
	v_add_f64 v[0:1], v[0:1], v[4:5]
	v_mul_f64 v[4:5], v[62:63], v[250:251]
	v_fma_f64 v[4:5], v[60:61], v[248:249], -v[4:5]
	v_add_f64 v[0:1], v[0:1], v[4:5]
	;; [unrolled: 3-line block ×28, first 2 shown]
	s_waitcnt vmcnt(0)
	v_add_f64 v[4:5], v[236:237], -v[0:1]
	v_add_f64 v[6:7], v[238:239], -v[2:3]
	scratch_store_dwordx4 off, v[4:7], off offset:416
	s_and_saveexec_b64 s[0:1], vcc
	s_cbranch_execz .LBB127_361
; %bb.360:
	scratch_load_dwordx4 v[2:5], off, s66
	v_mov_b32_e32 v6, 0
	v_mov_b32_e32 v7, v6
	v_mov_b32_e32 v8, v6
	v_mov_b32_e32 v9, v6
	v_accvgpr_read_b32 v0, a128
	scratch_store_dwordx4 off, v[6:9], off offset:400
	s_waitcnt vmcnt(1)
	ds_write_b128 v0, v[2:5]
.LBB127_361:
	s_or_b64 exec, exec, s[0:1]
	s_waitcnt lgkmcnt(0)
	; wave barrier
	scratch_load_dwordx4 v[80:83], off, off offset:416
	scratch_load_dwordx4 v[84:87], off, off offset:432
	;; [unrolled: 1-line block ×31, first 2 shown]
	v_mov_b32_e32 v2, 0
	ds_read_b128 v[196:199], v2 offset:1424
	ds_read_b128 v[200:203], v2 offset:1440
	;; [unrolled: 1-line block ×20, first 2 shown]
	v_cmp_lt_u32_e32 vcc, 23, v254
	s_waitcnt vmcnt(30) lgkmcnt(14)
	v_mul_f64 v[0:1], v[196:197], v[82:83]
	s_waitcnt vmcnt(29)
	v_mul_f64 v[140:141], v[200:201], v[86:87]
	v_fmac_f64_e32 v[0:1], v[198:199], v[80:81]
	s_waitcnt vmcnt(28)
	v_mul_f64 v[142:143], v[204:205], v[90:91]
	v_fmac_f64_e32 v[140:141], v[202:203], v[84:85]
	v_add_f64 v[0:1], v[0:1], 0
	s_waitcnt vmcnt(27)
	v_mul_f64 v[152:153], v[208:209], v[94:95]
	v_fmac_f64_e32 v[142:143], v[206:207], v[88:89]
	v_add_f64 v[0:1], v[0:1], v[140:141]
	;; [unrolled: 4-line block ×4, first 2 shown]
	s_waitcnt vmcnt(24) lgkmcnt(13)
	v_mul_f64 v[162:163], v[220:221], v[106:107]
	v_fmac_f64_e32 v[160:161], v[218:219], v[100:101]
	v_add_f64 v[0:1], v[0:1], v[154:155]
	s_waitcnt vmcnt(23) lgkmcnt(12)
	v_mul_f64 v[164:165], v[224:225], v[110:111]
	v_fmac_f64_e32 v[162:163], v[222:223], v[104:105]
	v_add_f64 v[0:1], v[0:1], v[160:161]
	;; [unrolled: 4-line block ×9, first 2 shown]
	v_fmac_f64_e32 v[178:179], v[138:139], v[16:17]
	v_add_f64 v[0:1], v[0:1], v[176:177]
	scratch_load_dwordx4 v[140:143], off, off offset:912
	v_add_f64 v[0:1], v[0:1], v[178:179]
	ds_read_b128 v[176:179], v2 offset:1696
	s_waitcnt vmcnt(16) lgkmcnt(5)
	v_mul_f64 v[180:181], v[132:133], v[22:23]
	v_fmac_f64_e32 v[180:181], v[134:135], v[20:21]
	s_waitcnt vmcnt(15) lgkmcnt(4)
	v_mul_f64 v[152:153], v[128:129], v[26:27]
	v_add_f64 v[0:1], v[0:1], v[180:181]
	v_fmac_f64_e32 v[152:153], v[130:131], v[24:25]
	v_add_f64 v[0:1], v[0:1], v[152:153]
	ds_read_b128 v[180:183], v2 offset:1712
	s_waitcnt vmcnt(14) lgkmcnt(1)
	v_mul_f64 v[160:161], v[176:177], v[30:31]
	scratch_load_dwordx4 v[152:155], off, off offset:928
	v_fmac_f64_e32 v[160:161], v[178:179], v[28:29]
	v_add_f64 v[0:1], v[0:1], v[160:161]
	scratch_load_dwordx4 v[160:163], off, off offset:944
	s_waitcnt vmcnt(15) lgkmcnt(0)
	v_mul_f64 v[164:165], v[180:181], v[34:35]
	v_fmac_f64_e32 v[164:165], v[182:183], v[32:33]
	v_add_f64 v[0:1], v[0:1], v[164:165]
	s_waitcnt vmcnt(14)
	v_mul_f64 v[168:169], v[184:185], v[38:39]
	scratch_load_dwordx4 v[164:167], off, off offset:960
	v_fmac_f64_e32 v[168:169], v[186:187], v[36:37]
	v_add_f64 v[0:1], v[0:1], v[168:169]
	s_waitcnt vmcnt(14)
	v_mul_f64 v[168:169], v[188:189], v[42:43]
	scratch_load_dwordx4 v[172:175], off, off offset:976
	v_fmac_f64_e32 v[168:169], v[190:191], v[40:41]
	v_add_f64 v[0:1], v[0:1], v[168:169]
	scratch_load_dwordx4 v[168:171], off, off offset:992
	v_mul_f64 v[82:83], v[198:199], v[82:83]
	v_fma_f64 v[240:241], v[196:197], v[80:81], -v[82:83]
	ds_read_b128 v[196:199], v2 offset:1776
	s_waitcnt vmcnt(15)
	v_mul_f64 v[80:81], v[192:193], v[46:47]
	v_fmac_f64_e32 v[80:81], v[194:195], v[44:45]
	v_add_f64 v[0:1], v[0:1], v[80:81]
	v_mul_f64 v[80:81], v[202:203], v[86:87]
	v_fma_f64 v[246:247], v[200:201], v[84:85], -v[80:81]
	scratch_load_dwordx4 v[80:83], off, off offset:1008
	ds_read_b128 v[84:87], v2 offset:1792
	v_mul_f64 v[90:91], v[206:207], v[90:91]
	v_fma_f64 v[252:253], v[204:205], v[88:89], -v[90:91]
	ds_read_b128 v[88:91], v2 offset:1808
	s_waitcnt vmcnt(15) lgkmcnt(2)
	v_mul_f64 v[200:201], v[196:197], v[50:51]
	v_fmac_f64_e32 v[200:201], v[198:199], v[48:49]
	v_add_f64 v[0:1], v[0:1], v[200:201]
	s_waitcnt vmcnt(14) lgkmcnt(1)
	v_mul_f64 v[200:201], v[84:85], v[54:55]
	v_fmac_f64_e32 v[200:201], v[86:87], v[52:53]
	v_mul_f64 v[94:95], v[210:211], v[94:95]
	v_fma_f64 v[232:233], v[208:209], v[92:93], -v[94:95]
	ds_read_b128 v[92:95], v2 offset:1824
	v_add_f64 v[0:1], v[0:1], v[200:201]
	s_waitcnt vmcnt(13) lgkmcnt(1)
	v_mul_f64 v[200:201], v[88:89], v[58:59]
	v_fmac_f64_e32 v[200:201], v[90:91], v[56:57]
	v_add_f64 v[0:1], v[0:1], v[200:201]
	ds_read_b128 v[200:203], v2 offset:1840
	v_mul_f64 v[98:99], v[214:215], v[98:99]
	v_fma_f64 v[238:239], v[212:213], v[96:97], -v[98:99]
	ds_read_b128 v[96:99], v2 offset:1856
	v_mul_f64 v[102:103], v[218:219], v[102:103]
	s_waitcnt vmcnt(12) lgkmcnt(2)
	v_mul_f64 v[204:205], v[92:93], v[62:63]
	v_fma_f64 v[8:9], v[216:217], v[100:101], -v[102:103]
	ds_read_b128 v[100:103], v2 offset:1872
	v_fmac_f64_e32 v[204:205], v[94:95], v[60:61]
	v_accvgpr_write_b32 a133, v7
	v_add_f64 v[0:1], v[0:1], v[204:205]
	s_waitcnt vmcnt(11) lgkmcnt(2)
	v_mul_f64 v[204:205], v[200:201], v[66:67]
	v_accvgpr_write_b32 a132, v6
	v_accvgpr_write_b32 a131, v5
	;; [unrolled: 1-line block ×3, first 2 shown]
	v_fmac_f64_e32 v[204:205], v[202:203], v[64:65]
	s_waitcnt vmcnt(10) lgkmcnt(1)
	v_mul_f64 v[6:7], v[96:97], v[70:71]
	v_add_f64 v[0:1], v[0:1], v[204:205]
	v_fmac_f64_e32 v[6:7], v[98:99], v[68:69]
	v_add_f64 v[0:1], v[0:1], v[6:7]
	s_waitcnt vmcnt(9) lgkmcnt(0)
	v_mul_f64 v[6:7], v[100:101], v[74:75]
	ds_read_b128 v[204:207], v2 offset:1888
	v_fmac_f64_e32 v[6:7], v[102:103], v[72:73]
	v_add_f64 v[0:1], v[0:1], v[6:7]
	v_mul_f64 v[6:7], v[222:223], v[106:107]
	v_fma_f64 v[4:5], v[220:221], v[104:105], -v[6:7]
	ds_read_b128 v[104:107], v2 offset:1904
	v_mul_f64 v[6:7], v[226:227], v[110:111]
	v_fma_f64 v[6:7], v[224:225], v[108:109], -v[6:7]
	ds_read_b128 v[108:111], v2 offset:1920
	ds_read_b128 v[208:211], v2 offset:1936
	s_waitcnt vmcnt(8) lgkmcnt(3)
	v_mul_f64 v[10:11], v[204:205], v[78:79]
	v_fmac_f64_e32 v[10:11], v[206:207], v[76:77]
	v_add_f64 v[0:1], v[0:1], v[10:11]
	s_waitcnt vmcnt(7) lgkmcnt(2)
	v_mul_f64 v[10:11], v[104:105], v[126:127]
	v_fmac_f64_e32 v[10:11], v[106:107], v[124:125]
	v_add_f64 v[0:1], v[0:1], v[10:11]
	;; [unrolled: 4-line block ×3, first 2 shown]
	v_mul_f64 v[0:1], v[230:231], v[114:115]
	v_fma_f64 v[0:1], v[228:229], v[112:113], -v[0:1]
	ds_read_b128 v[112:115], v2 offset:1952
	s_waitcnt vmcnt(5) lgkmcnt(1)
	v_mul_f64 v[212:213], v[208:209], v[154:155]
	v_fmac_f64_e32 v[212:213], v[210:211], v[152:153]
	v_mul_f64 v[118:119], v[244:245], v[118:119]
	v_add_f64 v[10:11], v[10:11], v[212:213]
	v_fma_f64 v[242:243], v[242:243], v[116:117], -v[118:119]
	ds_read_b128 v[116:119], v2 offset:1968
	s_waitcnt vmcnt(4) lgkmcnt(1)
	v_mul_f64 v[212:213], v[112:113], v[162:163]
	v_fmac_f64_e32 v[212:213], v[114:115], v[160:161]
	v_add_f64 v[10:11], v[10:11], v[212:213]
	ds_read_b128 v[212:215], v2 offset:1984
	v_mul_f64 v[122:123], v[250:251], v[122:123]
	v_fma_f64 v[248:249], v[248:249], v[120:121], -v[122:123]
	ds_read_b128 v[120:123], v2 offset:2000
	s_waitcnt vmcnt(3) lgkmcnt(2)
	v_mul_f64 v[216:217], v[116:117], v[166:167]
	v_fmac_f64_e32 v[216:217], v[118:119], v[164:165]
	v_add_f64 v[10:11], v[10:11], v[216:217]
	s_waitcnt vmcnt(2) lgkmcnt(1)
	v_mul_f64 v[216:217], v[212:213], v[174:175]
	v_fmac_f64_e32 v[216:217], v[214:215], v[172:173]
	v_add_f64 v[10:11], v[10:11], v[216:217]
	;; [unrolled: 4-line block ×3, first 2 shown]
	ds_read_b128 v[216:219], v2 offset:2016
	ds_read_b128 v[224:227], v2 offset:2032
	s_waitcnt vmcnt(0) lgkmcnt(1)
	v_mul_f64 v[220:221], v[216:217], v[82:83]
	v_fmac_f64_e32 v[220:221], v[218:219], v[80:81]
	v_add_f64 v[10:11], v[10:11], v[220:221]
	scratch_load_dwordx4 v[220:223], off, off offset:1024
	s_waitcnt vmcnt(0) lgkmcnt(0)
	v_mul_f64 v[228:229], v[224:225], v[222:223]
	v_fmac_f64_e32 v[228:229], v[226:227], v[220:221]
	v_add_f64 v[244:245], v[10:11], v[228:229]
	scratch_load_dwordx4 v[228:231], off, off offset:400
	v_add_f64 v[10:11], v[240:241], 0
	v_add_f64 v[10:11], v[10:11], v[246:247]
	;; [unrolled: 1-line block ×8, first 2 shown]
	v_accvgpr_read_b32 v6, a130
	v_add_f64 v[0:1], v[4:5], v[0:1]
	v_accvgpr_read_b32 v8, a132
	v_accvgpr_read_b32 v9, a133
	v_add_f64 v[0:1], v[0:1], v[242:243]
	v_accvgpr_read_b32 v7, a131
	v_mul_f64 v[4:5], v[158:159], v[8:9]
	v_add_f64 v[0:1], v[0:1], v[248:249]
	v_fma_f64 v[4:5], v[156:157], v[6:7], -v[4:5]
	v_add_f64 v[0:1], v[0:1], v[4:5]
	v_mul_f64 v[4:5], v[150:151], v[236:237]
	v_fma_f64 v[4:5], v[148:149], v[234:235], -v[4:5]
	v_add_f64 v[0:1], v[0:1], v[4:5]
	v_mul_f64 v[4:5], v[146:147], v[14:15]
	;; [unrolled: 3-line block ×27, first 2 shown]
	v_fma_f64 v[4:5], v[224:225], v[220:221], -v[4:5]
	v_add_f64 v[0:1], v[0:1], v[4:5]
	s_waitcnt vmcnt(0)
	v_add_f64 v[4:5], v[228:229], -v[0:1]
	v_add_f64 v[6:7], v[230:231], -v[244:245]
	scratch_store_dwordx4 off, v[4:7], off offset:400
	s_and_saveexec_b64 s[0:1], vcc
	s_cbranch_execz .LBB127_363
; %bb.362:
	scratch_load_dwordx4 v[6:9], off, s67
	v_mov_b32_e32 v3, v2
	v_mov_b32_e32 v4, v2
	;; [unrolled: 1-line block ×3, first 2 shown]
	v_accvgpr_read_b32 v0, a128
	scratch_store_dwordx4 off, v[2:5], off offset:384
	s_waitcnt vmcnt(1)
	ds_write_b128 v0, v[6:9]
.LBB127_363:
	s_or_b64 exec, exec, s[0:1]
	s_waitcnt lgkmcnt(0)
	; wave barrier
	scratch_load_dwordx4 v[132:135], off, off offset:400
	scratch_load_dwordx4 v[160:163], off, off offset:416
	;; [unrolled: 1-line block ×16, first 2 shown]
	ds_read_b128 v[156:159], v2 offset:1408
	ds_read_b128 v[172:175], v2 offset:1424
	scratch_load_dwordx4 v[24:27], off, off offset:656
	ds_read_b128 v[232:235], v2 offset:1440
	ds_read_b128 v[228:231], v2 offset:1456
	scratch_load_dwordx4 v[28:31], off, off offset:672
	ds_read_b128 v[236:239], v2 offset:1472
	ds_read_b128 v[184:187], v2 offset:1488
	;; [unrolled: 1-line block ×5, first 2 shown]
	scratch_load_dwordx4 v[32:35], off, off offset:688
	ds_read_b128 v[220:223], v2 offset:1552
	ds_read_b128 v[216:219], v2 offset:1568
	ds_read_b128 v[40:43], v2 offset:1584
	scratch_load_dwordx4 v[36:39], off, off offset:704
	ds_read_b128 v[64:67], v2 offset:1600
	ds_read_b128 v[60:63], v2 offset:1616
	;; [unrolled: 1-line block ×5, first 2 shown]
	scratch_load_dwordx4 v[52:55], off, off offset:720
	scratch_load_dwordx4 v[68:71], off, off offset:736
	;; [unrolled: 1-line block ×11, first 2 shown]
	ds_read_b128 v[144:147], v2 offset:1712
	ds_read_b128 v[148:151], v2 offset:1728
	;; [unrolled: 1-line block ×3, first 2 shown]
	v_cmp_lt_u32_e32 vcc, 22, v254
	s_waitcnt vmcnt(30) lgkmcnt(14)
	v_mul_f64 v[0:1], v[156:157], v[134:135]
	s_waitcnt vmcnt(29)
	v_mul_f64 v[108:109], v[172:173], v[162:163]
	v_fmac_f64_e32 v[0:1], v[158:159], v[132:133]
	s_waitcnt vmcnt(28)
	v_mul_f64 v[110:111], v[232:233], v[166:167]
	v_fmac_f64_e32 v[108:109], v[174:175], v[160:161]
	v_add_f64 v[0:1], v[0:1], 0
	s_waitcnt vmcnt(27)
	v_mul_f64 v[112:113], v[228:229], v[170:171]
	v_fmac_f64_e32 v[110:111], v[234:235], v[164:165]
	v_add_f64 v[0:1], v[0:1], v[108:109]
	;; [unrolled: 4-line block ×4, first 2 shown]
	s_waitcnt vmcnt(24) lgkmcnt(13)
	v_mul_f64 v[118:119], v[224:225], v[190:191]
	v_fmac_f64_e32 v[116:117], v[186:187], v[180:181]
	v_add_f64 v[0:1], v[0:1], v[114:115]
	s_waitcnt vmcnt(23) lgkmcnt(12)
	v_mul_f64 v[120:121], v[196:197], v[194:195]
	v_fmac_f64_e32 v[118:119], v[226:227], v[188:189]
	v_add_f64 v[0:1], v[0:1], v[116:117]
	;; [unrolled: 4-line block ×9, first 2 shown]
	v_fmac_f64_e32 v[138:139], v[58:59], v[16:17]
	v_add_f64 v[0:1], v[0:1], v[136:137]
	v_add_f64 v[0:1], v[0:1], v[138:139]
	ds_read_b128 v[136:139], v2 offset:1680
	s_waitcnt vmcnt(15) lgkmcnt(5)
	v_mul_f64 v[140:141], v[48:49], v[22:23]
	v_fmac_f64_e32 v[140:141], v[50:51], v[20:21]
	s_waitcnt vmcnt(14) lgkmcnt(4)
	v_mul_f64 v[112:113], v[44:45], v[26:27]
	scratch_load_dwordx4 v[108:111], off, off offset:896
	v_add_f64 v[0:1], v[0:1], v[140:141]
	v_fmac_f64_e32 v[112:113], v[46:47], v[24:25]
	v_add_f64 v[0:1], v[0:1], v[112:113]
	scratch_load_dwordx4 v[112:115], off, off offset:912
	ds_read_b128 v[140:143], v2 offset:1696
	s_waitcnt vmcnt(15) lgkmcnt(1)
	v_mul_f64 v[116:117], v[136:137], v[30:31]
	v_fmac_f64_e32 v[116:117], v[138:139], v[28:29]
	v_add_f64 v[0:1], v[0:1], v[116:117]
	scratch_load_dwordx4 v[116:119], off, off offset:928
	s_waitcnt vmcnt(15) lgkmcnt(0)
	v_mul_f64 v[120:121], v[140:141], v[34:35]
	v_fmac_f64_e32 v[120:121], v[142:143], v[32:33]
	v_add_f64 v[0:1], v[0:1], v[120:121]
	s_waitcnt vmcnt(14)
	v_mul_f64 v[124:125], v[144:145], v[38:39]
	scratch_load_dwordx4 v[120:123], off, off offset:944
	v_fmac_f64_e32 v[124:125], v[146:147], v[36:37]
	v_add_f64 v[0:1], v[0:1], v[124:125]
	s_waitcnt vmcnt(14)
	v_mul_f64 v[124:125], v[148:149], v[54:55]
	scratch_load_dwordx4 v[128:131], off, off offset:960
	v_fmac_f64_e32 v[124:125], v[150:151], v[52:53]
	v_add_f64 v[0:1], v[0:1], v[124:125]
	scratch_load_dwordx4 v[124:127], off, off offset:976
	v_mul_f64 v[134:135], v[158:159], v[134:135]
	v_fma_f64 v[240:241], v[156:157], v[132:133], -v[134:135]
	ds_read_b128 v[156:159], v2 offset:1760
	s_waitcnt vmcnt(15)
	v_mul_f64 v[132:133], v[152:153], v[70:71]
	v_fmac_f64_e32 v[132:133], v[154:155], v[68:69]
	v_add_f64 v[0:1], v[0:1], v[132:133]
	v_mul_f64 v[132:133], v[174:175], v[162:163]
	v_fma_f64 v[242:243], v[172:173], v[160:161], -v[132:133]
	scratch_load_dwordx4 v[132:135], off, off offset:992
	ds_read_b128 v[160:163], v2 offset:1776
	v_mul_f64 v[166:167], v[234:235], v[166:167]
	v_fma_f64 v[244:245], v[232:233], v[164:165], -v[166:167]
	ds_read_b128 v[164:167], v2 offset:1792
	s_waitcnt vmcnt(15) lgkmcnt(2)
	v_mul_f64 v[172:173], v[156:157], v[74:75]
	v_fmac_f64_e32 v[172:173], v[158:159], v[72:73]
	v_add_f64 v[0:1], v[0:1], v[172:173]
	s_waitcnt vmcnt(14) lgkmcnt(1)
	v_mul_f64 v[172:173], v[160:161], v[78:79]
	v_fmac_f64_e32 v[172:173], v[162:163], v[76:77]
	v_mul_f64 v[170:171], v[230:231], v[170:171]
	v_fma_f64 v[246:247], v[228:229], v[168:169], -v[170:171]
	ds_read_b128 v[168:171], v2 offset:1808
	v_add_f64 v[0:1], v[0:1], v[172:173]
	s_waitcnt vmcnt(13) lgkmcnt(1)
	v_mul_f64 v[172:173], v[164:165], v[82:83]
	v_fmac_f64_e32 v[172:173], v[166:167], v[80:81]
	v_add_f64 v[0:1], v[0:1], v[172:173]
	ds_read_b128 v[172:175], v2 offset:1824
	v_mul_f64 v[178:179], v[238:239], v[178:179]
	v_fma_f64 v[236:237], v[236:237], v[176:177], -v[178:179]
	ds_read_b128 v[176:179], v2 offset:1840
	s_waitcnt vmcnt(12) lgkmcnt(2)
	v_mul_f64 v[228:229], v[168:169], v[86:87]
	v_fmac_f64_e32 v[228:229], v[170:171], v[84:85]
	v_add_f64 v[0:1], v[0:1], v[228:229]
	s_waitcnt vmcnt(11) lgkmcnt(1)
	v_mul_f64 v[228:229], v[172:173], v[90:91]
	v_mul_f64 v[182:183], v[186:187], v[182:183]
	v_fmac_f64_e32 v[228:229], v[174:175], v[88:89]
	v_fma_f64 v[238:239], v[184:185], v[180:181], -v[182:183]
	ds_read_b128 v[180:183], v2 offset:1856
	s_waitcnt vmcnt(10) lgkmcnt(1)
	v_mul_f64 v[184:185], v[176:177], v[94:95]
	v_add_f64 v[0:1], v[0:1], v[228:229]
	v_fmac_f64_e32 v[184:185], v[178:179], v[92:93]
	v_add_f64 v[0:1], v[0:1], v[184:185]
	ds_read_b128 v[184:187], v2 offset:1872
	v_mul_f64 v[190:191], v[226:227], v[190:191]
	v_fma_f64 v[252:253], v[224:225], v[188:189], -v[190:191]
	ds_read_b128 v[188:191], v2 offset:1888
	s_waitcnt vmcnt(9) lgkmcnt(2)
	v_mul_f64 v[228:229], v[180:181], v[98:99]
	v_fmac_f64_e32 v[228:229], v[182:183], v[96:97]
	s_waitcnt vmcnt(8) lgkmcnt(1)
	v_mul_f64 v[224:225], v[184:185], v[102:103]
	v_mul_f64 v[194:195], v[198:199], v[194:195]
	v_add_f64 v[0:1], v[0:1], v[228:229]
	v_fmac_f64_e32 v[224:225], v[186:187], v[100:101]
	v_fma_f64 v[248:249], v[196:197], v[192:193], -v[194:195]
	s_waitcnt vmcnt(7) lgkmcnt(0)
	v_mul_f64 v[196:197], v[188:189], v[106:107]
	ds_read_b128 v[192:195], v2 offset:1904
	v_add_f64 v[0:1], v[0:1], v[224:225]
	v_fmac_f64_e32 v[196:197], v[190:191], v[104:105]
	v_add_f64 v[0:1], v[0:1], v[196:197]
	ds_read_b128 v[196:199], v2 offset:1920
	v_accvgpr_write_b32 a133, v7
	v_mul_f64 v[202:203], v[210:211], v[202:203]
	v_accvgpr_write_b32 a132, v6
	v_accvgpr_write_b32 a131, v5
	;; [unrolled: 1-line block ×3, first 2 shown]
	v_fma_f64 v[4:5], v[208:209], v[200:201], -v[202:203]
	ds_read_b128 v[200:203], v2 offset:1936
	s_waitcnt vmcnt(6) lgkmcnt(2)
	v_mul_f64 v[224:225], v[192:193], v[110:111]
	v_fmac_f64_e32 v[224:225], v[194:195], v[108:109]
	s_waitcnt vmcnt(5) lgkmcnt(1)
	v_mul_f64 v[6:7], v[196:197], v[114:115]
	v_add_f64 v[0:1], v[0:1], v[224:225]
	v_fmac_f64_e32 v[6:7], v[198:199], v[112:113]
	v_add_f64 v[6:7], v[0:1], v[6:7]
	v_mul_f64 v[0:1], v[222:223], v[206:207]
	v_fma_f64 v[0:1], v[220:221], v[204:205], -v[0:1]
	ds_read_b128 v[204:207], v2 offset:1952
	s_waitcnt vmcnt(4) lgkmcnt(1)
	v_mul_f64 v[208:209], v[200:201], v[118:119]
	v_fmac_f64_e32 v[208:209], v[202:203], v[116:117]
	v_add_f64 v[6:7], v[6:7], v[208:209]
	ds_read_b128 v[208:211], v2 offset:1968
	v_mul_f64 v[214:215], v[218:219], v[214:215]
	v_fma_f64 v[250:251], v[216:217], v[212:213], -v[214:215]
	ds_read_b128 v[212:215], v2 offset:1984
	s_waitcnt vmcnt(3) lgkmcnt(2)
	v_mul_f64 v[216:217], v[204:205], v[122:123]
	v_fmac_f64_e32 v[216:217], v[206:207], v[120:121]
	v_add_f64 v[6:7], v[6:7], v[216:217]
	s_waitcnt vmcnt(2) lgkmcnt(1)
	v_mul_f64 v[216:217], v[208:209], v[130:131]
	v_fmac_f64_e32 v[216:217], v[210:211], v[128:129]
	v_add_f64 v[6:7], v[6:7], v[216:217]
	;; [unrolled: 4-line block ×3, first 2 shown]
	ds_read_b128 v[216:219], v2 offset:2000
	ds_read_b128 v[224:227], v2 offset:2016
	scratch_load_dwordx4 v[232:235], off, off offset:1024
	s_waitcnt vmcnt(1) lgkmcnt(1)
	v_mul_f64 v[220:221], v[216:217], v[134:135]
	v_fmac_f64_e32 v[220:221], v[218:219], v[132:133]
	v_add_f64 v[6:7], v[6:7], v[220:221]
	scratch_load_dwordx4 v[220:223], off, off offset:1008
	s_waitcnt vmcnt(0) lgkmcnt(0)
	v_mul_f64 v[228:229], v[224:225], v[222:223]
	v_fmac_f64_e32 v[228:229], v[226:227], v[220:221]
	v_add_f64 v[6:7], v[6:7], v[228:229]
	ds_read_b128 v[228:231], v2 offset:2032
	s_waitcnt lgkmcnt(0)
	v_mul_f64 v[2:3], v[228:229], v[234:235]
	v_fmac_f64_e32 v[2:3], v[230:231], v[232:233]
	v_add_f64 v[2:3], v[6:7], v[2:3]
	v_add_f64 v[6:7], v[240:241], 0
	;; [unrolled: 1-line block ×7, first 2 shown]
	scratch_load_dwordx4 v[236:239], off, off offset:384
	v_add_f64 v[6:7], v[6:7], v[252:253]
	v_add_f64 v[6:7], v[6:7], v[248:249]
	v_accvgpr_read_b32 v243, a133
	v_add_f64 v[252:253], v[6:7], v[4:5]
	v_accvgpr_read_b32 v242, a132
	;; [unrolled: 2-line block ×3, first 2 shown]
	v_accvgpr_read_b32 v240, a130
	v_mul_f64 v[4:5], v[42:43], v[242:243]
	v_add_f64 v[0:1], v[0:1], v[250:251]
	v_fma_f64 v[4:5], v[40:41], v[240:241], -v[4:5]
	v_add_f64 v[0:1], v[0:1], v[4:5]
	v_mul_f64 v[4:5], v[66:67], v[10:11]
	v_fma_f64 v[4:5], v[64:65], v[8:9], -v[4:5]
	v_add_f64 v[0:1], v[0:1], v[4:5]
	v_mul_f64 v[4:5], v[62:63], v[14:15]
	;; [unrolled: 3-line block ×28, first 2 shown]
	v_fma_f64 v[4:5], v[228:229], v[232:233], -v[4:5]
	v_add_f64 v[0:1], v[0:1], v[4:5]
	s_waitcnt vmcnt(0)
	v_add_f64 v[4:5], v[236:237], -v[0:1]
	v_add_f64 v[6:7], v[238:239], -v[2:3]
	scratch_store_dwordx4 off, v[4:7], off offset:384
	s_and_saveexec_b64 s[0:1], vcc
	s_cbranch_execz .LBB127_365
; %bb.364:
	scratch_load_dwordx4 v[2:5], off, s68
	v_mov_b32_e32 v6, 0
	v_mov_b32_e32 v7, v6
	;; [unrolled: 1-line block ×4, first 2 shown]
	v_accvgpr_read_b32 v0, a128
	scratch_store_dwordx4 off, v[6:9], off offset:368
	s_waitcnt vmcnt(1)
	ds_write_b128 v0, v[2:5]
.LBB127_365:
	s_or_b64 exec, exec, s[0:1]
	s_waitcnt lgkmcnt(0)
	; wave barrier
	scratch_load_dwordx4 v[112:115], off, off offset:384
	scratch_load_dwordx4 v[116:119], off, off offset:400
	;; [unrolled: 1-line block ×30, first 2 shown]
	v_mov_b32_e32 v2, 0
	ds_read_b128 v[144:147], v2 offset:1392
	ds_read_b128 v[156:159], v2 offset:1408
	;; [unrolled: 1-line block ×20, first 2 shown]
	v_cmp_lt_u32_e32 vcc, 21, v254
	s_waitcnt vmcnt(29) lgkmcnt(14)
	v_mul_f64 v[0:1], v[144:145], v[114:115]
	s_waitcnt vmcnt(28)
	v_mul_f64 v[88:89], v[156:157], v[118:119]
	v_fmac_f64_e32 v[0:1], v[146:147], v[112:113]
	s_waitcnt vmcnt(27)
	v_mul_f64 v[90:91], v[168:169], v[122:123]
	v_fmac_f64_e32 v[88:89], v[158:159], v[116:117]
	v_add_f64 v[0:1], v[0:1], 0
	s_waitcnt vmcnt(26)
	v_mul_f64 v[92:93], v[180:181], v[154:155]
	v_fmac_f64_e32 v[90:91], v[170:171], v[120:121]
	v_add_f64 v[0:1], v[0:1], v[88:89]
	;; [unrolled: 4-line block ×4, first 2 shown]
	s_waitcnt vmcnt(23) lgkmcnt(13)
	v_mul_f64 v[98:99], v[212:213], v[174:175]
	v_fmac_f64_e32 v[96:97], v[206:207], v[164:165]
	v_add_f64 v[0:1], v[0:1], v[94:95]
	s_waitcnt vmcnt(22) lgkmcnt(12)
	v_mul_f64 v[100:101], v[216:217], v[178:179]
	v_fmac_f64_e32 v[98:99], v[214:215], v[172:173]
	v_add_f64 v[0:1], v[0:1], v[96:97]
	s_waitcnt vmcnt(21) lgkmcnt(11)
	v_mul_f64 v[102:103], v[220:221], v[186:187]
	v_fmac_f64_e32 v[100:101], v[218:219], v[176:177]
	v_add_f64 v[0:1], v[0:1], v[98:99]
	s_waitcnt vmcnt(20) lgkmcnt(10)
	v_mul_f64 v[104:105], v[224:225], v[190:191]
	v_fmac_f64_e32 v[102:103], v[222:223], v[184:185]
	v_add_f64 v[0:1], v[0:1], v[100:101]
	s_waitcnt vmcnt(19) lgkmcnt(9)
	v_mul_f64 v[106:107], v[228:229], v[198:199]
	v_fmac_f64_e32 v[104:105], v[226:227], v[188:189]
	v_add_f64 v[0:1], v[0:1], v[102:103]
	s_waitcnt vmcnt(18) lgkmcnt(8)
	v_mul_f64 v[108:109], v[242:243], v[202:203]
	v_fmac_f64_e32 v[106:107], v[230:231], v[196:197]
	v_add_f64 v[0:1], v[0:1], v[104:105]
	s_waitcnt vmcnt(17) lgkmcnt(7)
	v_mul_f64 v[110:111], v[248:249], v[210:211]
	v_fmac_f64_e32 v[108:109], v[244:245], v[200:201]
	v_add_f64 v[0:1], v[0:1], v[106:107]
	s_waitcnt vmcnt(16) lgkmcnt(6)
	v_mul_f64 v[124:125], v[84:85], v[6:7]
	v_fmac_f64_e32 v[110:111], v[250:251], v[208:209]
	v_add_f64 v[0:1], v[0:1], v[108:109]
	s_waitcnt vmcnt(15) lgkmcnt(5)
	v_mul_f64 v[126:127], v[80:81], v[10:11]
	v_fmac_f64_e32 v[124:125], v[86:87], v[4:5]
	v_add_f64 v[0:1], v[0:1], v[110:111]
	v_fmac_f64_e32 v[126:127], v[82:83], v[8:9]
	v_add_f64 v[0:1], v[0:1], v[124:125]
	scratch_load_dwordx4 v[88:91], off, off offset:864
	s_waitcnt vmcnt(15) lgkmcnt(4)
	v_mul_f64 v[128:129], v[76:77], v[236:237]
	v_add_f64 v[0:1], v[0:1], v[126:127]
	ds_read_b128 v[124:127], v2 offset:1664
	v_fmac_f64_e32 v[128:129], v[78:79], v[234:235]
	v_add_f64 v[0:1], v[0:1], v[128:129]
	ds_read_b128 v[128:131], v2 offset:1680
	s_waitcnt vmcnt(14) lgkmcnt(5)
	v_mul_f64 v[92:93], v[72:73], v[18:19]
	v_fmac_f64_e32 v[92:93], v[74:75], v[16:17]
	v_add_f64 v[0:1], v[0:1], v[92:93]
	s_waitcnt vmcnt(13) lgkmcnt(1)
	v_mul_f64 v[96:97], v[124:125], v[22:23]
	scratch_load_dwordx4 v[92:95], off, off offset:880
	v_fmac_f64_e32 v[96:97], v[126:127], v[20:21]
	v_add_f64 v[0:1], v[0:1], v[96:97]
	s_waitcnt vmcnt(13) lgkmcnt(0)
	v_mul_f64 v[100:101], v[128:129], v[26:27]
	scratch_load_dwordx4 v[96:99], off, off offset:896
	v_fmac_f64_e32 v[100:101], v[130:131], v[24:25]
	v_add_f64 v[0:1], v[0:1], v[100:101]
	scratch_load_dwordx4 v[100:103], off, off offset:912
	s_waitcnt vmcnt(14)
	v_mul_f64 v[104:105], v[132:133], v[30:31]
	v_fmac_f64_e32 v[104:105], v[134:135], v[28:29]
	v_add_f64 v[0:1], v[0:1], v[104:105]
	s_waitcnt vmcnt(13)
	v_mul_f64 v[104:105], v[136:137], v[34:35]
	v_fmac_f64_e32 v[104:105], v[138:139], v[32:33]
	v_add_f64 v[0:1], v[0:1], v[104:105]
	scratch_load_dwordx4 v[104:107], off, off offset:928
	s_waitcnt vmcnt(13)
	v_mul_f64 v[108:109], v[140:141], v[38:39]
	v_fmac_f64_e32 v[108:109], v[142:143], v[36:37]
	v_add_f64 v[0:1], v[0:1], v[108:109]
	scratch_load_dwordx4 v[108:111], off, off offset:944
	v_mul_f64 v[114:115], v[146:147], v[114:115]
	v_fma_f64 v[240:241], v[144:145], v[112:113], -v[114:115]
	v_mul_f64 v[112:113], v[158:159], v[118:119]
	ds_read_b128 v[148:151], v2 offset:1744
	ds_read_b128 v[144:147], v2 offset:1760
	v_fma_f64 v[246:247], v[156:157], v[116:117], -v[112:113]
	scratch_load_dwordx4 v[116:119], off, off offset:960
	scratch_load_dwordx4 v[112:115], off, off offset:976
	v_mul_f64 v[122:123], v[170:171], v[122:123]
	v_fma_f64 v[252:253], v[168:169], v[120:121], -v[122:123]
	scratch_load_dwordx4 v[120:123], off, off offset:992
	s_waitcnt vmcnt(16) lgkmcnt(1)
	v_mul_f64 v[156:157], v[148:149], v[42:43]
	v_fmac_f64_e32 v[156:157], v[150:151], v[40:41]
	v_mul_f64 v[154:155], v[182:183], v[154:155]
	v_add_f64 v[0:1], v[0:1], v[156:157]
	v_fma_f64 v[232:233], v[180:181], v[152:153], -v[154:155]
	ds_read_b128 v[152:155], v2 offset:1776
	s_waitcnt vmcnt(15) lgkmcnt(1)
	v_mul_f64 v[156:157], v[144:145], v[46:47]
	v_fmac_f64_e32 v[156:157], v[146:147], v[44:45]
	v_add_f64 v[0:1], v[0:1], v[156:157]
	ds_read_b128 v[156:159], v2 offset:1792
	v_mul_f64 v[162:163], v[194:195], v[162:163]
	v_fma_f64 v[238:239], v[192:193], v[160:161], -v[162:163]
	ds_read_b128 v[160:163], v2 offset:1808
	s_waitcnt vmcnt(14) lgkmcnt(2)
	v_mul_f64 v[168:169], v[152:153], v[50:51]
	v_fmac_f64_e32 v[168:169], v[154:155], v[48:49]
	v_mul_f64 v[166:167], v[206:207], v[166:167]
	v_add_f64 v[0:1], v[0:1], v[168:169]
	s_waitcnt vmcnt(13) lgkmcnt(1)
	v_mul_f64 v[168:169], v[156:157], v[54:55]
	v_fma_f64 v[12:13], v[204:205], v[164:165], -v[166:167]
	ds_read_b128 v[164:167], v2 offset:1824
	v_accvgpr_write_b32 a133, v7
	v_fmac_f64_e32 v[168:169], v[158:159], v[52:53]
	v_accvgpr_write_b32 a132, v6
	v_accvgpr_write_b32 a131, v5
	;; [unrolled: 1-line block ×3, first 2 shown]
	v_add_f64 v[0:1], v[0:1], v[168:169]
	s_waitcnt vmcnt(12) lgkmcnt(1)
	v_mul_f64 v[6:7], v[160:161], v[58:59]
	ds_read_b128 v[168:171], v2 offset:1840
	v_fmac_f64_e32 v[6:7], v[162:163], v[56:57]
	v_accvgpr_write_b32 a137, v11
	v_add_f64 v[0:1], v[0:1], v[6:7]
	v_mul_f64 v[6:7], v[214:215], v[174:175]
	v_accvgpr_write_b32 a136, v10
	v_accvgpr_write_b32 a135, v9
	;; [unrolled: 1-line block ×3, first 2 shown]
	v_fma_f64 v[8:9], v[212:213], v[172:173], -v[6:7]
	s_waitcnt vmcnt(11) lgkmcnt(1)
	v_mul_f64 v[6:7], v[164:165], v[62:63]
	v_fmac_f64_e32 v[6:7], v[166:167], v[60:61]
	ds_read_b128 v[172:175], v2 offset:1856
	v_add_f64 v[0:1], v[0:1], v[6:7]
	s_waitcnt vmcnt(10) lgkmcnt(1)
	v_mul_f64 v[6:7], v[168:169], v[66:67]
	v_fmac_f64_e32 v[6:7], v[170:171], v[64:65]
	v_add_f64 v[0:1], v[0:1], v[6:7]
	v_mul_f64 v[6:7], v[218:219], v[178:179]
	v_fma_f64 v[10:11], v[216:217], v[176:177], -v[6:7]
	ds_read_b128 v[176:179], v2 offset:1872
	ds_read_b128 v[180:183], v2 offset:1888
	s_waitcnt vmcnt(9) lgkmcnt(2)
	v_mul_f64 v[6:7], v[172:173], v[70:71]
	v_fmac_f64_e32 v[6:7], v[174:175], v[68:69]
	v_add_f64 v[0:1], v[0:1], v[6:7]
	s_waitcnt vmcnt(8) lgkmcnt(1)
	v_mul_f64 v[6:7], v[176:177], v[90:91]
	v_fmac_f64_e32 v[6:7], v[178:179], v[88:89]
	v_add_f64 v[0:1], v[0:1], v[6:7]
	v_mul_f64 v[6:7], v[222:223], v[186:187]
	v_fma_f64 v[4:5], v[220:221], v[184:185], -v[6:7]
	ds_read_b128 v[184:187], v2 offset:1904
	v_mul_f64 v[6:7], v[226:227], v[190:191]
	v_fma_f64 v[6:7], v[224:225], v[188:189], -v[6:7]
	ds_read_b128 v[188:191], v2 offset:1920
	s_waitcnt vmcnt(7) lgkmcnt(2)
	v_mul_f64 v[14:15], v[180:181], v[94:95]
	v_fmac_f64_e32 v[14:15], v[182:183], v[92:93]
	v_add_f64 v[0:1], v[0:1], v[14:15]
	s_waitcnt vmcnt(6) lgkmcnt(1)
	v_mul_f64 v[14:15], v[184:185], v[98:99]
	v_fmac_f64_e32 v[14:15], v[186:187], v[96:97]
	v_add_f64 v[0:1], v[0:1], v[14:15]
	s_waitcnt vmcnt(5) lgkmcnt(0)
	v_mul_f64 v[14:15], v[188:189], v[102:103]
	ds_read_b128 v[192:195], v2 offset:1936
	v_fmac_f64_e32 v[14:15], v[190:191], v[100:101]
	v_add_f64 v[14:15], v[0:1], v[14:15]
	v_mul_f64 v[0:1], v[230:231], v[198:199]
	v_fma_f64 v[0:1], v[228:229], v[196:197], -v[0:1]
	ds_read_b128 v[196:199], v2 offset:1952
	v_mul_f64 v[202:203], v[244:245], v[202:203]
	s_waitcnt vmcnt(4) lgkmcnt(1)
	v_mul_f64 v[204:205], v[192:193], v[106:107]
	v_fma_f64 v[242:243], v[242:243], v[200:201], -v[202:203]
	ds_read_b128 v[200:203], v2 offset:1968
	v_fmac_f64_e32 v[204:205], v[194:195], v[104:105]
	v_add_f64 v[14:15], v[14:15], v[204:205]
	ds_read_b128 v[204:207], v2 offset:1984
	s_waitcnt vmcnt(3) lgkmcnt(2)
	v_mul_f64 v[212:213], v[196:197], v[110:111]
	v_mul_f64 v[210:211], v[250:251], v[210:211]
	v_fmac_f64_e32 v[212:213], v[198:199], v[108:109]
	v_fma_f64 v[248:249], v[248:249], v[208:209], -v[210:211]
	ds_read_b128 v[208:211], v2 offset:2000
	ds_read_b128 v[216:219], v2 offset:2016
	v_add_f64 v[14:15], v[14:15], v[212:213]
	s_waitcnt vmcnt(2) lgkmcnt(3)
	v_mul_f64 v[212:213], v[200:201], v[118:119]
	v_fmac_f64_e32 v[212:213], v[202:203], v[116:117]
	v_add_f64 v[14:15], v[14:15], v[212:213]
	s_waitcnt vmcnt(1) lgkmcnt(2)
	v_mul_f64 v[212:213], v[204:205], v[114:115]
	v_fmac_f64_e32 v[212:213], v[206:207], v[112:113]
	;; [unrolled: 4-line block ×3, first 2 shown]
	v_add_f64 v[14:15], v[14:15], v[212:213]
	scratch_load_dwordx4 v[212:215], off, off offset:1008
	ds_read_b128 v[224:227], v2 offset:2032
	s_waitcnt vmcnt(0) lgkmcnt(1)
	v_mul_f64 v[220:221], v[216:217], v[214:215]
	v_fmac_f64_e32 v[220:221], v[218:219], v[212:213]
	v_add_f64 v[14:15], v[14:15], v[220:221]
	scratch_load_dwordx4 v[220:223], off, off offset:1024
	s_waitcnt vmcnt(0) lgkmcnt(0)
	v_mul_f64 v[228:229], v[224:225], v[222:223]
	v_fmac_f64_e32 v[228:229], v[226:227], v[220:221]
	v_add_f64 v[244:245], v[14:15], v[228:229]
	scratch_load_dwordx4 v[228:231], off, off offset:368
	v_add_f64 v[14:15], v[240:241], 0
	v_add_f64 v[14:15], v[14:15], v[246:247]
	;; [unrolled: 1-line block ×10, first 2 shown]
	v_accvgpr_read_b32 v6, a130
	v_accvgpr_read_b32 v8, a132
	;; [unrolled: 1-line block ×3, first 2 shown]
	v_add_f64 v[0:1], v[4:5], v[0:1]
	v_accvgpr_read_b32 v7, a131
	v_mul_f64 v[4:5], v[86:87], v[8:9]
	v_add_f64 v[0:1], v[0:1], v[242:243]
	v_fma_f64 v[4:5], v[84:85], v[6:7], -v[4:5]
	v_accvgpr_read_b32 v6, a134
	v_add_f64 v[0:1], v[0:1], v[248:249]
	v_accvgpr_read_b32 v8, a136
	v_accvgpr_read_b32 v9, a137
	v_add_f64 v[0:1], v[0:1], v[4:5]
	v_accvgpr_read_b32 v7, a135
	v_mul_f64 v[4:5], v[82:83], v[8:9]
	v_fma_f64 v[4:5], v[80:81], v[6:7], -v[4:5]
	v_add_f64 v[0:1], v[0:1], v[4:5]
	v_mul_f64 v[4:5], v[78:79], v[236:237]
	v_fma_f64 v[4:5], v[76:77], v[234:235], -v[4:5]
	v_add_f64 v[0:1], v[0:1], v[4:5]
	;; [unrolled: 3-line block ×27, first 2 shown]
	s_waitcnt vmcnt(0)
	v_add_f64 v[4:5], v[228:229], -v[0:1]
	v_add_f64 v[6:7], v[230:231], -v[244:245]
	scratch_store_dwordx4 off, v[4:7], off offset:368
	s_and_saveexec_b64 s[0:1], vcc
	s_cbranch_execz .LBB127_367
; %bb.366:
	scratch_load_dwordx4 v[6:9], off, s69
	v_mov_b32_e32 v3, v2
	v_mov_b32_e32 v4, v2
	;; [unrolled: 1-line block ×3, first 2 shown]
	v_accvgpr_read_b32 v0, a128
	scratch_store_dwordx4 off, v[2:5], off offset:352
	s_waitcnt vmcnt(1)
	ds_write_b128 v0, v[6:9]
.LBB127_367:
	s_or_b64 exec, exec, s[0:1]
	s_waitcnt lgkmcnt(0)
	; wave barrier
	scratch_load_dwordx4 v[88:91], off, off offset:368
	scratch_load_dwordx4 v[92:95], off, off offset:384
	;; [unrolled: 1-line block ×17, first 2 shown]
	ds_read_b128 v[212:215], v2 offset:1376
	ds_read_b128 v[204:207], v2 offset:1392
	;; [unrolled: 1-line block ×3, first 2 shown]
	scratch_load_dwordx4 v[20:23], off, off offset:640
	ds_read_b128 v[216:219], v2 offset:1424
	ds_read_b128 v[208:211], v2 offset:1440
	;; [unrolled: 1-line block ×5, first 2 shown]
	scratch_load_dwordx4 v[24:27], off, off offset:656
	ds_read_b128 v[180:183], v2 offset:1504
	ds_read_b128 v[160:163], v2 offset:1520
	;; [unrolled: 1-line block ×3, first 2 shown]
	scratch_load_dwordx4 v[28:31], off, off offset:672
	ds_read_b128 v[172:175], v2 offset:1552
	ds_read_b128 v[148:151], v2 offset:1568
	;; [unrolled: 1-line block ×5, first 2 shown]
	scratch_load_dwordx4 v[36:39], off, off offset:688
	ds_read_b128 v[48:51], v2 offset:1632
	scratch_load_dwordx4 v[52:55], off, off offset:704
	scratch_load_dwordx4 v[56:59], off, off offset:720
	;; [unrolled: 1-line block ×9, first 2 shown]
	ds_read_b128 v[140:143], v2 offset:1648
	ds_read_b128 v[232:235], v2 offset:1712
	v_cmp_lt_u32_e32 vcc, 20, v254
	ds_read_b128 v[228:231], v2 offset:1696
	s_waitcnt vmcnt(29) lgkmcnt(14)
	v_mul_f64 v[0:1], v[212:213], v[90:91]
	s_waitcnt vmcnt(28)
	v_mul_f64 v[152:153], v[204:205], v[94:95]
	v_fmac_f64_e32 v[0:1], v[214:215], v[88:89]
	s_waitcnt vmcnt(27)
	v_mul_f64 v[154:155], v[196:197], v[98:99]
	v_fmac_f64_e32 v[152:153], v[206:207], v[92:93]
	v_add_f64 v[0:1], v[0:1], 0
	s_waitcnt vmcnt(26)
	v_mul_f64 v[164:165], v[216:217], v[102:103]
	v_fmac_f64_e32 v[154:155], v[198:199], v[96:97]
	v_add_f64 v[0:1], v[0:1], v[152:153]
	;; [unrolled: 4-line block ×4, first 2 shown]
	s_waitcnt vmcnt(23) lgkmcnt(13)
	v_mul_f64 v[170:171], v[184:185], v[114:115]
	v_fmac_f64_e32 v[168:169], v[202:203], v[108:109]
	v_add_f64 v[0:1], v[0:1], v[166:167]
	s_waitcnt vmcnt(22) lgkmcnt(12)
	v_mul_f64 v[176:177], v[156:157], v[118:119]
	v_fmac_f64_e32 v[170:171], v[186:187], v[112:113]
	v_add_f64 v[0:1], v[0:1], v[168:169]
	;; [unrolled: 4-line block ×9, first 2 shown]
	v_fmac_f64_e32 v[222:223], v[42:43], v[8:9]
	v_add_f64 v[0:1], v[0:1], v[220:221]
	s_waitcnt vmcnt(14) lgkmcnt(4)
	v_mul_f64 v[224:225], v[32:33], v[14:15]
	v_add_f64 v[0:1], v[0:1], v[222:223]
	ds_read_b128 v[220:223], v2 offset:1664
	v_fmac_f64_e32 v[224:225], v[34:35], v[12:13]
	s_waitcnt vmcnt(13) lgkmcnt(4)
	v_mul_f64 v[164:165], v[48:49], v[18:19]
	v_add_f64 v[0:1], v[0:1], v[224:225]
	scratch_load_dwordx4 v[152:155], off, off offset:848
	v_fmac_f64_e32 v[164:165], v[50:51], v[16:17]
	ds_read_b128 v[224:227], v2 offset:1680
	v_add_f64 v[0:1], v[0:1], v[164:165]
	s_waitcnt vmcnt(13) lgkmcnt(4)
	v_mul_f64 v[168:169], v[140:141], v[22:23]
	scratch_load_dwordx4 v[164:167], off, off offset:864
	v_fmac_f64_e32 v[168:169], v[142:143], v[20:21]
	v_add_f64 v[0:1], v[0:1], v[168:169]
	s_waitcnt vmcnt(13) lgkmcnt(1)
	v_mul_f64 v[176:177], v[220:221], v[26:27]
	scratch_load_dwordx4 v[168:171], off, off offset:880
	v_fmac_f64_e32 v[176:177], v[222:223], v[24:25]
	;; [unrolled: 5-line block ×3, first 2 shown]
	v_add_f64 v[0:1], v[0:1], v[188:189]
	s_waitcnt vmcnt(13)
	v_mul_f64 v[188:189], v[228:229], v[38:39]
	v_fmac_f64_e32 v[188:189], v[230:231], v[36:37]
	v_add_f64 v[0:1], v[0:1], v[188:189]
	scratch_load_dwordx4 v[188:191], off, off offset:912
	s_waitcnt vmcnt(13)
	v_mul_f64 v[192:193], v[232:233], v[54:55]
	v_fmac_f64_e32 v[192:193], v[234:235], v[52:53]
	v_add_f64 v[0:1], v[0:1], v[192:193]
	scratch_load_dwordx4 v[192:195], off, off offset:928
	v_mul_f64 v[90:91], v[214:215], v[90:91]
	v_fma_f64 v[240:241], v[212:213], v[88:89], -v[90:91]
	v_mul_f64 v[88:89], v[206:207], v[94:95]
	ds_read_b128 v[236:239], v2 offset:1728
	ds_read_b128 v[212:215], v2 offset:1744
	v_fma_f64 v[242:243], v[204:205], v[92:93], -v[88:89]
	scratch_load_dwordx4 v[92:95], off, off offset:944
	scratch_load_dwordx4 v[88:91], off, off offset:960
	v_mul_f64 v[98:99], v[198:199], v[98:99]
	v_fma_f64 v[244:245], v[196:197], v[96:97], -v[98:99]
	scratch_load_dwordx4 v[96:99], off, off offset:976
	s_waitcnt vmcnt(16) lgkmcnt(1)
	v_mul_f64 v[204:205], v[236:237], v[58:59]
	v_mul_f64 v[102:103], v[218:219], v[102:103]
	v_fmac_f64_e32 v[204:205], v[238:239], v[56:57]
	v_fma_f64 v[216:217], v[216:217], v[100:101], -v[102:103]
	ds_read_b128 v[100:103], v2 offset:1760
	s_waitcnt vmcnt(15) lgkmcnt(1)
	v_mul_f64 v[196:197], v[212:213], v[62:63]
	v_add_f64 v[0:1], v[0:1], v[204:205]
	v_fmac_f64_e32 v[196:197], v[214:215], v[60:61]
	v_add_f64 v[0:1], v[0:1], v[196:197]
	ds_read_b128 v[196:199], v2 offset:1776
	v_mul_f64 v[106:107], v[210:211], v[106:107]
	v_fma_f64 v[218:219], v[208:209], v[104:105], -v[106:107]
	ds_read_b128 v[104:107], v2 offset:1792
	s_waitcnt vmcnt(14) lgkmcnt(2)
	v_mul_f64 v[204:205], v[100:101], v[66:67]
	v_fmac_f64_e32 v[204:205], v[102:103], v[64:65]
	v_add_f64 v[0:1], v[0:1], v[204:205]
	s_waitcnt vmcnt(13) lgkmcnt(1)
	v_mul_f64 v[204:205], v[196:197], v[70:71]
	v_mul_f64 v[110:111], v[202:203], v[110:111]
	v_fmac_f64_e32 v[204:205], v[198:199], v[68:69]
	v_fma_f64 v[246:247], v[200:201], v[108:109], -v[110:111]
	ds_read_b128 v[108:111], v2 offset:1808
	s_waitcnt vmcnt(12) lgkmcnt(1)
	v_mul_f64 v[200:201], v[104:105], v[74:75]
	v_add_f64 v[0:1], v[0:1], v[204:205]
	v_fmac_f64_e32 v[200:201], v[106:107], v[72:73]
	v_add_f64 v[0:1], v[0:1], v[200:201]
	ds_read_b128 v[200:203], v2 offset:1824
	v_mul_f64 v[114:115], v[186:187], v[114:115]
	v_fma_f64 v[252:253], v[184:185], v[112:113], -v[114:115]
	ds_read_b128 v[112:115], v2 offset:1840
	s_waitcnt vmcnt(11) lgkmcnt(2)
	v_mul_f64 v[184:185], v[108:109], v[78:79]
	v_fmac_f64_e32 v[184:185], v[110:111], v[76:77]
	v_add_f64 v[0:1], v[0:1], v[184:185]
	s_waitcnt vmcnt(10) lgkmcnt(1)
	v_mul_f64 v[184:185], v[200:201], v[82:83]
	v_mul_f64 v[118:119], v[158:159], v[118:119]
	v_fmac_f64_e32 v[184:185], v[202:203], v[80:81]
	v_fma_f64 v[248:249], v[156:157], v[116:117], -v[118:119]
	s_waitcnt vmcnt(9) lgkmcnt(0)
	v_mul_f64 v[156:157], v[112:113], v[86:87]
	v_add_f64 v[0:1], v[0:1], v[184:185]
	ds_read_b128 v[116:119], v2 offset:1856
	v_fmac_f64_e32 v[156:157], v[114:115], v[84:85]
	v_add_f64 v[0:1], v[0:1], v[156:157]
	ds_read_b128 v[156:159], v2 offset:1872
	v_accvgpr_write_b32 a137, v11
	v_mul_f64 v[122:123], v[182:183], v[122:123]
	v_accvgpr_write_b32 a136, v10
	v_accvgpr_write_b32 a135, v9
	;; [unrolled: 1-line block ×3, first 2 shown]
	v_fma_f64 v[8:9], v[180:181], v[120:121], -v[122:123]
	ds_read_b128 v[120:123], v2 offset:1888
	v_mul_f64 v[126:127], v[162:163], v[126:127]
	v_accvgpr_write_b32 a133, v7
	s_waitcnt vmcnt(8) lgkmcnt(2)
	v_mul_f64 v[184:185], v[116:117], v[154:155]
	v_fma_f64 v[250:251], v[160:161], v[124:125], -v[126:127]
	ds_read_b128 v[124:127], v2 offset:1904
	v_accvgpr_write_b32 a132, v6
	v_accvgpr_write_b32 a131, v5
	;; [unrolled: 1-line block ×3, first 2 shown]
	v_fmac_f64_e32 v[184:185], v[118:119], v[152:153]
	s_waitcnt vmcnt(7) lgkmcnt(2)
	v_mul_f64 v[6:7], v[156:157], v[166:167]
	v_add_f64 v[0:1], v[0:1], v[184:185]
	v_fmac_f64_e32 v[6:7], v[158:159], v[164:165]
	v_add_f64 v[0:1], v[0:1], v[6:7]
	s_waitcnt vmcnt(6) lgkmcnt(1)
	v_mul_f64 v[6:7], v[120:121], v[170:171]
	v_fmac_f64_e32 v[6:7], v[122:123], v[168:169]
	ds_read_b128 v[160:163], v2 offset:1920
	v_add_f64 v[0:1], v[0:1], v[6:7]
	s_waitcnt vmcnt(5) lgkmcnt(1)
	v_mul_f64 v[6:7], v[124:125], v[178:179]
	v_fmac_f64_e32 v[6:7], v[126:127], v[176:177]
	v_add_f64 v[0:1], v[0:1], v[6:7]
	v_mul_f64 v[6:7], v[146:147], v[130:131]
	v_fma_f64 v[4:5], v[144:145], v[128:129], -v[6:7]
	ds_read_b128 v[128:131], v2 offset:1936
	s_waitcnt vmcnt(4) lgkmcnt(1)
	v_mul_f64 v[6:7], v[160:161], v[190:191]
	v_fmac_f64_e32 v[6:7], v[162:163], v[188:189]
	v_add_f64 v[6:7], v[0:1], v[6:7]
	v_mul_f64 v[0:1], v[174:175], v[134:135]
	v_fma_f64 v[0:1], v[172:173], v[132:133], -v[0:1]
	ds_read_b128 v[132:135], v2 offset:1952
	ds_read_b128 v[144:147], v2 offset:1968
	s_waitcnt vmcnt(3) lgkmcnt(2)
	v_mul_f64 v[10:11], v[128:129], v[194:195]
	v_fmac_f64_e32 v[10:11], v[130:131], v[192:193]
	v_add_f64 v[10:11], v[6:7], v[10:11]
	v_mul_f64 v[6:7], v[150:151], v[138:139]
	v_fma_f64 v[6:7], v[148:149], v[136:137], -v[6:7]
	ds_read_b128 v[136:139], v2 offset:1984
	ds_read_b128 v[172:175], v2 offset:2000
	s_waitcnt vmcnt(2) lgkmcnt(3)
	v_mul_f64 v[148:149], v[132:133], v[94:95]
	v_fmac_f64_e32 v[148:149], v[134:135], v[92:93]
	v_add_f64 v[10:11], v[10:11], v[148:149]
	s_waitcnt vmcnt(1) lgkmcnt(2)
	v_mul_f64 v[148:149], v[144:145], v[90:91]
	v_fmac_f64_e32 v[148:149], v[146:147], v[88:89]
	v_add_f64 v[10:11], v[10:11], v[148:149]
	scratch_load_dwordx4 v[208:211], off, off offset:1024
	s_waitcnt vmcnt(1) lgkmcnt(1)
	v_mul_f64 v[148:149], v[136:137], v[98:99]
	v_fmac_f64_e32 v[148:149], v[138:139], v[96:97]
	v_add_f64 v[10:11], v[10:11], v[148:149]
	scratch_load_dwordx4 v[148:151], off, off offset:992
	ds_read_b128 v[184:187], v2 offset:2016
	s_waitcnt vmcnt(0) lgkmcnt(1)
	v_mul_f64 v[180:181], v[172:173], v[150:151]
	v_fmac_f64_e32 v[180:181], v[174:175], v[148:149]
	v_add_f64 v[10:11], v[10:11], v[180:181]
	scratch_load_dwordx4 v[180:183], off, off offset:1008
	s_waitcnt vmcnt(0) lgkmcnt(0)
	v_mul_f64 v[204:205], v[184:185], v[182:183]
	v_fmac_f64_e32 v[204:205], v[186:187], v[180:181]
	v_add_f64 v[10:11], v[10:11], v[204:205]
	ds_read_b128 v[204:207], v2 offset:2032
	s_waitcnt lgkmcnt(0)
	v_mul_f64 v[2:3], v[204:205], v[210:211]
	v_fmac_f64_e32 v[2:3], v[206:207], v[208:209]
	v_add_f64 v[2:3], v[10:11], v[2:3]
	v_add_f64 v[10:11], v[240:241], 0
	;; [unrolled: 1-line block ×6, first 2 shown]
	scratch_load_dwordx4 v[216:219], off, off offset:352
	v_add_f64 v[10:11], v[10:11], v[246:247]
	v_add_f64 v[10:11], v[10:11], v[252:253]
	;; [unrolled: 1-line block ×8, first 2 shown]
	v_accvgpr_read_b32 v6, a130
	v_accvgpr_read_b32 v8, a132
	;; [unrolled: 1-line block ×4, first 2 shown]
	v_mul_f64 v[4:5], v[46:47], v[8:9]
	v_fma_f64 v[4:5], v[44:45], v[6:7], -v[4:5]
	v_accvgpr_read_b32 v6, a134
	v_accvgpr_read_b32 v8, a136
	;; [unrolled: 1-line block ×3, first 2 shown]
	v_add_f64 v[0:1], v[0:1], v[4:5]
	v_accvgpr_read_b32 v7, a135
	v_mul_f64 v[4:5], v[42:43], v[8:9]
	v_fma_f64 v[4:5], v[40:41], v[6:7], -v[4:5]
	v_add_f64 v[0:1], v[0:1], v[4:5]
	v_mul_f64 v[4:5], v[34:35], v[14:15]
	v_fma_f64 v[4:5], v[32:33], v[12:13], -v[4:5]
	v_add_f64 v[0:1], v[0:1], v[4:5]
	;; [unrolled: 3-line block ×28, first 2 shown]
	s_waitcnt vmcnt(0)
	v_add_f64 v[4:5], v[216:217], -v[0:1]
	v_add_f64 v[6:7], v[218:219], -v[2:3]
	scratch_store_dwordx4 off, v[4:7], off offset:352
	s_and_saveexec_b64 s[0:1], vcc
	s_cbranch_execz .LBB127_369
; %bb.368:
	scratch_load_dwordx4 v[2:5], off, s70
	v_mov_b32_e32 v6, 0
	v_mov_b32_e32 v7, v6
	;; [unrolled: 1-line block ×4, first 2 shown]
	v_accvgpr_read_b32 v0, a128
	scratch_store_dwordx4 off, v[6:9], off offset:336
	s_waitcnt vmcnt(1)
	ds_write_b128 v0, v[2:5]
.LBB127_369:
	s_or_b64 exec, exec, s[0:1]
	s_waitcnt lgkmcnt(0)
	; wave barrier
	scratch_load_dwordx4 v[96:99], off, off offset:352
	scratch_load_dwordx4 v[100:103], off, off offset:368
	;; [unrolled: 1-line block ×30, first 2 shown]
	v_mov_b32_e32 v2, 0
	ds_read_b128 v[136:139], v2 offset:1360
	ds_read_b128 v[144:147], v2 offset:1376
	;; [unrolled: 1-line block ×20, first 2 shown]
	v_cmp_lt_u32_e32 vcc, 19, v254
	s_waitcnt vmcnt(29) lgkmcnt(14)
	v_mul_f64 v[0:1], v[136:137], v[98:99]
	s_waitcnt vmcnt(28)
	v_mul_f64 v[72:73], v[144:145], v[102:103]
	v_fmac_f64_e32 v[0:1], v[138:139], v[96:97]
	s_waitcnt vmcnt(27)
	v_mul_f64 v[74:75], v[148:149], v[106:107]
	v_fmac_f64_e32 v[72:73], v[146:147], v[100:101]
	v_add_f64 v[0:1], v[0:1], 0
	s_waitcnt vmcnt(26)
	v_mul_f64 v[76:77], v[164:165], v[110:111]
	v_fmac_f64_e32 v[74:75], v[150:151], v[104:105]
	v_add_f64 v[0:1], v[0:1], v[72:73]
	s_waitcnt vmcnt(25)
	v_mul_f64 v[78:79], v[176:177], v[114:115]
	v_fmac_f64_e32 v[76:77], v[166:167], v[108:109]
	v_add_f64 v[0:1], v[0:1], v[74:75]
	s_waitcnt vmcnt(24)
	v_mul_f64 v[80:81], v[188:189], v[154:155]
	v_fmac_f64_e32 v[78:79], v[178:179], v[112:113]
	v_add_f64 v[0:1], v[0:1], v[76:77]
	s_waitcnt vmcnt(23) lgkmcnt(13)
	v_mul_f64 v[82:83], v[200:201], v[158:159]
	v_fmac_f64_e32 v[80:81], v[190:191], v[152:153]
	v_add_f64 v[0:1], v[0:1], v[78:79]
	s_waitcnt vmcnt(22) lgkmcnt(12)
	v_mul_f64 v[84:85], v[208:209], v[162:163]
	v_fmac_f64_e32 v[82:83], v[202:203], v[156:157]
	v_add_f64 v[0:1], v[0:1], v[80:81]
	;; [unrolled: 4-line block ×9, first 2 shown]
	s_waitcnt vmcnt(14) lgkmcnt(4)
	v_mul_f64 v[120:121], v[68:69], v[6:7]
	v_fmac_f64_e32 v[118:119], v[250:251], v[204:205]
	v_accvgpr_write_b32 a133, v7
	v_add_f64 v[0:1], v[0:1], v[116:117]
	v_fmac_f64_e32 v[120:121], v[70:71], v[4:5]
	v_accvgpr_write_b32 a132, v6
	v_accvgpr_write_b32 a131, v5
	;; [unrolled: 1-line block ×3, first 2 shown]
	v_add_f64 v[0:1], v[0:1], v[118:119]
	ds_read_b128 v[116:119], v2 offset:1632
	s_waitcnt vmcnt(13)
	v_mov_b64_e32 v[4:5], v[8:9]
	v_mov_b64_e32 v[6:7], v[10:11]
	s_waitcnt lgkmcnt(4)
	v_mul_f64 v[76:77], v[64:65], v[6:7]
	scratch_load_dwordx4 v[72:75], off, off offset:832
	v_add_f64 v[0:1], v[0:1], v[120:121]
	v_fmac_f64_e32 v[76:77], v[66:67], v[4:5]
	s_waitcnt vmcnt(13)
	v_mov_b64_e32 v[4:5], v[12:13]
	v_add_f64 v[0:1], v[0:1], v[76:77]
	v_mov_b64_e32 v[6:7], v[14:15]
	scratch_load_dwordx4 v[76:79], off, off offset:848
	ds_read_b128 v[120:123], v2 offset:1648
	s_waitcnt lgkmcnt(1)
	v_mul_f64 v[80:81], v[116:117], v[6:7]
	v_fmac_f64_e32 v[80:81], v[118:119], v[4:5]
	v_add_f64 v[0:1], v[0:1], v[80:81]
	scratch_load_dwordx4 v[80:83], off, off offset:864
	s_waitcnt vmcnt(14) lgkmcnt(0)
	v_mul_f64 v[84:85], v[120:121], v[236:237]
	v_fmac_f64_e32 v[84:85], v[122:123], v[234:235]
	s_waitcnt vmcnt(13)
	v_mul_f64 v[88:89], v[124:125], v[22:23]
	v_add_f64 v[0:1], v[0:1], v[84:85]
	v_fmac_f64_e32 v[88:89], v[126:127], v[20:21]
	scratch_load_dwordx4 v[84:87], off, off offset:880
	v_add_f64 v[0:1], v[0:1], v[88:89]
	s_waitcnt vmcnt(13)
	v_mul_f64 v[88:89], v[128:129], v[26:27]
	v_fmac_f64_e32 v[88:89], v[130:131], v[24:25]
	v_add_f64 v[0:1], v[0:1], v[88:89]
	scratch_load_dwordx4 v[88:91], off, off offset:896
	s_waitcnt vmcnt(13)
	v_mul_f64 v[92:93], v[132:133], v[30:31]
	v_fmac_f64_e32 v[92:93], v[134:135], v[28:29]
	v_add_f64 v[0:1], v[0:1], v[92:93]
	scratch_load_dwordx4 v[92:95], off, off offset:912
	v_mul_f64 v[98:99], v[138:139], v[98:99]
	v_fma_f64 v[240:241], v[136:137], v[96:97], -v[98:99]
	v_mul_f64 v[96:97], v[146:147], v[102:103]
	ds_read_b128 v[140:143], v2 offset:1712
	ds_read_b128 v[136:139], v2 offset:1728
	v_fma_f64 v[246:247], v[144:145], v[100:101], -v[96:97]
	scratch_load_dwordx4 v[100:103], off, off offset:928
	scratch_load_dwordx4 v[96:99], off, off offset:944
	s_waitcnt vmcnt(15) lgkmcnt(1)
	v_mul_f64 v[144:145], v[140:141], v[34:35]
	v_fmac_f64_e32 v[144:145], v[142:143], v[32:33]
	v_mul_f64 v[106:107], v[150:151], v[106:107]
	v_add_f64 v[0:1], v[0:1], v[144:145]
	s_waitcnt vmcnt(14) lgkmcnt(0)
	v_mul_f64 v[144:145], v[136:137], v[38:39]
	v_fma_f64 v[252:253], v[148:149], v[104:105], -v[106:107]
	v_mul_f64 v[104:105], v[166:167], v[110:111]
	v_fmac_f64_e32 v[144:145], v[138:139], v[36:37]
	v_fma_f64 v[232:233], v[164:165], v[108:109], -v[104:105]
	scratch_load_dwordx4 v[104:107], off, off offset:960
	v_add_f64 v[0:1], v[0:1], v[144:145]
	ds_read_b128 v[144:147], v2 offset:1744
	ds_read_b128 v[148:151], v2 offset:1760
	v_mul_f64 v[108:109], v[178:179], v[114:115]
	v_fma_f64 v[238:239], v[176:177], v[112:113], -v[108:109]
	scratch_load_dwordx4 v[108:111], off, off offset:976
	s_waitcnt vmcnt(15) lgkmcnt(1)
	v_mul_f64 v[112:113], v[144:145], v[42:43]
	v_fmac_f64_e32 v[112:113], v[146:147], v[40:41]
	v_add_f64 v[0:1], v[0:1], v[112:113]
	v_mul_f64 v[112:113], v[190:191], v[154:155]
	v_fma_f64 v[16:17], v[188:189], v[152:153], -v[112:113]
	scratch_load_dwordx4 v[112:115], off, off offset:992
	ds_read_b128 v[152:155], v2 offset:1776
	s_waitcnt vmcnt(15) lgkmcnt(1)
	v_mul_f64 v[6:7], v[148:149], v[46:47]
	v_fmac_f64_e32 v[6:7], v[150:151], v[44:45]
	v_accvgpr_write_b32 a141, v15
	v_add_f64 v[0:1], v[0:1], v[6:7]
	v_mul_f64 v[6:7], v[202:203], v[158:159]
	v_accvgpr_write_b32 a140, v14
	v_accvgpr_write_b32 a139, v13
	;; [unrolled: 1-line block ×3, first 2 shown]
	v_fma_f64 v[12:13], v[200:201], v[156:157], -v[6:7]
	ds_read_b128 v[156:159], v2 offset:1792
	s_waitcnt vmcnt(14) lgkmcnt(1)
	v_mul_f64 v[6:7], v[152:153], v[50:51]
	v_fmac_f64_e32 v[6:7], v[154:155], v[48:49]
	v_accvgpr_write_b32 a137, v11
	v_add_f64 v[0:1], v[0:1], v[6:7]
	v_mul_f64 v[6:7], v[210:211], v[162:163]
	v_accvgpr_write_b32 a136, v10
	v_accvgpr_write_b32 a135, v9
	v_accvgpr_write_b32 a134, v8
	v_fma_f64 v[10:11], v[208:209], v[160:161], -v[6:7]
	ds_read_b128 v[160:163], v2 offset:1808
	ds_read_b128 v[164:167], v2 offset:1824
	s_waitcnt vmcnt(13) lgkmcnt(2)
	v_mul_f64 v[6:7], v[156:157], v[54:55]
	v_fmac_f64_e32 v[6:7], v[158:159], v[52:53]
	v_add_f64 v[0:1], v[0:1], v[6:7]
	s_waitcnt vmcnt(12) lgkmcnt(1)
	v_mul_f64 v[6:7], v[160:161], v[62:63]
	v_fmac_f64_e32 v[6:7], v[162:163], v[60:61]
	v_add_f64 v[0:1], v[0:1], v[6:7]
	v_mul_f64 v[6:7], v[214:215], v[170:171]
	v_fma_f64 v[8:9], v[212:213], v[168:169], -v[6:7]
	s_waitcnt vmcnt(11) lgkmcnt(0)
	v_mul_f64 v[6:7], v[164:165], v[58:59]
	v_fmac_f64_e32 v[6:7], v[166:167], v[56:57]
	ds_read_b128 v[168:171], v2 offset:1840
	v_add_f64 v[0:1], v[0:1], v[6:7]
	v_mul_f64 v[6:7], v[218:219], v[174:175]
	v_fma_f64 v[14:15], v[216:217], v[172:173], -v[6:7]
	ds_read_b128 v[172:175], v2 offset:1856
	s_waitcnt vmcnt(10) lgkmcnt(1)
	v_mul_f64 v[6:7], v[168:169], v[74:75]
	ds_read_b128 v[176:179], v2 offset:1872
	v_fmac_f64_e32 v[6:7], v[170:171], v[72:73]
	v_add_f64 v[0:1], v[0:1], v[6:7]
	s_waitcnt vmcnt(9) lgkmcnt(1)
	v_mul_f64 v[6:7], v[172:173], v[78:79]
	v_fmac_f64_e32 v[6:7], v[174:175], v[76:77]
	v_add_f64 v[0:1], v[0:1], v[6:7]
	v_mul_f64 v[6:7], v[222:223], v[182:183]
	v_fma_f64 v[4:5], v[220:221], v[180:181], -v[6:7]
	ds_read_b128 v[180:183], v2 offset:1888
	s_waitcnt vmcnt(8) lgkmcnt(1)
	v_mul_f64 v[6:7], v[176:177], v[82:83]
	v_fmac_f64_e32 v[6:7], v[178:179], v[80:81]
	v_add_f64 v[0:1], v[0:1], v[6:7]
	v_mul_f64 v[6:7], v[226:227], v[186:187]
	v_fma_f64 v[6:7], v[224:225], v[184:185], -v[6:7]
	ds_read_b128 v[184:187], v2 offset:1904
	ds_read_b128 v[188:191], v2 offset:1920
	s_waitcnt vmcnt(7) lgkmcnt(2)
	v_mul_f64 v[18:19], v[180:181], v[86:87]
	v_fmac_f64_e32 v[18:19], v[182:183], v[84:85]
	v_add_f64 v[0:1], v[0:1], v[18:19]
	s_waitcnt vmcnt(6) lgkmcnt(1)
	v_mul_f64 v[18:19], v[184:185], v[90:91]
	v_fmac_f64_e32 v[18:19], v[186:187], v[88:89]
	v_add_f64 v[18:19], v[0:1], v[18:19]
	v_mul_f64 v[0:1], v[230:231], v[194:195]
	v_fma_f64 v[0:1], v[228:229], v[192:193], -v[0:1]
	ds_read_b128 v[192:195], v2 offset:1936
	s_waitcnt vmcnt(5) lgkmcnt(1)
	v_mul_f64 v[200:201], v[188:189], v[94:95]
	v_fmac_f64_e32 v[200:201], v[190:191], v[92:93]
	v_mul_f64 v[198:199], v[244:245], v[198:199]
	v_fma_f64 v[242:243], v[242:243], v[196:197], -v[198:199]
	ds_read_b128 v[196:199], v2 offset:1952
	v_add_f64 v[18:19], v[18:19], v[200:201]
	s_waitcnt vmcnt(4) lgkmcnt(1)
	v_mul_f64 v[200:201], v[192:193], v[102:103]
	v_fmac_f64_e32 v[200:201], v[194:195], v[100:101]
	v_add_f64 v[18:19], v[18:19], v[200:201]
	ds_read_b128 v[200:203], v2 offset:1968
	v_mul_f64 v[206:207], v[250:251], v[206:207]
	v_fma_f64 v[248:249], v[248:249], v[204:205], -v[206:207]
	ds_read_b128 v[204:207], v2 offset:1984
	s_waitcnt vmcnt(3) lgkmcnt(2)
	v_mul_f64 v[208:209], v[196:197], v[98:99]
	v_fmac_f64_e32 v[208:209], v[198:199], v[96:97]
	v_add_f64 v[18:19], v[18:19], v[208:209]
	s_waitcnt vmcnt(2) lgkmcnt(1)
	v_mul_f64 v[208:209], v[200:201], v[106:107]
	v_fmac_f64_e32 v[208:209], v[202:203], v[104:105]
	v_add_f64 v[18:19], v[18:19], v[208:209]
	;; [unrolled: 4-line block ×3, first 2 shown]
	ds_read_b128 v[208:211], v2 offset:2000
	ds_read_b128 v[216:219], v2 offset:2016
	;; [unrolled: 1-line block ×3, first 2 shown]
	s_waitcnt vmcnt(0) lgkmcnt(2)
	v_mul_f64 v[212:213], v[208:209], v[114:115]
	v_fmac_f64_e32 v[212:213], v[210:211], v[112:113]
	v_add_f64 v[18:19], v[18:19], v[212:213]
	scratch_load_dwordx4 v[212:215], off, off offset:1008
	s_waitcnt vmcnt(0) lgkmcnt(1)
	v_mul_f64 v[220:221], v[216:217], v[214:215]
	v_fmac_f64_e32 v[220:221], v[218:219], v[212:213]
	v_add_f64 v[18:19], v[18:19], v[220:221]
	scratch_load_dwordx4 v[220:223], off, off offset:1024
	;; [unrolled: 5-line block ×3, first 2 shown]
	v_add_f64 v[18:19], v[240:241], 0
	v_add_f64 v[18:19], v[18:19], v[246:247]
	;; [unrolled: 1-line block ×12, first 2 shown]
	v_accvgpr_read_b32 v6, a130
	v_accvgpr_read_b32 v8, a132
	;; [unrolled: 1-line block ×3, first 2 shown]
	v_add_f64 v[0:1], v[4:5], v[0:1]
	v_accvgpr_read_b32 v7, a131
	v_mul_f64 v[4:5], v[70:71], v[8:9]
	v_add_f64 v[0:1], v[0:1], v[242:243]
	v_fma_f64 v[4:5], v[68:69], v[6:7], -v[4:5]
	v_accvgpr_read_b32 v6, a134
	v_add_f64 v[0:1], v[0:1], v[248:249]
	v_accvgpr_read_b32 v8, a136
	v_accvgpr_read_b32 v9, a137
	v_add_f64 v[0:1], v[0:1], v[4:5]
	v_accvgpr_read_b32 v7, a135
	v_mul_f64 v[4:5], v[66:67], v[8:9]
	v_fma_f64 v[4:5], v[64:65], v[6:7], -v[4:5]
	v_accvgpr_read_b32 v6, a138
	v_accvgpr_read_b32 v8, a140
	;; [unrolled: 1-line block ×3, first 2 shown]
	v_add_f64 v[0:1], v[0:1], v[4:5]
	v_accvgpr_read_b32 v7, a139
	v_mul_f64 v[4:5], v[118:119], v[8:9]
	v_fma_f64 v[4:5], v[116:117], v[6:7], -v[4:5]
	v_add_f64 v[0:1], v[0:1], v[4:5]
	v_mul_f64 v[4:5], v[122:123], v[236:237]
	v_fma_f64 v[4:5], v[120:121], v[234:235], -v[4:5]
	v_add_f64 v[0:1], v[0:1], v[4:5]
	;; [unrolled: 3-line block ×26, first 2 shown]
	s_waitcnt vmcnt(0)
	v_add_f64 v[4:5], v[228:229], -v[0:1]
	v_add_f64 v[6:7], v[230:231], -v[244:245]
	scratch_store_dwordx4 off, v[4:7], off offset:336
	s_and_saveexec_b64 s[0:1], vcc
	s_cbranch_execz .LBB127_371
; %bb.370:
	scratch_load_dwordx4 v[6:9], off, s71
	v_mov_b32_e32 v3, v2
	v_mov_b32_e32 v4, v2
	;; [unrolled: 1-line block ×3, first 2 shown]
	v_accvgpr_read_b32 v0, a128
	scratch_store_dwordx4 off, v[2:5], off offset:320
	s_waitcnt vmcnt(1)
	ds_write_b128 v0, v[6:9]
.LBB127_371:
	s_or_b64 exec, exec, s[0:1]
	s_waitcnt lgkmcnt(0)
	; wave barrier
	scratch_load_dwordx4 v[72:75], off, off offset:336
	scratch_load_dwordx4 v[76:79], off, off offset:352
	;; [unrolled: 1-line block ×17, first 2 shown]
	ds_read_b128 v[176:179], v2 offset:1344
	ds_read_b128 v[192:195], v2 offset:1360
	;; [unrolled: 1-line block ×3, first 2 shown]
	scratch_load_dwordx4 v[62:65], off, off offset:608
	ds_read_b128 v[236:239], v2 offset:1392
	ds_read_b128 v[232:235], v2 offset:1408
	;; [unrolled: 1-line block ×5, first 2 shown]
	scratch_load_dwordx4 v[58:61], off, off offset:624
	ds_read_b128 v[224:227], v2 offset:1472
	ds_read_b128 v[212:215], v2 offset:1488
	;; [unrolled: 1-line block ×3, first 2 shown]
	scratch_load_dwordx4 v[54:57], off, off offset:640
	ds_read_b128 v[216:219], v2 offset:1520
	ds_read_b128 v[204:207], v2 offset:1536
	;; [unrolled: 1-line block ×5, first 2 shown]
	scratch_load_dwordx4 v[50:53], off, off offset:656
	ds_read_b128 v[20:23], v2 offset:1600
	scratch_load_dwordx4 v[46:49], off, off offset:672
	scratch_load_dwordx4 v[38:41], off, off offset:688
	scratch_load_dwordx4 v[42:45], off, off offset:704
	scratch_load_dwordx4 v[34:37], off, off offset:720
	scratch_load_dwordx4 v[30:33], off, off offset:736
	scratch_load_dwordx4 v[26:29], off, off offset:752
	scratch_load_dwordx4 a[150:153], off, off offset:768
	scratch_load_dwordx4 a[158:161], off, off offset:784
	scratch_load_dwordx4 a[154:157], off, off offset:800
	ds_read_b128 v[132:135], v2 offset:1616
	ds_read_b128 v[172:175], v2 offset:1680
	s_waitcnt lgkmcnt(3)
	v_accvgpr_write_b32 a137, v19
	s_waitcnt lgkmcnt(2)
	v_accvgpr_write_b32 a165, v23
	v_accvgpr_write_b32 a164, v22
	v_accvgpr_write_b32 a163, v21
	v_accvgpr_write_b32 a162, v20
	v_accvgpr_write_b32 a136, v18
	v_accvgpr_write_b32 a135, v17
	v_accvgpr_write_b32 a134, v16
	v_cmp_lt_u32_e32 vcc, 18, v254
	ds_read_b128 v[168:171], v2 offset:1664
	s_waitcnt vmcnt(29)
	v_mul_f64 v[0:1], v[176:177], v[74:75]
	s_waitcnt vmcnt(28)
	v_mul_f64 v[136:137], v[192:193], v[78:79]
	v_fmac_f64_e32 v[0:1], v[178:179], v[72:73]
	s_waitcnt vmcnt(27)
	v_mul_f64 v[138:139], v[188:189], v[82:83]
	v_fmac_f64_e32 v[136:137], v[194:195], v[76:77]
	v_add_f64 v[0:1], v[0:1], 0
	s_waitcnt vmcnt(26)
	v_mul_f64 v[140:141], v[236:237], v[86:87]
	v_fmac_f64_e32 v[138:139], v[190:191], v[80:81]
	v_add_f64 v[0:1], v[0:1], v[136:137]
	;; [unrolled: 4-line block ×11, first 2 shown]
	scratch_load_dwordx4 v[136:139], off, off offset:816
	s_waitcnt vmcnt(17)
	v_mul_f64 v[160:161], v[196:197], v[126:127]
	v_fmac_f64_e32 v[158:159], v[206:207], v[120:121]
	v_add_f64 v[0:1], v[0:1], v[156:157]
	s_waitcnt vmcnt(16)
	v_mul_f64 v[162:163], v[184:185], v[130:131]
	v_fmac_f64_e32 v[160:161], v[198:199], v[124:125]
	v_add_f64 v[0:1], v[0:1], v[158:159]
	;; [unrolled: 4-line block ×3, first 2 shown]
	v_fmac_f64_e32 v[164:165], v[18:19], v[4:5]
	v_add_f64 v[0:1], v[0:1], v[162:163]
	s_waitcnt vmcnt(14)
	v_mul_f64 v[140:141], v[20:21], v[68:69]
	v_add_f64 v[0:1], v[0:1], v[164:165]
	v_fmac_f64_e32 v[140:141], v[22:23], v[66:67]
	ds_read_b128 v[160:163], v2 offset:1632
	s_waitcnt vmcnt(13) lgkmcnt(3)
	v_mul_f64 v[144:145], v[132:133], v[64:65]
	v_add_f64 v[0:1], v[0:1], v[140:141]
	v_fmac_f64_e32 v[144:145], v[134:135], v[62:63]
	scratch_load_dwordx4 v[140:143], off, off offset:832
	ds_read_b128 v[164:167], v2 offset:1648
	v_add_f64 v[0:1], v[0:1], v[144:145]
	scratch_load_dwordx4 v[144:147], off, off offset:848
	s_waitcnt vmcnt(14) lgkmcnt(1)
	v_mul_f64 v[148:149], v[160:161], v[60:61]
	v_fmac_f64_e32 v[148:149], v[162:163], v[58:59]
	s_waitcnt vmcnt(13) lgkmcnt(0)
	v_mul_f64 v[152:153], v[164:165], v[56:57]
	v_add_f64 v[0:1], v[0:1], v[148:149]
	v_fmac_f64_e32 v[152:153], v[166:167], v[54:55]
	scratch_load_dwordx4 v[148:151], off, off offset:864
	v_add_f64 v[0:1], v[0:1], v[152:153]
	s_waitcnt vmcnt(13)
	v_mul_f64 v[152:153], v[168:169], v[52:53]
	v_fmac_f64_e32 v[152:153], v[170:171], v[50:51]
	v_add_f64 v[0:1], v[0:1], v[152:153]
	scratch_load_dwordx4 v[152:155], off, off offset:880
	s_waitcnt vmcnt(13)
	v_mul_f64 v[156:157], v[172:173], v[48:49]
	v_fmac_f64_e32 v[156:157], v[174:175], v[46:47]
	v_mul_f64 v[74:75], v[178:179], v[74:75]
	v_add_f64 v[0:1], v[0:1], v[156:157]
	scratch_load_dwordx4 v[156:159], off, off offset:896
	v_fma_f64 v[240:241], v[176:177], v[72:73], -v[74:75]
	v_mul_f64 v[72:73], v[194:195], v[78:79]
	ds_read_b128 v[180:183], v2 offset:1696
	ds_read_b128 v[176:179], v2 offset:1712
	v_fma_f64 v[242:243], v[192:193], v[76:77], -v[72:73]
	scratch_load_dwordx4 v[76:79], off, off offset:912
	scratch_load_dwordx4 v[72:75], off, off offset:928
	v_mul_f64 v[82:83], v[190:191], v[82:83]
	v_fma_f64 v[244:245], v[188:189], v[80:81], -v[82:83]
	v_mul_f64 v[80:81], v[238:239], v[86:87]
	v_fma_f64 v[236:237], v[236:237], v[84:85], -v[80:81]
	scratch_load_dwordx4 v[80:83], off, off offset:944
	ds_read_b128 v[188:191], v2 offset:1728
	v_mul_f64 v[84:85], v[234:235], v[90:91]
	s_waitcnt vmcnt(16) lgkmcnt(2)
	v_mul_f64 v[192:193], v[180:181], v[40:41]
	v_fma_f64 v[238:239], v[232:233], v[88:89], -v[84:85]
	scratch_load_dwordx4 v[84:87], off, off offset:960
	v_fmac_f64_e32 v[192:193], v[182:183], v[38:39]
	v_add_f64 v[0:1], v[0:1], v[192:193]
	s_waitcnt vmcnt(16) lgkmcnt(1)
	v_mul_f64 v[192:193], v[176:177], v[44:45]
	v_fmac_f64_e32 v[192:193], v[178:179], v[42:43]
	v_add_f64 v[0:1], v[0:1], v[192:193]
	ds_read_b128 v[192:195], v2 offset:1744
	s_waitcnt vmcnt(15) lgkmcnt(1)
	v_mul_f64 v[88:89], v[188:189], v[36:37]
	v_fmac_f64_e32 v[88:89], v[190:191], v[34:35]
	v_add_f64 v[0:1], v[0:1], v[88:89]
	v_mul_f64 v[88:89], v[230:231], v[94:95]
	v_fma_f64 v[246:247], v[228:229], v[92:93], -v[88:89]
	scratch_load_dwordx4 v[88:91], off, off offset:976
	scratch_load_dwordx4 v[232:235], off, off offset:1024
	ds_read_b128 v[92:95], v2 offset:1760
	v_mul_f64 v[98:99], v[222:223], v[98:99]
	v_fma_f64 v[252:253], v[220:221], v[96:97], -v[98:99]
	ds_read_b128 v[96:99], v2 offset:1776
	v_mul_f64 v[102:103], v[210:211], v[102:103]
	s_waitcnt vmcnt(16) lgkmcnt(2)
	v_mul_f64 v[228:229], v[192:193], v[32:33]
	v_fma_f64 v[248:249], v[208:209], v[100:101], -v[102:103]
	ds_read_b128 v[100:103], v2 offset:1792
	ds_read_b128 v[208:211], v2 offset:1808
	v_fmac_f64_e32 v[228:229], v[194:195], v[30:31]
	s_waitcnt vmcnt(15) lgkmcnt(3)
	v_mul_f64 v[220:221], v[92:93], v[28:29]
	s_waitcnt vmcnt(14)
	v_accvgpr_read_b32 v22, a150
	v_add_f64 v[0:1], v[0:1], v[228:229]
	v_fmac_f64_e32 v[220:221], v[94:95], v[26:27]
	v_accvgpr_read_b32 v24, a152
	v_accvgpr_read_b32 v25, a153
	v_add_f64 v[0:1], v[0:1], v[220:221]
	v_accvgpr_read_b32 v23, a151
	s_waitcnt lgkmcnt(2)
	v_mul_f64 v[220:221], v[96:97], v[24:25]
	s_waitcnt vmcnt(13)
	v_accvgpr_read_b32 v18, a158
	v_mul_f64 v[106:107], v[226:227], v[106:107]
	v_fmac_f64_e32 v[220:221], v[98:99], v[22:23]
	v_accvgpr_read_b32 v20, a160
	v_accvgpr_read_b32 v21, a161
	v_fma_f64 v[12:13], v[224:225], v[104:105], -v[106:107]
	s_waitcnt vmcnt(12)
	v_accvgpr_read_b32 v14, a154
	ds_read_b128 v[104:107], v2 offset:1824
	v_accvgpr_write_b32 a133, v7
	v_add_f64 v[0:1], v[0:1], v[220:221]
	v_accvgpr_read_b32 v19, a159
	s_waitcnt lgkmcnt(2)
	v_mul_f64 v[220:221], v[100:101], v[20:21]
	v_accvgpr_read_b32 v16, a156
	v_accvgpr_read_b32 v17, a157
	v_accvgpr_write_b32 a132, v6
	v_accvgpr_write_b32 a131, v5
	;; [unrolled: 1-line block ×3, first 2 shown]
	v_fmac_f64_e32 v[220:221], v[102:103], v[18:19]
	v_accvgpr_read_b32 v15, a155
	s_waitcnt lgkmcnt(1)
	v_mul_f64 v[6:7], v[208:209], v[16:17]
	v_add_f64 v[0:1], v[0:1], v[220:221]
	v_fmac_f64_e32 v[6:7], v[210:211], v[14:15]
	v_add_f64 v[0:1], v[0:1], v[6:7]
	v_mul_f64 v[6:7], v[214:215], v[110:111]
	v_fma_f64 v[8:9], v[212:213], v[108:109], -v[6:7]
	ds_read_b128 v[108:111], v2 offset:1840
	s_waitcnt vmcnt(11) lgkmcnt(1)
	v_mul_f64 v[212:213], v[104:105], v[138:139]
	v_fmac_f64_e32 v[212:213], v[106:107], v[136:137]
	v_add_f64 v[0:1], v[0:1], v[212:213]
	ds_read_b128 v[212:215], v2 offset:1856
	s_waitcnt vmcnt(10) lgkmcnt(1)
	v_mul_f64 v[220:221], v[108:109], v[142:143]
	v_mul_f64 v[114:115], v[202:203], v[114:115]
	v_fmac_f64_e32 v[220:221], v[110:111], v[140:141]
	v_fma_f64 v[6:7], v[200:201], v[112:113], -v[114:115]
	ds_read_b128 v[112:115], v2 offset:1872
	s_waitcnt vmcnt(9) lgkmcnt(1)
	v_mul_f64 v[10:11], v[212:213], v[146:147]
	v_add_f64 v[0:1], v[0:1], v[220:221]
	v_fmac_f64_e32 v[10:11], v[214:215], v[144:145]
	v_add_f64 v[0:1], v[0:1], v[10:11]
	v_mul_f64 v[10:11], v[218:219], v[118:119]
	v_fma_f64 v[10:11], v[216:217], v[116:117], -v[10:11]
	ds_read_b128 v[116:119], v2 offset:1888
	s_waitcnt vmcnt(8) lgkmcnt(1)
	v_mul_f64 v[200:201], v[112:113], v[150:151]
	v_fmac_f64_e32 v[200:201], v[114:115], v[148:149]
	v_add_f64 v[0:1], v[0:1], v[200:201]
	ds_read_b128 v[200:203], v2 offset:1904
	s_waitcnt vmcnt(7) lgkmcnt(1)
	v_mul_f64 v[216:217], v[116:117], v[154:155]
	v_fmac_f64_e32 v[216:217], v[118:119], v[152:153]
	v_add_f64 v[216:217], v[0:1], v[216:217]
	v_mul_f64 v[0:1], v[206:207], v[122:123]
	v_fma_f64 v[4:5], v[204:205], v[120:121], -v[0:1]
	ds_read_b128 v[120:123], v2 offset:1920
	s_waitcnt vmcnt(6) lgkmcnt(1)
	v_mul_f64 v[204:205], v[200:201], v[158:159]
	v_mul_f64 v[126:127], v[198:199], v[126:127]
	v_fmac_f64_e32 v[204:205], v[202:203], v[156:157]
	v_fma_f64 v[70:71], v[196:197], v[124:125], -v[126:127]
	ds_read_b128 v[124:127], v2 offset:1936
	s_waitcnt vmcnt(5) lgkmcnt(1)
	v_mul_f64 v[198:199], v[120:121], v[78:79]
	v_add_f64 v[196:197], v[216:217], v[204:205]
	v_fmac_f64_e32 v[198:199], v[122:123], v[76:77]
	v_add_f64 v[204:205], v[196:197], v[198:199]
	ds_read_b128 v[196:199], v2 offset:1952
	v_mul_f64 v[130:131], v[186:187], v[130:131]
	v_fma_f64 v[250:251], v[184:185], v[128:129], -v[130:131]
	ds_read_b128 v[128:131], v2 offset:1968
	s_waitcnt vmcnt(4) lgkmcnt(2)
	v_mul_f64 v[184:185], v[124:125], v[74:75]
	v_fmac_f64_e32 v[184:185], v[126:127], v[72:73]
	s_waitcnt vmcnt(3) lgkmcnt(1)
	v_mul_f64 v[186:187], v[196:197], v[82:83]
	v_add_f64 v[184:185], v[204:205], v[184:185]
	v_fmac_f64_e32 v[186:187], v[198:199], v[80:81]
	v_add_f64 v[184:185], v[184:185], v[186:187]
	s_waitcnt vmcnt(2) lgkmcnt(0)
	v_mul_f64 v[186:187], v[128:129], v[86:87]
	v_fmac_f64_e32 v[186:187], v[130:131], v[84:85]
	v_add_f64 v[204:205], v[184:185], v[186:187]
	ds_read_b128 v[184:187], v2 offset:1984
	ds_read_b128 v[216:219], v2 offset:2000
	;; [unrolled: 1-line block ×3, first 2 shown]
	s_waitcnt vmcnt(1) lgkmcnt(2)
	v_mul_f64 v[206:207], v[184:185], v[90:91]
	v_fmac_f64_e32 v[206:207], v[186:187], v[88:89]
	v_add_f64 v[220:221], v[204:205], v[206:207]
	scratch_load_dwordx4 v[204:207], off, off offset:992
	s_waitcnt vmcnt(0) lgkmcnt(1)
	v_mul_f64 v[222:223], v[216:217], v[206:207]
	v_fmac_f64_e32 v[222:223], v[218:219], v[204:205]
	v_add_f64 v[228:229], v[220:221], v[222:223]
	scratch_load_dwordx4 v[220:223], off, off offset:1008
	s_waitcnt vmcnt(0) lgkmcnt(0)
	v_mul_f64 v[230:231], v[224:225], v[222:223]
	v_fmac_f64_e32 v[230:231], v[226:227], v[220:221]
	v_add_f64 v[0:1], v[228:229], v[230:231]
	ds_read_b128 v[228:231], v2 offset:2032
	s_waitcnt lgkmcnt(0)
	v_mul_f64 v[2:3], v[228:229], v[234:235]
	v_fmac_f64_e32 v[2:3], v[230:231], v[232:233]
	v_add_f64 v[2:3], v[0:1], v[2:3]
	v_add_f64 v[0:1], v[240:241], 0
	;; [unrolled: 1-line block ×6, first 2 shown]
	scratch_load_dwordx4 v[236:239], off, off offset:320
	v_add_f64 v[0:1], v[0:1], v[246:247]
	v_add_f64 v[0:1], v[0:1], v[252:253]
	;; [unrolled: 1-line block ×7, first 2 shown]
	v_accvgpr_read_b32 v6, a130
	v_accvgpr_read_b32 v10, a134
	v_accvgpr_read_b32 v8, a132
	v_accvgpr_read_b32 v9, a133
	v_accvgpr_read_b32 v12, a136
	v_accvgpr_read_b32 v13, a137
	v_add_f64 v[252:253], v[0:1], v[4:5]
	v_accvgpr_read_b32 v7, a131
	v_accvgpr_read_b32 v11, a135
	v_mul_f64 v[4:5], v[12:13], v[8:9]
	v_add_f64 v[0:1], v[252:253], v[70:71]
	v_fma_f64 v[4:5], v[10:11], v[6:7], -v[4:5]
	v_accvgpr_read_b32 v6, a162
	v_add_f64 v[0:1], v[0:1], v[250:251]
	v_accvgpr_read_b32 v8, a164
	v_accvgpr_read_b32 v9, a165
	v_add_f64 v[0:1], v[0:1], v[4:5]
	v_accvgpr_read_b32 v7, a163
	v_mul_f64 v[4:5], v[8:9], v[68:69]
	v_fma_f64 v[4:5], v[6:7], v[66:67], -v[4:5]
	v_add_f64 v[0:1], v[0:1], v[4:5]
	v_mul_f64 v[4:5], v[134:135], v[64:65]
	v_fma_f64 v[4:5], v[132:133], v[62:63], -v[4:5]
	v_add_f64 v[0:1], v[0:1], v[4:5]
	;; [unrolled: 3-line block ×28, first 2 shown]
	s_waitcnt vmcnt(0)
	v_add_f64 v[4:5], v[236:237], -v[0:1]
	v_add_f64 v[6:7], v[238:239], -v[2:3]
	scratch_store_dwordx4 off, v[4:7], off offset:320
	s_and_saveexec_b64 s[0:1], vcc
	s_cbranch_execz .LBB127_373
; %bb.372:
	scratch_load_dwordx4 v[2:5], off, s72
	v_mov_b32_e32 v6, 0
	v_mov_b32_e32 v7, v6
	;; [unrolled: 1-line block ×4, first 2 shown]
	v_accvgpr_read_b32 v0, a128
	scratch_store_dwordx4 off, v[6:9], off offset:304
	s_waitcnt vmcnt(1)
	ds_write_b128 v0, v[2:5]
.LBB127_373:
	s_or_b64 exec, exec, s[0:1]
	s_waitcnt lgkmcnt(0)
	; wave barrier
	scratch_load_dwordx4 v[80:83], off, off offset:320
	scratch_load_dwordx4 v[84:87], off, off offset:336
	;; [unrolled: 1-line block ×29, first 2 shown]
	v_mov_b32_e32 v2, 0
	ds_read_b128 v[132:135], v2 offset:1328
	ds_read_b128 v[136:139], v2 offset:1344
	;; [unrolled: 1-line block ×22, first 2 shown]
	v_cmp_lt_u32_e32 vcc, 17, v254
	s_waitcnt vmcnt(28) lgkmcnt(14)
	v_mul_f64 v[0:1], v[132:133], v[82:83]
	s_waitcnt vmcnt(27)
	v_mul_f64 v[56:57], v[136:137], v[86:87]
	v_fmac_f64_e32 v[0:1], v[134:135], v[80:81]
	s_waitcnt vmcnt(26)
	v_mul_f64 v[58:59], v[140:141], v[90:91]
	v_fmac_f64_e32 v[56:57], v[138:139], v[84:85]
	v_add_f64 v[0:1], v[0:1], 0
	s_waitcnt vmcnt(25)
	v_mul_f64 v[60:61], v[148:149], v[94:95]
	v_fmac_f64_e32 v[58:59], v[142:143], v[88:89]
	v_add_f64 v[0:1], v[0:1], v[56:57]
	;; [unrolled: 4-line block ×6, first 2 shown]
	s_waitcnt vmcnt(20) lgkmcnt(13)
	v_mul_f64 v[70:71], v[204:205], v[154:155]
	v_fmac_f64_e32 v[68:69], v[198:199], v[144:145]
	v_add_f64 v[0:1], v[0:1], v[66:67]
	s_waitcnt vmcnt(19) lgkmcnt(12)
	v_mul_f64 v[72:73], v[208:209], v[158:159]
	v_fmac_f64_e32 v[70:71], v[206:207], v[152:153]
	v_add_f64 v[0:1], v[0:1], v[68:69]
	;; [unrolled: 4-line block ×8, first 2 shown]
	v_fmac_f64_e32 v[112:113], v[244:245], v[192:193]
	v_add_f64 v[0:1], v[0:1], v[110:111]
	s_waitcnt vmcnt(12) lgkmcnt(5)
	v_mul_f64 v[60:61], v[248:249], v[202:203]
	scratch_load_dwordx4 v[56:59], off, off offset:784
	ds_read_b128 v[108:111], v2 offset:1616
	v_add_f64 v[0:1], v[0:1], v[112:113]
	v_fmac_f64_e32 v[60:61], v[250:251], v[200:201]
	v_add_f64 v[0:1], v[0:1], v[60:61]
	s_waitcnt vmcnt(12) lgkmcnt(5)
	v_mul_f64 v[64:65], v[52:53], v[6:7]
	scratch_load_dwordx4 v[60:63], off, off offset:800
	v_accvgpr_write_b32 a133, v7
	v_fmac_f64_e32 v[64:65], v[54:55], v[4:5]
	v_accvgpr_write_b32 a132, v6
	v_accvgpr_write_b32 a131, v5
	;; [unrolled: 1-line block ×3, first 2 shown]
	ds_read_b128 v[112:115], v2 offset:1632
	s_waitcnt vmcnt(12)
	v_mov_b64_e32 v[4:5], v[8:9]
	v_mov_b64_e32 v[6:7], v[10:11]
	s_waitcnt lgkmcnt(1)
	v_mul_f64 v[68:69], v[108:109], v[6:7]
	v_fmac_f64_e32 v[68:69], v[110:111], v[4:5]
	s_waitcnt vmcnt(11)
	v_mov_b64_e32 v[4:5], v[12:13]
	v_add_f64 v[0:1], v[0:1], v[64:65]
	v_mov_b64_e32 v[6:7], v[14:15]
	scratch_load_dwordx4 v[64:67], off, off offset:816
	v_add_f64 v[0:1], v[0:1], v[68:69]
	s_waitcnt lgkmcnt(0)
	v_mul_f64 v[68:69], v[112:113], v[6:7]
	v_fmac_f64_e32 v[68:69], v[114:115], v[4:5]
	s_waitcnt vmcnt(11)
	v_mov_b64_e32 v[4:5], v[16:17]
	v_add_f64 v[0:1], v[0:1], v[68:69]
	scratch_load_dwordx4 v[68:71], off, off offset:832
	v_mov_b64_e32 v[6:7], v[18:19]
	v_mul_f64 v[76:77], v[116:117], v[6:7]
	scratch_load_dwordx4 v[72:75], off, off offset:848
	v_fmac_f64_e32 v[76:77], v[118:119], v[4:5]
	v_add_f64 v[0:1], v[0:1], v[76:77]
	s_waitcnt vmcnt(12)
	v_mul_f64 v[76:77], v[120:121], v[236:237]
	v_fmac_f64_e32 v[76:77], v[122:123], v[234:235]
	v_add_f64 v[0:1], v[0:1], v[76:77]
	scratch_load_dwordx4 v[76:79], off, off offset:864
	v_mul_f64 v[82:83], v[134:135], v[82:83]
	v_fma_f64 v[240:241], v[132:133], v[80:81], -v[82:83]
	scratch_load_dwordx4 v[80:83], off, off offset:880
	v_mul_f64 v[86:87], v[138:139], v[86:87]
	v_fma_f64 v[246:247], v[136:137], v[84:85], -v[86:87]
	scratch_load_dwordx4 v[84:87], off, off offset:896
	v_mul_f64 v[90:91], v[142:143], v[90:91]
	s_waitcnt vmcnt(14)
	v_mul_f64 v[132:133], v[124:125], v[26:27]
	v_fma_f64 v[252:253], v[140:141], v[88:89], -v[90:91]
	scratch_load_dwordx4 v[88:91], off, off offset:912
	v_fmac_f64_e32 v[132:133], v[126:127], v[24:25]
	s_waitcnt vmcnt(14)
	v_mul_f64 v[136:137], v[128:129], v[30:31]
	v_mul_f64 v[94:95], v[150:151], v[94:95]
	v_add_f64 v[0:1], v[0:1], v[132:133]
	v_fmac_f64_e32 v[136:137], v[130:131], v[28:29]
	v_fma_f64 v[232:233], v[148:149], v[92:93], -v[94:95]
	v_mul_f64 v[92:93], v[162:163], v[98:99]
	ds_read_b128 v[132:135], v2 offset:1712
	v_add_f64 v[0:1], v[0:1], v[136:137]
	ds_read_b128 v[136:139], v2 offset:1728
	v_fma_f64 v[238:239], v[160:161], v[96:97], -v[92:93]
	scratch_load_dwordx4 v[96:99], off, off offset:928
	scratch_load_dwordx4 v[92:95], off, off offset:944
	v_mul_f64 v[102:103], v[174:175], v[102:103]
	v_fma_f64 v[20:21], v[172:173], v[100:101], -v[102:103]
	scratch_load_dwordx4 v[100:103], off, off offset:960
	v_accvgpr_write_b32 a145, v19
	v_mul_f64 v[6:7], v[186:187], v[106:107]
	v_accvgpr_write_b32 a144, v18
	v_accvgpr_write_b32 a143, v17
	;; [unrolled: 1-line block ×3, first 2 shown]
	v_fma_f64 v[16:17], v[184:185], v[104:105], -v[6:7]
	scratch_load_dwordx4 v[104:107], off, off offset:976
	s_waitcnt vmcnt(17) lgkmcnt(1)
	v_mul_f64 v[140:141], v[132:133], v[34:35]
	v_fmac_f64_e32 v[140:141], v[134:135], v[32:33]
	v_add_f64 v[0:1], v[0:1], v[140:141]
	ds_read_b128 v[140:143], v2 offset:1744
	v_accvgpr_write_b32 a141, v15
	v_mul_f64 v[6:7], v[198:199], v[146:147]
	v_accvgpr_write_b32 a140, v14
	v_accvgpr_write_b32 a139, v13
	v_accvgpr_write_b32 a138, v12
	v_fma_f64 v[12:13], v[196:197], v[144:145], -v[6:7]
	ds_read_b128 v[144:147], v2 offset:1760
	s_waitcnt vmcnt(16) lgkmcnt(2)
	v_mul_f64 v[148:149], v[136:137], v[38:39]
	v_fmac_f64_e32 v[148:149], v[138:139], v[36:37]
	v_add_f64 v[0:1], v[0:1], v[148:149]
	s_waitcnt vmcnt(15) lgkmcnt(1)
	v_mul_f64 v[6:7], v[140:141], v[42:43]
	ds_read_b128 v[148:151], v2 offset:1776
	v_fmac_f64_e32 v[6:7], v[142:143], v[40:41]
	v_add_f64 v[0:1], v[0:1], v[6:7]
	s_waitcnt vmcnt(14) lgkmcnt(1)
	v_mul_f64 v[6:7], v[144:145], v[46:47]
	v_fmac_f64_e32 v[6:7], v[146:147], v[44:45]
	v_accvgpr_write_b32 a137, v11
	v_add_f64 v[0:1], v[0:1], v[6:7]
	v_mul_f64 v[6:7], v[206:207], v[154:155]
	v_accvgpr_write_b32 a136, v10
	v_accvgpr_write_b32 a135, v9
	;; [unrolled: 1-line block ×3, first 2 shown]
	v_fma_f64 v[10:11], v[204:205], v[152:153], -v[6:7]
	ds_read_b128 v[152:155], v2 offset:1792
	s_waitcnt vmcnt(13) lgkmcnt(1)
	v_mul_f64 v[6:7], v[148:149], v[50:51]
	v_fmac_f64_e32 v[6:7], v[150:151], v[48:49]
	v_add_f64 v[0:1], v[0:1], v[6:7]
	v_mul_f64 v[6:7], v[210:211], v[158:159]
	v_fma_f64 v[14:15], v[208:209], v[156:157], -v[6:7]
	ds_read_b128 v[156:159], v2 offset:1808
	ds_read_b128 v[160:163], v2 offset:1824
	s_waitcnt vmcnt(12) lgkmcnt(2)
	v_mul_f64 v[6:7], v[152:153], v[58:59]
	v_fmac_f64_e32 v[6:7], v[154:155], v[56:57]
	v_add_f64 v[0:1], v[0:1], v[6:7]
	s_waitcnt vmcnt(11) lgkmcnt(1)
	v_mul_f64 v[6:7], v[156:157], v[62:63]
	v_fmac_f64_e32 v[6:7], v[158:159], v[60:61]
	v_add_f64 v[0:1], v[0:1], v[6:7]
	v_mul_f64 v[6:7], v[214:215], v[166:167]
	v_fma_f64 v[8:9], v[212:213], v[164:165], -v[6:7]
	ds_read_b128 v[164:167], v2 offset:1840
	v_mul_f64 v[18:19], v[218:219], v[170:171]
	v_fma_f64 v[18:19], v[216:217], v[168:169], -v[18:19]
	ds_read_b128 v[168:171], v2 offset:1856
	s_waitcnt vmcnt(10) lgkmcnt(2)
	v_mul_f64 v[6:7], v[160:161], v[66:67]
	v_fmac_f64_e32 v[6:7], v[162:163], v[64:65]
	v_add_f64 v[0:1], v[0:1], v[6:7]
	s_waitcnt vmcnt(9) lgkmcnt(1)
	v_mul_f64 v[6:7], v[164:165], v[70:71]
	ds_read_b128 v[172:175], v2 offset:1872
	v_fmac_f64_e32 v[6:7], v[166:167], v[68:69]
	v_add_f64 v[0:1], v[0:1], v[6:7]
	s_waitcnt vmcnt(8) lgkmcnt(1)
	v_mul_f64 v[6:7], v[168:169], v[74:75]
	v_fmac_f64_e32 v[6:7], v[170:171], v[72:73]
	v_add_f64 v[0:1], v[0:1], v[6:7]
	v_mul_f64 v[6:7], v[222:223], v[178:179]
	v_fma_f64 v[4:5], v[220:221], v[176:177], -v[6:7]
	ds_read_b128 v[176:179], v2 offset:1888
	s_waitcnt vmcnt(7) lgkmcnt(1)
	v_mul_f64 v[6:7], v[172:173], v[78:79]
	v_fmac_f64_e32 v[6:7], v[174:175], v[76:77]
	v_add_f64 v[0:1], v[0:1], v[6:7]
	v_mul_f64 v[6:7], v[226:227], v[182:183]
	v_fma_f64 v[6:7], v[224:225], v[180:181], -v[6:7]
	ds_read_b128 v[180:183], v2 offset:1904
	ds_read_b128 v[184:187], v2 offset:1920
	s_waitcnt vmcnt(6) lgkmcnt(2)
	v_mul_f64 v[22:23], v[176:177], v[82:83]
	v_fmac_f64_e32 v[22:23], v[178:179], v[80:81]
	v_add_f64 v[0:1], v[0:1], v[22:23]
	s_waitcnt vmcnt(5) lgkmcnt(1)
	v_mul_f64 v[22:23], v[180:181], v[86:87]
	v_fmac_f64_e32 v[22:23], v[182:183], v[84:85]
	v_add_f64 v[22:23], v[0:1], v[22:23]
	v_mul_f64 v[0:1], v[230:231], v[190:191]
	v_fma_f64 v[0:1], v[228:229], v[188:189], -v[0:1]
	ds_read_b128 v[188:191], v2 offset:1936
	s_waitcnt vmcnt(4) lgkmcnt(1)
	v_mul_f64 v[196:197], v[184:185], v[90:91]
	v_fmac_f64_e32 v[196:197], v[186:187], v[88:89]
	v_mul_f64 v[194:195], v[244:245], v[194:195]
	v_fma_f64 v[242:243], v[242:243], v[192:193], -v[194:195]
	ds_read_b128 v[192:195], v2 offset:1952
	v_add_f64 v[22:23], v[22:23], v[196:197]
	s_waitcnt vmcnt(3) lgkmcnt(1)
	v_mul_f64 v[196:197], v[188:189], v[98:99]
	v_fmac_f64_e32 v[196:197], v[190:191], v[96:97]
	v_add_f64 v[22:23], v[22:23], v[196:197]
	ds_read_b128 v[196:199], v2 offset:1968
	v_mul_f64 v[202:203], v[250:251], v[202:203]
	v_fma_f64 v[248:249], v[248:249], v[200:201], -v[202:203]
	ds_read_b128 v[200:203], v2 offset:1984
	s_waitcnt vmcnt(2) lgkmcnt(2)
	v_mul_f64 v[204:205], v[192:193], v[94:95]
	v_fmac_f64_e32 v[204:205], v[194:195], v[92:93]
	v_add_f64 v[22:23], v[22:23], v[204:205]
	s_waitcnt vmcnt(1) lgkmcnt(1)
	v_mul_f64 v[204:205], v[196:197], v[102:103]
	v_fmac_f64_e32 v[204:205], v[198:199], v[100:101]
	v_add_f64 v[22:23], v[22:23], v[204:205]
	s_waitcnt vmcnt(0) lgkmcnt(0)
	v_mul_f64 v[204:205], v[200:201], v[106:107]
	v_fmac_f64_e32 v[204:205], v[202:203], v[104:105]
	v_add_f64 v[22:23], v[22:23], v[204:205]
	scratch_load_dwordx4 v[204:207], off, off offset:992
	ds_read_b128 v[208:211], v2 offset:2000
	ds_read_b128 v[216:219], v2 offset:2016
	;; [unrolled: 1-line block ×3, first 2 shown]
	s_waitcnt vmcnt(0) lgkmcnt(2)
	v_mul_f64 v[212:213], v[208:209], v[206:207]
	v_fmac_f64_e32 v[212:213], v[210:211], v[204:205]
	v_add_f64 v[22:23], v[22:23], v[212:213]
	scratch_load_dwordx4 v[212:215], off, off offset:1008
	s_waitcnt vmcnt(0) lgkmcnt(1)
	v_mul_f64 v[220:221], v[216:217], v[214:215]
	v_fmac_f64_e32 v[220:221], v[218:219], v[212:213]
	v_add_f64 v[22:23], v[22:23], v[220:221]
	scratch_load_dwordx4 v[220:223], off, off offset:1024
	;; [unrolled: 5-line block ×3, first 2 shown]
	v_add_f64 v[22:23], v[240:241], 0
	v_add_f64 v[22:23], v[22:23], v[246:247]
	;; [unrolled: 1-line block ×14, first 2 shown]
	v_accvgpr_read_b32 v6, a130
	v_accvgpr_read_b32 v8, a132
	;; [unrolled: 1-line block ×3, first 2 shown]
	v_add_f64 v[0:1], v[4:5], v[0:1]
	v_accvgpr_read_b32 v7, a131
	v_mul_f64 v[4:5], v[54:55], v[8:9]
	v_add_f64 v[0:1], v[0:1], v[242:243]
	v_fma_f64 v[4:5], v[52:53], v[6:7], -v[4:5]
	v_accvgpr_read_b32 v6, a134
	v_add_f64 v[0:1], v[0:1], v[248:249]
	v_accvgpr_read_b32 v8, a136
	v_accvgpr_read_b32 v9, a137
	v_add_f64 v[0:1], v[0:1], v[4:5]
	v_accvgpr_read_b32 v7, a135
	v_mul_f64 v[4:5], v[110:111], v[8:9]
	v_fma_f64 v[4:5], v[108:109], v[6:7], -v[4:5]
	v_accvgpr_read_b32 v6, a138
	v_accvgpr_read_b32 v8, a140
	;; [unrolled: 1-line block ×3, first 2 shown]
	v_add_f64 v[0:1], v[0:1], v[4:5]
	v_accvgpr_read_b32 v7, a139
	v_mul_f64 v[4:5], v[114:115], v[8:9]
	v_fma_f64 v[4:5], v[112:113], v[6:7], -v[4:5]
	v_accvgpr_read_b32 v6, a142
	v_accvgpr_read_b32 v8, a144
	;; [unrolled: 1-line block ×3, first 2 shown]
	v_add_f64 v[0:1], v[0:1], v[4:5]
	v_accvgpr_read_b32 v7, a143
	v_mul_f64 v[4:5], v[118:119], v[8:9]
	v_fma_f64 v[4:5], v[116:117], v[6:7], -v[4:5]
	v_add_f64 v[0:1], v[0:1], v[4:5]
	v_mul_f64 v[4:5], v[122:123], v[236:237]
	v_fma_f64 v[4:5], v[120:121], v[234:235], -v[4:5]
	v_add_f64 v[0:1], v[0:1], v[4:5]
	;; [unrolled: 3-line block ×25, first 2 shown]
	s_waitcnt vmcnt(0)
	v_add_f64 v[4:5], v[228:229], -v[0:1]
	v_add_f64 v[6:7], v[230:231], -v[244:245]
	scratch_store_dwordx4 off, v[4:7], off offset:304
	s_and_saveexec_b64 s[0:1], vcc
	s_cbranch_execz .LBB127_375
; %bb.374:
	scratch_load_dwordx4 v[6:9], off, s73
	v_mov_b32_e32 v3, v2
	v_mov_b32_e32 v4, v2
	;; [unrolled: 1-line block ×3, first 2 shown]
	v_accvgpr_read_b32 v0, a128
	scratch_store_dwordx4 off, v[2:5], off offset:288
	s_waitcnt vmcnt(1)
	ds_write_b128 v0, v[6:9]
.LBB127_375:
	s_or_b64 exec, exec, s[0:1]
	s_waitcnt lgkmcnt(0)
	; wave barrier
	scratch_load_dwordx4 v[80:83], off, off offset:304
	scratch_load_dwordx4 v[84:87], off, off offset:320
	;; [unrolled: 1-line block ×17, first 2 shown]
	ds_read_b128 v[136:139], v2 offset:1312
	ds_read_b128 v[132:135], v2 offset:1328
	scratch_load_dwordx4 v[4:7], off, off offset:576
	ds_read_b128 v[236:239], v2 offset:1344
	ds_read_b128 v[228:231], v2 offset:1360
	;; [unrolled: 1-line block ×5, first 2 shown]
	scratch_load_dwordx4 v[8:11], off, off offset:592
	ds_read_b128 v[232:235], v2 offset:1424
	ds_read_b128 v[216:219], v2 offset:1440
	;; [unrolled: 1-line block ×3, first 2 shown]
	scratch_load_dwordx4 v[12:15], off, off offset:608
	ds_read_b128 v[220:223], v2 offset:1472
	ds_read_b128 v[172:175], v2 offset:1488
	;; [unrolled: 1-line block ×5, first 2 shown]
	scratch_load_dwordx4 v[16:19], off, off offset:624
	ds_read_b128 v[208:211], v2 offset:1552
	ds_read_b128 v[204:207], v2 offset:1568
	;; [unrolled: 1-line block ×3, first 2 shown]
	scratch_load_dwordx4 v[24:27], off, off offset:640
	scratch_load_dwordx4 v[28:31], off, off offset:656
	;; [unrolled: 1-line block ×8, first 2 shown]
	ds_read_b128 v[116:119], v2 offset:1632
	ds_read_b128 v[120:123], v2 offset:1648
	;; [unrolled: 1-line block ×4, first 2 shown]
	v_cmp_lt_u32_e32 vcc, 16, v254
	s_waitcnt vmcnt(28) lgkmcnt(14)
	v_mul_f64 v[0:1], v[136:137], v[82:83]
	s_waitcnt vmcnt(27)
	v_mul_f64 v[56:57], v[132:133], v[86:87]
	v_fmac_f64_e32 v[0:1], v[138:139], v[80:81]
	s_waitcnt vmcnt(26)
	v_mul_f64 v[58:59], v[236:237], v[90:91]
	v_fmac_f64_e32 v[56:57], v[134:135], v[84:85]
	v_add_f64 v[0:1], v[0:1], 0
	s_waitcnt vmcnt(25)
	v_mul_f64 v[60:61], v[228:229], v[94:95]
	v_fmac_f64_e32 v[58:59], v[238:239], v[88:89]
	v_add_f64 v[0:1], v[0:1], v[56:57]
	;; [unrolled: 4-line block ×6, first 2 shown]
	s_waitcnt vmcnt(20) lgkmcnt(13)
	v_mul_f64 v[70:71], v[216:217], v[154:155]
	v_fmac_f64_e32 v[68:69], v[234:235], v[144:145]
	v_add_f64 v[0:1], v[0:1], v[66:67]
	s_waitcnt vmcnt(19) lgkmcnt(12)
	v_mul_f64 v[72:73], v[160:161], v[158:159]
	v_fmac_f64_e32 v[70:71], v[218:219], v[152:153]
	v_add_f64 v[0:1], v[0:1], v[68:69]
	;; [unrolled: 4-line block ×7, first 2 shown]
	v_fmac_f64_e32 v[110:111], v[198:199], v[188:189]
	v_add_f64 v[0:1], v[0:1], v[108:109]
	s_waitcnt vmcnt(13) lgkmcnt(6)
	v_mul_f64 v[112:113], v[208:209], v[194:195]
	v_add_f64 v[0:1], v[0:1], v[110:111]
	ds_read_b128 v[108:111], v2 offset:1600
	s_waitcnt vmcnt(12) lgkmcnt(6)
	v_mul_f64 v[114:115], v[204:205], v[202:203]
	v_fmac_f64_e32 v[112:113], v[210:211], v[192:193]
	scratch_load_dwordx4 v[56:59], off, off offset:768
	scratch_load_dwordx4 v[60:63], off, off offset:784
	v_add_f64 v[0:1], v[0:1], v[112:113]
	v_fmac_f64_e32 v[114:115], v[206:207], v[200:201]
	s_waitcnt vmcnt(13) lgkmcnt(5)
	v_mul_f64 v[64:65], v[20:21], v[6:7]
	v_accvgpr_write_b32 a133, v7
	v_add_f64 v[0:1], v[0:1], v[114:115]
	v_fmac_f64_e32 v[64:65], v[22:23], v[4:5]
	v_accvgpr_write_b32 a132, v6
	v_accvgpr_write_b32 a131, v5
	;; [unrolled: 1-line block ×3, first 2 shown]
	ds_read_b128 v[112:115], v2 offset:1616
	s_waitcnt vmcnt(12)
	v_mov_b64_e32 v[4:5], v[8:9]
	v_mov_b64_e32 v[6:7], v[10:11]
	s_waitcnt lgkmcnt(1)
	v_mul_f64 v[68:69], v[108:109], v[6:7]
	v_fmac_f64_e32 v[68:69], v[110:111], v[4:5]
	s_waitcnt vmcnt(11)
	v_mov_b64_e32 v[4:5], v[12:13]
	v_add_f64 v[0:1], v[0:1], v[64:65]
	v_mov_b64_e32 v[6:7], v[14:15]
	scratch_load_dwordx4 v[64:67], off, off offset:800
	v_add_f64 v[0:1], v[0:1], v[68:69]
	s_waitcnt lgkmcnt(0)
	v_mul_f64 v[68:69], v[112:113], v[6:7]
	v_fmac_f64_e32 v[68:69], v[114:115], v[4:5]
	s_waitcnt vmcnt(11)
	v_mov_b64_e32 v[4:5], v[16:17]
	v_add_f64 v[0:1], v[0:1], v[68:69]
	scratch_load_dwordx4 v[68:71], off, off offset:816
	v_mov_b64_e32 v[6:7], v[18:19]
	v_mul_f64 v[76:77], v[116:117], v[6:7]
	scratch_load_dwordx4 v[72:75], off, off offset:832
	v_fmac_f64_e32 v[76:77], v[118:119], v[4:5]
	v_add_f64 v[0:1], v[0:1], v[76:77]
	s_waitcnt vmcnt(12)
	v_mul_f64 v[76:77], v[120:121], v[26:27]
	v_fmac_f64_e32 v[76:77], v[122:123], v[24:25]
	v_add_f64 v[0:1], v[0:1], v[76:77]
	scratch_load_dwordx4 v[76:79], off, off offset:848
	v_mul_f64 v[82:83], v[138:139], v[82:83]
	v_fma_f64 v[240:241], v[136:137], v[80:81], -v[82:83]
	scratch_load_dwordx4 v[80:83], off, off offset:864
	v_mul_f64 v[86:87], v[134:135], v[86:87]
	v_fma_f64 v[242:243], v[132:133], v[84:85], -v[86:87]
	scratch_load_dwordx4 v[84:87], off, off offset:880
	s_waitcnt vmcnt(14)
	v_mul_f64 v[136:137], v[124:125], v[30:31]
	v_mul_f64 v[90:91], v[238:239], v[90:91]
	v_fmac_f64_e32 v[136:137], v[126:127], v[28:29]
	v_fma_f64 v[236:237], v[236:237], v[88:89], -v[90:91]
	scratch_load_dwordx4 v[88:91], off, off offset:896
	v_add_f64 v[0:1], v[0:1], v[136:137]
	s_waitcnt vmcnt(14)
	v_mul_f64 v[136:137], v[128:129], v[34:35]
	v_mul_f64 v[94:95], v[230:231], v[94:95]
	v_fmac_f64_e32 v[136:137], v[130:131], v[32:33]
	v_fma_f64 v[238:239], v[228:229], v[92:93], -v[94:95]
	v_mul_f64 v[92:93], v[226:227], v[98:99]
	ds_read_b128 v[132:135], v2 offset:1696
	v_add_f64 v[0:1], v[0:1], v[136:137]
	ds_read_b128 v[136:139], v2 offset:1712
	v_fma_f64 v[244:245], v[224:225], v[96:97], -v[92:93]
	scratch_load_dwordx4 v[96:99], off, off offset:912
	scratch_load_dwordx4 v[92:95], off, off offset:928
	v_mul_f64 v[102:103], v[150:151], v[102:103]
	v_fma_f64 v[246:247], v[148:149], v[100:101], -v[102:103]
	scratch_load_dwordx4 v[100:103], off, off offset:944
	v_mul_f64 v[106:107], v[142:143], v[106:107]
	v_fma_f64 v[252:253], v[140:141], v[104:105], -v[106:107]
	v_mul_f64 v[104:105], v[234:235], v[146:147]
	v_fma_f64 v[248:249], v[232:233], v[144:145], -v[104:105]
	scratch_load_dwordx4 v[104:107], off, off offset:960
	ds_read_b128 v[140:143], v2 offset:1728
	ds_read_b128 v[144:147], v2 offset:1744
	s_waitcnt vmcnt(17) lgkmcnt(3)
	v_mul_f64 v[228:229], v[132:133], v[38:39]
	v_fmac_f64_e32 v[228:229], v[134:135], v[36:37]
	s_waitcnt vmcnt(16) lgkmcnt(2)
	v_mul_f64 v[224:225], v[136:137], v[42:43]
	v_add_f64 v[0:1], v[0:1], v[228:229]
	v_fmac_f64_e32 v[224:225], v[138:139], v[40:41]
	s_waitcnt vmcnt(15) lgkmcnt(1)
	v_mul_f64 v[148:149], v[140:141], v[46:47]
	v_add_f64 v[0:1], v[0:1], v[224:225]
	v_fmac_f64_e32 v[148:149], v[142:143], v[44:45]
	v_add_f64 v[0:1], v[0:1], v[148:149]
	ds_read_b128 v[148:151], v2 offset:1760
	v_accvgpr_write_b32 a145, v19
	v_mul_f64 v[154:155], v[218:219], v[154:155]
	v_accvgpr_write_b32 a144, v18
	v_accvgpr_write_b32 a143, v17
	;; [unrolled: 1-line block ×3, first 2 shown]
	v_fma_f64 v[16:17], v[216:217], v[152:153], -v[154:155]
	ds_read_b128 v[152:155], v2 offset:1776
	s_waitcnt vmcnt(14) lgkmcnt(2)
	v_mul_f64 v[224:225], v[144:145], v[50:51]
	v_fmac_f64_e32 v[224:225], v[146:147], v[48:49]
	s_waitcnt vmcnt(13) lgkmcnt(1)
	v_mul_f64 v[6:7], v[148:149], v[54:55]
	v_add_f64 v[0:1], v[0:1], v[224:225]
	v_fmac_f64_e32 v[6:7], v[150:151], v[52:53]
	v_accvgpr_write_b32 a141, v15
	v_add_f64 v[0:1], v[0:1], v[6:7]
	v_mul_f64 v[6:7], v[162:163], v[158:159]
	v_accvgpr_write_b32 a140, v14
	v_accvgpr_write_b32 a139, v13
	;; [unrolled: 1-line block ×3, first 2 shown]
	v_fma_f64 v[12:13], v[160:161], v[156:157], -v[6:7]
	s_waitcnt vmcnt(12) lgkmcnt(0)
	v_mul_f64 v[160:161], v[152:153], v[58:59]
	ds_read_b128 v[156:159], v2 offset:1792
	v_fmac_f64_e32 v[160:161], v[154:155], v[56:57]
	v_add_f64 v[0:1], v[0:1], v[160:161]
	ds_read_b128 v[160:163], v2 offset:1808
	v_accvgpr_write_b32 a137, v11
	v_mul_f64 v[166:167], v[222:223], v[166:167]
	v_accvgpr_write_b32 a136, v10
	v_accvgpr_write_b32 a135, v9
	;; [unrolled: 1-line block ×3, first 2 shown]
	v_fma_f64 v[8:9], v[220:221], v[164:165], -v[166:167]
	ds_read_b128 v[164:167], v2 offset:1824
	v_mul_f64 v[170:171], v[174:175], v[170:171]
	s_waitcnt vmcnt(11) lgkmcnt(2)
	v_mul_f64 v[216:217], v[156:157], v[62:63]
	v_fma_f64 v[250:251], v[172:173], v[168:169], -v[170:171]
	ds_read_b128 v[168:171], v2 offset:1840
	v_fmac_f64_e32 v[216:217], v[158:159], v[60:61]
	s_waitcnt vmcnt(10) lgkmcnt(2)
	v_mul_f64 v[10:11], v[160:161], v[66:67]
	v_add_f64 v[0:1], v[0:1], v[216:217]
	v_fmac_f64_e32 v[10:11], v[162:163], v[64:65]
	v_add_f64 v[0:1], v[0:1], v[10:11]
	s_waitcnt vmcnt(9) lgkmcnt(1)
	v_mul_f64 v[10:11], v[164:165], v[70:71]
	ds_read_b128 v[172:175], v2 offset:1856
	v_fmac_f64_e32 v[10:11], v[166:167], v[68:69]
	v_add_f64 v[0:1], v[0:1], v[10:11]
	s_waitcnt vmcnt(8) lgkmcnt(1)
	v_mul_f64 v[10:11], v[168:169], v[74:75]
	v_fmac_f64_e32 v[10:11], v[170:171], v[72:73]
	v_add_f64 v[0:1], v[0:1], v[10:11]
	v_mul_f64 v[10:11], v[214:215], v[178:179]
	v_fma_f64 v[6:7], v[212:213], v[176:177], -v[10:11]
	ds_read_b128 v[176:179], v2 offset:1872
	s_waitcnt vmcnt(7) lgkmcnt(1)
	v_mul_f64 v[10:11], v[172:173], v[78:79]
	v_fmac_f64_e32 v[10:11], v[174:175], v[76:77]
	v_add_f64 v[0:1], v[0:1], v[10:11]
	v_mul_f64 v[10:11], v[186:187], v[182:183]
	v_fma_f64 v[14:15], v[184:185], v[180:181], -v[10:11]
	ds_read_b128 v[180:183], v2 offset:1888
	ds_read_b128 v[184:187], v2 offset:1904
	s_waitcnt vmcnt(6) lgkmcnt(2)
	v_mul_f64 v[10:11], v[176:177], v[82:83]
	v_fmac_f64_e32 v[10:11], v[178:179], v[80:81]
	v_add_f64 v[0:1], v[0:1], v[10:11]
	s_waitcnt vmcnt(5) lgkmcnt(1)
	v_mul_f64 v[10:11], v[180:181], v[86:87]
	v_fmac_f64_e32 v[10:11], v[182:183], v[84:85]
	v_add_f64 v[10:11], v[0:1], v[10:11]
	v_mul_f64 v[0:1], v[198:199], v[190:191]
	v_fma_f64 v[4:5], v[196:197], v[188:189], -v[0:1]
	ds_read_b128 v[188:191], v2 offset:1920
	s_waitcnt vmcnt(4) lgkmcnt(1)
	v_mul_f64 v[196:197], v[184:185], v[90:91]
	v_fmac_f64_e32 v[196:197], v[186:187], v[88:89]
	v_mul_f64 v[194:195], v[210:211], v[194:195]
	v_fma_f64 v[18:19], v[208:209], v[192:193], -v[194:195]
	ds_read_b128 v[192:195], v2 offset:1936
	v_add_f64 v[10:11], v[10:11], v[196:197]
	s_waitcnt vmcnt(3) lgkmcnt(1)
	v_mul_f64 v[196:197], v[188:189], v[98:99]
	v_fmac_f64_e32 v[196:197], v[190:191], v[96:97]
	v_add_f64 v[208:209], v[10:11], v[196:197]
	ds_read_b128 v[196:199], v2 offset:1952
	v_mul_f64 v[10:11], v[206:207], v[202:203]
	v_fma_f64 v[10:11], v[204:205], v[200:201], -v[10:11]
	ds_read_b128 v[200:203], v2 offset:1968
	s_waitcnt vmcnt(2) lgkmcnt(2)
	v_mul_f64 v[204:205], v[192:193], v[94:95]
	v_fmac_f64_e32 v[204:205], v[194:195], v[92:93]
	s_waitcnt vmcnt(1) lgkmcnt(1)
	v_mul_f64 v[206:207], v[196:197], v[102:103]
	v_add_f64 v[204:205], v[208:209], v[204:205]
	v_fmac_f64_e32 v[206:207], v[198:199], v[100:101]
	v_add_f64 v[204:205], v[204:205], v[206:207]
	s_waitcnt vmcnt(0) lgkmcnt(0)
	v_mul_f64 v[206:207], v[200:201], v[106:107]
	v_fmac_f64_e32 v[206:207], v[202:203], v[104:105]
	v_add_f64 v[212:213], v[204:205], v[206:207]
	scratch_load_dwordx4 v[204:207], off, off offset:976
	scratch_load_dwordx4 v[232:235], off, off offset:1024
	ds_read_b128 v[208:211], v2 offset:1984
	ds_read_b128 v[216:219], v2 offset:2000
	;; [unrolled: 1-line block ×3, first 2 shown]
	s_waitcnt vmcnt(1) lgkmcnt(2)
	v_mul_f64 v[214:215], v[208:209], v[206:207]
	v_fmac_f64_e32 v[214:215], v[210:211], v[204:205]
	v_add_f64 v[220:221], v[212:213], v[214:215]
	scratch_load_dwordx4 v[212:215], off, off offset:992
	s_waitcnt vmcnt(0) lgkmcnt(1)
	v_mul_f64 v[222:223], v[216:217], v[214:215]
	v_fmac_f64_e32 v[222:223], v[218:219], v[212:213]
	v_add_f64 v[228:229], v[220:221], v[222:223]
	scratch_load_dwordx4 v[220:223], off, off offset:1008
	s_waitcnt vmcnt(0) lgkmcnt(0)
	v_mul_f64 v[230:231], v[224:225], v[222:223]
	v_fmac_f64_e32 v[230:231], v[226:227], v[220:221]
	v_add_f64 v[0:1], v[228:229], v[230:231]
	ds_read_b128 v[228:231], v2 offset:2032
	s_waitcnt lgkmcnt(0)
	v_mul_f64 v[2:3], v[228:229], v[234:235]
	v_fmac_f64_e32 v[2:3], v[230:231], v[232:233]
	v_add_f64 v[2:3], v[0:1], v[2:3]
	v_add_f64 v[0:1], v[240:241], 0
	;; [unrolled: 1-line block ×5, first 2 shown]
	scratch_load_dwordx4 v[236:239], off, off offset:288
	v_add_f64 v[0:1], v[0:1], v[244:245]
	v_add_f64 v[0:1], v[0:1], v[246:247]
	;; [unrolled: 1-line block ×9, first 2 shown]
	v_accvgpr_read_b32 v6, a130
	v_add_f64 v[0:1], v[0:1], v[14:15]
	v_accvgpr_read_b32 v8, a132
	v_accvgpr_read_b32 v9, a133
	v_add_f64 v[252:253], v[0:1], v[4:5]
	v_accvgpr_read_b32 v7, a131
	v_mul_f64 v[4:5], v[22:23], v[8:9]
	v_add_f64 v[0:1], v[252:253], v[18:19]
	v_fma_f64 v[4:5], v[20:21], v[6:7], -v[4:5]
	v_accvgpr_read_b32 v6, a134
	v_add_f64 v[0:1], v[0:1], v[10:11]
	v_accvgpr_read_b32 v8, a136
	v_accvgpr_read_b32 v9, a137
	v_add_f64 v[0:1], v[0:1], v[4:5]
	v_accvgpr_read_b32 v7, a135
	v_mul_f64 v[4:5], v[110:111], v[8:9]
	v_fma_f64 v[4:5], v[108:109], v[6:7], -v[4:5]
	v_accvgpr_read_b32 v6, a138
	v_accvgpr_read_b32 v8, a140
	;; [unrolled: 1-line block ×3, first 2 shown]
	v_add_f64 v[0:1], v[0:1], v[4:5]
	v_accvgpr_read_b32 v7, a139
	v_mul_f64 v[4:5], v[114:115], v[8:9]
	v_fma_f64 v[4:5], v[112:113], v[6:7], -v[4:5]
	v_accvgpr_read_b32 v6, a142
	v_accvgpr_read_b32 v8, a144
	;; [unrolled: 1-line block ×3, first 2 shown]
	v_add_f64 v[0:1], v[0:1], v[4:5]
	v_accvgpr_read_b32 v7, a143
	v_mul_f64 v[4:5], v[118:119], v[8:9]
	v_fma_f64 v[4:5], v[116:117], v[6:7], -v[4:5]
	v_add_f64 v[0:1], v[0:1], v[4:5]
	v_mul_f64 v[4:5], v[122:123], v[26:27]
	v_fma_f64 v[4:5], v[120:121], v[24:25], -v[4:5]
	v_add_f64 v[0:1], v[0:1], v[4:5]
	;; [unrolled: 3-line block ×26, first 2 shown]
	s_waitcnt vmcnt(0)
	v_add_f64 v[4:5], v[236:237], -v[0:1]
	v_add_f64 v[6:7], v[238:239], -v[2:3]
	scratch_store_dwordx4 off, v[4:7], off offset:288
	s_and_saveexec_b64 s[0:1], vcc
	s_cbranch_execz .LBB127_377
; %bb.376:
	scratch_load_dwordx4 v[2:5], off, s74
	v_mov_b32_e32 v6, 0
	v_mov_b32_e32 v7, v6
	;; [unrolled: 1-line block ×4, first 2 shown]
	v_accvgpr_read_b32 v0, a128
	scratch_store_dwordx4 off, v[6:9], off offset:272
	s_waitcnt vmcnt(1)
	ds_write_b128 v0, v[2:5]
.LBB127_377:
	s_or_b64 exec, exec, s[0:1]
	s_waitcnt lgkmcnt(0)
	; wave barrier
	scratch_load_dwordx4 v[68:71], off, off offset:288
	scratch_load_dwordx4 v[72:75], off, off offset:304
	;; [unrolled: 1-line block ×28, first 2 shown]
	v_mov_b32_e32 v2, 0
	ds_read_b128 v[124:127], v2 offset:1296
	ds_read_b128 v[128:131], v2 offset:1312
	;; [unrolled: 1-line block ×23, first 2 shown]
	v_cmp_lt_u32_e32 vcc, 15, v254
	s_waitcnt vmcnt(27) lgkmcnt(14)
	v_mul_f64 v[0:1], v[124:125], v[70:71]
	s_waitcnt vmcnt(26)
	v_mul_f64 v[40:41], v[128:129], v[74:75]
	v_fmac_f64_e32 v[0:1], v[126:127], v[68:69]
	s_waitcnt vmcnt(25)
	v_mul_f64 v[42:43], v[132:133], v[78:79]
	v_fmac_f64_e32 v[40:41], v[130:131], v[72:73]
	v_add_f64 v[0:1], v[0:1], 0
	s_waitcnt vmcnt(24)
	v_mul_f64 v[44:45], v[136:137], v[82:83]
	v_fmac_f64_e32 v[42:43], v[134:135], v[76:77]
	v_add_f64 v[0:1], v[0:1], v[40:41]
	;; [unrolled: 4-line block ×7, first 2 shown]
	s_waitcnt vmcnt(18) lgkmcnt(13)
	v_mul_f64 v[56:57], v[200:201], v[146:147]
	v_fmac_f64_e32 v[54:55], v[194:195], v[112:113]
	v_add_f64 v[0:1], v[0:1], v[52:53]
	s_waitcnt vmcnt(17) lgkmcnt(12)
	v_mul_f64 v[58:59], v[204:205], v[150:151]
	v_fmac_f64_e32 v[56:57], v[202:203], v[144:145]
	v_add_f64 v[0:1], v[0:1], v[54:55]
	;; [unrolled: 4-line block ×7, first 2 shown]
	scratch_load_dwordx4 v[40:43], off, off offset:736
	scratch_load_dwordx4 v[44:47], off, off offset:752
	s_waitcnt vmcnt(13) lgkmcnt(6)
	v_mul_f64 v[102:103], v[228:229], v[186:187]
	v_fmac_f64_e32 v[100:101], v[226:227], v[176:177]
	v_add_f64 v[0:1], v[0:1], v[66:67]
	v_add_f64 v[0:1], v[0:1], v[100:101]
	v_fmac_f64_e32 v[102:103], v[230:231], v[184:185]
	v_add_f64 v[0:1], v[0:1], v[102:103]
	ds_read_b128 v[100:103], v2 offset:1600
	s_waitcnt vmcnt(12) lgkmcnt(6)
	v_mul_f64 v[48:49], v[242:243], v[190:191]
	v_fmac_f64_e32 v[48:49], v[244:245], v[188:189]
	v_add_f64 v[0:1], v[0:1], v[48:49]
	s_waitcnt vmcnt(11) lgkmcnt(5)
	v_mul_f64 v[48:49], v[248:249], v[198:199]
	v_fmac_f64_e32 v[48:49], v[250:251], v[196:197]
	v_add_f64 v[0:1], v[0:1], v[48:49]
	scratch_load_dwordx4 v[48:51], off, off offset:768
	scratch_load_dwordx4 v[52:55], off, off offset:784
	s_waitcnt vmcnt(12) lgkmcnt(0)
	v_mul_f64 v[56:57], v[100:101], v[6:7]
	v_accvgpr_write_b32 a133, v7
	v_fmac_f64_e32 v[56:57], v[102:103], v[4:5]
	v_accvgpr_write_b32 a132, v6
	v_accvgpr_write_b32 a131, v5
	;; [unrolled: 1-line block ×3, first 2 shown]
	s_waitcnt vmcnt(11)
	v_mov_b64_e32 v[4:5], v[8:9]
	v_mov_b64_e32 v[6:7], v[10:11]
	v_add_f64 v[0:1], v[0:1], v[56:57]
	v_mul_f64 v[56:57], v[104:105], v[6:7]
	v_fmac_f64_e32 v[56:57], v[106:107], v[4:5]
	v_add_f64 v[0:1], v[0:1], v[56:57]
	scratch_load_dwordx4 v[56:59], off, off offset:800
	s_waitcnt vmcnt(11)
	v_mov_b64_e32 v[4:5], v[12:13]
	v_mov_b64_e32 v[6:7], v[14:15]
	v_mul_f64 v[60:61], v[108:109], v[6:7]
	v_fmac_f64_e32 v[60:61], v[110:111], v[4:5]
	s_waitcnt vmcnt(10)
	v_mov_b64_e32 v[4:5], v[16:17]
	v_mov_b64_e32 v[6:7], v[18:19]
	v_add_f64 v[0:1], v[0:1], v[60:61]
	scratch_load_dwordx4 v[60:63], off, off offset:816
	v_mul_f64 v[64:65], v[116:117], v[6:7]
	v_fmac_f64_e32 v[64:65], v[118:119], v[4:5]
	v_add_f64 v[0:1], v[0:1], v[64:65]
	scratch_load_dwordx4 v[64:67], off, off offset:832
	v_mul_f64 v[70:71], v[126:127], v[70:71]
	s_waitcnt vmcnt(11)
	v_mov_b64_e32 v[4:5], v[20:21]
	v_fma_f64 v[240:241], v[124:125], v[68:69], -v[70:71]
	v_mov_b64_e32 v[6:7], v[22:23]
	scratch_load_dwordx4 v[68:71], off, off offset:848
	v_mul_f64 v[124:125], v[120:121], v[6:7]
	v_mul_f64 v[74:75], v[130:131], v[74:75]
	v_fmac_f64_e32 v[124:125], v[122:123], v[4:5]
	v_fma_f64 v[246:247], v[128:129], v[72:73], -v[74:75]
	scratch_load_dwordx4 v[72:75], off, off offset:864
	v_mul_f64 v[78:79], v[134:135], v[78:79]
	v_add_f64 v[0:1], v[0:1], v[124:125]
	ds_read_b128 v[124:127], v2 offset:1680
	ds_read_b128 v[128:131], v2 offset:1696
	v_fma_f64 v[252:253], v[132:133], v[76:77], -v[78:79]
	v_mul_f64 v[76:77], v[138:139], v[82:83]
	v_fma_f64 v[232:233], v[136:137], v[80:81], -v[76:77]
	scratch_load_dwordx4 v[76:79], off, off offset:880
	s_waitcnt vmcnt(13) lgkmcnt(1)
	v_mul_f64 v[132:133], v[124:125], v[236:237]
	v_fmac_f64_e32 v[132:133], v[126:127], v[234:235]
	v_add_f64 v[0:1], v[0:1], v[132:133]
	s_waitcnt vmcnt(12) lgkmcnt(0)
	v_mul_f64 v[132:133], v[128:129], v[30:31]
	scratch_load_dwordx4 v[80:83], off, off offset:896
	v_fmac_f64_e32 v[132:133], v[130:131], v[28:29]
	v_mul_f64 v[86:87], v[142:143], v[86:87]
	v_add_f64 v[0:1], v[0:1], v[132:133]
	v_fma_f64 v[238:239], v[140:141], v[84:85], -v[86:87]
	ds_read_b128 v[132:135], v2 offset:1712
	v_mul_f64 v[84:85], v[158:159], v[90:91]
	v_fma_f64 v[24:25], v[156:157], v[88:89], -v[84:85]
	scratch_load_dwordx4 v[88:91], off, off offset:912
	scratch_load_dwordx4 v[84:87], off, off offset:928
	v_accvgpr_write_b32 a149, v23
	v_mul_f64 v[6:7], v[170:171], v[94:95]
	v_accvgpr_write_b32 a148, v22
	v_accvgpr_write_b32 a147, v21
	;; [unrolled: 1-line block ×3, first 2 shown]
	v_fma_f64 v[20:21], v[168:169], v[92:93], -v[6:7]
	s_waitcnt vmcnt(14) lgkmcnt(0)
	v_mul_f64 v[6:7], v[132:133], v[34:35]
	v_fmac_f64_e32 v[6:7], v[134:135], v[32:33]
	v_accvgpr_write_b32 a145, v19
	v_add_f64 v[0:1], v[0:1], v[6:7]
	v_mul_f64 v[6:7], v[182:183], v[98:99]
	v_accvgpr_write_b32 a144, v18
	v_accvgpr_write_b32 a143, v17
	;; [unrolled: 1-line block ×3, first 2 shown]
	ds_read_b128 v[136:139], v2 offset:1728
	v_fma_f64 v[16:17], v[180:181], v[96:97], -v[6:7]
	scratch_load_dwordx4 v[96:99], off, off offset:944
	scratch_load_dwordx4 v[92:95], off, off offset:960
	v_accvgpr_write_b32 a141, v15
	v_mul_f64 v[6:7], v[194:195], v[114:115]
	v_accvgpr_write_b32 a140, v14
	v_accvgpr_write_b32 a139, v13
	;; [unrolled: 1-line block ×3, first 2 shown]
	v_fma_f64 v[12:13], v[192:193], v[112:113], -v[6:7]
	scratch_load_dwordx4 v[112:115], off, off offset:976
	ds_read_b128 v[140:143], v2 offset:1744
	s_waitcnt vmcnt(16) lgkmcnt(1)
	v_mul_f64 v[6:7], v[136:137], v[38:39]
	v_fmac_f64_e32 v[6:7], v[138:139], v[36:37]
	v_add_f64 v[0:1], v[0:1], v[6:7]
	v_mul_f64 v[6:7], v[202:203], v[146:147]
	v_fma_f64 v[14:15], v[200:201], v[144:145], -v[6:7]
	ds_read_b128 v[144:147], v2 offset:1760
	s_waitcnt vmcnt(15) lgkmcnt(1)
	v_mul_f64 v[6:7], v[140:141], v[42:43]
	v_fmac_f64_e32 v[6:7], v[142:143], v[40:41]
	v_accvgpr_write_b32 a137, v11
	v_add_f64 v[0:1], v[0:1], v[6:7]
	v_mul_f64 v[6:7], v[206:207], v[150:151]
	v_accvgpr_write_b32 a136, v10
	v_accvgpr_write_b32 a135, v9
	;; [unrolled: 1-line block ×3, first 2 shown]
	v_fma_f64 v[10:11], v[204:205], v[148:149], -v[6:7]
	ds_read_b128 v[148:151], v2 offset:1776
	v_mul_f64 v[18:19], v[210:211], v[154:155]
	v_fma_f64 v[18:19], v[208:209], v[152:153], -v[18:19]
	ds_read_b128 v[152:155], v2 offset:1792
	s_waitcnt vmcnt(14) lgkmcnt(2)
	v_mul_f64 v[6:7], v[144:145], v[46:47]
	v_fmac_f64_e32 v[6:7], v[146:147], v[44:45]
	v_add_f64 v[0:1], v[0:1], v[6:7]
	s_waitcnt vmcnt(13) lgkmcnt(1)
	v_mul_f64 v[6:7], v[148:149], v[50:51]
	ds_read_b128 v[156:159], v2 offset:1808
	v_fmac_f64_e32 v[6:7], v[150:151], v[48:49]
	v_add_f64 v[0:1], v[0:1], v[6:7]
	s_waitcnt vmcnt(12) lgkmcnt(1)
	v_mul_f64 v[6:7], v[152:153], v[54:55]
	v_fmac_f64_e32 v[6:7], v[154:155], v[52:53]
	v_add_f64 v[0:1], v[0:1], v[6:7]
	v_mul_f64 v[6:7], v[214:215], v[162:163]
	v_fma_f64 v[8:9], v[212:213], v[160:161], -v[6:7]
	ds_read_b128 v[160:163], v2 offset:1824
	s_waitcnt vmcnt(11) lgkmcnt(1)
	v_mul_f64 v[6:7], v[156:157], v[58:59]
	v_fmac_f64_e32 v[6:7], v[158:159], v[56:57]
	v_add_f64 v[0:1], v[0:1], v[6:7]
	v_mul_f64 v[6:7], v[218:219], v[166:167]
	v_fma_f64 v[22:23], v[216:217], v[164:165], -v[6:7]
	ds_read_b128 v[164:167], v2 offset:1840
	ds_read_b128 v[168:171], v2 offset:1856
	s_waitcnt vmcnt(10) lgkmcnt(2)
	v_mul_f64 v[6:7], v[160:161], v[62:63]
	v_fmac_f64_e32 v[6:7], v[162:163], v[60:61]
	v_add_f64 v[0:1], v[0:1], v[6:7]
	s_waitcnt vmcnt(9) lgkmcnt(1)
	v_mul_f64 v[6:7], v[164:165], v[66:67]
	v_fmac_f64_e32 v[6:7], v[166:167], v[64:65]
	v_add_f64 v[0:1], v[0:1], v[6:7]
	v_mul_f64 v[6:7], v[222:223], v[174:175]
	v_fma_f64 v[4:5], v[220:221], v[172:173], -v[6:7]
	ds_read_b128 v[172:175], v2 offset:1872
	v_mul_f64 v[6:7], v[226:227], v[178:179]
	v_fma_f64 v[6:7], v[224:225], v[176:177], -v[6:7]
	ds_read_b128 v[176:179], v2 offset:1888
	s_waitcnt vmcnt(8) lgkmcnt(2)
	v_mul_f64 v[26:27], v[168:169], v[70:71]
	v_fmac_f64_e32 v[26:27], v[170:171], v[68:69]
	v_add_f64 v[0:1], v[0:1], v[26:27]
	s_waitcnt vmcnt(7) lgkmcnt(1)
	v_mul_f64 v[26:27], v[172:173], v[74:75]
	v_fmac_f64_e32 v[26:27], v[174:175], v[72:73]
	v_add_f64 v[0:1], v[0:1], v[26:27]
	s_waitcnt vmcnt(6) lgkmcnt(0)
	v_mul_f64 v[26:27], v[176:177], v[78:79]
	v_fmac_f64_e32 v[26:27], v[178:179], v[76:77]
	ds_read_b128 v[180:183], v2 offset:1904
	v_add_f64 v[26:27], v[0:1], v[26:27]
	v_mul_f64 v[0:1], v[230:231], v[186:187]
	v_fma_f64 v[0:1], v[228:229], v[184:185], -v[0:1]
	ds_read_b128 v[184:187], v2 offset:1920
	s_waitcnt vmcnt(5) lgkmcnt(1)
	v_mul_f64 v[192:193], v[180:181], v[82:83]
	v_fmac_f64_e32 v[192:193], v[182:183], v[80:81]
	v_mul_f64 v[190:191], v[244:245], v[190:191]
	v_add_f64 v[26:27], v[26:27], v[192:193]
	v_fma_f64 v[242:243], v[242:243], v[188:189], -v[190:191]
	ds_read_b128 v[188:191], v2 offset:1936
	s_waitcnt vmcnt(4) lgkmcnt(1)
	v_mul_f64 v[192:193], v[184:185], v[90:91]
	v_fmac_f64_e32 v[192:193], v[186:187], v[88:89]
	v_add_f64 v[26:27], v[26:27], v[192:193]
	ds_read_b128 v[192:195], v2 offset:1952
	v_mul_f64 v[198:199], v[250:251], v[198:199]
	v_fma_f64 v[248:249], v[248:249], v[196:197], -v[198:199]
	ds_read_b128 v[196:199], v2 offset:1968
	ds_read_b128 v[208:211], v2 offset:2000
	s_waitcnt vmcnt(3) lgkmcnt(3)
	v_mul_f64 v[200:201], v[188:189], v[86:87]
	v_fmac_f64_e32 v[200:201], v[190:191], v[84:85]
	v_add_f64 v[26:27], v[26:27], v[200:201]
	s_waitcnt vmcnt(2) lgkmcnt(2)
	v_mul_f64 v[200:201], v[192:193], v[98:99]
	v_fmac_f64_e32 v[200:201], v[194:195], v[96:97]
	v_add_f64 v[26:27], v[26:27], v[200:201]
	;; [unrolled: 4-line block ×3, first 2 shown]
	ds_read_b128 v[200:203], v2 offset:1984
	ds_read_b128 v[216:219], v2 offset:2016
	ds_read_b128 v[224:227], v2 offset:2032
	s_waitcnt vmcnt(0) lgkmcnt(2)
	v_mul_f64 v[204:205], v[200:201], v[114:115]
	v_fmac_f64_e32 v[204:205], v[202:203], v[112:113]
	v_add_f64 v[26:27], v[26:27], v[204:205]
	scratch_load_dwordx4 v[204:207], off, off offset:992
	s_waitcnt vmcnt(0)
	v_mul_f64 v[212:213], v[208:209], v[206:207]
	v_fmac_f64_e32 v[212:213], v[210:211], v[204:205]
	v_add_f64 v[26:27], v[26:27], v[212:213]
	scratch_load_dwordx4 v[212:215], off, off offset:1008
	s_waitcnt vmcnt(0) lgkmcnt(1)
	v_mul_f64 v[220:221], v[216:217], v[214:215]
	v_fmac_f64_e32 v[220:221], v[218:219], v[212:213]
	v_add_f64 v[26:27], v[26:27], v[220:221]
	scratch_load_dwordx4 v[220:223], off, off offset:1024
	s_waitcnt vmcnt(0) lgkmcnt(0)
	v_mul_f64 v[228:229], v[224:225], v[222:223]
	v_fmac_f64_e32 v[228:229], v[226:227], v[220:221]
	v_add_f64 v[244:245], v[26:27], v[228:229]
	scratch_load_dwordx4 v[228:231], off, off offset:272
	v_add_f64 v[26:27], v[240:241], 0
	v_add_f64 v[26:27], v[26:27], v[246:247]
	;; [unrolled: 1-line block ×16, first 2 shown]
	v_accvgpr_read_b32 v6, a130
	v_accvgpr_read_b32 v8, a132
	;; [unrolled: 1-line block ×3, first 2 shown]
	v_add_f64 v[0:1], v[4:5], v[0:1]
	v_accvgpr_read_b32 v7, a131
	v_mul_f64 v[4:5], v[102:103], v[8:9]
	v_add_f64 v[0:1], v[0:1], v[242:243]
	v_fma_f64 v[4:5], v[100:101], v[6:7], -v[4:5]
	v_accvgpr_read_b32 v6, a134
	v_add_f64 v[0:1], v[0:1], v[248:249]
	v_accvgpr_read_b32 v8, a136
	v_accvgpr_read_b32 v9, a137
	v_add_f64 v[0:1], v[0:1], v[4:5]
	v_accvgpr_read_b32 v7, a135
	v_mul_f64 v[4:5], v[106:107], v[8:9]
	v_fma_f64 v[4:5], v[104:105], v[6:7], -v[4:5]
	v_accvgpr_read_b32 v6, a138
	v_accvgpr_read_b32 v8, a140
	v_accvgpr_read_b32 v9, a141
	v_add_f64 v[0:1], v[0:1], v[4:5]
	v_accvgpr_read_b32 v7, a139
	v_mul_f64 v[4:5], v[110:111], v[8:9]
	v_fma_f64 v[4:5], v[108:109], v[6:7], -v[4:5]
	v_accvgpr_read_b32 v6, a142
	;; [unrolled: 7-line block ×3, first 2 shown]
	v_accvgpr_read_b32 v8, a148
	v_accvgpr_read_b32 v9, a149
	v_add_f64 v[0:1], v[0:1], v[4:5]
	v_accvgpr_read_b32 v7, a147
	v_mul_f64 v[4:5], v[122:123], v[8:9]
	v_fma_f64 v[4:5], v[120:121], v[6:7], -v[4:5]
	v_add_f64 v[0:1], v[0:1], v[4:5]
	v_mul_f64 v[4:5], v[126:127], v[236:237]
	v_fma_f64 v[4:5], v[124:125], v[234:235], -v[4:5]
	v_add_f64 v[0:1], v[0:1], v[4:5]
	v_mul_f64 v[4:5], v[130:131], v[30:31]
	v_fma_f64 v[4:5], v[128:129], v[28:29], -v[4:5]
	v_add_f64 v[0:1], v[0:1], v[4:5]
	v_mul_f64 v[4:5], v[134:135], v[34:35]
	v_fma_f64 v[4:5], v[132:133], v[32:33], -v[4:5]
	v_add_f64 v[0:1], v[0:1], v[4:5]
	v_mul_f64 v[4:5], v[138:139], v[38:39]
	v_fma_f64 v[4:5], v[136:137], v[36:37], -v[4:5]
	v_add_f64 v[0:1], v[0:1], v[4:5]
	v_mul_f64 v[4:5], v[142:143], v[42:43]
	v_fma_f64 v[4:5], v[140:141], v[40:41], -v[4:5]
	v_add_f64 v[0:1], v[0:1], v[4:5]
	v_mul_f64 v[4:5], v[146:147], v[46:47]
	v_fma_f64 v[4:5], v[144:145], v[44:45], -v[4:5]
	v_add_f64 v[0:1], v[0:1], v[4:5]
	v_mul_f64 v[4:5], v[150:151], v[50:51]
	v_fma_f64 v[4:5], v[148:149], v[48:49], -v[4:5]
	v_add_f64 v[0:1], v[0:1], v[4:5]
	v_mul_f64 v[4:5], v[154:155], v[54:55]
	v_fma_f64 v[4:5], v[152:153], v[52:53], -v[4:5]
	v_add_f64 v[0:1], v[0:1], v[4:5]
	v_mul_f64 v[4:5], v[158:159], v[58:59]
	v_fma_f64 v[4:5], v[156:157], v[56:57], -v[4:5]
	v_add_f64 v[0:1], v[0:1], v[4:5]
	v_mul_f64 v[4:5], v[162:163], v[62:63]
	v_fma_f64 v[4:5], v[160:161], v[60:61], -v[4:5]
	v_add_f64 v[0:1], v[0:1], v[4:5]
	v_mul_f64 v[4:5], v[166:167], v[66:67]
	v_fma_f64 v[4:5], v[164:165], v[64:65], -v[4:5]
	v_add_f64 v[0:1], v[0:1], v[4:5]
	v_mul_f64 v[4:5], v[170:171], v[70:71]
	v_fma_f64 v[4:5], v[168:169], v[68:69], -v[4:5]
	v_add_f64 v[0:1], v[0:1], v[4:5]
	v_mul_f64 v[4:5], v[174:175], v[74:75]
	v_fma_f64 v[4:5], v[172:173], v[72:73], -v[4:5]
	v_add_f64 v[0:1], v[0:1], v[4:5]
	v_mul_f64 v[4:5], v[178:179], v[78:79]
	v_fma_f64 v[4:5], v[176:177], v[76:77], -v[4:5]
	v_add_f64 v[0:1], v[0:1], v[4:5]
	v_mul_f64 v[4:5], v[182:183], v[82:83]
	v_fma_f64 v[4:5], v[180:181], v[80:81], -v[4:5]
	v_add_f64 v[0:1], v[0:1], v[4:5]
	v_mul_f64 v[4:5], v[186:187], v[90:91]
	v_fma_f64 v[4:5], v[184:185], v[88:89], -v[4:5]
	v_add_f64 v[0:1], v[0:1], v[4:5]
	v_mul_f64 v[4:5], v[190:191], v[86:87]
	v_fma_f64 v[4:5], v[188:189], v[84:85], -v[4:5]
	v_add_f64 v[0:1], v[0:1], v[4:5]
	v_mul_f64 v[4:5], v[194:195], v[98:99]
	v_fma_f64 v[4:5], v[192:193], v[96:97], -v[4:5]
	v_add_f64 v[0:1], v[0:1], v[4:5]
	v_mul_f64 v[4:5], v[198:199], v[94:95]
	v_fma_f64 v[4:5], v[196:197], v[92:93], -v[4:5]
	v_add_f64 v[0:1], v[0:1], v[4:5]
	v_mul_f64 v[4:5], v[202:203], v[114:115]
	v_fma_f64 v[4:5], v[200:201], v[112:113], -v[4:5]
	v_add_f64 v[0:1], v[0:1], v[4:5]
	v_mul_f64 v[4:5], v[210:211], v[206:207]
	v_fma_f64 v[4:5], v[208:209], v[204:205], -v[4:5]
	v_add_f64 v[0:1], v[0:1], v[4:5]
	v_mul_f64 v[4:5], v[218:219], v[214:215]
	v_fma_f64 v[4:5], v[216:217], v[212:213], -v[4:5]
	v_add_f64 v[0:1], v[0:1], v[4:5]
	v_mul_f64 v[4:5], v[226:227], v[222:223]
	v_fma_f64 v[4:5], v[224:225], v[220:221], -v[4:5]
	v_add_f64 v[0:1], v[0:1], v[4:5]
	s_waitcnt vmcnt(0)
	v_add_f64 v[4:5], v[228:229], -v[0:1]
	v_add_f64 v[6:7], v[230:231], -v[244:245]
	scratch_store_dwordx4 off, v[4:7], off offset:272
	s_and_saveexec_b64 s[0:1], vcc
	s_cbranch_execz .LBB127_379
; %bb.378:
	scratch_load_dwordx4 v[6:9], off, s75
	v_mov_b32_e32 v3, v2
	v_mov_b32_e32 v4, v2
	;; [unrolled: 1-line block ×3, first 2 shown]
	v_accvgpr_read_b32 v0, a128
	scratch_store_dwordx4 off, v[2:5], off offset:256
	s_waitcnt vmcnt(1)
	ds_write_b128 v0, v[6:9]
.LBB127_379:
	s_or_b64 exec, exec, s[0:1]
	s_waitcnt lgkmcnt(0)
	; wave barrier
	scratch_load_dwordx4 v[40:43], off, off offset:272
	scratch_load_dwordx4 v[44:47], off, off offset:288
	scratch_load_dwordx4 v[48:51], off, off offset:304
	scratch_load_dwordx4 v[52:55], off, off offset:320
	scratch_load_dwordx4 v[56:59], off, off offset:336
	scratch_load_dwordx4 v[60:63], off, off offset:352
	scratch_load_dwordx4 v[64:67], off, off offset:368
	scratch_load_dwordx4 v[68:71], off, off offset:384
	scratch_load_dwordx4 v[76:79], off, off offset:400
	scratch_load_dwordx4 v[80:83], off, off offset:416
	scratch_load_dwordx4 v[84:87], off, off offset:432
	scratch_load_dwordx4 v[88:91], off, off offset:448
	scratch_load_dwordx4 v[92:95], off, off offset:464
	scratch_load_dwordx4 v[96:99], off, off offset:480
	scratch_load_dwordx4 v[100:103], off, off offset:496
	scratch_load_dwordx4 v[104:107], off, off offset:512
	scratch_load_dwordx4 v[112:115], off, off offset:528
	scratch_load_dwordx4 v[136:139], off, off offset:544
	ds_read_b128 v[164:167], v2 offset:1280
	ds_read_b128 v[232:235], v2 offset:1296
	;; [unrolled: 1-line block ×6, first 2 shown]
	scratch_load_dwordx4 v[140:143], off, off offset:560
	ds_read_b128 v[224:227], v2 offset:1376
	ds_read_b128 v[212:215], v2 offset:1392
	;; [unrolled: 1-line block ×3, first 2 shown]
	scratch_load_dwordx4 v[4:7], off, off offset:576
	ds_read_b128 v[228:231], v2 offset:1424
	ds_read_b128 v[216:219], v2 offset:1440
	;; [unrolled: 1-line block ×5, first 2 shown]
	scratch_load_dwordx4 v[8:11], off, off offset:592
	ds_read_b128 v[208:211], v2 offset:1504
	ds_read_b128 v[196:199], v2 offset:1520
	;; [unrolled: 1-line block ×3, first 2 shown]
	scratch_load_dwordx4 v[12:15], off, off offset:608
	ds_read_b128 v[200:203], v2 offset:1552
	scratch_load_dwordx4 v[16:19], off, off offset:624
	scratch_load_dwordx4 v[20:23], off, off offset:640
	;; [unrolled: 1-line block ×7, first 2 shown]
	ds_read_b128 v[236:239], v2 offset:1568
	ds_read_b128 v[156:159], v2 offset:1632
	;; [unrolled: 1-line block ×3, first 2 shown]
	v_cmp_lt_u32_e32 vcc, 14, v254
	ds_read_b128 v[152:155], v2 offset:1616
	s_waitcnt vmcnt(28) lgkmcnt(14)
	v_mul_f64 v[0:1], v[164:165], v[42:43]
	s_waitcnt vmcnt(27)
	v_mul_f64 v[108:109], v[232:233], v[46:47]
	v_fmac_f64_e32 v[0:1], v[166:167], v[40:41]
	s_waitcnt vmcnt(26)
	v_mul_f64 v[110:111], v[168:169], v[50:51]
	v_fmac_f64_e32 v[108:109], v[234:235], v[44:45]
	v_add_f64 v[0:1], v[0:1], 0
	s_waitcnt vmcnt(25)
	v_mul_f64 v[116:117], v[220:221], v[54:55]
	v_fmac_f64_e32 v[110:111], v[170:171], v[48:49]
	v_add_f64 v[0:1], v[0:1], v[108:109]
	;; [unrolled: 4-line block ×6, first 2 shown]
	s_waitcnt vmcnt(20) lgkmcnt(13)
	v_mul_f64 v[126:127], v[180:181], v[78:79]
	v_fmac_f64_e32 v[124:125], v[214:215], v[68:69]
	v_add_f64 v[0:1], v[0:1], v[122:123]
	s_waitcnt vmcnt(19) lgkmcnt(12)
	v_mul_f64 v[128:129], v[228:229], v[82:83]
	v_fmac_f64_e32 v[126:127], v[182:183], v[76:77]
	v_add_f64 v[0:1], v[0:1], v[124:125]
	;; [unrolled: 4-line block ×9, first 2 shown]
	v_add_f64 v[0:1], v[0:1], v[148:149]
	v_fmac_f64_e32 v[150:151], v[186:187], v[112:113]
	s_waitcnt vmcnt(11) lgkmcnt(4)
	v_mul_f64 v[116:117], v[200:201], v[138:139]
	ds_read_b128 v[144:147], v2 offset:1584
	v_add_f64 v[0:1], v[0:1], v[150:151]
	v_fmac_f64_e32 v[116:117], v[202:203], v[136:137]
	scratch_load_dwordx4 v[108:111], off, off offset:736
	v_add_f64 v[0:1], v[0:1], v[116:117]
	s_waitcnt vmcnt(11) lgkmcnt(4)
	v_mul_f64 v[116:117], v[236:237], v[142:143]
	ds_read_b128 v[148:151], v2 offset:1600
	v_fmac_f64_e32 v[116:117], v[238:239], v[140:141]
	v_add_f64 v[0:1], v[0:1], v[116:117]
	scratch_load_dwordx4 v[116:119], off, off offset:752
	s_waitcnt vmcnt(11) lgkmcnt(1)
	v_mul_f64 v[124:125], v[144:145], v[6:7]
	scratch_load_dwordx4 v[120:123], off, off offset:768
	v_fmac_f64_e32 v[124:125], v[146:147], v[4:5]
	v_add_f64 v[0:1], v[0:1], v[124:125]
	s_waitcnt vmcnt(11) lgkmcnt(0)
	v_mul_f64 v[124:125], v[148:149], v[10:11]
	v_fmac_f64_e32 v[124:125], v[150:151], v[8:9]
	v_add_f64 v[0:1], v[0:1], v[124:125]
	scratch_load_dwordx4 v[124:127], off, off offset:784
	s_waitcnt vmcnt(11)
	v_mul_f64 v[128:129], v[152:153], v[14:15]
	v_fmac_f64_e32 v[128:129], v[154:155], v[12:13]
	v_add_f64 v[0:1], v[0:1], v[128:129]
	scratch_load_dwordx4 v[128:131], off, off offset:800
	s_waitcnt vmcnt(11)
	v_mul_f64 v[132:133], v[156:157], v[18:19]
	v_fmac_f64_e32 v[132:133], v[158:159], v[16:17]
	v_add_f64 v[0:1], v[0:1], v[132:133]
	scratch_load_dwordx4 v[132:135], off, off offset:816
	v_mul_f64 v[42:43], v[166:167], v[42:43]
	v_fma_f64 v[240:241], v[164:165], v[40:41], -v[42:43]
	scratch_load_dwordx4 v[40:43], off, off offset:832
	v_mul_f64 v[46:47], v[234:235], v[46:47]
	v_fma_f64 v[242:243], v[232:233], v[44:45], -v[46:47]
	;; [unrolled: 3-line block ×3, first 2 shown]
	v_mul_f64 v[48:49], v[222:223], v[54:55]
	v_fma_f64 v[246:247], v[220:221], v[52:53], -v[48:49]
	scratch_load_dwordx4 v[48:51], off, off offset:864
	scratch_load_dwordx4 v[52:55], off, off offset:880
	s_waitcnt vmcnt(15)
	v_mul_f64 v[164:165], v[160:161], v[22:23]
	v_fmac_f64_e32 v[164:165], v[162:163], v[20:21]
	v_add_f64 v[0:1], v[0:1], v[164:165]
	ds_read_b128 v[164:167], v2 offset:1664
	ds_read_b128 v[168:171], v2 offset:1680
	v_mul_f64 v[58:59], v[174:175], v[58:59]
	v_fma_f64 v[252:253], v[172:173], v[56:57], -v[58:59]
	ds_read_b128 v[172:175], v2 offset:1696
	v_mul_f64 v[56:57], v[178:179], v[62:63]
	v_fma_f64 v[248:249], v[176:177], v[60:61], -v[56:57]
	scratch_load_dwordx4 v[60:63], off, off offset:896
	scratch_load_dwordx4 v[56:59], off, off offset:912
	s_waitcnt vmcnt(16) lgkmcnt(2)
	v_mul_f64 v[232:233], v[164:165], v[38:39]
	s_waitcnt vmcnt(15) lgkmcnt(1)
	v_mul_f64 v[220:221], v[168:169], v[34:35]
	v_accvgpr_write_b32 a157, v35
	v_accvgpr_write_b32 a137, v7
	v_fmac_f64_e32 v[232:233], v[166:167], v[36:37]
	v_fmac_f64_e32 v[220:221], v[170:171], v[32:33]
	v_accvgpr_write_b32 a156, v34
	v_accvgpr_write_b32 a155, v33
	;; [unrolled: 1-line block ×3, first 2 shown]
	s_waitcnt vmcnt(14)
	v_mov_b64_e32 v[34:35], v[30:31]
	v_accvgpr_write_b32 a136, v6
	v_accvgpr_write_b32 a135, v5
	;; [unrolled: 1-line block ×3, first 2 shown]
	v_add_f64 v[0:1], v[0:1], v[232:233]
	v_mov_b64_e32 v[32:33], v[28:29]
	s_waitcnt lgkmcnt(0)
	v_mul_f64 v[6:7], v[172:173], v[34:35]
	v_add_f64 v[0:1], v[0:1], v[220:221]
	v_fmac_f64_e32 v[6:7], v[174:175], v[32:33]
	v_accvgpr_write_b32 a153, v23
	v_mul_f64 v[66:67], v[226:227], v[66:67]
	v_add_f64 v[0:1], v[0:1], v[6:7]
	v_mul_f64 v[6:7], v[214:215], v[70:71]
	v_accvgpr_write_b32 a152, v22
	v_accvgpr_write_b32 a151, v21
	;; [unrolled: 1-line block ×3, first 2 shown]
	v_fma_f64 v[24:25], v[224:225], v[64:65], -v[66:67]
	ds_read_b128 v[176:179], v2 offset:1712
	v_fma_f64 v[20:21], v[212:213], v[68:69], -v[6:7]
	scratch_load_dwordx4 v[68:71], off, off offset:928
	scratch_load_dwordx4 v[64:67], off, off offset:944
	v_accvgpr_write_b32 a149, v19
	v_mul_f64 v[78:79], v[182:183], v[78:79]
	v_accvgpr_write_b32 a148, v18
	v_accvgpr_write_b32 a147, v17
	;; [unrolled: 1-line block ×3, first 2 shown]
	v_fma_f64 v[16:17], v[180:181], v[76:77], -v[78:79]
	scratch_load_dwordx4 v[76:79], off, off offset:960
	s_waitcnt vmcnt(16)
	v_accvgpr_read_b32 v28, a130
	v_accvgpr_write_b32 a141, v11
	v_accvgpr_read_b32 v30, a132
	v_accvgpr_read_b32 v31, a133
	v_accvgpr_write_b32 a140, v10
	v_accvgpr_write_b32 a139, v9
	;; [unrolled: 1-line block ×3, first 2 shown]
	v_accvgpr_read_b32 v29, a131
	s_waitcnt lgkmcnt(0)
	v_mul_f64 v[10:11], v[176:177], v[30:31]
	v_fmac_f64_e32 v[10:11], v[178:179], v[28:29]
	v_accvgpr_write_b32 a145, v15
	ds_read_b128 v[180:183], v2 offset:1728
	v_add_f64 v[0:1], v[0:1], v[10:11]
	v_mul_f64 v[10:11], v[230:231], v[82:83]
	v_accvgpr_write_b32 a144, v14
	v_accvgpr_write_b32 a143, v13
	;; [unrolled: 1-line block ×3, first 2 shown]
	v_fma_f64 v[12:13], v[228:229], v[80:81], -v[10:11]
	ds_read_b128 v[80:83], v2 offset:1744
	v_mul_f64 v[86:87], v[218:219], v[86:87]
	v_fma_f64 v[10:11], v[216:217], v[84:85], -v[86:87]
	ds_read_b128 v[84:87], v2 offset:1760
	v_mul_f64 v[90:91], v[190:191], v[90:91]
	s_waitcnt vmcnt(15) lgkmcnt(2)
	v_mul_f64 v[212:213], v[180:181], v[74:75]
	v_fma_f64 v[250:251], v[188:189], v[88:89], -v[90:91]
	ds_read_b128 v[88:91], v2 offset:1776
	v_fmac_f64_e32 v[212:213], v[182:183], v[72:73]
	s_waitcnt vmcnt(14) lgkmcnt(2)
	v_mul_f64 v[14:15], v[80:81], v[110:111]
	v_add_f64 v[0:1], v[0:1], v[212:213]
	v_fmac_f64_e32 v[14:15], v[82:83], v[108:109]
	v_add_f64 v[0:1], v[0:1], v[14:15]
	s_waitcnt vmcnt(13) lgkmcnt(1)
	v_mul_f64 v[14:15], v[84:85], v[118:119]
	ds_read_b128 v[188:191], v2 offset:1792
	v_fmac_f64_e32 v[14:15], v[86:87], v[116:117]
	v_add_f64 v[0:1], v[0:1], v[14:15]
	s_waitcnt vmcnt(12) lgkmcnt(1)
	v_mul_f64 v[14:15], v[88:89], v[122:123]
	v_fmac_f64_e32 v[14:15], v[90:91], v[120:121]
	v_add_f64 v[0:1], v[0:1], v[14:15]
	v_mul_f64 v[14:15], v[206:207], v[94:95]
	v_fma_f64 v[8:9], v[204:205], v[92:93], -v[14:15]
	ds_read_b128 v[92:95], v2 offset:1808
	s_waitcnt vmcnt(11) lgkmcnt(1)
	v_mul_f64 v[14:15], v[188:189], v[126:127]
	v_fmac_f64_e32 v[14:15], v[190:191], v[124:125]
	v_add_f64 v[0:1], v[0:1], v[14:15]
	v_mul_f64 v[14:15], v[194:195], v[98:99]
	v_fma_f64 v[18:19], v[192:193], v[96:97], -v[14:15]
	ds_read_b128 v[96:99], v2 offset:1824
	ds_read_b128 v[192:195], v2 offset:1840
	s_waitcnt vmcnt(10) lgkmcnt(2)
	v_mul_f64 v[14:15], v[92:93], v[130:131]
	v_fmac_f64_e32 v[14:15], v[94:95], v[128:129]
	v_add_f64 v[0:1], v[0:1], v[14:15]
	s_waitcnt vmcnt(9) lgkmcnt(1)
	v_mul_f64 v[14:15], v[96:97], v[134:135]
	v_fmac_f64_e32 v[14:15], v[98:99], v[132:133]
	v_add_f64 v[0:1], v[0:1], v[14:15]
	v_mul_f64 v[14:15], v[210:211], v[102:103]
	v_fma_f64 v[6:7], v[208:209], v[100:101], -v[14:15]
	ds_read_b128 v[100:103], v2 offset:1856
	v_mul_f64 v[22:23], v[198:199], v[106:107]
	v_fma_f64 v[22:23], v[196:197], v[104:105], -v[22:23]
	ds_read_b128 v[104:107], v2 offset:1872
	s_waitcnt vmcnt(8) lgkmcnt(2)
	v_mul_f64 v[14:15], v[192:193], v[42:43]
	v_fmac_f64_e32 v[14:15], v[194:195], v[40:41]
	v_add_f64 v[0:1], v[0:1], v[14:15]
	s_waitcnt vmcnt(7) lgkmcnt(1)
	v_mul_f64 v[14:15], v[100:101], v[46:47]
	v_fmac_f64_e32 v[14:15], v[102:103], v[44:45]
	ds_read_b128 v[196:199], v2 offset:1888
	v_add_f64 v[0:1], v[0:1], v[14:15]
	s_waitcnt vmcnt(6) lgkmcnt(1)
	v_mul_f64 v[14:15], v[104:105], v[50:51]
	v_fmac_f64_e32 v[14:15], v[106:107], v[48:49]
	v_add_f64 v[0:1], v[0:1], v[14:15]
	v_mul_f64 v[14:15], v[186:187], v[114:115]
	v_fma_f64 v[4:5], v[184:185], v[112:113], -v[14:15]
	ds_read_b128 v[112:115], v2 offset:1904
	s_waitcnt vmcnt(5) lgkmcnt(1)
	v_mul_f64 v[14:15], v[196:197], v[54:55]
	v_fmac_f64_e32 v[14:15], v[198:199], v[52:53]
	v_add_f64 v[14:15], v[0:1], v[14:15]
	v_mul_f64 v[0:1], v[202:203], v[138:139]
	v_fma_f64 v[0:1], v[200:201], v[136:137], -v[0:1]
	ds_read_b128 v[136:139], v2 offset:1920
	ds_read_b128 v[184:187], v2 offset:1936
	s_waitcnt vmcnt(4) lgkmcnt(2)
	v_mul_f64 v[26:27], v[112:113], v[62:63]
	v_fmac_f64_e32 v[26:27], v[114:115], v[60:61]
	v_add_f64 v[26:27], v[14:15], v[26:27]
	v_mul_f64 v[14:15], v[238:239], v[142:143]
	v_fma_f64 v[14:15], v[236:237], v[140:141], -v[14:15]
	ds_read_b128 v[140:143], v2 offset:1952
	ds_read_b128 v[208:211], v2 offset:1984
	s_waitcnt vmcnt(3) lgkmcnt(3)
	v_mul_f64 v[200:201], v[136:137], v[58:59]
	v_fmac_f64_e32 v[200:201], v[138:139], v[56:57]
	v_add_f64 v[26:27], v[26:27], v[200:201]
	s_waitcnt vmcnt(2) lgkmcnt(2)
	v_mul_f64 v[200:201], v[184:185], v[70:71]
	v_fmac_f64_e32 v[200:201], v[186:187], v[68:69]
	v_add_f64 v[26:27], v[26:27], v[200:201]
	s_waitcnt vmcnt(1) lgkmcnt(1)
	v_mul_f64 v[200:201], v[140:141], v[66:67]
	v_fmac_f64_e32 v[200:201], v[142:143], v[64:65]
	v_add_f64 v[26:27], v[26:27], v[200:201]
	ds_read_b128 v[200:203], v2 offset:1968
	ds_read_b128 v[216:219], v2 offset:2000
	scratch_load_dwordx4 v[236:239], off, off offset:256
	scratch_load_dwordx4 v[232:235], off, off offset:1024
	ds_read_b128 v[224:227], v2 offset:2016
	s_waitcnt vmcnt(2) lgkmcnt(2)
	v_mul_f64 v[204:205], v[200:201], v[78:79]
	v_fmac_f64_e32 v[204:205], v[202:203], v[76:77]
	v_add_f64 v[26:27], v[26:27], v[204:205]
	scratch_load_dwordx4 v[204:207], off, off offset:976
	s_waitcnt vmcnt(0)
	v_mul_f64 v[212:213], v[208:209], v[206:207]
	v_fmac_f64_e32 v[212:213], v[210:211], v[204:205]
	v_add_f64 v[26:27], v[26:27], v[212:213]
	scratch_load_dwordx4 v[212:215], off, off offset:992
	s_waitcnt vmcnt(0) lgkmcnt(1)
	v_mul_f64 v[220:221], v[216:217], v[214:215]
	v_fmac_f64_e32 v[220:221], v[218:219], v[212:213]
	v_add_f64 v[26:27], v[26:27], v[220:221]
	scratch_load_dwordx4 v[220:223], off, off offset:1008
	s_waitcnt vmcnt(0) lgkmcnt(0)
	v_mul_f64 v[228:229], v[224:225], v[222:223]
	v_fmac_f64_e32 v[228:229], v[226:227], v[220:221]
	v_add_f64 v[26:27], v[26:27], v[228:229]
	ds_read_b128 v[228:231], v2 offset:2032
	s_waitcnt lgkmcnt(0)
	v_mul_f64 v[2:3], v[228:229], v[234:235]
	v_fmac_f64_e32 v[2:3], v[230:231], v[232:233]
	v_add_f64 v[2:3], v[26:27], v[2:3]
	v_add_f64 v[26:27], v[240:241], 0
	;; [unrolled: 1-line block ×18, first 2 shown]
	v_accvgpr_read_b32 v6, a134
	v_accvgpr_read_b32 v8, a136
	;; [unrolled: 1-line block ×4, first 2 shown]
	v_mul_f64 v[4:5], v[146:147], v[8:9]
	v_add_f64 v[0:1], v[252:253], v[0:1]
	v_fma_f64 v[4:5], v[144:145], v[6:7], -v[4:5]
	v_accvgpr_read_b32 v6, a138
	v_add_f64 v[0:1], v[0:1], v[14:15]
	v_accvgpr_read_b32 v8, a140
	v_accvgpr_read_b32 v9, a141
	v_add_f64 v[0:1], v[0:1], v[4:5]
	v_accvgpr_read_b32 v7, a139
	v_mul_f64 v[4:5], v[150:151], v[8:9]
	v_fma_f64 v[4:5], v[148:149], v[6:7], -v[4:5]
	v_accvgpr_read_b32 v6, a142
	v_accvgpr_read_b32 v8, a144
	v_accvgpr_read_b32 v9, a145
	v_add_f64 v[0:1], v[0:1], v[4:5]
	v_accvgpr_read_b32 v7, a143
	v_mul_f64 v[4:5], v[154:155], v[8:9]
	v_fma_f64 v[4:5], v[152:153], v[6:7], -v[4:5]
	v_accvgpr_read_b32 v6, a146
	;; [unrolled: 7-line block ×3, first 2 shown]
	v_accvgpr_read_b32 v8, a152
	v_accvgpr_read_b32 v9, a153
	v_add_f64 v[0:1], v[0:1], v[4:5]
	v_accvgpr_read_b32 v7, a151
	v_mul_f64 v[4:5], v[162:163], v[8:9]
	v_fma_f64 v[4:5], v[160:161], v[6:7], -v[4:5]
	v_add_f64 v[0:1], v[0:1], v[4:5]
	v_mul_f64 v[4:5], v[166:167], v[38:39]
	v_accvgpr_read_b32 v6, a154
	v_fma_f64 v[4:5], v[164:165], v[36:37], -v[4:5]
	v_accvgpr_read_b32 v8, a156
	v_accvgpr_read_b32 v9, a157
	v_add_f64 v[0:1], v[0:1], v[4:5]
	v_accvgpr_read_b32 v7, a155
	v_mul_f64 v[4:5], v[170:171], v[8:9]
	v_fma_f64 v[4:5], v[168:169], v[6:7], -v[4:5]
	v_add_f64 v[0:1], v[0:1], v[4:5]
	v_mul_f64 v[4:5], v[174:175], v[34:35]
	v_fma_f64 v[4:5], v[172:173], v[32:33], -v[4:5]
	v_add_f64 v[0:1], v[0:1], v[4:5]
	;; [unrolled: 3-line block ×23, first 2 shown]
	v_add_f64 v[4:5], v[236:237], -v[0:1]
	v_add_f64 v[6:7], v[238:239], -v[2:3]
	scratch_store_dwordx4 off, v[4:7], off offset:256
	s_and_saveexec_b64 s[0:1], vcc
	s_cbranch_execz .LBB127_381
; %bb.380:
	scratch_load_dwordx4 v[2:5], off, s76
	v_mov_b32_e32 v6, 0
	v_mov_b32_e32 v7, v6
	;; [unrolled: 1-line block ×4, first 2 shown]
	v_accvgpr_read_b32 v0, a128
	scratch_store_dwordx4 off, v[6:9], off offset:240
	s_waitcnt vmcnt(1)
	ds_write_b128 v0, v[2:5]
.LBB127_381:
	s_or_b64 exec, exec, s[0:1]
	s_waitcnt lgkmcnt(0)
	; wave barrier
	scratch_load_dwordx4 v[56:59], off, off offset:256
	scratch_load_dwordx4 v[60:63], off, off offset:272
	scratch_load_dwordx4 v[64:67], off, off offset:288
	scratch_load_dwordx4 v[68:71], off, off offset:304
	scratch_load_dwordx4 v[72:75], off, off offset:320
	scratch_load_dwordx4 v[76:79], off, off offset:336
	scratch_load_dwordx4 v[80:83], off, off offset:352
	scratch_load_dwordx4 v[84:87], off, off offset:368
	scratch_load_dwordx4 v[92:95], off, off offset:384
	scratch_load_dwordx4 v[96:99], off, off offset:400
	scratch_load_dwordx4 v[100:103], off, off offset:416
	scratch_load_dwordx4 v[136:139], off, off offset:432
	scratch_load_dwordx4 v[144:147], off, off offset:448
	scratch_load_dwordx4 v[148:151], off, off offset:464
	scratch_load_dwordx4 v[156:159], off, off offset:480
	scratch_load_dwordx4 v[160:163], off, off offset:496
	scratch_load_dwordx4 v[168:171], off, off offset:512
	scratch_load_dwordx4 v[172:175], off, off offset:528
	scratch_load_dwordx4 v[180:183], off, off offset:544
	scratch_load_dwordx4 v[184:187], off, off offset:560
	scratch_load_dwordx4 v[192:195], off, off offset:576
	scratch_load_dwordx4 v[4:7], off, off offset:592
	scratch_load_dwordx4 v[8:11], off, off offset:608
	scratch_load_dwordx4 v[12:15], off, off offset:624
	scratch_load_dwordx4 v[16:19], off, off offset:640
	scratch_load_dwordx4 v[20:23], off, off offset:656
	scratch_load_dwordx4 v[24:27], off, off offset:672
	scratch_load_dwordx4 v[234:237], off, off offset:688
	v_mov_b32_e32 v2, 0
	ds_read_b128 v[116:119], v2 offset:1264
	ds_read_b128 v[120:123], v2 offset:1280
	;; [unrolled: 1-line block ×21, first 2 shown]
	v_cmp_lt_u32_e32 vcc, 13, v254
	ds_read_b128 v[108:111], v2 offset:1632
	s_waitcnt vmcnt(27) lgkmcnt(14)
	v_mul_f64 v[0:1], v[116:117], v[58:59]
	s_waitcnt vmcnt(26)
	v_mul_f64 v[32:33], v[120:121], v[62:63]
	v_fmac_f64_e32 v[0:1], v[118:119], v[56:57]
	s_waitcnt vmcnt(25)
	v_mul_f64 v[34:35], v[124:125], v[66:67]
	v_fmac_f64_e32 v[32:33], v[122:123], v[60:61]
	v_add_f64 v[0:1], v[0:1], 0
	v_fmac_f64_e32 v[34:35], v[126:127], v[64:65]
	v_add_f64 v[0:1], v[0:1], v[32:33]
	v_add_f64 v[0:1], v[0:1], v[34:35]
	scratch_load_dwordx4 v[32:35], off, off offset:704
	s_waitcnt vmcnt(25)
	v_mul_f64 v[36:37], v[128:129], v[70:71]
	s_waitcnt vmcnt(24)
	v_mul_f64 v[38:39], v[132:133], v[74:75]
	v_fmac_f64_e32 v[36:37], v[130:131], v[68:69]
	s_waitcnt vmcnt(23)
	v_mul_f64 v[40:41], v[140:141], v[78:79]
	v_fmac_f64_e32 v[38:39], v[134:135], v[72:73]
	v_add_f64 v[0:1], v[0:1], v[36:37]
	s_waitcnt vmcnt(22)
	v_mul_f64 v[42:43], v[152:153], v[82:83]
	v_fmac_f64_e32 v[40:41], v[142:143], v[76:77]
	v_add_f64 v[0:1], v[0:1], v[38:39]
	;; [unrolled: 4-line block ×3, first 2 shown]
	s_waitcnt vmcnt(20) lgkmcnt(13)
	v_mul_f64 v[46:47], v[176:177], v[94:95]
	v_fmac_f64_e32 v[44:45], v[166:167], v[84:85]
	v_add_f64 v[0:1], v[0:1], v[42:43]
	s_waitcnt vmcnt(19) lgkmcnt(12)
	v_mul_f64 v[48:49], v[188:189], v[98:99]
	v_fmac_f64_e32 v[46:47], v[178:179], v[92:93]
	v_add_f64 v[0:1], v[0:1], v[44:45]
	;; [unrolled: 4-line block ×9, first 2 shown]
	v_add_f64 v[0:1], v[0:1], v[104:105]
	v_fmac_f64_e32 v[106:107], v[222:223], v[168:169]
	s_waitcnt vmcnt(11) lgkmcnt(4)
	v_mul_f64 v[40:41], v[224:225], v[174:175]
	v_add_f64 v[0:1], v[0:1], v[106:107]
	v_fmac_f64_e32 v[40:41], v[226:227], v[172:173]
	scratch_load_dwordx4 v[36:39], off, off offset:720
	v_add_f64 v[0:1], v[0:1], v[40:41]
	s_waitcnt vmcnt(11) lgkmcnt(3)
	v_mul_f64 v[40:41], v[228:229], v[182:183]
	v_fmac_f64_e32 v[40:41], v[230:231], v[180:181]
	s_waitcnt vmcnt(10) lgkmcnt(2)
	v_mul_f64 v[44:45], v[242:243], v[186:187]
	v_add_f64 v[0:1], v[0:1], v[40:41]
	v_fmac_f64_e32 v[44:45], v[244:245], v[184:185]
	scratch_load_dwordx4 v[40:43], off, off offset:736
	ds_read_b128 v[88:91], v2 offset:1600
	v_add_f64 v[0:1], v[0:1], v[44:45]
	s_waitcnt vmcnt(10) lgkmcnt(2)
	v_mul_f64 v[44:45], v[248:249], v[194:195]
	v_fmac_f64_e32 v[44:45], v[250:251], v[192:193]
	v_add_f64 v[0:1], v[0:1], v[44:45]
	scratch_load_dwordx4 v[44:47], off, off offset:752
	ds_read_b128 v[104:107], v2 offset:1616
	s_waitcnt vmcnt(10) lgkmcnt(1)
	v_mul_f64 v[48:49], v[88:89], v[6:7]
	v_accvgpr_write_b32 a133, v7
	v_fmac_f64_e32 v[48:49], v[90:91], v[4:5]
	v_accvgpr_write_b32 a132, v6
	v_accvgpr_write_b32 a131, v5
	;; [unrolled: 1-line block ×3, first 2 shown]
	s_waitcnt vmcnt(9)
	v_mov_b64_e32 v[4:5], v[8:9]
	v_add_f64 v[0:1], v[0:1], v[48:49]
	scratch_load_dwordx4 v[48:51], off, off offset:768
	v_mov_b64_e32 v[6:7], v[10:11]
	s_waitcnt lgkmcnt(0)
	v_mul_f64 v[52:53], v[104:105], v[6:7]
	v_fmac_f64_e32 v[52:53], v[106:107], v[4:5]
	v_add_f64 v[0:1], v[0:1], v[52:53]
	scratch_load_dwordx4 v[52:55], off, off offset:784
	v_mul_f64 v[58:59], v[118:119], v[58:59]
	s_waitcnt vmcnt(10)
	v_mov_b64_e32 v[4:5], v[12:13]
	v_fma_f64 v[240:241], v[116:117], v[56:57], -v[58:59]
	scratch_load_dwordx4 v[56:59], off, off offset:800
	v_mov_b64_e32 v[6:7], v[14:15]
	v_mul_f64 v[112:113], v[108:109], v[6:7]
	v_fmac_f64_e32 v[112:113], v[110:111], v[4:5]
	v_add_f64 v[0:1], v[0:1], v[112:113]
	ds_read_b128 v[112:115], v2 offset:1648
	ds_read_b128 v[116:119], v2 offset:1664
	v_mul_f64 v[62:63], v[122:123], v[62:63]
	v_fma_f64 v[246:247], v[120:121], v[60:61], -v[62:63]
	scratch_load_dwordx4 v[60:63], off, off offset:816
	s_waitcnt vmcnt(11)
	v_mov_b64_e32 v[4:5], v[16:17]
	v_mul_f64 v[66:67], v[126:127], v[66:67]
	v_mov_b64_e32 v[6:7], v[18:19]
	v_fma_f64 v[252:253], v[124:125], v[64:65], -v[66:67]
	scratch_load_dwordx4 v[64:67], off, off offset:832
	s_waitcnt lgkmcnt(1)
	v_mul_f64 v[120:121], v[112:113], v[6:7]
	v_fmac_f64_e32 v[120:121], v[114:115], v[4:5]
	s_waitcnt vmcnt(11)
	v_mov_b64_e32 v[4:5], v[20:21]
	v_mov_b64_e32 v[6:7], v[22:23]
	v_add_f64 v[0:1], v[0:1], v[120:121]
	s_waitcnt lgkmcnt(0)
	v_mul_f64 v[120:121], v[116:117], v[6:7]
	v_fmac_f64_e32 v[120:121], v[118:119], v[4:5]
	v_mul_f64 v[70:71], v[130:131], v[70:71]
	v_add_f64 v[0:1], v[0:1], v[120:121]
	v_fma_f64 v[232:233], v[128:129], v[68:69], -v[70:71]
	scratch_load_dwordx4 v[68:71], off, off offset:848
	ds_read_b128 v[120:123], v2 offset:1680
	ds_read_b128 v[124:127], v2 offset:1696
	v_mul_f64 v[74:75], v[134:135], v[74:75]
	v_accvgpr_write_b32 a137, v11
	v_fma_f64 v[238:239], v[132:133], v[72:73], -v[74:75]
	scratch_load_dwordx4 v[72:75], off, off offset:864
	v_accvgpr_write_b32 a136, v10
	v_accvgpr_write_b32 a135, v9
	v_accvgpr_write_b32 a134, v8
	v_mul_f64 v[78:79], v[142:143], v[78:79]
	s_waitcnt vmcnt(12)
	v_mov_b64_e32 v[8:9], v[24:25]
	v_fma_f64 v[28:29], v[140:141], v[76:77], -v[78:79]
	v_mov_b64_e32 v[10:11], v[26:27]
	scratch_load_dwordx4 v[76:79], off, off offset:880
	s_waitcnt lgkmcnt(1)
	v_mul_f64 v[6:7], v[120:121], v[10:11]
	v_fmac_f64_e32 v[6:7], v[122:123], v[8:9]
	v_accvgpr_write_b32 a153, v27
	v_add_f64 v[0:1], v[0:1], v[6:7]
	v_mul_f64 v[6:7], v[154:155], v[82:83]
	v_accvgpr_write_b32 a152, v26
	v_accvgpr_write_b32 a151, v25
	;; [unrolled: 1-line block ×3, first 2 shown]
	v_fma_f64 v[24:25], v[152:153], v[80:81], -v[6:7]
	s_waitcnt vmcnt(12) lgkmcnt(0)
	v_mul_f64 v[6:7], v[124:125], v[236:237]
	v_fmac_f64_e32 v[6:7], v[126:127], v[234:235]
	scratch_load_dwordx4 v[80:83], off, off offset:896
	v_accvgpr_write_b32 a149, v23
	v_add_f64 v[0:1], v[0:1], v[6:7]
	v_mul_f64 v[6:7], v[166:167], v[86:87]
	v_accvgpr_write_b32 a148, v22
	v_accvgpr_write_b32 a147, v21
	;; [unrolled: 1-line block ×3, first 2 shown]
	v_fma_f64 v[20:21], v[164:165], v[84:85], -v[6:7]
	scratch_load_dwordx4 v[84:87], off, off offset:912
	ds_read_b128 v[132:135], v2 offset:1712
	ds_read_b128 v[128:131], v2 offset:1728
	v_accvgpr_write_b32 a145, v19
	v_mul_f64 v[6:7], v[178:179], v[94:95]
	v_accvgpr_write_b32 a141, v15
	v_accvgpr_write_b32 a144, v18
	;; [unrolled: 1-line block ×4, first 2 shown]
	v_fma_f64 v[16:17], v[176:177], v[92:93], -v[6:7]
	v_mul_f64 v[6:7], v[190:191], v[98:99]
	v_accvgpr_write_b32 a140, v14
	v_accvgpr_write_b32 a139, v13
	;; [unrolled: 1-line block ×3, first 2 shown]
	v_fma_f64 v[14:15], v[188:189], v[96:97], -v[6:7]
	scratch_load_dwordx4 v[96:99], off, off offset:928
	scratch_load_dwordx4 v[92:95], off, off offset:944
	s_waitcnt vmcnt(15) lgkmcnt(1)
	v_mul_f64 v[6:7], v[132:133], v[34:35]
	v_fmac_f64_e32 v[6:7], v[134:135], v[32:33]
	v_add_f64 v[0:1], v[0:1], v[6:7]
	v_mul_f64 v[6:7], v[198:199], v[102:103]
	v_fma_f64 v[12:13], v[196:197], v[100:101], -v[6:7]
	scratch_load_dwordx4 v[100:103], off, off offset:960
	v_mul_f64 v[6:7], v[202:203], v[138:139]
	v_fma_f64 v[18:19], v[200:201], v[136:137], -v[6:7]
	ds_read_b128 v[136:139], v2 offset:1744
	ds_read_b128 v[140:143], v2 offset:1760
	s_waitcnt vmcnt(15) lgkmcnt(2)
	v_mul_f64 v[6:7], v[128:129], v[38:39]
	v_fmac_f64_e32 v[6:7], v[130:131], v[36:37]
	v_add_f64 v[0:1], v[0:1], v[6:7]
	s_waitcnt vmcnt(14) lgkmcnt(1)
	v_mul_f64 v[6:7], v[136:137], v[42:43]
	v_fmac_f64_e32 v[6:7], v[138:139], v[40:41]
	v_add_f64 v[0:1], v[0:1], v[6:7]
	v_mul_f64 v[6:7], v[206:207], v[146:147]
	v_fma_f64 v[10:11], v[204:205], v[144:145], -v[6:7]
	ds_read_b128 v[144:147], v2 offset:1776
	s_waitcnt vmcnt(13) lgkmcnt(1)
	v_mul_f64 v[6:7], v[140:141], v[46:47]
	v_fmac_f64_e32 v[6:7], v[142:143], v[44:45]
	v_add_f64 v[0:1], v[0:1], v[6:7]
	v_mul_f64 v[6:7], v[210:211], v[150:151]
	v_fma_f64 v[22:23], v[208:209], v[148:149], -v[6:7]
	ds_read_b128 v[148:151], v2 offset:1792
	s_waitcnt vmcnt(12) lgkmcnt(1)
	v_mul_f64 v[6:7], v[144:145], v[50:51]
	ds_read_b128 v[152:155], v2 offset:1808
	v_fmac_f64_e32 v[6:7], v[146:147], v[48:49]
	v_add_f64 v[0:1], v[0:1], v[6:7]
	v_mul_f64 v[6:7], v[214:215], v[158:159]
	v_fma_f64 v[8:9], v[212:213], v[156:157], -v[6:7]
	s_waitcnt vmcnt(11) lgkmcnt(1)
	v_mul_f64 v[6:7], v[148:149], v[54:55]
	v_fmac_f64_e32 v[6:7], v[150:151], v[52:53]
	ds_read_b128 v[156:159], v2 offset:1824
	v_add_f64 v[0:1], v[0:1], v[6:7]
	s_waitcnt vmcnt(10) lgkmcnt(1)
	v_mul_f64 v[6:7], v[152:153], v[58:59]
	v_fmac_f64_e32 v[6:7], v[154:155], v[56:57]
	v_add_f64 v[0:1], v[0:1], v[6:7]
	v_mul_f64 v[6:7], v[218:219], v[162:163]
	v_fma_f64 v[26:27], v[216:217], v[160:161], -v[6:7]
	ds_read_b128 v[160:163], v2 offset:1840
	ds_read_b128 v[164:167], v2 offset:1856
	s_waitcnt vmcnt(9) lgkmcnt(2)
	v_mul_f64 v[6:7], v[156:157], v[62:63]
	v_fmac_f64_e32 v[6:7], v[158:159], v[60:61]
	v_add_f64 v[0:1], v[0:1], v[6:7]
	s_waitcnt vmcnt(8) lgkmcnt(1)
	v_mul_f64 v[6:7], v[160:161], v[66:67]
	v_fmac_f64_e32 v[6:7], v[162:163], v[64:65]
	v_add_f64 v[0:1], v[0:1], v[6:7]
	v_mul_f64 v[6:7], v[222:223], v[170:171]
	v_fma_f64 v[4:5], v[220:221], v[168:169], -v[6:7]
	ds_read_b128 v[168:171], v2 offset:1872
	v_mul_f64 v[6:7], v[226:227], v[174:175]
	v_fma_f64 v[6:7], v[224:225], v[172:173], -v[6:7]
	ds_read_b128 v[172:175], v2 offset:1888
	s_waitcnt vmcnt(7) lgkmcnt(2)
	v_mul_f64 v[30:31], v[164:165], v[70:71]
	v_fmac_f64_e32 v[30:31], v[166:167], v[68:69]
	v_add_f64 v[0:1], v[0:1], v[30:31]
	s_waitcnt vmcnt(6) lgkmcnt(1)
	v_mul_f64 v[30:31], v[168:169], v[74:75]
	v_fmac_f64_e32 v[30:31], v[170:171], v[72:73]
	v_add_f64 v[0:1], v[0:1], v[30:31]
	s_waitcnt vmcnt(5) lgkmcnt(0)
	v_mul_f64 v[30:31], v[172:173], v[78:79]
	ds_read_b128 v[176:179], v2 offset:1904
	v_fmac_f64_e32 v[30:31], v[174:175], v[76:77]
	v_add_f64 v[30:31], v[0:1], v[30:31]
	v_mul_f64 v[0:1], v[230:231], v[182:183]
	v_fma_f64 v[0:1], v[228:229], v[180:181], -v[0:1]
	ds_read_b128 v[180:183], v2 offset:1920
	v_mul_f64 v[186:187], v[244:245], v[186:187]
	s_waitcnt vmcnt(4) lgkmcnt(1)
	v_mul_f64 v[188:189], v[176:177], v[82:83]
	v_fma_f64 v[242:243], v[242:243], v[184:185], -v[186:187]
	ds_read_b128 v[184:187], v2 offset:1936
	v_fmac_f64_e32 v[188:189], v[178:179], v[80:81]
	v_add_f64 v[30:31], v[30:31], v[188:189]
	ds_read_b128 v[188:191], v2 offset:1952
	s_waitcnt vmcnt(3) lgkmcnt(2)
	v_mul_f64 v[196:197], v[180:181], v[86:87]
	v_mul_f64 v[194:195], v[250:251], v[194:195]
	v_fmac_f64_e32 v[196:197], v[182:183], v[84:85]
	v_fma_f64 v[248:249], v[248:249], v[192:193], -v[194:195]
	ds_read_b128 v[192:195], v2 offset:1968
	ds_read_b128 v[200:203], v2 offset:1984
	v_add_f64 v[30:31], v[30:31], v[196:197]
	s_waitcnt vmcnt(2) lgkmcnt(3)
	v_mul_f64 v[196:197], v[184:185], v[98:99]
	v_fmac_f64_e32 v[196:197], v[186:187], v[96:97]
	v_add_f64 v[30:31], v[30:31], v[196:197]
	s_waitcnt vmcnt(1) lgkmcnt(2)
	v_mul_f64 v[196:197], v[188:189], v[94:95]
	v_fmac_f64_e32 v[196:197], v[190:191], v[92:93]
	;; [unrolled: 4-line block ×3, first 2 shown]
	v_add_f64 v[30:31], v[30:31], v[196:197]
	scratch_load_dwordx4 v[196:199], off, off offset:976
	ds_read_b128 v[208:211], v2 offset:2000
	ds_read_b128 v[216:219], v2 offset:2016
	;; [unrolled: 1-line block ×3, first 2 shown]
	s_waitcnt vmcnt(0) lgkmcnt(3)
	v_mul_f64 v[204:205], v[200:201], v[198:199]
	v_fmac_f64_e32 v[204:205], v[202:203], v[196:197]
	v_add_f64 v[30:31], v[30:31], v[204:205]
	scratch_load_dwordx4 v[204:207], off, off offset:992
	s_waitcnt vmcnt(0) lgkmcnt(2)
	v_mul_f64 v[212:213], v[208:209], v[206:207]
	v_fmac_f64_e32 v[212:213], v[210:211], v[204:205]
	v_add_f64 v[30:31], v[30:31], v[212:213]
	scratch_load_dwordx4 v[212:215], off, off offset:1008
	;; [unrolled: 5-line block ×3, first 2 shown]
	s_waitcnt vmcnt(0) lgkmcnt(0)
	v_mul_f64 v[228:229], v[224:225], v[222:223]
	v_fmac_f64_e32 v[228:229], v[226:227], v[220:221]
	v_add_f64 v[244:245], v[30:31], v[228:229]
	v_add_f64 v[30:31], v[240:241], 0
	;; [unrolled: 1-line block ×3, first 2 shown]
	scratch_load_dwordx4 v[228:231], off, off offset:240
	v_add_f64 v[30:31], v[30:31], v[252:253]
	v_add_f64 v[30:31], v[30:31], v[232:233]
	;; [unrolled: 1-line block ×16, first 2 shown]
	v_accvgpr_read_b32 v6, a130
	v_accvgpr_read_b32 v8, a132
	;; [unrolled: 1-line block ×3, first 2 shown]
	v_add_f64 v[0:1], v[4:5], v[0:1]
	v_accvgpr_read_b32 v7, a131
	v_mul_f64 v[4:5], v[90:91], v[8:9]
	v_add_f64 v[0:1], v[0:1], v[242:243]
	v_fma_f64 v[4:5], v[88:89], v[6:7], -v[4:5]
	v_accvgpr_read_b32 v6, a134
	v_add_f64 v[0:1], v[0:1], v[248:249]
	v_accvgpr_read_b32 v8, a136
	v_accvgpr_read_b32 v9, a137
	v_add_f64 v[0:1], v[0:1], v[4:5]
	v_accvgpr_read_b32 v7, a135
	v_mul_f64 v[4:5], v[106:107], v[8:9]
	v_fma_f64 v[4:5], v[104:105], v[6:7], -v[4:5]
	v_accvgpr_read_b32 v6, a138
	v_accvgpr_read_b32 v8, a140
	v_accvgpr_read_b32 v9, a141
	v_add_f64 v[0:1], v[0:1], v[4:5]
	v_accvgpr_read_b32 v7, a139
	v_mul_f64 v[4:5], v[110:111], v[8:9]
	v_fma_f64 v[4:5], v[108:109], v[6:7], -v[4:5]
	v_accvgpr_read_b32 v6, a142
	;; [unrolled: 7-line block ×4, first 2 shown]
	v_accvgpr_read_b32 v8, a152
	v_accvgpr_read_b32 v9, a153
	v_add_f64 v[0:1], v[0:1], v[4:5]
	v_accvgpr_read_b32 v7, a151
	v_mul_f64 v[4:5], v[122:123], v[8:9]
	v_fma_f64 v[4:5], v[120:121], v[6:7], -v[4:5]
	v_add_f64 v[0:1], v[0:1], v[4:5]
	v_mul_f64 v[4:5], v[126:127], v[236:237]
	v_fma_f64 v[4:5], v[124:125], v[234:235], -v[4:5]
	v_add_f64 v[0:1], v[0:1], v[4:5]
	;; [unrolled: 3-line block ×23, first 2 shown]
	s_waitcnt vmcnt(0)
	v_add_f64 v[4:5], v[228:229], -v[0:1]
	v_add_f64 v[6:7], v[230:231], -v[244:245]
	scratch_store_dwordx4 off, v[4:7], off offset:240
	s_and_saveexec_b64 s[0:1], vcc
	s_cbranch_execz .LBB127_383
; %bb.382:
	scratch_load_dwordx4 v[6:9], off, s77
	v_mov_b32_e32 v3, v2
	v_mov_b32_e32 v4, v2
	;; [unrolled: 1-line block ×3, first 2 shown]
	v_accvgpr_read_b32 v0, a128
	scratch_store_dwordx4 off, v[2:5], off offset:224
	s_waitcnt vmcnt(1)
	ds_write_b128 v0, v[6:9]
.LBB127_383:
	s_or_b64 exec, exec, s[0:1]
	s_waitcnt lgkmcnt(0)
	; wave barrier
	scratch_load_dwordx4 v[56:59], off, off offset:240
	scratch_load_dwordx4 v[60:63], off, off offset:256
	scratch_load_dwordx4 v[64:67], off, off offset:272
	scratch_load_dwordx4 v[68:71], off, off offset:288
	scratch_load_dwordx4 v[72:75], off, off offset:304
	scratch_load_dwordx4 v[76:79], off, off offset:320
	scratch_load_dwordx4 v[80:83], off, off offset:336
	scratch_load_dwordx4 v[84:87], off, off offset:352
	scratch_load_dwordx4 v[92:95], off, off offset:368
	scratch_load_dwordx4 v[96:99], off, off offset:384
	scratch_load_dwordx4 v[100:103], off, off offset:400
	scratch_load_dwordx4 v[136:139], off, off offset:416
	scratch_load_dwordx4 v[144:147], off, off offset:432
	scratch_load_dwordx4 v[148:151], off, off offset:448
	scratch_load_dwordx4 v[156:159], off, off offset:464
	scratch_load_dwordx4 v[160:163], off, off offset:480
	scratch_load_dwordx4 v[168:171], off, off offset:496
	scratch_load_dwordx4 v[172:175], off, off offset:512
	ds_read_b128 v[116:119], v2 offset:1248
	ds_read_b128 v[224:227], v2 offset:1264
	;; [unrolled: 1-line block ×6, first 2 shown]
	scratch_load_dwordx4 v[180:183], off, off offset:528
	ds_read_b128 v[204:207], v2 offset:1344
	ds_read_b128 v[132:135], v2 offset:1360
	scratch_load_dwordx4 v[184:187], off, off offset:544
	ds_read_b128 v[220:223], v2 offset:1376
	ds_read_b128 v[216:219], v2 offset:1392
	;; [unrolled: 1-line block ×5, first 2 shown]
	scratch_load_dwordx4 v[192:195], off, off offset:560
	ds_read_b128 v[200:203], v2 offset:1456
	ds_read_b128 v[164:167], v2 offset:1472
	scratch_load_dwordx4 v[4:7], off, off offset:576
	ds_read_b128 v[212:215], v2 offset:1488
	ds_read_b128 v[188:191], v2 offset:1504
	;; [unrolled: 1-line block ×3, first 2 shown]
	scratch_load_dwordx4 v[8:11], off, off offset:592
	scratch_load_dwordx4 v[12:15], off, off offset:608
	;; [unrolled: 1-line block ×6, first 2 shown]
	ds_read_b128 v[228:231], v2 offset:1536
	ds_read_b128 v[232:235], v2 offset:1552
	ds_read_b128 v[236:239], v2 offset:1568
	v_cmp_lt_u32_e32 vcc, 12, v254
	ds_read_b128 v[108:111], v2 offset:1616
	s_waitcnt vmcnt(27) lgkmcnt(14)
	v_mul_f64 v[0:1], v[116:117], v[58:59]
	s_waitcnt vmcnt(26)
	v_mul_f64 v[32:33], v[224:225], v[62:63]
	v_fmac_f64_e32 v[0:1], v[118:119], v[56:57]
	s_waitcnt vmcnt(25)
	v_mul_f64 v[34:35], v[208:209], v[66:67]
	v_fmac_f64_e32 v[32:33], v[226:227], v[60:61]
	v_add_f64 v[0:1], v[0:1], 0
	s_waitcnt vmcnt(24)
	v_mul_f64 v[36:37], v[120:121], v[70:71]
	v_fmac_f64_e32 v[34:35], v[210:211], v[64:65]
	v_add_f64 v[0:1], v[0:1], v[32:33]
	s_waitcnt vmcnt(23)
	v_mul_f64 v[38:39], v[128:129], v[74:75]
	v_fmac_f64_e32 v[36:37], v[122:123], v[68:69]
	v_add_f64 v[0:1], v[0:1], v[34:35]
	s_waitcnt vmcnt(22)
	v_mul_f64 v[40:41], v[124:125], v[78:79]
	v_fmac_f64_e32 v[38:39], v[130:131], v[72:73]
	v_add_f64 v[0:1], v[0:1], v[36:37]
	s_waitcnt vmcnt(21)
	v_mul_f64 v[42:43], v[204:205], v[82:83]
	v_fmac_f64_e32 v[40:41], v[126:127], v[76:77]
	v_add_f64 v[0:1], v[0:1], v[38:39]
	s_waitcnt vmcnt(20)
	v_mul_f64 v[44:45], v[132:133], v[86:87]
	v_fmac_f64_e32 v[42:43], v[206:207], v[80:81]
	v_add_f64 v[0:1], v[0:1], v[40:41]
	s_waitcnt vmcnt(19) lgkmcnt(13)
	v_mul_f64 v[46:47], v[220:221], v[94:95]
	v_fmac_f64_e32 v[44:45], v[134:135], v[84:85]
	v_add_f64 v[0:1], v[0:1], v[42:43]
	s_waitcnt vmcnt(18) lgkmcnt(12)
	v_mul_f64 v[48:49], v[216:217], v[98:99]
	v_fmac_f64_e32 v[46:47], v[222:223], v[92:93]
	v_add_f64 v[0:1], v[0:1], v[44:45]
	;; [unrolled: 4-line block ×9, first 2 shown]
	scratch_load_dwordx4 v[32:35], off, off offset:688
	scratch_load_dwordx4 v[36:39], off, off offset:704
	v_fmac_f64_e32 v[106:107], v[190:191], v[168:169]
	v_add_f64 v[0:1], v[0:1], v[104:105]
	s_waitcnt vmcnt(12) lgkmcnt(4)
	v_mul_f64 v[40:41], v[176:177], v[174:175]
	v_add_f64 v[0:1], v[0:1], v[106:107]
	v_fmac_f64_e32 v[40:41], v[178:179], v[172:173]
	v_add_f64 v[0:1], v[0:1], v[40:41]
	s_waitcnt vmcnt(11) lgkmcnt(3)
	v_mul_f64 v[40:41], v[228:229], v[182:183]
	v_fmac_f64_e32 v[40:41], v[230:231], v[180:181]
	s_waitcnt vmcnt(10) lgkmcnt(2)
	v_mul_f64 v[44:45], v[232:233], v[186:187]
	ds_read_b128 v[88:91], v2 offset:1584
	v_add_f64 v[0:1], v[0:1], v[40:41]
	v_fmac_f64_e32 v[44:45], v[234:235], v[184:185]
	v_add_f64 v[0:1], v[0:1], v[44:45]
	s_waitcnt vmcnt(9) lgkmcnt(2)
	v_mul_f64 v[44:45], v[236:237], v[194:195]
	scratch_load_dwordx4 v[40:43], off, off offset:720
	v_fmac_f64_e32 v[44:45], v[238:239], v[192:193]
	v_add_f64 v[0:1], v[0:1], v[44:45]
	scratch_load_dwordx4 v[44:47], off, off offset:736
	s_waitcnt vmcnt(10) lgkmcnt(0)
	v_mul_f64 v[48:49], v[88:89], v[6:7]
	ds_read_b128 v[104:107], v2 offset:1600
	v_fmac_f64_e32 v[48:49], v[90:91], v[4:5]
	v_accvgpr_write_b32 a137, v7
	v_add_f64 v[0:1], v[0:1], v[48:49]
	scratch_load_dwordx4 v[48:51], off, off offset:752
	v_accvgpr_write_b32 a136, v6
	v_accvgpr_write_b32 a135, v5
	;; [unrolled: 1-line block ×3, first 2 shown]
	s_waitcnt vmcnt(10)
	v_mov_b64_e32 v[4:5], v[8:9]
	v_mov_b64_e32 v[6:7], v[10:11]
	s_waitcnt lgkmcnt(0)
	v_mul_f64 v[52:53], v[104:105], v[6:7]
	v_fmac_f64_e32 v[52:53], v[106:107], v[4:5]
	v_add_f64 v[0:1], v[0:1], v[52:53]
	scratch_load_dwordx4 v[52:55], off, off offset:768
	v_mul_f64 v[58:59], v[118:119], v[58:59]
	v_fma_f64 v[240:241], v[116:117], v[56:57], -v[58:59]
	scratch_load_dwordx4 v[56:59], off, off offset:784
	v_mul_f64 v[62:63], v[226:227], v[62:63]
	s_waitcnt vmcnt(11)
	v_mov_b64_e32 v[4:5], v[12:13]
	v_fma_f64 v[242:243], v[224:225], v[60:61], -v[62:63]
	scratch_load_dwordx4 v[60:63], off, off offset:800
	v_mov_b64_e32 v[6:7], v[14:15]
	v_mul_f64 v[112:113], v[108:109], v[6:7]
	v_fmac_f64_e32 v[112:113], v[110:111], v[4:5]
	v_add_f64 v[0:1], v[0:1], v[112:113]
	ds_read_b128 v[112:115], v2 offset:1632
	ds_read_b128 v[116:119], v2 offset:1648
	v_mul_f64 v[66:67], v[210:211], v[66:67]
	v_fma_f64 v[244:245], v[208:209], v[64:65], -v[66:67]
	scratch_load_dwordx4 v[64:67], off, off offset:816
	v_mul_f64 v[70:71], v[122:123], v[70:71]
	s_waitcnt vmcnt(12)
	v_mov_b64_e32 v[4:5], v[16:17]
	v_fma_f64 v[246:247], v[120:121], v[68:69], -v[70:71]
	scratch_load_dwordx4 v[68:71], off, off offset:832
	v_mov_b64_e32 v[6:7], v[18:19]
	v_mul_f64 v[74:75], v[130:131], v[74:75]
	s_waitcnt lgkmcnt(1)
	v_mul_f64 v[224:225], v[112:113], v[6:7]
	v_fma_f64 v[252:253], v[128:129], v[72:73], -v[74:75]
	scratch_load_dwordx4 v[72:75], off, off offset:848
	v_fmac_f64_e32 v[224:225], v[114:115], v[4:5]
	s_waitcnt vmcnt(13)
	v_mov_b64_e32 v[4:5], v[20:21]
	ds_read_b128 v[120:123], v2 offset:1664
	v_mul_f64 v[78:79], v[126:127], v[78:79]
	v_mov_b64_e32 v[6:7], v[22:23]
	v_fma_f64 v[248:249], v[124:125], v[76:77], -v[78:79]
	ds_read_b128 v[124:127], v2 offset:1680
	scratch_load_dwordx4 v[76:79], off, off offset:864
	s_waitcnt lgkmcnt(2)
	v_mul_f64 v[208:209], v[116:117], v[6:7]
	v_accvgpr_write_b32 a141, v11
	v_fmac_f64_e32 v[208:209], v[118:119], v[4:5]
	s_waitcnt vmcnt(13)
	v_mov_b64_e32 v[4:5], v[24:25]
	v_accvgpr_write_b32 a140, v10
	v_accvgpr_write_b32 a139, v9
	;; [unrolled: 1-line block ×3, first 2 shown]
	v_mov_b64_e32 v[6:7], v[26:27]
	v_mul_f64 v[82:83], v[206:207], v[82:83]
	s_waitcnt vmcnt(12)
	v_accvgpr_read_b32 v8, a130
	v_add_f64 v[0:1], v[0:1], v[224:225]
	s_waitcnt lgkmcnt(1)
	v_mul_f64 v[128:129], v[120:121], v[6:7]
	v_fma_f64 v[28:29], v[204:205], v[80:81], -v[82:83]
	v_accvgpr_read_b32 v10, a132
	v_accvgpr_read_b32 v11, a133
	scratch_load_dwordx4 v[80:83], off, off offset:880
	v_add_f64 v[0:1], v[0:1], v[208:209]
	v_fmac_f64_e32 v[128:129], v[122:123], v[4:5]
	v_accvgpr_read_b32 v9, a131
	s_waitcnt lgkmcnt(0)
	v_mul_f64 v[6:7], v[124:125], v[10:11]
	v_add_f64 v[0:1], v[0:1], v[128:129]
	v_fmac_f64_e32 v[6:7], v[126:127], v[8:9]
	v_accvgpr_write_b32 a157, v27
	v_add_f64 v[0:1], v[0:1], v[6:7]
	v_mul_f64 v[6:7], v[134:135], v[86:87]
	v_accvgpr_write_b32 a156, v26
	v_accvgpr_write_b32 a155, v25
	;; [unrolled: 1-line block ×3, first 2 shown]
	v_fma_f64 v[24:25], v[132:133], v[84:85], -v[6:7]
	scratch_load_dwordx4 v[84:87], off, off offset:896
	v_accvgpr_write_b32 a149, v19
	v_mul_f64 v[10:11], v[218:219], v[98:99]
	v_accvgpr_write_b32 a148, v18
	v_accvgpr_write_b32 a147, v17
	;; [unrolled: 1-line block ×3, first 2 shown]
	ds_read_b128 v[132:135], v2 offset:1696
	ds_read_b128 v[128:131], v2 offset:1712
	v_fma_f64 v[16:17], v[216:217], v[96:97], -v[10:11]
	scratch_load_dwordx4 v[96:99], off, off offset:912
	v_accvgpr_write_b32 a153, v23
	v_mul_f64 v[94:95], v[222:223], v[94:95]
	v_accvgpr_write_b32 a152, v22
	v_accvgpr_write_b32 a151, v21
	;; [unrolled: 1-line block ×3, first 2 shown]
	v_fma_f64 v[20:21], v[220:221], v[92:93], -v[94:95]
	scratch_load_dwordx4 v[92:95], off, off offset:928
	v_accvgpr_write_b32 a145, v15
	v_mul_f64 v[102:103], v[198:199], v[102:103]
	v_accvgpr_write_b32 a144, v14
	v_accvgpr_write_b32 a143, v13
	;; [unrolled: 1-line block ×3, first 2 shown]
	v_fma_f64 v[12:13], v[196:197], v[100:101], -v[102:103]
	scratch_load_dwordx4 v[100:103], off, off offset:944
	s_waitcnt vmcnt(16) lgkmcnt(1)
	v_mul_f64 v[204:205], v[132:133], v[34:35]
	v_mul_f64 v[14:15], v[142:143], v[138:139]
	v_fmac_f64_e32 v[204:205], v[134:135], v[32:33]
	v_fma_f64 v[14:15], v[140:141], v[136:137], -v[14:15]
	s_waitcnt vmcnt(15) lgkmcnt(0)
	v_mul_f64 v[140:141], v[128:129], v[38:39]
	v_add_f64 v[0:1], v[0:1], v[204:205]
	ds_read_b128 v[136:139], v2 offset:1728
	v_fmac_f64_e32 v[140:141], v[130:131], v[36:37]
	v_add_f64 v[0:1], v[0:1], v[140:141]
	ds_read_b128 v[140:143], v2 offset:1744
	v_mul_f64 v[146:147], v[154:155], v[146:147]
	v_fma_f64 v[10:11], v[152:153], v[144:145], -v[146:147]
	ds_read_b128 v[144:147], v2 offset:1760
	s_waitcnt vmcnt(14) lgkmcnt(2)
	v_mul_f64 v[196:197], v[136:137], v[42:43]
	v_fmac_f64_e32 v[196:197], v[138:139], v[40:41]
	s_waitcnt vmcnt(13) lgkmcnt(1)
	v_mul_f64 v[18:19], v[140:141], v[46:47]
	v_add_f64 v[0:1], v[0:1], v[196:197]
	v_fmac_f64_e32 v[18:19], v[142:143], v[44:45]
	v_add_f64 v[0:1], v[0:1], v[18:19]
	v_mul_f64 v[18:19], v[202:203], v[150:151]
	v_fma_f64 v[18:19], v[200:201], v[148:149], -v[18:19]
	ds_read_b128 v[148:151], v2 offset:1776
	s_waitcnt vmcnt(12) lgkmcnt(1)
	v_mul_f64 v[152:153], v[144:145], v[50:51]
	v_fmac_f64_e32 v[152:153], v[146:147], v[48:49]
	v_add_f64 v[0:1], v[0:1], v[152:153]
	ds_read_b128 v[152:155], v2 offset:1792
	v_mul_f64 v[158:159], v[166:167], v[158:159]
	v_fma_f64 v[8:9], v[164:165], v[156:157], -v[158:159]
	ds_read_b128 v[156:159], v2 offset:1808
	s_waitcnt vmcnt(11) lgkmcnt(2)
	v_mul_f64 v[22:23], v[148:149], v[54:55]
	v_fmac_f64_e32 v[22:23], v[150:151], v[52:53]
	v_add_f64 v[0:1], v[0:1], v[22:23]
	s_waitcnt vmcnt(10) lgkmcnt(1)
	v_mul_f64 v[22:23], v[152:153], v[58:59]
	v_fmac_f64_e32 v[22:23], v[154:155], v[56:57]
	v_add_f64 v[0:1], v[0:1], v[22:23]
	v_mul_f64 v[22:23], v[214:215], v[162:163]
	s_waitcnt vmcnt(9) lgkmcnt(0)
	v_mul_f64 v[164:165], v[156:157], v[62:63]
	v_fma_f64 v[22:23], v[212:213], v[160:161], -v[22:23]
	ds_read_b128 v[160:163], v2 offset:1824
	v_fmac_f64_e32 v[164:165], v[158:159], v[60:61]
	v_add_f64 v[0:1], v[0:1], v[164:165]
	ds_read_b128 v[164:167], v2 offset:1840
	v_mul_f64 v[170:171], v[190:191], v[170:171]
	v_fma_f64 v[6:7], v[188:189], v[168:169], -v[170:171]
	ds_read_b128 v[168:171], v2 offset:1856
	v_mul_f64 v[174:175], v[178:179], v[174:175]
	s_waitcnt vmcnt(8) lgkmcnt(2)
	v_mul_f64 v[196:197], v[160:161], v[66:67]
	v_fma_f64 v[250:251], v[176:177], v[172:173], -v[174:175]
	ds_read_b128 v[172:175], v2 offset:1872
	v_fmac_f64_e32 v[196:197], v[162:163], v[64:65]
	s_waitcnt vmcnt(7) lgkmcnt(2)
	v_mul_f64 v[26:27], v[164:165], v[70:71]
	v_add_f64 v[0:1], v[0:1], v[196:197]
	v_fmac_f64_e32 v[26:27], v[166:167], v[68:69]
	v_add_f64 v[0:1], v[0:1], v[26:27]
	s_waitcnt vmcnt(6) lgkmcnt(1)
	v_mul_f64 v[26:27], v[168:169], v[74:75]
	v_fmac_f64_e32 v[26:27], v[170:171], v[72:73]
	ds_read_b128 v[176:179], v2 offset:1888
	v_add_f64 v[0:1], v[0:1], v[26:27]
	s_waitcnt vmcnt(5) lgkmcnt(1)
	v_mul_f64 v[26:27], v[172:173], v[78:79]
	v_fmac_f64_e32 v[26:27], v[174:175], v[76:77]
	v_add_f64 v[0:1], v[0:1], v[26:27]
	v_mul_f64 v[26:27], v[230:231], v[182:183]
	v_fma_f64 v[4:5], v[228:229], v[180:181], -v[26:27]
	ds_read_b128 v[180:183], v2 offset:1904
	s_waitcnt vmcnt(4) lgkmcnt(1)
	v_mul_f64 v[26:27], v[176:177], v[82:83]
	v_fmac_f64_e32 v[26:27], v[178:179], v[80:81]
	v_add_f64 v[26:27], v[0:1], v[26:27]
	v_mul_f64 v[0:1], v[234:235], v[186:187]
	v_fma_f64 v[0:1], v[232:233], v[184:185], -v[0:1]
	ds_read_b128 v[184:187], v2 offset:1920
	ds_read_b128 v[188:191], v2 offset:1936
	s_waitcnt vmcnt(3) lgkmcnt(2)
	v_mul_f64 v[30:31], v[180:181], v[86:87]
	v_fmac_f64_e32 v[30:31], v[182:183], v[84:85]
	v_add_f64 v[30:31], v[26:27], v[30:31]
	v_mul_f64 v[26:27], v[238:239], v[194:195]
	v_fma_f64 v[26:27], v[236:237], v[192:193], -v[26:27]
	ds_read_b128 v[192:195], v2 offset:1952
	ds_read_b128 v[200:203], v2 offset:1968
	scratch_load_dwordx4 v[236:239], off, off offset:224
	s_waitcnt vmcnt(3) lgkmcnt(3)
	v_mul_f64 v[196:197], v[184:185], v[98:99]
	v_fmac_f64_e32 v[196:197], v[186:187], v[96:97]
	v_add_f64 v[30:31], v[30:31], v[196:197]
	s_waitcnt vmcnt(2) lgkmcnt(2)
	v_mul_f64 v[196:197], v[188:189], v[94:95]
	v_fmac_f64_e32 v[196:197], v[190:191], v[92:93]
	v_add_f64 v[30:31], v[30:31], v[196:197]
	s_waitcnt vmcnt(1) lgkmcnt(1)
	v_mul_f64 v[196:197], v[192:193], v[102:103]
	v_fmac_f64_e32 v[196:197], v[194:195], v[100:101]
	v_add_f64 v[30:31], v[30:31], v[196:197]
	scratch_load_dwordx4 v[196:199], off, off offset:960
	scratch_load_dwordx4 v[232:235], off, off offset:1024
	ds_read_b128 v[208:211], v2 offset:1984
	ds_read_b128 v[216:219], v2 offset:2000
	ds_read_b128 v[224:227], v2 offset:2016
	s_waitcnt vmcnt(1) lgkmcnt(3)
	v_mul_f64 v[204:205], v[200:201], v[198:199]
	v_fmac_f64_e32 v[204:205], v[202:203], v[196:197]
	v_add_f64 v[30:31], v[30:31], v[204:205]
	scratch_load_dwordx4 v[204:207], off, off offset:976
	s_waitcnt vmcnt(0) lgkmcnt(2)
	v_mul_f64 v[212:213], v[208:209], v[206:207]
	v_fmac_f64_e32 v[212:213], v[210:211], v[204:205]
	v_add_f64 v[30:31], v[30:31], v[212:213]
	scratch_load_dwordx4 v[212:215], off, off offset:992
	;; [unrolled: 5-line block ×3, first 2 shown]
	s_waitcnt vmcnt(0) lgkmcnt(0)
	v_mul_f64 v[228:229], v[224:225], v[222:223]
	v_fmac_f64_e32 v[228:229], v[226:227], v[220:221]
	v_add_f64 v[30:31], v[30:31], v[228:229]
	ds_read_b128 v[228:231], v2 offset:2032
	s_waitcnt lgkmcnt(0)
	v_mul_f64 v[2:3], v[228:229], v[234:235]
	v_fmac_f64_e32 v[2:3], v[230:231], v[232:233]
	v_add_f64 v[2:3], v[30:31], v[2:3]
	v_add_f64 v[30:31], v[240:241], 0
	;; [unrolled: 1-line block ×20, first 2 shown]
	v_accvgpr_read_b32 v6, a134
	v_accvgpr_read_b32 v8, a136
	;; [unrolled: 1-line block ×4, first 2 shown]
	v_mul_f64 v[4:5], v[90:91], v[8:9]
	v_add_f64 v[0:1], v[252:253], v[0:1]
	v_fma_f64 v[4:5], v[88:89], v[6:7], -v[4:5]
	v_accvgpr_read_b32 v6, a138
	v_add_f64 v[0:1], v[0:1], v[26:27]
	v_accvgpr_read_b32 v8, a140
	v_accvgpr_read_b32 v9, a141
	v_add_f64 v[0:1], v[0:1], v[4:5]
	v_accvgpr_read_b32 v7, a139
	v_mul_f64 v[4:5], v[106:107], v[8:9]
	v_fma_f64 v[4:5], v[104:105], v[6:7], -v[4:5]
	v_accvgpr_read_b32 v6, a142
	v_accvgpr_read_b32 v8, a144
	v_accvgpr_read_b32 v9, a145
	v_add_f64 v[0:1], v[0:1], v[4:5]
	v_accvgpr_read_b32 v7, a143
	v_mul_f64 v[4:5], v[110:111], v[8:9]
	v_fma_f64 v[4:5], v[108:109], v[6:7], -v[4:5]
	v_accvgpr_read_b32 v6, a146
	;; [unrolled: 7-line block ×5, first 2 shown]
	v_accvgpr_read_b32 v8, a132
	v_accvgpr_read_b32 v9, a133
	v_add_f64 v[0:1], v[0:1], v[4:5]
	v_accvgpr_read_b32 v7, a131
	v_mul_f64 v[4:5], v[126:127], v[8:9]
	v_fma_f64 v[4:5], v[124:125], v[6:7], -v[4:5]
	v_add_f64 v[0:1], v[0:1], v[4:5]
	v_mul_f64 v[4:5], v[134:135], v[34:35]
	v_fma_f64 v[4:5], v[132:133], v[32:33], -v[4:5]
	v_add_f64 v[0:1], v[0:1], v[4:5]
	;; [unrolled: 3-line block ×23, first 2 shown]
	v_add_f64 v[4:5], v[236:237], -v[0:1]
	v_add_f64 v[6:7], v[238:239], -v[2:3]
	scratch_store_dwordx4 off, v[4:7], off offset:224
	s_and_saveexec_b64 s[0:1], vcc
	s_cbranch_execz .LBB127_385
; %bb.384:
	scratch_load_dwordx4 v[2:5], off, s78
	v_mov_b32_e32 v6, 0
	v_mov_b32_e32 v7, v6
	;; [unrolled: 1-line block ×4, first 2 shown]
	v_accvgpr_read_b32 v0, a128
	scratch_store_dwordx4 off, v[6:9], off offset:208
	s_waitcnt vmcnt(1)
	ds_write_b128 v0, v[2:5]
.LBB127_385:
	s_or_b64 exec, exec, s[0:1]
	s_waitcnt lgkmcnt(0)
	; wave barrier
	scratch_load_dwordx4 v[48:51], off, off offset:224
	scratch_load_dwordx4 v[52:55], off, off offset:240
	;; [unrolled: 1-line block ×28, first 2 shown]
	v_mov_b32_e32 v2, 0
	ds_read_b128 v[104:107], v2 offset:1232
	ds_read_b128 v[112:115], v2 offset:1248
	;; [unrolled: 1-line block ×18, first 2 shown]
	scratch_load_dwordx4 a[130:133], off, off offset:672
	scratch_load_dwordx4 a[134:137], off, off offset:688
	ds_read_b128 v[220:223], v2 offset:1520
	ds_read_b128 v[224:227], v2 offset:1536
	;; [unrolled: 1-line block ×4, first 2 shown]
	scratch_load_dwordx4 v[234:237], off, off offset:704
	ds_read_b128 v[248:251], v2 offset:1584
	v_cmp_lt_u32_e32 vcc, 11, v254
	s_waitcnt vmcnt(30) lgkmcnt(14)
	v_mul_f64 v[0:1], v[104:105], v[50:51]
	s_waitcnt vmcnt(29)
	v_mul_f64 v[24:25], v[112:113], v[54:55]
	v_fmac_f64_e32 v[0:1], v[106:107], v[48:49]
	s_waitcnt vmcnt(28)
	v_mul_f64 v[26:27], v[116:117], v[58:59]
	v_fmac_f64_e32 v[24:25], v[114:115], v[52:53]
	v_add_f64 v[0:1], v[0:1], 0
	s_waitcnt vmcnt(27)
	v_mul_f64 v[28:29], v[120:121], v[62:63]
	v_fmac_f64_e32 v[26:27], v[118:119], v[56:57]
	v_add_f64 v[0:1], v[0:1], v[24:25]
	;; [unrolled: 4-line block ×7, first 2 shown]
	s_waitcnt vmcnt(21) lgkmcnt(13)
	v_mul_f64 v[40:41], v[172:173], v[86:87]
	v_fmac_f64_e32 v[38:39], v[162:163], v[80:81]
	v_add_f64 v[0:1], v[0:1], v[36:37]
	s_waitcnt vmcnt(20) lgkmcnt(12)
	v_mul_f64 v[42:43], v[184:185], v[94:95]
	v_fmac_f64_e32 v[40:41], v[174:175], v[84:85]
	v_add_f64 v[0:1], v[0:1], v[38:39]
	;; [unrolled: 4-line block ×8, first 2 shown]
	v_add_f64 v[0:1], v[0:1], v[96:97]
	v_fmac_f64_e32 v[98:99], v[214:215], v[152:153]
	s_waitcnt vmcnt(13) lgkmcnt(5)
	v_mul_f64 v[32:33], v[216:217], v[158:159]
	v_add_f64 v[0:1], v[0:1], v[98:99]
	v_fmac_f64_e32 v[32:33], v[218:219], v[156:157]
	v_add_f64 v[0:1], v[0:1], v[32:33]
	s_waitcnt vmcnt(12) lgkmcnt(4)
	v_mul_f64 v[32:33], v[220:221], v[166:167]
	v_fmac_f64_e32 v[32:33], v[222:223], v[164:165]
	s_waitcnt vmcnt(11) lgkmcnt(3)
	v_mul_f64 v[36:37], v[224:225], v[170:171]
	v_add_f64 v[0:1], v[0:1], v[32:33]
	v_fmac_f64_e32 v[36:37], v[226:227], v[168:169]
	v_add_f64 v[0:1], v[0:1], v[36:37]
	s_waitcnt vmcnt(10) lgkmcnt(2)
	v_mul_f64 v[36:37], v[228:229], v[178:179]
	v_fmac_f64_e32 v[36:37], v[230:231], v[176:177]
	v_add_f64 v[0:1], v[0:1], v[36:37]
	scratch_load_dwordx4 v[36:39], off, off offset:720
	s_waitcnt vmcnt(10) lgkmcnt(1)
	v_mul_f64 v[40:41], v[242:243], v[182:183]
	v_fmac_f64_e32 v[40:41], v[244:245], v[180:181]
	v_add_f64 v[0:1], v[0:1], v[40:41]
	scratch_load_dwordx4 v[40:43], off, off offset:736
	ds_read_b128 v[88:91], v2 offset:1600
	s_waitcnt vmcnt(10) lgkmcnt(1)
	v_mul_f64 v[44:45], v[248:249], v[190:191]
	v_fmac_f64_e32 v[44:45], v[250:251], v[188:189]
	v_add_f64 v[0:1], v[0:1], v[44:45]
	scratch_load_dwordx4 v[44:47], off, off offset:752
	v_mul_f64 v[50:51], v[106:107], v[50:51]
	v_fma_f64 v[240:241], v[104:105], v[48:49], -v[50:51]
	scratch_load_dwordx4 v[48:51], off, off offset:768
	s_waitcnt vmcnt(11) lgkmcnt(0)
	v_mul_f64 v[96:97], v[88:89], v[6:7]
	v_mul_f64 v[54:55], v[114:115], v[54:55]
	v_fmac_f64_e32 v[96:97], v[90:91], v[4:5]
	v_fma_f64 v[246:247], v[112:113], v[52:53], -v[54:55]
	scratch_load_dwordx4 v[52:55], off, off offset:784
	v_add_f64 v[0:1], v[0:1], v[96:97]
	ds_read_b128 v[96:99], v2 offset:1616
	ds_read_b128 v[104:107], v2 offset:1632
	v_accvgpr_write_b32 a141, v7
	v_accvgpr_write_b32 a140, v6
	;; [unrolled: 1-line block ×4, first 2 shown]
	s_waitcnt vmcnt(11)
	v_mov_b64_e32 v[4:5], v[8:9]
	v_mov_b64_e32 v[6:7], v[10:11]
	v_mul_f64 v[58:59], v[118:119], v[58:59]
	s_waitcnt lgkmcnt(1)
	v_mul_f64 v[112:113], v[96:97], v[6:7]
	v_fma_f64 v[252:253], v[116:117], v[56:57], -v[58:59]
	scratch_load_dwordx4 v[56:59], off, off offset:800
	v_fmac_f64_e32 v[112:113], v[98:99], v[4:5]
	s_waitcnt vmcnt(11)
	v_mov_b64_e32 v[4:5], v[12:13]
	v_mul_f64 v[62:63], v[122:123], v[62:63]
	v_mov_b64_e32 v[6:7], v[14:15]
	v_fma_f64 v[232:233], v[120:121], v[60:61], -v[62:63]
	scratch_load_dwordx4 v[60:63], off, off offset:816
	v_add_f64 v[0:1], v[0:1], v[112:113]
	s_waitcnt lgkmcnt(0)
	v_mul_f64 v[112:113], v[104:105], v[6:7]
	v_fmac_f64_e32 v[112:113], v[106:107], v[4:5]
	v_mul_f64 v[66:67], v[126:127], v[66:67]
	v_add_f64 v[0:1], v[0:1], v[112:113]
	ds_read_b128 v[112:115], v2 offset:1648
	ds_read_b128 v[116:119], v2 offset:1664
	v_fma_f64 v[238:239], v[124:125], v[64:65], -v[66:67]
	scratch_load_dwordx4 v[64:67], off, off offset:832
	v_accvgpr_write_b32 a145, v11
	v_accvgpr_write_b32 a144, v10
	;; [unrolled: 1-line block ×4, first 2 shown]
	s_waitcnt vmcnt(12)
	v_mov_b64_e32 v[8:9], v[16:17]
	v_mov_b64_e32 v[10:11], v[18:19]
	v_mul_f64 v[70:71], v[130:131], v[70:71]
	s_waitcnt lgkmcnt(1)
	v_mul_f64 v[6:7], v[112:113], v[10:11]
	v_fma_f64 v[32:33], v[128:129], v[68:69], -v[70:71]
	scratch_load_dwordx4 v[68:71], off, off offset:848
	v_fmac_f64_e32 v[6:7], v[114:115], v[8:9]
	v_add_f64 v[0:1], v[0:1], v[6:7]
	v_mul_f64 v[6:7], v[134:135], v[74:75]
	v_fma_f64 v[28:29], v[132:133], v[72:73], -v[6:7]
	s_waitcnt vmcnt(12)
	v_mov_b64_e32 v[8:9], v[20:21]
	scratch_load_dwordx4 v[72:75], off, off offset:864
	v_mov_b64_e32 v[10:11], v[22:23]
	s_waitcnt lgkmcnt(0)
	v_mul_f64 v[6:7], v[116:117], v[10:11]
	v_fmac_f64_e32 v[6:7], v[118:119], v[8:9]
	v_add_f64 v[0:1], v[0:1], v[6:7]
	v_mul_f64 v[6:7], v[150:151], v[78:79]
	v_fma_f64 v[24:25], v[148:149], v[76:77], -v[6:7]
	scratch_load_dwordx4 v[76:79], off, off offset:880
	ds_read_b128 v[124:127], v2 offset:1680
	ds_read_b128 v[120:123], v2 offset:1696
	v_accvgpr_write_b32 a157, v23
	v_mul_f64 v[6:7], v[162:163], v[82:83]
	v_accvgpr_write_b32 a153, v19
	v_accvgpr_write_b32 a156, v22
	;; [unrolled: 1-line block ×4, first 2 shown]
	v_fma_f64 v[20:21], v[160:161], v[80:81], -v[6:7]
	v_mul_f64 v[6:7], v[174:175], v[86:87]
	s_waitcnt vmcnt(13)
	v_accvgpr_read_b32 v8, a130
	v_accvgpr_write_b32 a152, v18
	v_accvgpr_write_b32 a151, v17
	v_accvgpr_write_b32 a150, v16
	v_fma_f64 v[16:17], v[172:173], v[84:85], -v[6:7]
	scratch_load_dwordx4 v[84:87], off, off offset:896
	scratch_load_dwordx4 v[80:83], off, off offset:912
	v_accvgpr_read_b32 v10, a132
	v_accvgpr_read_b32 v11, a133
	;; [unrolled: 1-line block ×3, first 2 shown]
	s_waitcnt lgkmcnt(1)
	v_mul_f64 v[6:7], v[124:125], v[10:11]
	v_fmac_f64_e32 v[6:7], v[126:127], v[8:9]
	s_waitcnt vmcnt(14)
	v_accvgpr_read_b32 v8, a134
	v_accvgpr_read_b32 v10, a136
	;; [unrolled: 1-line block ×3, first 2 shown]
	v_add_f64 v[0:1], v[0:1], v[6:7]
	v_accvgpr_read_b32 v9, a135
	s_waitcnt lgkmcnt(0)
	v_mul_f64 v[6:7], v[120:121], v[10:11]
	v_fmac_f64_e32 v[6:7], v[122:123], v[8:9]
	v_accvgpr_write_b32 a149, v15
	v_add_f64 v[0:1], v[0:1], v[6:7]
	v_mul_f64 v[6:7], v[186:187], v[94:95]
	v_accvgpr_write_b32 a148, v14
	v_accvgpr_write_b32 a147, v13
	;; [unrolled: 1-line block ×3, first 2 shown]
	v_fma_f64 v[14:15], v[184:185], v[92:93], -v[6:7]
	scratch_load_dwordx4 v[92:95], off, off offset:928
	v_mul_f64 v[6:7], v[194:195], v[102:103]
	v_fma_f64 v[18:19], v[192:193], v[100:101], -v[6:7]
	scratch_load_dwordx4 v[100:103], off, off offset:944
	v_mul_f64 v[6:7], v[198:199], v[110:111]
	v_fma_f64 v[12:13], v[196:197], v[108:109], -v[6:7]
	scratch_load_dwordx4 v[108:111], off, off offset:960
	ds_read_b128 v[128:131], v2 offset:1712
	ds_read_b128 v[132:135], v2 offset:1728
	;; [unrolled: 1-line block ×5, first 2 shown]
	s_waitcnt vmcnt(16) lgkmcnt(4)
	v_mul_f64 v[6:7], v[128:129], v[236:237]
	v_fmac_f64_e32 v[6:7], v[130:131], v[234:235]
	v_add_f64 v[0:1], v[0:1], v[6:7]
	v_mul_f64 v[6:7], v[202:203], v[138:139]
	v_fma_f64 v[22:23], v[200:201], v[136:137], -v[6:7]
	ds_read_b128 v[136:139], v2 offset:1744
	s_waitcnt vmcnt(15) lgkmcnt(4)
	v_mul_f64 v[6:7], v[132:133], v[38:39]
	v_fmac_f64_e32 v[6:7], v[134:135], v[36:37]
	v_add_f64 v[0:1], v[0:1], v[6:7]
	v_mul_f64 v[6:7], v[206:207], v[142:143]
	v_fma_f64 v[10:11], v[204:205], v[140:141], -v[6:7]
	ds_read_b128 v[140:143], v2 offset:1760
	;; [unrolled: 7-line block ×3, first 2 shown]
	s_waitcnt vmcnt(13) lgkmcnt(1)
	v_mul_f64 v[6:7], v[140:141], v[46:47]
	v_fmac_f64_e32 v[6:7], v[142:143], v[44:45]
	v_add_f64 v[0:1], v[0:1], v[6:7]
	v_mul_f64 v[182:183], v[244:245], v[182:183]
	s_waitcnt vmcnt(12) lgkmcnt(0)
	v_mul_f64 v[6:7], v[144:145], v[50:51]
	v_fmac_f64_e32 v[6:7], v[146:147], v[48:49]
	v_add_f64 v[0:1], v[0:1], v[6:7]
	v_mul_f64 v[6:7], v[214:215], v[154:155]
	v_fma_f64 v[8:9], v[212:213], v[152:153], -v[6:7]
	s_waitcnt vmcnt(11)
	v_mul_f64 v[6:7], v[148:149], v[54:55]
	v_fmac_f64_e32 v[6:7], v[150:151], v[52:53]
	ds_read_b128 v[152:155], v2 offset:1808
	v_add_f64 v[0:1], v[0:1], v[6:7]
	v_mul_f64 v[6:7], v[218:219], v[158:159]
	v_fma_f64 v[30:31], v[216:217], v[156:157], -v[6:7]
	ds_read_b128 v[156:159], v2 offset:1824
	s_waitcnt vmcnt(10) lgkmcnt(1)
	v_mul_f64 v[6:7], v[152:153], v[58:59]
	v_fmac_f64_e32 v[6:7], v[154:155], v[56:57]
	v_add_f64 v[0:1], v[0:1], v[6:7]
	s_waitcnt vmcnt(5)
	v_mul_f64 v[184:185], v[172:173], v[78:79]
	s_waitcnt lgkmcnt(0)
	v_mul_f64 v[6:7], v[156:157], v[62:63]
	v_fmac_f64_e32 v[6:7], v[158:159], v[60:61]
	v_add_f64 v[0:1], v[0:1], v[6:7]
	v_mul_f64 v[6:7], v[222:223], v[166:167]
	v_fma_f64 v[4:5], v[220:221], v[164:165], -v[6:7]
	ds_read_b128 v[164:167], v2 offset:1856
	v_mul_f64 v[6:7], v[160:161], v[66:67]
	v_fmac_f64_e32 v[6:7], v[162:163], v[64:65]
	v_add_f64 v[0:1], v[0:1], v[6:7]
	v_mul_f64 v[6:7], v[226:227], v[170:171]
	v_fma_f64 v[6:7], v[224:225], v[168:169], -v[6:7]
	ds_read_b128 v[168:171], v2 offset:1872
	s_waitcnt lgkmcnt(1)
	v_mul_f64 v[34:35], v[164:165], v[70:71]
	v_fmac_f64_e32 v[34:35], v[166:167], v[68:69]
	v_add_f64 v[0:1], v[0:1], v[34:35]
	v_fmac_f64_e32 v[184:185], v[174:175], v[76:77]
	s_waitcnt lgkmcnt(0)
	v_mul_f64 v[34:35], v[168:169], v[74:75]
	v_fmac_f64_e32 v[34:35], v[170:171], v[72:73]
	v_add_f64 v[34:35], v[0:1], v[34:35]
	v_mul_f64 v[0:1], v[230:231], v[178:179]
	v_fma_f64 v[0:1], v[228:229], v[176:177], -v[0:1]
	ds_read_b128 v[176:179], v2 offset:1904
	v_fma_f64 v[242:243], v[242:243], v[180:181], -v[182:183]
	ds_read_b128 v[180:183], v2 offset:1920
	v_add_f64 v[34:35], v[34:35], v[184:185]
	v_mul_f64 v[190:191], v[250:251], v[190:191]
	s_waitcnt vmcnt(4) lgkmcnt(1)
	v_mul_f64 v[184:185], v[176:177], v[86:87]
	v_fmac_f64_e32 v[184:185], v[178:179], v[84:85]
	v_add_f64 v[34:35], v[34:35], v[184:185]
	ds_read_b128 v[184:187], v2 offset:1936
	v_fma_f64 v[248:249], v[248:249], v[188:189], -v[190:191]
	ds_read_b128 v[188:191], v2 offset:1952
	s_waitcnt vmcnt(3) lgkmcnt(2)
	v_mul_f64 v[192:193], v[180:181], v[82:83]
	v_fmac_f64_e32 v[192:193], v[182:183], v[80:81]
	v_add_f64 v[34:35], v[34:35], v[192:193]
	s_waitcnt vmcnt(2) lgkmcnt(1)
	v_mul_f64 v[192:193], v[184:185], v[94:95]
	v_fmac_f64_e32 v[192:193], v[186:187], v[92:93]
	v_add_f64 v[34:35], v[34:35], v[192:193]
	;; [unrolled: 4-line block ×3, first 2 shown]
	ds_read_b128 v[192:195], v2 offset:1968
	ds_read_b128 v[200:203], v2 offset:1984
	;; [unrolled: 1-line block ×5, first 2 shown]
	s_waitcnt vmcnt(0) lgkmcnt(4)
	v_mul_f64 v[196:197], v[192:193], v[110:111]
	v_fmac_f64_e32 v[196:197], v[194:195], v[108:109]
	v_add_f64 v[34:35], v[34:35], v[196:197]
	scratch_load_dwordx4 v[196:199], off, off offset:976
	s_waitcnt vmcnt(0) lgkmcnt(3)
	v_mul_f64 v[204:205], v[200:201], v[198:199]
	v_fmac_f64_e32 v[204:205], v[202:203], v[196:197]
	v_add_f64 v[34:35], v[34:35], v[204:205]
	scratch_load_dwordx4 v[204:207], off, off offset:992
	;; [unrolled: 5-line block ×4, first 2 shown]
	s_waitcnt vmcnt(0) lgkmcnt(0)
	v_mul_f64 v[228:229], v[224:225], v[222:223]
	v_fmac_f64_e32 v[228:229], v[226:227], v[220:221]
	v_add_f64 v[244:245], v[34:35], v[228:229]
	v_add_f64 v[34:35], v[240:241], 0
	;; [unrolled: 1-line block ×6, first 2 shown]
	scratch_load_dwordx4 v[228:231], off, off offset:208
	v_add_f64 v[32:33], v[34:35], v[32:33]
	v_add_f64 v[28:29], v[32:33], v[28:29]
	;; [unrolled: 1-line block ×15, first 2 shown]
	v_accvgpr_read_b32 v6, a138
	v_accvgpr_read_b32 v8, a140
	;; [unrolled: 1-line block ×3, first 2 shown]
	v_add_f64 v[0:1], v[4:5], v[0:1]
	v_accvgpr_read_b32 v7, a139
	v_mul_f64 v[4:5], v[90:91], v[8:9]
	v_add_f64 v[0:1], v[0:1], v[242:243]
	v_fma_f64 v[4:5], v[88:89], v[6:7], -v[4:5]
	v_accvgpr_read_b32 v6, a142
	v_add_f64 v[0:1], v[0:1], v[248:249]
	v_accvgpr_read_b32 v8, a144
	v_accvgpr_read_b32 v9, a145
	v_add_f64 v[0:1], v[0:1], v[4:5]
	v_accvgpr_read_b32 v7, a143
	v_mul_f64 v[4:5], v[98:99], v[8:9]
	v_fma_f64 v[4:5], v[96:97], v[6:7], -v[4:5]
	v_accvgpr_read_b32 v6, a146
	v_accvgpr_read_b32 v8, a148
	v_accvgpr_read_b32 v9, a149
	v_add_f64 v[0:1], v[0:1], v[4:5]
	v_accvgpr_read_b32 v7, a147
	v_mul_f64 v[4:5], v[106:107], v[8:9]
	v_fma_f64 v[4:5], v[104:105], v[6:7], -v[4:5]
	v_accvgpr_read_b32 v6, a150
	v_accvgpr_read_b32 v8, a152
	v_accvgpr_read_b32 v9, a153
	v_add_f64 v[0:1], v[0:1], v[4:5]
	v_accvgpr_read_b32 v7, a151
	v_mul_f64 v[4:5], v[114:115], v[8:9]
	v_fma_f64 v[4:5], v[112:113], v[6:7], -v[4:5]
	v_accvgpr_read_b32 v6, a154
	v_accvgpr_read_b32 v8, a156
	v_accvgpr_read_b32 v9, a157
	v_add_f64 v[0:1], v[0:1], v[4:5]
	v_accvgpr_read_b32 v7, a155
	v_mul_f64 v[4:5], v[118:119], v[8:9]
	v_fma_f64 v[4:5], v[116:117], v[6:7], -v[4:5]
	v_accvgpr_read_b32 v6, a130
	v_accvgpr_read_b32 v8, a132
	v_accvgpr_read_b32 v9, a133
	v_add_f64 v[0:1], v[0:1], v[4:5]
	v_accvgpr_read_b32 v7, a131
	v_mul_f64 v[4:5], v[126:127], v[8:9]
	v_fma_f64 v[4:5], v[124:125], v[6:7], -v[4:5]
	v_accvgpr_read_b32 v6, a134
	v_accvgpr_read_b32 v8, a136
	v_accvgpr_read_b32 v9, a137
	v_add_f64 v[0:1], v[0:1], v[4:5]
	v_accvgpr_read_b32 v7, a135
	v_mul_f64 v[4:5], v[122:123], v[8:9]
	v_fma_f64 v[4:5], v[120:121], v[6:7], -v[4:5]
	v_add_f64 v[0:1], v[0:1], v[4:5]
	v_mul_f64 v[4:5], v[130:131], v[236:237]
	v_fma_f64 v[4:5], v[128:129], v[234:235], -v[4:5]
	v_add_f64 v[0:1], v[0:1], v[4:5]
	v_mul_f64 v[4:5], v[134:135], v[38:39]
	v_fma_f64 v[4:5], v[132:133], v[36:37], -v[4:5]
	v_add_f64 v[0:1], v[0:1], v[4:5]
	v_mul_f64 v[4:5], v[138:139], v[42:43]
	v_fma_f64 v[4:5], v[136:137], v[40:41], -v[4:5]
	v_add_f64 v[0:1], v[0:1], v[4:5]
	v_mul_f64 v[4:5], v[142:143], v[46:47]
	v_fma_f64 v[4:5], v[140:141], v[44:45], -v[4:5]
	v_add_f64 v[0:1], v[0:1], v[4:5]
	v_mul_f64 v[4:5], v[146:147], v[50:51]
	v_fma_f64 v[4:5], v[144:145], v[48:49], -v[4:5]
	v_add_f64 v[0:1], v[0:1], v[4:5]
	v_mul_f64 v[4:5], v[150:151], v[54:55]
	v_fma_f64 v[4:5], v[148:149], v[52:53], -v[4:5]
	v_add_f64 v[0:1], v[0:1], v[4:5]
	v_mul_f64 v[4:5], v[154:155], v[58:59]
	v_fma_f64 v[4:5], v[152:153], v[56:57], -v[4:5]
	v_add_f64 v[0:1], v[0:1], v[4:5]
	v_mul_f64 v[4:5], v[158:159], v[62:63]
	v_fma_f64 v[4:5], v[156:157], v[60:61], -v[4:5]
	v_add_f64 v[0:1], v[0:1], v[4:5]
	v_mul_f64 v[4:5], v[162:163], v[66:67]
	v_fma_f64 v[4:5], v[160:161], v[64:65], -v[4:5]
	v_add_f64 v[0:1], v[0:1], v[4:5]
	v_mul_f64 v[4:5], v[166:167], v[70:71]
	v_fma_f64 v[4:5], v[164:165], v[68:69], -v[4:5]
	v_add_f64 v[0:1], v[0:1], v[4:5]
	v_mul_f64 v[4:5], v[170:171], v[74:75]
	v_fma_f64 v[4:5], v[168:169], v[72:73], -v[4:5]
	v_add_f64 v[0:1], v[0:1], v[4:5]
	v_mul_f64 v[4:5], v[174:175], v[78:79]
	v_fma_f64 v[4:5], v[172:173], v[76:77], -v[4:5]
	v_add_f64 v[0:1], v[0:1], v[4:5]
	v_mul_f64 v[4:5], v[178:179], v[86:87]
	v_fma_f64 v[4:5], v[176:177], v[84:85], -v[4:5]
	v_add_f64 v[0:1], v[0:1], v[4:5]
	v_mul_f64 v[4:5], v[182:183], v[82:83]
	v_fma_f64 v[4:5], v[180:181], v[80:81], -v[4:5]
	v_add_f64 v[0:1], v[0:1], v[4:5]
	v_mul_f64 v[4:5], v[186:187], v[94:95]
	v_fma_f64 v[4:5], v[184:185], v[92:93], -v[4:5]
	v_add_f64 v[0:1], v[0:1], v[4:5]
	v_mul_f64 v[4:5], v[190:191], v[102:103]
	v_fma_f64 v[4:5], v[188:189], v[100:101], -v[4:5]
	v_add_f64 v[0:1], v[0:1], v[4:5]
	v_mul_f64 v[4:5], v[194:195], v[110:111]
	v_fma_f64 v[4:5], v[192:193], v[108:109], -v[4:5]
	v_add_f64 v[0:1], v[0:1], v[4:5]
	v_mul_f64 v[4:5], v[202:203], v[198:199]
	v_fma_f64 v[4:5], v[200:201], v[196:197], -v[4:5]
	v_add_f64 v[0:1], v[0:1], v[4:5]
	v_mul_f64 v[4:5], v[210:211], v[206:207]
	v_fma_f64 v[4:5], v[208:209], v[204:205], -v[4:5]
	v_add_f64 v[0:1], v[0:1], v[4:5]
	v_mul_f64 v[4:5], v[218:219], v[214:215]
	v_fma_f64 v[4:5], v[216:217], v[212:213], -v[4:5]
	v_add_f64 v[0:1], v[0:1], v[4:5]
	v_mul_f64 v[4:5], v[226:227], v[222:223]
	v_fma_f64 v[4:5], v[224:225], v[220:221], -v[4:5]
	v_add_f64 v[0:1], v[0:1], v[4:5]
	s_waitcnt vmcnt(0)
	v_add_f64 v[4:5], v[228:229], -v[0:1]
	v_add_f64 v[6:7], v[230:231], -v[244:245]
	scratch_store_dwordx4 off, v[4:7], off offset:208
	s_and_saveexec_b64 s[0:1], vcc
	s_cbranch_execz .LBB127_387
; %bb.386:
	scratch_load_dwordx4 v[6:9], off, s79
	v_mov_b32_e32 v3, v2
	v_mov_b32_e32 v4, v2
	;; [unrolled: 1-line block ×3, first 2 shown]
	v_accvgpr_read_b32 v0, a128
	scratch_store_dwordx4 off, v[2:5], off offset:192
	s_waitcnt vmcnt(1)
	ds_write_b128 v0, v[6:9]
.LBB127_387:
	s_or_b64 exec, exec, s[0:1]
	s_waitcnt lgkmcnt(0)
	; wave barrier
	scratch_load_dwordx4 v[48:51], off, off offset:208
	scratch_load_dwordx4 v[52:55], off, off offset:224
	;; [unrolled: 1-line block ×18, first 2 shown]
	ds_read_b128 v[104:107], v2 offset:1216
	ds_read_b128 v[212:215], v2 offset:1232
	;; [unrolled: 1-line block ×6, first 2 shown]
	scratch_load_dwordx4 v[164:167], off, off offset:496
	ds_read_b128 v[192:195], v2 offset:1312
	ds_read_b128 v[124:127], v2 offset:1328
	scratch_load_dwordx4 v[168:171], off, off offset:512
	ds_read_b128 v[208:211], v2 offset:1344
	ds_read_b128 v[204:207], v2 offset:1360
	;; [unrolled: 1-line block ×5, first 2 shown]
	scratch_load_dwordx4 v[176:179], off, off offset:528
	ds_read_b128 v[200:203], v2 offset:1424
	ds_read_b128 v[172:175], v2 offset:1440
	scratch_load_dwordx4 v[180:183], off, off offset:544
	ds_read_b128 v[216:219], v2 offset:1456
	ds_read_b128 v[184:187], v2 offset:1472
	;; [unrolled: 1-line block ×3, first 2 shown]
	scratch_load_dwordx4 v[188:191], off, off offset:560
	scratch_load_dwordx4 v[4:7], off, off offset:576
	;; [unrolled: 1-line block ×6, first 2 shown]
	ds_read_b128 v[220:223], v2 offset:1504
	ds_read_b128 v[224:227], v2 offset:1520
	scratch_load_dwordx4 a[130:133], off, off offset:656
	scratch_load_dwordx4 a[134:137], off, off offset:672
	ds_read_b128 v[228:231], v2 offset:1536
	ds_read_b128 v[232:235], v2 offset:1552
	;; [unrolled: 1-line block ×3, first 2 shown]
	v_cmp_lt_u32_e32 vcc, 10, v254
	s_waitcnt vmcnt(29) lgkmcnt(14)
	v_mul_f64 v[0:1], v[104:105], v[50:51]
	s_waitcnt vmcnt(28)
	v_mul_f64 v[24:25], v[212:213], v[54:55]
	v_fmac_f64_e32 v[0:1], v[106:107], v[48:49]
	s_waitcnt vmcnt(27)
	v_mul_f64 v[26:27], v[196:197], v[58:59]
	v_fmac_f64_e32 v[24:25], v[214:215], v[52:53]
	v_add_f64 v[0:1], v[0:1], 0
	s_waitcnt vmcnt(26)
	v_mul_f64 v[28:29], v[112:113], v[62:63]
	v_fmac_f64_e32 v[26:27], v[198:199], v[56:57]
	v_add_f64 v[0:1], v[0:1], v[24:25]
	;; [unrolled: 4-line block ×7, first 2 shown]
	s_waitcnt vmcnt(20) lgkmcnt(13)
	v_mul_f64 v[40:41], v[204:205], v[86:87]
	v_fmac_f64_e32 v[38:39], v[210:211], v[80:81]
	v_add_f64 v[0:1], v[0:1], v[36:37]
	s_waitcnt vmcnt(19) lgkmcnt(12)
	v_mul_f64 v[42:43], v[128:129], v[94:95]
	v_fmac_f64_e32 v[40:41], v[206:207], v[84:85]
	v_add_f64 v[0:1], v[0:1], v[38:39]
	;; [unrolled: 4-line block ×8, first 2 shown]
	v_fmac_f64_e32 v[98:99], v[186:187], v[152:153]
	v_add_f64 v[0:1], v[0:1], v[96:97]
	s_waitcnt vmcnt(12) lgkmcnt(5)
	v_mul_f64 v[32:33], v[160:161], v[158:159]
	v_add_f64 v[0:1], v[0:1], v[98:99]
	v_fmac_f64_e32 v[32:33], v[162:163], v[156:157]
	v_add_f64 v[0:1], v[0:1], v[32:33]
	s_waitcnt vmcnt(11) lgkmcnt(4)
	v_mul_f64 v[32:33], v[220:221], v[166:167]
	v_fmac_f64_e32 v[32:33], v[222:223], v[164:165]
	v_add_f64 v[0:1], v[0:1], v[32:33]
	scratch_load_dwordx4 v[32:35], off, off offset:688
	s_waitcnt vmcnt(11) lgkmcnt(3)
	v_mul_f64 v[36:37], v[224:225], v[170:171]
	v_fmac_f64_e32 v[36:37], v[226:227], v[168:169]
	v_add_f64 v[0:1], v[0:1], v[36:37]
	s_waitcnt vmcnt(10) lgkmcnt(2)
	v_mul_f64 v[36:37], v[228:229], v[178:179]
	v_fmac_f64_e32 v[36:37], v[230:231], v[176:177]
	s_waitcnt vmcnt(9) lgkmcnt(1)
	v_mul_f64 v[40:41], v[232:233], v[182:183]
	v_add_f64 v[0:1], v[0:1], v[36:37]
	scratch_load_dwordx4 v[36:39], off, off offset:704
	v_fmac_f64_e32 v[40:41], v[234:235], v[180:181]
	v_add_f64 v[0:1], v[0:1], v[40:41]
	scratch_load_dwordx4 v[40:43], off, off offset:720
	ds_read_b128 v[88:91], v2 offset:1584
	s_waitcnt vmcnt(10) lgkmcnt(1)
	v_mul_f64 v[44:45], v[236:237], v[190:191]
	v_fmac_f64_e32 v[44:45], v[238:239], v[188:189]
	v_add_f64 v[0:1], v[0:1], v[44:45]
	scratch_load_dwordx4 v[44:47], off, off offset:736
	v_mul_f64 v[50:51], v[106:107], v[50:51]
	v_fma_f64 v[240:241], v[104:105], v[48:49], -v[50:51]
	scratch_load_dwordx4 v[48:51], off, off offset:752
	v_mul_f64 v[54:55], v[214:215], v[54:55]
	v_fma_f64 v[242:243], v[212:213], v[52:53], -v[54:55]
	;; [unrolled: 3-line block ×3, first 2 shown]
	scratch_load_dwordx4 v[56:59], off, off offset:784
	s_waitcnt vmcnt(13) lgkmcnt(0)
	v_mul_f64 v[96:97], v[88:89], v[6:7]
	v_fmac_f64_e32 v[96:97], v[90:91], v[4:5]
	v_mul_f64 v[62:63], v[114:115], v[62:63]
	v_add_f64 v[0:1], v[0:1], v[96:97]
	ds_read_b128 v[96:99], v2 offset:1600
	ds_read_b128 v[104:107], v2 offset:1616
	v_fma_f64 v[246:247], v[112:113], v[60:61], -v[62:63]
	scratch_load_dwordx4 v[60:63], off, off offset:800
	v_mul_f64 v[66:67], v[122:123], v[66:67]
	v_fma_f64 v[252:253], v[120:121], v[64:65], -v[66:67]
	scratch_load_dwordx4 v[64:67], off, off offset:816
	v_accvgpr_write_b32 a141, v7
	v_accvgpr_write_b32 a140, v6
	;; [unrolled: 1-line block ×4, first 2 shown]
	s_waitcnt vmcnt(14)
	v_mov_b64_e32 v[4:5], v[8:9]
	v_mov_b64_e32 v[6:7], v[10:11]
	s_waitcnt lgkmcnt(1)
	v_mul_f64 v[212:213], v[96:97], v[6:7]
	v_fmac_f64_e32 v[212:213], v[98:99], v[4:5]
	s_waitcnt vmcnt(13)
	v_mov_b64_e32 v[4:5], v[12:13]
	ds_read_b128 v[112:115], v2 offset:1632
	v_mul_f64 v[70:71], v[118:119], v[70:71]
	v_mov_b64_e32 v[6:7], v[14:15]
	v_fma_f64 v[248:249], v[116:117], v[68:69], -v[70:71]
	ds_read_b128 v[116:119], v2 offset:1648
	scratch_load_dwordx4 v[68:71], off, off offset:832
	s_waitcnt lgkmcnt(2)
	v_mul_f64 v[196:197], v[104:105], v[6:7]
	v_mul_f64 v[74:75], v[194:195], v[74:75]
	v_accvgpr_write_b32 a145, v11
	v_fmac_f64_e32 v[196:197], v[106:107], v[4:5]
	s_waitcnt vmcnt(13)
	v_mov_b64_e32 v[4:5], v[16:17]
	v_fma_f64 v[28:29], v[192:193], v[72:73], -v[74:75]
	scratch_load_dwordx4 v[72:75], off, off offset:848
	v_accvgpr_write_b32 a144, v10
	v_accvgpr_write_b32 a143, v9
	;; [unrolled: 1-line block ×3, first 2 shown]
	v_mov_b64_e32 v[6:7], v[18:19]
	s_waitcnt vmcnt(13)
	v_mov_b64_e32 v[8:9], v[20:21]
	v_add_f64 v[0:1], v[0:1], v[212:213]
	s_waitcnt lgkmcnt(1)
	v_mul_f64 v[120:121], v[112:113], v[6:7]
	v_mov_b64_e32 v[10:11], v[22:23]
	v_add_f64 v[0:1], v[0:1], v[196:197]
	v_fmac_f64_e32 v[120:121], v[114:115], v[4:5]
	s_waitcnt lgkmcnt(0)
	v_mul_f64 v[6:7], v[116:117], v[10:11]
	v_add_f64 v[0:1], v[0:1], v[120:121]
	v_fmac_f64_e32 v[6:7], v[118:119], v[8:9]
	v_add_f64 v[0:1], v[0:1], v[6:7]
	v_mul_f64 v[6:7], v[126:127], v[78:79]
	v_fma_f64 v[24:25], v[124:125], v[76:77], -v[6:7]
	scratch_load_dwordx4 v[76:79], off, off offset:864
	v_accvgpr_write_b32 a153, v19
	v_mul_f64 v[10:11], v[206:207], v[86:87]
	v_accvgpr_write_b32 a152, v18
	v_accvgpr_write_b32 a151, v17
	v_accvgpr_write_b32 a150, v16
	ds_read_b128 v[124:127], v2 offset:1664
	ds_read_b128 v[120:123], v2 offset:1680
	v_fma_f64 v[16:17], v[204:205], v[84:85], -v[10:11]
	scratch_load_dwordx4 v[84:87], off, off offset:880
	v_accvgpr_write_b32 a157, v23
	v_mul_f64 v[82:83], v[210:211], v[82:83]
	v_accvgpr_write_b32 a156, v22
	v_accvgpr_write_b32 a155, v21
	;; [unrolled: 1-line block ×3, first 2 shown]
	v_fma_f64 v[20:21], v[208:209], v[80:81], -v[82:83]
	scratch_load_dwordx4 v[80:83], off, off offset:896
	v_accvgpr_write_b32 a149, v15
	v_mul_f64 v[94:95], v[130:131], v[94:95]
	v_accvgpr_write_b32 a148, v14
	v_accvgpr_write_b32 a147, v13
	;; [unrolled: 1-line block ×3, first 2 shown]
	v_fma_f64 v[12:13], v[128:129], v[92:93], -v[94:95]
	v_mul_f64 v[14:15], v[134:135], v[102:103]
	scratch_load_dwordx4 v[92:95], off, off offset:912
	v_fma_f64 v[14:15], v[132:133], v[100:101], -v[14:15]
	v_mul_f64 v[100:101], v[150:151], v[110:111]
	v_fma_f64 v[10:11], v[148:149], v[108:109], -v[100:101]
	scratch_load_dwordx4 v[100:103], off, off offset:928
	scratch_load_dwordx4 v[108:111], off, off offset:944
	s_waitcnt vmcnt(18)
	v_accvgpr_read_b32 v4, a130
	v_accvgpr_read_b32 v6, a132
	;; [unrolled: 1-line block ×3, first 2 shown]
	ds_read_b128 v[128:131], v2 offset:1696
	ds_read_b128 v[132:135], v2 offset:1712
	v_accvgpr_read_b32 v5, a131
	s_waitcnt lgkmcnt(3)
	v_mul_f64 v[192:193], v[124:125], v[6:7]
	v_fmac_f64_e32 v[192:193], v[126:127], v[4:5]
	s_waitcnt vmcnt(17)
	v_accvgpr_read_b32 v4, a134
	v_accvgpr_read_b32 v6, a136
	;; [unrolled: 1-line block ×3, first 2 shown]
	v_add_f64 v[0:1], v[0:1], v[192:193]
	v_accvgpr_read_b32 v5, a135
	s_waitcnt lgkmcnt(2)
	v_mul_f64 v[192:193], v[120:121], v[6:7]
	v_fmac_f64_e32 v[192:193], v[122:123], v[4:5]
	s_waitcnt vmcnt(16) lgkmcnt(1)
	v_mul_f64 v[18:19], v[128:129], v[34:35]
	v_add_f64 v[0:1], v[0:1], v[192:193]
	v_fmac_f64_e32 v[18:19], v[130:131], v[32:33]
	v_add_f64 v[0:1], v[0:1], v[18:19]
	v_mul_f64 v[18:19], v[202:203], v[138:139]
	v_fma_f64 v[18:19], v[200:201], v[136:137], -v[18:19]
	ds_read_b128 v[136:139], v2 offset:1728
	s_waitcnt vmcnt(15) lgkmcnt(1)
	v_mul_f64 v[148:149], v[132:133], v[38:39]
	v_mul_f64 v[142:143], v[174:175], v[142:143]
	v_fmac_f64_e32 v[148:149], v[134:135], v[36:37]
	v_fma_f64 v[8:9], v[172:173], v[140:141], -v[142:143]
	ds_read_b128 v[140:143], v2 offset:1744
	s_waitcnt vmcnt(14) lgkmcnt(1)
	v_mul_f64 v[22:23], v[136:137], v[42:43]
	v_add_f64 v[0:1], v[0:1], v[148:149]
	v_fmac_f64_e32 v[22:23], v[138:139], v[40:41]
	v_add_f64 v[0:1], v[0:1], v[22:23]
	v_mul_f64 v[22:23], v[218:219], v[146:147]
	v_fma_f64 v[22:23], v[216:217], v[144:145], -v[22:23]
	ds_read_b128 v[144:147], v2 offset:1760
	ds_read_b128 v[148:151], v2 offset:1776
	s_waitcnt vmcnt(13) lgkmcnt(2)
	v_mul_f64 v[172:173], v[140:141], v[46:47]
	v_mul_f64 v[154:155], v[186:187], v[154:155]
	v_fmac_f64_e32 v[172:173], v[142:143], v[44:45]
	v_fma_f64 v[6:7], v[184:185], v[152:153], -v[154:155]
	ds_read_b128 v[152:155], v2 offset:1792
	v_add_f64 v[0:1], v[0:1], v[172:173]
	s_waitcnt vmcnt(12) lgkmcnt(2)
	v_mul_f64 v[172:173], v[144:145], v[50:51]
	v_fmac_f64_e32 v[172:173], v[146:147], v[48:49]
	s_waitcnt vmcnt(11) lgkmcnt(1)
	v_mul_f64 v[26:27], v[148:149], v[54:55]
	v_add_f64 v[0:1], v[0:1], v[172:173]
	v_fmac_f64_e32 v[26:27], v[150:151], v[52:53]
	v_add_f64 v[0:1], v[0:1], v[26:27]
	v_mul_f64 v[26:27], v[162:163], v[158:159]
	v_fma_f64 v[26:27], v[160:161], v[156:157], -v[26:27]
	ds_read_b128 v[156:159], v2 offset:1808
	s_waitcnt vmcnt(10) lgkmcnt(1)
	v_mul_f64 v[160:161], v[152:153], v[58:59]
	v_fmac_f64_e32 v[160:161], v[154:155], v[56:57]
	v_add_f64 v[0:1], v[0:1], v[160:161]
	ds_read_b128 v[160:163], v2 offset:1824
	s_waitcnt vmcnt(9) lgkmcnt(1)
	v_mul_f64 v[172:173], v[156:157], v[62:63]
	v_mul_f64 v[166:167], v[222:223], v[166:167]
	v_fmac_f64_e32 v[172:173], v[158:159], v[60:61]
	v_fma_f64 v[4:5], v[220:221], v[164:165], -v[166:167]
	ds_read_b128 v[164:167], v2 offset:1840
	s_waitcnt vmcnt(8) lgkmcnt(1)
	v_mul_f64 v[30:31], v[160:161], v[66:67]
	v_add_f64 v[0:1], v[0:1], v[172:173]
	v_fmac_f64_e32 v[30:31], v[162:163], v[64:65]
	v_add_f64 v[0:1], v[0:1], v[30:31]
	v_mul_f64 v[30:31], v[226:227], v[170:171]
	v_fma_f64 v[30:31], v[224:225], v[168:169], -v[30:31]
	ds_read_b128 v[168:171], v2 offset:1856
	s_waitcnt vmcnt(7) lgkmcnt(1)
	v_mul_f64 v[172:173], v[164:165], v[70:71]
	v_fmac_f64_e32 v[172:173], v[166:167], v[68:69]
	v_add_f64 v[0:1], v[0:1], v[172:173]
	ds_read_b128 v[172:175], v2 offset:1872
	s_waitcnt vmcnt(6) lgkmcnt(1)
	v_mul_f64 v[184:185], v[168:169], v[74:75]
	v_fmac_f64_e32 v[184:185], v[170:171], v[72:73]
	v_add_f64 v[184:185], v[0:1], v[184:185]
	v_mul_f64 v[0:1], v[230:231], v[178:179]
	v_fma_f64 v[0:1], v[228:229], v[176:177], -v[0:1]
	ds_read_b128 v[176:179], v2 offset:1888
	v_mul_f64 v[182:183], v[234:235], v[182:183]
	s_waitcnt vmcnt(5) lgkmcnt(1)
	v_mul_f64 v[186:187], v[172:173], v[78:79]
	v_fma_f64 v[180:181], v[232:233], v[180:181], -v[182:183]
	v_fmac_f64_e32 v[186:187], v[174:175], v[76:77]
	v_accvgpr_write_b32 a158, v180
	v_accvgpr_write_b32 a159, v181
	ds_read_b128 v[180:183], v2 offset:1904
	v_add_f64 v[184:185], v[184:185], v[186:187]
	s_waitcnt vmcnt(4) lgkmcnt(1)
	v_mul_f64 v[186:187], v[176:177], v[86:87]
	v_fmac_f64_e32 v[186:187], v[178:179], v[84:85]
	v_add_f64 v[192:193], v[184:185], v[186:187]
	ds_read_b128 v[184:187], v2 offset:1920
	v_mul_f64 v[190:191], v[238:239], v[190:191]
	v_fma_f64 v[250:251], v[236:237], v[188:189], -v[190:191]
	ds_read_b128 v[188:191], v2 offset:1936
	s_waitcnt vmcnt(3) lgkmcnt(2)
	v_mul_f64 v[194:195], v[180:181], v[82:83]
	v_fmac_f64_e32 v[194:195], v[182:183], v[80:81]
	v_add_f64 v[192:193], v[192:193], v[194:195]
	s_waitcnt vmcnt(2) lgkmcnt(1)
	v_mul_f64 v[194:195], v[184:185], v[94:95]
	v_fmac_f64_e32 v[194:195], v[186:187], v[92:93]
	v_add_f64 v[192:193], v[192:193], v[194:195]
	s_waitcnt vmcnt(1) lgkmcnt(0)
	v_mul_f64 v[194:195], v[188:189], v[102:103]
	v_fmac_f64_e32 v[194:195], v[190:191], v[100:101]
	v_add_f64 v[196:197], v[192:193], v[194:195]
	ds_read_b128 v[192:195], v2 offset:1952
	ds_read_b128 v[200:203], v2 offset:1968
	scratch_load_dwordx4 v[232:235], off, off offset:1024
	ds_read_b128 v[208:211], v2 offset:1984
	ds_read_b128 v[216:219], v2 offset:2000
	s_waitcnt vmcnt(1) lgkmcnt(3)
	v_mul_f64 v[198:199], v[192:193], v[110:111]
	v_fmac_f64_e32 v[198:199], v[194:195], v[108:109]
	v_add_f64 v[204:205], v[196:197], v[198:199]
	scratch_load_dwordx4 v[196:199], off, off offset:960
	ds_read_b128 v[224:227], v2 offset:2016
	s_waitcnt vmcnt(0) lgkmcnt(3)
	v_mul_f64 v[206:207], v[200:201], v[198:199]
	v_fmac_f64_e32 v[206:207], v[202:203], v[196:197]
	v_add_f64 v[212:213], v[204:205], v[206:207]
	scratch_load_dwordx4 v[204:207], off, off offset:976
	s_waitcnt vmcnt(0) lgkmcnt(2)
	v_mul_f64 v[214:215], v[208:209], v[206:207]
	v_fmac_f64_e32 v[214:215], v[210:211], v[204:205]
	v_add_f64 v[220:221], v[212:213], v[214:215]
	scratch_load_dwordx4 v[212:215], off, off offset:992
	;; [unrolled: 5-line block ×3, first 2 shown]
	s_waitcnt vmcnt(0) lgkmcnt(0)
	v_mul_f64 v[230:231], v[224:225], v[222:223]
	v_fmac_f64_e32 v[230:231], v[226:227], v[220:221]
	v_add_f64 v[236:237], v[228:229], v[230:231]
	ds_read_b128 v[228:231], v2 offset:2032
	s_waitcnt lgkmcnt(0)
	v_mul_f64 v[2:3], v[228:229], v[234:235]
	v_fmac_f64_e32 v[2:3], v[230:231], v[232:233]
	v_add_f64 v[2:3], v[236:237], v[2:3]
	v_add_f64 v[236:237], v[240:241], 0
	;; [unrolled: 1-line block ×8, first 2 shown]
	scratch_load_dwordx4 v[236:239], off, off offset:192
	v_add_f64 v[24:25], v[28:29], v[24:25]
	v_add_f64 v[20:21], v[24:25], v[20:21]
	;; [unrolled: 1-line block ×13, first 2 shown]
	v_accvgpr_read_b32 v6, a138
	v_add_f64 v[252:253], v[4:5], v[0:1]
	v_accvgpr_read_b32 v0, a158
	v_accvgpr_read_b32 v8, a140
	;; [unrolled: 1-line block ×5, first 2 shown]
	v_mul_f64 v[4:5], v[90:91], v[8:9]
	v_add_f64 v[0:1], v[252:253], v[0:1]
	v_fma_f64 v[4:5], v[88:89], v[6:7], -v[4:5]
	v_accvgpr_read_b32 v6, a142
	v_add_f64 v[0:1], v[0:1], v[250:251]
	v_accvgpr_read_b32 v8, a144
	v_accvgpr_read_b32 v9, a145
	v_add_f64 v[0:1], v[0:1], v[4:5]
	v_accvgpr_read_b32 v7, a143
	v_mul_f64 v[4:5], v[98:99], v[8:9]
	v_fma_f64 v[4:5], v[96:97], v[6:7], -v[4:5]
	v_accvgpr_read_b32 v6, a146
	v_accvgpr_read_b32 v8, a148
	v_accvgpr_read_b32 v9, a149
	v_add_f64 v[0:1], v[0:1], v[4:5]
	v_accvgpr_read_b32 v7, a147
	v_mul_f64 v[4:5], v[106:107], v[8:9]
	v_fma_f64 v[4:5], v[104:105], v[6:7], -v[4:5]
	v_accvgpr_read_b32 v6, a150
	;; [unrolled: 7-line block ×5, first 2 shown]
	v_accvgpr_read_b32 v8, a136
	v_accvgpr_read_b32 v9, a137
	v_add_f64 v[0:1], v[0:1], v[4:5]
	v_accvgpr_read_b32 v7, a135
	v_mul_f64 v[4:5], v[122:123], v[8:9]
	v_fma_f64 v[4:5], v[120:121], v[6:7], -v[4:5]
	v_add_f64 v[0:1], v[0:1], v[4:5]
	v_mul_f64 v[4:5], v[130:131], v[34:35]
	v_fma_f64 v[4:5], v[128:129], v[32:33], -v[4:5]
	v_add_f64 v[0:1], v[0:1], v[4:5]
	;; [unrolled: 3-line block ×23, first 2 shown]
	s_waitcnt vmcnt(0)
	v_add_f64 v[4:5], v[236:237], -v[0:1]
	v_add_f64 v[6:7], v[238:239], -v[2:3]
	scratch_store_dwordx4 off, v[4:7], off offset:192
	s_and_saveexec_b64 s[0:1], vcc
	s_cbranch_execz .LBB127_389
; %bb.388:
	scratch_load_dwordx4 v[2:5], off, s80
	v_mov_b32_e32 v6, 0
	v_mov_b32_e32 v7, v6
	;; [unrolled: 1-line block ×4, first 2 shown]
	v_accvgpr_read_b32 v0, a128
	scratch_store_dwordx4 off, v[6:9], off offset:176
	s_waitcnt vmcnt(1)
	ds_write_b128 v0, v[2:5]
.LBB127_389:
	s_or_b64 exec, exec, s[0:1]
	s_waitcnt lgkmcnt(0)
	; wave barrier
	scratch_load_dwordx4 v[40:43], off, off offset:192
	scratch_load_dwordx4 v[44:47], off, off offset:208
	;; [unrolled: 1-line block ×29, first 2 shown]
	v_mov_b32_e32 v2, 0
	ds_read_b128 v[80:83], v2 offset:1200
	ds_read_b128 v[100:103], v2 offset:1216
	;; [unrolled: 1-line block ×18, first 2 shown]
	scratch_load_dwordx4 a[130:133], off, off offset:656
	scratch_load_dwordx4 a[134:137], off, off offset:672
	ds_read_b128 v[228:231], v2 offset:1552
	ds_read_b128 v[242:245], v2 offset:1568
	scratch_load_dwordx4 a[138:141], off, off offset:688
	scratch_load_dwordx4 v[234:237], off, off offset:704
	ds_read_b128 v[248:251], v2 offset:1584
	scratch_load_dwordx4 a[142:145], off, off offset:720
	v_cmp_lt_u32_e32 vcc, 9, v254
	ds_read_b128 v[224:227], v2 offset:1536
	s_waitcnt vmcnt(33) lgkmcnt(14)
	v_mul_f64 v[0:1], v[80:81], v[42:43]
	s_waitcnt vmcnt(32)
	v_mul_f64 v[20:21], v[100:101], v[46:47]
	v_fmac_f64_e32 v[0:1], v[82:83], v[40:41]
	s_waitcnt vmcnt(31)
	v_mul_f64 v[22:23], v[104:105], v[50:51]
	v_fmac_f64_e32 v[20:21], v[102:103], v[44:45]
	v_add_f64 v[0:1], v[0:1], 0
	s_waitcnt vmcnt(30)
	v_mul_f64 v[24:25], v[108:109], v[54:55]
	v_fmac_f64_e32 v[22:23], v[106:107], v[48:49]
	v_add_f64 v[0:1], v[0:1], v[20:21]
	;; [unrolled: 4-line block ×6, first 2 shown]
	s_waitcnt vmcnt(25) lgkmcnt(13)
	v_mul_f64 v[34:35], v[144:145], v[74:75]
	v_fmac_f64_e32 v[32:33], v[134:135], v[68:69]
	v_add_f64 v[0:1], v[0:1], v[30:31]
	s_waitcnt vmcnt(24) lgkmcnt(12)
	v_mul_f64 v[36:37], v[156:157], v[78:79]
	v_fmac_f64_e32 v[34:35], v[146:147], v[72:73]
	v_add_f64 v[0:1], v[0:1], v[32:33]
	;; [unrolled: 4-line block ×7, first 2 shown]
	v_fmac_f64_e32 v[218:219], v[198:199], v[124:125]
	v_add_f64 v[0:1], v[0:1], v[216:217]
	ds_read_b128 v[212:215], v2 offset:1488
	s_waitcnt vmcnt(18) lgkmcnt(7)
	v_mul_f64 v[220:221], v[200:201], v[130:131]
	v_add_f64 v[0:1], v[0:1], v[218:219]
	ds_read_b128 v[216:219], v2 offset:1504
	v_fmac_f64_e32 v[220:221], v[202:203], v[128:129]
	s_waitcnt vmcnt(17) lgkmcnt(7)
	v_mul_f64 v[20:21], v[204:205], v[138:139]
	v_add_f64 v[0:1], v[0:1], v[220:221]
	v_fmac_f64_e32 v[20:21], v[206:207], v[136:137]
	s_waitcnt vmcnt(16) lgkmcnt(6)
	v_mul_f64 v[24:25], v[208:209], v[142:143]
	ds_read_b128 v[220:223], v2 offset:1520
	v_add_f64 v[0:1], v[0:1], v[20:21]
	v_fmac_f64_e32 v[24:25], v[210:211], v[140:141]
	v_add_f64 v[0:1], v[0:1], v[24:25]
	s_waitcnt vmcnt(15) lgkmcnt(2)
	v_mul_f64 v[24:25], v[212:213], v[150:151]
	v_fmac_f64_e32 v[24:25], v[214:215], v[148:149]
	s_waitcnt vmcnt(14) lgkmcnt(1)
	v_mul_f64 v[28:29], v[216:217], v[154:155]
	v_add_f64 v[0:1], v[0:1], v[24:25]
	v_fmac_f64_e32 v[28:29], v[218:219], v[152:153]
	v_add_f64 v[0:1], v[0:1], v[28:29]
	s_waitcnt vmcnt(13) lgkmcnt(0)
	v_mul_f64 v[28:29], v[220:221], v[162:163]
	v_fmac_f64_e32 v[28:29], v[222:223], v[160:161]
	s_waitcnt vmcnt(12)
	v_mul_f64 v[32:33], v[224:225], v[166:167]
	v_add_f64 v[0:1], v[0:1], v[28:29]
	v_fmac_f64_e32 v[32:33], v[226:227], v[164:165]
	v_add_f64 v[0:1], v[0:1], v[32:33]
	s_waitcnt vmcnt(11)
	v_mul_f64 v[32:33], v[228:229], v[174:175]
	v_fmac_f64_e32 v[32:33], v[230:231], v[172:173]
	s_waitcnt vmcnt(10)
	v_mul_f64 v[36:37], v[242:243], v[178:179]
	v_mul_f64 v[42:43], v[82:83], v[42:43]
	v_add_f64 v[0:1], v[0:1], v[32:33]
	v_fmac_f64_e32 v[36:37], v[244:245], v[176:177]
	v_fma_f64 v[240:241], v[80:81], v[40:41], -v[42:43]
	ds_read_b128 v[80:83], v2 offset:1600
	s_waitcnt vmcnt(9)
	v_mul_f64 v[40:41], v[248:249], v[186:187]
	v_add_f64 v[0:1], v[0:1], v[36:37]
	v_fmac_f64_e32 v[40:41], v[250:251], v[184:185]
	v_add_f64 v[0:1], v[0:1], v[40:41]
	v_mul_f64 v[40:41], v[102:103], v[46:47]
	v_fma_f64 v[246:247], v[100:101], v[44:45], -v[40:41]
	scratch_load_dwordx4 v[40:43], off, off offset:736
	s_waitcnt vmcnt(9) lgkmcnt(0)
	v_mul_f64 v[44:45], v[80:81], v[6:7]
	v_fmac_f64_e32 v[44:45], v[82:83], v[4:5]
	v_add_f64 v[0:1], v[0:1], v[44:45]
	scratch_load_dwordx4 v[44:47], off, off offset:752
	v_mul_f64 v[50:51], v[106:107], v[50:51]
	v_fma_f64 v[252:253], v[104:105], v[48:49], -v[50:51]
	ds_read_b128 v[100:103], v2 offset:1616
	v_mul_f64 v[48:49], v[110:111], v[54:55]
	v_fma_f64 v[232:233], v[108:109], v[52:53], -v[48:49]
	scratch_load_dwordx4 v[52:55], off, off offset:768
	scratch_load_dwordx4 v[48:51], off, off offset:784
	v_accvgpr_write_b32 a149, v7
	v_accvgpr_write_b32 a148, v6
	;; [unrolled: 1-line block ×4, first 2 shown]
	s_waitcnt vmcnt(11)
	v_mov_b64_e32 v[4:5], v[8:9]
	v_mul_f64 v[58:59], v[114:115], v[58:59]
	v_mov_b64_e32 v[6:7], v[10:11]
	v_fma_f64 v[238:239], v[112:113], v[56:57], -v[58:59]
	ds_read_b128 v[104:107], v2 offset:1632
	ds_read_b128 v[108:111], v2 offset:1648
	s_waitcnt lgkmcnt(2)
	v_mul_f64 v[56:57], v[100:101], v[6:7]
	v_fmac_f64_e32 v[56:57], v[102:103], v[4:5]
	v_accvgpr_write_b32 a153, v11
	v_add_f64 v[0:1], v[0:1], v[56:57]
	v_mul_f64 v[56:57], v[118:119], v[62:63]
	v_accvgpr_write_b32 a152, v10
	v_accvgpr_write_b32 a151, v9
	;; [unrolled: 1-line block ×3, first 2 shown]
	v_fma_f64 v[36:37], v[116:117], v[60:61], -v[56:57]
	scratch_load_dwordx4 v[56:59], off, off offset:800
	scratch_load_dwordx4 v[60:63], off, off offset:816
	s_waitcnt vmcnt(12)
	v_mov_b64_e32 v[8:9], v[12:13]
	v_mov_b64_e32 v[10:11], v[14:15]
	s_waitcnt lgkmcnt(1)
	v_mul_f64 v[6:7], v[104:105], v[10:11]
	v_fmac_f64_e32 v[6:7], v[106:107], v[8:9]
	v_add_f64 v[0:1], v[0:1], v[6:7]
	v_mul_f64 v[6:7], v[122:123], v[66:67]
	v_fma_f64 v[32:33], v[120:121], v[64:65], -v[6:7]
	scratch_load_dwordx4 v[64:67], off, off offset:832
	v_mul_f64 v[6:7], v[134:135], v[70:71]
	v_fma_f64 v[28:29], v[132:133], v[68:69], -v[6:7]
	scratch_load_dwordx4 v[68:71], off, off offset:848
	v_mul_f64 v[6:7], v[146:147], v[74:75]
	v_fma_f64 v[24:25], v[144:145], v[72:73], -v[6:7]
	s_waitcnt vmcnt(13)
	v_mov_b64_e32 v[8:9], v[16:17]
	scratch_load_dwordx4 v[72:75], off, off offset:864
	ds_read_b128 v[112:115], v2 offset:1664
	ds_read_b128 v[116:119], v2 offset:1680
	v_mov_b64_e32 v[10:11], v[18:19]
	s_waitcnt lgkmcnt(2)
	v_mul_f64 v[6:7], v[108:109], v[10:11]
	v_fmac_f64_e32 v[6:7], v[110:111], v[8:9]
	v_add_f64 v[0:1], v[0:1], v[6:7]
	v_mul_f64 v[6:7], v[158:159], v[78:79]
	s_waitcnt vmcnt(13)
	v_accvgpr_read_b32 v8, a130
	v_accvgpr_write_b32 a161, v19
	v_fma_f64 v[20:21], v[156:157], v[76:77], -v[6:7]
	v_accvgpr_read_b32 v10, a132
	v_accvgpr_read_b32 v11, a133
	v_mul_f64 v[76:77], v[170:171], v[86:87]
	v_accvgpr_write_b32 a160, v18
	v_accvgpr_write_b32 a159, v17
	;; [unrolled: 1-line block ×3, first 2 shown]
	v_accvgpr_read_b32 v9, a131
	s_waitcnt lgkmcnt(1)
	v_mul_f64 v[6:7], v[112:113], v[10:11]
	v_fma_f64 v[16:17], v[168:169], v[84:85], -v[76:77]
	scratch_load_dwordx4 v[76:79], off, off offset:880
	v_fmac_f64_e32 v[6:7], v[114:115], v[8:9]
	v_accvgpr_write_b32 a157, v15
	v_add_f64 v[0:1], v[0:1], v[6:7]
	v_mul_f64 v[6:7], v[182:183], v[90:91]
	v_mul_f64 v[84:85], v[190:191], v[94:95]
	v_accvgpr_write_b32 a156, v14
	v_accvgpr_write_b32 a155, v13
	;; [unrolled: 1-line block ×3, first 2 shown]
	v_fma_f64 v[18:19], v[180:181], v[88:89], -v[6:7]
	ds_read_b128 v[120:123], v2 offset:1696
	v_fma_f64 v[14:15], v[188:189], v[92:93], -v[84:85]
	scratch_load_dwordx4 v[88:91], off, off offset:896
	scratch_load_dwordx4 v[84:87], off, off offset:912
	v_mul_f64 v[22:23], v[194:195], v[98:99]
	scratch_load_dwordx4 v[92:95], off, off offset:928
	v_fma_f64 v[22:23], v[192:193], v[96:97], -v[22:23]
	v_mul_f64 v[96:97], v[198:199], v[126:127]
	v_fma_f64 v[12:13], v[196:197], v[124:125], -v[96:97]
	scratch_load_dwordx4 v[96:99], off, off offset:944
	s_waitcnt vmcnt(17)
	v_accvgpr_read_b32 v8, a134
	v_accvgpr_read_b32 v10, a136
	;; [unrolled: 1-line block ×4, first 2 shown]
	s_waitcnt lgkmcnt(1)
	v_mul_f64 v[6:7], v[116:117], v[10:11]
	ds_read_b128 v[124:127], v2 offset:1712
	v_fmac_f64_e32 v[6:7], v[118:119], v[8:9]
	s_waitcnt vmcnt(16)
	v_accvgpr_read_b32 v8, a138
	v_mul_f64 v[26:27], v[202:203], v[130:131]
	v_accvgpr_read_b32 v10, a140
	v_accvgpr_read_b32 v11, a141
	v_fma_f64 v[26:27], v[200:201], v[128:129], -v[26:27]
	ds_read_b128 v[128:131], v2 offset:1728
	v_add_f64 v[0:1], v[0:1], v[6:7]
	v_accvgpr_read_b32 v9, a139
	s_waitcnt lgkmcnt(2)
	v_mul_f64 v[6:7], v[120:121], v[10:11]
	v_fmac_f64_e32 v[6:7], v[122:123], v[8:9]
	v_add_f64 v[0:1], v[0:1], v[6:7]
	s_waitcnt vmcnt(15) lgkmcnt(1)
	v_mul_f64 v[6:7], v[124:125], v[236:237]
	s_waitcnt vmcnt(14)
	v_accvgpr_read_b32 v8, a142
	ds_read_b128 v[132:135], v2 offset:1744
	v_fmac_f64_e32 v[6:7], v[126:127], v[234:235]
	v_accvgpr_read_b32 v10, a144
	v_accvgpr_read_b32 v11, a145
	v_add_f64 v[0:1], v[0:1], v[6:7]
	v_accvgpr_read_b32 v9, a143
	s_waitcnt lgkmcnt(1)
	v_mul_f64 v[6:7], v[128:129], v[10:11]
	v_fmac_f64_e32 v[6:7], v[130:131], v[8:9]
	v_add_f64 v[0:1], v[0:1], v[6:7]
	v_mul_f64 v[6:7], v[206:207], v[138:139]
	v_fma_f64 v[10:11], v[204:205], v[136:137], -v[6:7]
	ds_read_b128 v[136:139], v2 offset:1760
	s_waitcnt vmcnt(13) lgkmcnt(1)
	v_mul_f64 v[6:7], v[132:133], v[42:43]
	v_fmac_f64_e32 v[6:7], v[134:135], v[40:41]
	v_add_f64 v[0:1], v[0:1], v[6:7]
	v_mul_f64 v[6:7], v[210:211], v[142:143]
	v_fma_f64 v[30:31], v[208:209], v[140:141], -v[6:7]
	ds_read_b128 v[140:143], v2 offset:1776
	ds_read_b128 v[144:147], v2 offset:1792
	s_waitcnt vmcnt(12) lgkmcnt(2)
	v_mul_f64 v[6:7], v[136:137], v[46:47]
	v_fmac_f64_e32 v[6:7], v[138:139], v[44:45]
	v_add_f64 v[0:1], v[0:1], v[6:7]
	s_waitcnt vmcnt(11) lgkmcnt(1)
	v_mul_f64 v[6:7], v[140:141], v[54:55]
	v_fmac_f64_e32 v[6:7], v[142:143], v[52:53]
	v_add_f64 v[0:1], v[0:1], v[6:7]
	v_mul_f64 v[6:7], v[214:215], v[150:151]
	v_fma_f64 v[8:9], v[212:213], v[148:149], -v[6:7]
	ds_read_b128 v[148:151], v2 offset:1808
	v_mul_f64 v[34:35], v[218:219], v[154:155]
	v_fma_f64 v[34:35], v[216:217], v[152:153], -v[34:35]
	ds_read_b128 v[152:155], v2 offset:1824
	s_waitcnt vmcnt(10) lgkmcnt(2)
	v_mul_f64 v[6:7], v[144:145], v[50:51]
	v_fmac_f64_e32 v[6:7], v[146:147], v[48:49]
	v_add_f64 v[0:1], v[0:1], v[6:7]
	s_waitcnt vmcnt(9) lgkmcnt(1)
	v_mul_f64 v[6:7], v[148:149], v[58:59]
	ds_read_b128 v[156:159], v2 offset:1840
	v_fmac_f64_e32 v[6:7], v[150:151], v[56:57]
	v_add_f64 v[0:1], v[0:1], v[6:7]
	s_waitcnt vmcnt(8) lgkmcnt(1)
	v_mul_f64 v[6:7], v[152:153], v[62:63]
	v_fmac_f64_e32 v[6:7], v[154:155], v[60:61]
	v_add_f64 v[0:1], v[0:1], v[6:7]
	v_mul_f64 v[6:7], v[222:223], v[162:163]
	v_fma_f64 v[4:5], v[220:221], v[160:161], -v[6:7]
	ds_read_b128 v[160:163], v2 offset:1856
	s_waitcnt vmcnt(7) lgkmcnt(1)
	v_mul_f64 v[6:7], v[156:157], v[66:67]
	v_fmac_f64_e32 v[6:7], v[158:159], v[64:65]
	v_add_f64 v[0:1], v[0:1], v[6:7]
	v_mul_f64 v[6:7], v[226:227], v[166:167]
	v_fma_f64 v[6:7], v[224:225], v[164:165], -v[6:7]
	ds_read_b128 v[164:167], v2 offset:1872
	ds_read_b128 v[168:171], v2 offset:1888
	s_waitcnt vmcnt(6) lgkmcnt(2)
	v_mul_f64 v[38:39], v[160:161], v[70:71]
	v_fmac_f64_e32 v[38:39], v[162:163], v[68:69]
	v_add_f64 v[0:1], v[0:1], v[38:39]
	s_waitcnt vmcnt(5) lgkmcnt(1)
	v_mul_f64 v[38:39], v[164:165], v[74:75]
	v_fmac_f64_e32 v[38:39], v[166:167], v[72:73]
	v_add_f64 v[38:39], v[0:1], v[38:39]
	v_mul_f64 v[0:1], v[230:231], v[174:175]
	v_fma_f64 v[0:1], v[228:229], v[172:173], -v[0:1]
	ds_read_b128 v[172:175], v2 offset:1904
	s_waitcnt vmcnt(4) lgkmcnt(1)
	v_mul_f64 v[180:181], v[168:169], v[78:79]
	v_fmac_f64_e32 v[180:181], v[170:171], v[76:77]
	v_mul_f64 v[178:179], v[244:245], v[178:179]
	v_fma_f64 v[242:243], v[242:243], v[176:177], -v[178:179]
	ds_read_b128 v[176:179], v2 offset:1920
	v_add_f64 v[38:39], v[38:39], v[180:181]
	s_waitcnt vmcnt(3) lgkmcnt(1)
	v_mul_f64 v[180:181], v[172:173], v[90:91]
	v_fmac_f64_e32 v[180:181], v[174:175], v[88:89]
	v_add_f64 v[38:39], v[38:39], v[180:181]
	ds_read_b128 v[180:183], v2 offset:1936
	v_mul_f64 v[186:187], v[250:251], v[186:187]
	v_fma_f64 v[248:249], v[248:249], v[184:185], -v[186:187]
	ds_read_b128 v[184:187], v2 offset:1952
	s_waitcnt vmcnt(2) lgkmcnt(2)
	v_mul_f64 v[188:189], v[176:177], v[86:87]
	v_fmac_f64_e32 v[188:189], v[178:179], v[84:85]
	v_add_f64 v[38:39], v[38:39], v[188:189]
	s_waitcnt vmcnt(1) lgkmcnt(1)
	v_mul_f64 v[188:189], v[180:181], v[94:95]
	v_fmac_f64_e32 v[188:189], v[182:183], v[92:93]
	v_add_f64 v[38:39], v[38:39], v[188:189]
	;; [unrolled: 4-line block ×3, first 2 shown]
	scratch_load_dwordx4 v[188:191], off, off offset:960
	ds_read_b128 v[192:195], v2 offset:1968
	ds_read_b128 v[200:203], v2 offset:1984
	;; [unrolled: 1-line block ×5, first 2 shown]
	s_waitcnt vmcnt(0) lgkmcnt(4)
	v_mul_f64 v[196:197], v[192:193], v[190:191]
	v_fmac_f64_e32 v[196:197], v[194:195], v[188:189]
	v_add_f64 v[38:39], v[38:39], v[196:197]
	scratch_load_dwordx4 v[196:199], off, off offset:976
	s_waitcnt vmcnt(0) lgkmcnt(3)
	v_mul_f64 v[204:205], v[200:201], v[198:199]
	v_fmac_f64_e32 v[204:205], v[202:203], v[196:197]
	v_add_f64 v[38:39], v[38:39], v[204:205]
	scratch_load_dwordx4 v[204:207], off, off offset:992
	s_waitcnt vmcnt(0) lgkmcnt(2)
	v_mul_f64 v[212:213], v[208:209], v[206:207]
	v_fmac_f64_e32 v[212:213], v[210:211], v[204:205]
	v_add_f64 v[38:39], v[38:39], v[212:213]
	scratch_load_dwordx4 v[212:215], off, off offset:1008
	s_waitcnt vmcnt(0) lgkmcnt(1)
	v_mul_f64 v[220:221], v[216:217], v[214:215]
	v_fmac_f64_e32 v[220:221], v[218:219], v[212:213]
	v_add_f64 v[38:39], v[38:39], v[220:221]
	scratch_load_dwordx4 v[220:223], off, off offset:1024
	s_waitcnt vmcnt(0) lgkmcnt(0)
	v_mul_f64 v[228:229], v[224:225], v[222:223]
	v_fmac_f64_e32 v[228:229], v[226:227], v[220:221]
	v_add_f64 v[244:245], v[38:39], v[228:229]
	v_add_f64 v[38:39], v[240:241], 0
	;; [unrolled: 1-line block ×8, first 2 shown]
	scratch_load_dwordx4 v[228:231], off, off offset:176
	v_add_f64 v[28:29], v[32:33], v[28:29]
	v_add_f64 v[24:25], v[28:29], v[24:25]
	v_add_f64 v[20:21], v[24:25], v[20:21]
	v_add_f64 v[16:17], v[20:21], v[16:17]
	v_add_f64 v[16:17], v[16:17], v[18:19]
	v_add_f64 v[14:15], v[16:17], v[14:15]
	v_add_f64 v[14:15], v[14:15], v[22:23]
	v_add_f64 v[12:13], v[14:15], v[12:13]
	v_add_f64 v[12:13], v[12:13], v[26:27]
	v_add_f64 v[10:11], v[12:13], v[10:11]
	v_add_f64 v[10:11], v[10:11], v[30:31]
	v_add_f64 v[8:9], v[10:11], v[8:9]
	v_add_f64 v[8:9], v[8:9], v[34:35]
	v_add_f64 v[250:251], v[8:9], v[4:5]
	v_add_f64 v[4:5], v[250:251], v[6:7]
	v_accvgpr_read_b32 v6, a146
	v_accvgpr_read_b32 v8, a148
	;; [unrolled: 1-line block ×3, first 2 shown]
	v_add_f64 v[0:1], v[4:5], v[0:1]
	v_accvgpr_read_b32 v7, a147
	v_mul_f64 v[4:5], v[82:83], v[8:9]
	v_add_f64 v[0:1], v[0:1], v[242:243]
	v_fma_f64 v[4:5], v[80:81], v[6:7], -v[4:5]
	v_accvgpr_read_b32 v6, a150
	v_add_f64 v[0:1], v[0:1], v[248:249]
	v_accvgpr_read_b32 v8, a152
	v_accvgpr_read_b32 v9, a153
	v_add_f64 v[0:1], v[0:1], v[4:5]
	v_accvgpr_read_b32 v7, a151
	v_mul_f64 v[4:5], v[102:103], v[8:9]
	v_fma_f64 v[4:5], v[100:101], v[6:7], -v[4:5]
	v_accvgpr_read_b32 v6, a154
	v_accvgpr_read_b32 v8, a156
	v_accvgpr_read_b32 v9, a157
	v_add_f64 v[0:1], v[0:1], v[4:5]
	v_accvgpr_read_b32 v7, a155
	v_mul_f64 v[4:5], v[106:107], v[8:9]
	v_fma_f64 v[4:5], v[104:105], v[6:7], -v[4:5]
	v_accvgpr_read_b32 v6, a158
	;; [unrolled: 7-line block ×5, first 2 shown]
	v_accvgpr_read_b32 v8, a140
	v_accvgpr_read_b32 v9, a141
	v_add_f64 v[0:1], v[0:1], v[4:5]
	v_accvgpr_read_b32 v7, a139
	v_mul_f64 v[4:5], v[122:123], v[8:9]
	v_fma_f64 v[4:5], v[120:121], v[6:7], -v[4:5]
	v_add_f64 v[0:1], v[0:1], v[4:5]
	v_mul_f64 v[4:5], v[126:127], v[236:237]
	v_accvgpr_read_b32 v6, a142
	v_fma_f64 v[4:5], v[124:125], v[234:235], -v[4:5]
	v_accvgpr_read_b32 v8, a144
	v_accvgpr_read_b32 v9, a145
	v_add_f64 v[0:1], v[0:1], v[4:5]
	v_accvgpr_read_b32 v7, a143
	v_mul_f64 v[4:5], v[130:131], v[8:9]
	v_fma_f64 v[4:5], v[128:129], v[6:7], -v[4:5]
	v_add_f64 v[0:1], v[0:1], v[4:5]
	v_mul_f64 v[4:5], v[134:135], v[42:43]
	v_fma_f64 v[4:5], v[132:133], v[40:41], -v[4:5]
	v_add_f64 v[0:1], v[0:1], v[4:5]
	;; [unrolled: 3-line block ×20, first 2 shown]
	s_waitcnt vmcnt(0)
	v_add_f64 v[4:5], v[228:229], -v[0:1]
	v_add_f64 v[6:7], v[230:231], -v[244:245]
	scratch_store_dwordx4 off, v[4:7], off offset:176
	s_and_saveexec_b64 s[0:1], vcc
	s_cbranch_execz .LBB127_391
; %bb.390:
	scratch_load_dwordx4 v[6:9], off, s81
	v_mov_b32_e32 v3, v2
	v_mov_b32_e32 v4, v2
	;; [unrolled: 1-line block ×3, first 2 shown]
	v_accvgpr_read_b32 v0, a128
	scratch_store_dwordx4 off, v[2:5], off offset:160
	s_waitcnt vmcnt(1)
	ds_write_b128 v0, v[6:9]
.LBB127_391:
	s_or_b64 exec, exec, s[0:1]
	s_waitcnt lgkmcnt(0)
	; wave barrier
	scratch_load_dwordx4 v[40:43], off, off offset:176
	scratch_load_dwordx4 v[44:47], off, off offset:192
	;; [unrolled: 1-line block ×18, first 2 shown]
	ds_read_b128 v[80:83], v2 offset:1184
	ds_read_b128 v[204:207], v2 offset:1200
	;; [unrolled: 1-line block ×6, first 2 shown]
	scratch_load_dwordx4 v[148:151], off, off offset:464
	ds_read_b128 v[180:183], v2 offset:1280
	ds_read_b128 v[112:115], v2 offset:1296
	scratch_load_dwordx4 v[152:155], off, off offset:480
	ds_read_b128 v[208:211], v2 offset:1312
	ds_read_b128 v[200:203], v2 offset:1328
	;; [unrolled: 1-line block ×5, first 2 shown]
	scratch_load_dwordx4 v[160:163], off, off offset:496
	ds_read_b128 v[196:199], v2 offset:1392
	ds_read_b128 v[192:195], v2 offset:1408
	;; [unrolled: 1-line block ×4, first 2 shown]
	scratch_load_dwordx4 v[164:167], off, off offset:512
	ds_read_b128 v[168:171], v2 offset:1456
	scratch_load_dwordx4 v[172:175], off, off offset:528
	scratch_load_dwordx4 v[176:179], off, off offset:544
	;; [unrolled: 1-line block ×9, first 2 shown]
	ds_read_b128 v[228:231], v2 offset:1536
	ds_read_b128 v[232:235], v2 offset:1552
	scratch_load_dwordx4 a[138:141], off, off offset:672
	scratch_load_dwordx4 a[142:145], off, off offset:688
	ds_read_b128 v[236:239], v2 offset:1568
	v_cmp_lt_u32_e32 vcc, 8, v254
	ds_read_b128 v[224:227], v2 offset:1520
	s_waitcnt vmcnt(32) lgkmcnt(14)
	v_mul_f64 v[0:1], v[80:81], v[42:43]
	s_waitcnt vmcnt(31)
	v_mul_f64 v[20:21], v[204:205], v[46:47]
	v_fmac_f64_e32 v[0:1], v[82:83], v[40:41]
	s_waitcnt vmcnt(30)
	v_mul_f64 v[22:23], v[100:101], v[50:51]
	v_fmac_f64_e32 v[20:21], v[206:207], v[44:45]
	v_add_f64 v[0:1], v[0:1], 0
	s_waitcnt vmcnt(29)
	v_mul_f64 v[24:25], v[116:117], v[54:55]
	v_fmac_f64_e32 v[22:23], v[102:103], v[48:49]
	v_add_f64 v[0:1], v[0:1], v[20:21]
	;; [unrolled: 4-line block ×6, first 2 shown]
	s_waitcnt vmcnt(24) lgkmcnt(13)
	v_mul_f64 v[34:35], v[208:209], v[74:75]
	v_fmac_f64_e32 v[32:33], v[114:115], v[68:69]
	v_add_f64 v[0:1], v[0:1], v[30:31]
	s_waitcnt vmcnt(23) lgkmcnt(12)
	v_mul_f64 v[36:37], v[200:201], v[78:79]
	v_fmac_f64_e32 v[34:35], v[210:211], v[72:73]
	v_add_f64 v[0:1], v[0:1], v[32:33]
	;; [unrolled: 4-line block ×8, first 2 shown]
	ds_read_b128 v[212:215], v2 offset:1472
	s_waitcnt vmcnt(16) lgkmcnt(6)
	v_mul_f64 v[222:223], v[144:145], v[138:139]
	v_fmac_f64_e32 v[220:221], v[158:159], v[128:129]
	v_add_f64 v[0:1], v[0:1], v[218:219]
	ds_read_b128 v[216:219], v2 offset:1488
	v_add_f64 v[0:1], v[0:1], v[220:221]
	v_fmac_f64_e32 v[222:223], v[146:147], v[136:137]
	v_add_f64 v[0:1], v[0:1], v[222:223]
	s_waitcnt vmcnt(15) lgkmcnt(6)
	v_mul_f64 v[24:25], v[168:169], v[142:143]
	ds_read_b128 v[220:223], v2 offset:1504
	v_fmac_f64_e32 v[24:25], v[170:171], v[140:141]
	v_add_f64 v[0:1], v[0:1], v[24:25]
	s_waitcnt vmcnt(14) lgkmcnt(2)
	v_mul_f64 v[24:25], v[212:213], v[150:151]
	v_fmac_f64_e32 v[24:25], v[214:215], v[148:149]
	s_waitcnt vmcnt(13) lgkmcnt(1)
	v_mul_f64 v[28:29], v[216:217], v[154:155]
	v_add_f64 v[0:1], v[0:1], v[24:25]
	v_fmac_f64_e32 v[28:29], v[218:219], v[152:153]
	v_add_f64 v[0:1], v[0:1], v[28:29]
	s_waitcnt vmcnt(12) lgkmcnt(0)
	v_mul_f64 v[28:29], v[220:221], v[162:163]
	v_fmac_f64_e32 v[28:29], v[222:223], v[160:161]
	s_waitcnt vmcnt(11)
	v_mul_f64 v[32:33], v[224:225], v[166:167]
	v_add_f64 v[0:1], v[0:1], v[28:29]
	v_fmac_f64_e32 v[32:33], v[226:227], v[164:165]
	v_add_f64 v[0:1], v[0:1], v[32:33]
	s_waitcnt vmcnt(10)
	v_mul_f64 v[32:33], v[228:229], v[174:175]
	v_fmac_f64_e32 v[32:33], v[230:231], v[172:173]
	s_waitcnt vmcnt(9)
	v_mul_f64 v[36:37], v[232:233], v[178:179]
	v_add_f64 v[0:1], v[0:1], v[32:33]
	v_fmac_f64_e32 v[36:37], v[234:235], v[176:177]
	v_mul_f64 v[42:43], v[82:83], v[42:43]
	v_add_f64 v[0:1], v[0:1], v[36:37]
	scratch_load_dwordx4 v[36:39], off, off offset:704
	v_fma_f64 v[240:241], v[80:81], v[40:41], -v[42:43]
	ds_read_b128 v[80:83], v2 offset:1584
	s_waitcnt vmcnt(9)
	v_mul_f64 v[40:41], v[236:237], v[186:187]
	v_fmac_f64_e32 v[40:41], v[238:239], v[184:185]
	v_add_f64 v[0:1], v[0:1], v[40:41]
	v_mul_f64 v[40:41], v[206:207], v[46:47]
	v_fma_f64 v[242:243], v[204:205], v[44:45], -v[40:41]
	scratch_load_dwordx4 v[40:43], off, off offset:720
	s_waitcnt vmcnt(9) lgkmcnt(0)
	v_mul_f64 v[44:45], v[80:81], v[6:7]
	v_fmac_f64_e32 v[44:45], v[82:83], v[4:5]
	v_add_f64 v[0:1], v[0:1], v[44:45]
	scratch_load_dwordx4 v[44:47], off, off offset:736
	v_mul_f64 v[50:51], v[102:103], v[50:51]
	v_fma_f64 v[244:245], v[100:101], v[48:49], -v[50:51]
	ds_read_b128 v[100:103], v2 offset:1600
	v_mul_f64 v[48:49], v[118:119], v[54:55]
	v_fma_f64 v[246:247], v[116:117], v[52:53], -v[48:49]
	scratch_load_dwordx4 v[52:55], off, off offset:752
	scratch_load_dwordx4 v[48:51], off, off offset:768
	v_accvgpr_write_b32 a149, v7
	v_accvgpr_write_b32 a148, v6
	;; [unrolled: 1-line block ×4, first 2 shown]
	s_waitcnt vmcnt(11)
	v_mov_b64_e32 v[4:5], v[8:9]
	v_mul_f64 v[58:59], v[106:107], v[58:59]
	v_mov_b64_e32 v[6:7], v[10:11]
	v_fma_f64 v[252:253], v[104:105], v[56:57], -v[58:59]
	s_waitcnt lgkmcnt(0)
	v_mul_f64 v[56:57], v[100:101], v[6:7]
	v_fmac_f64_e32 v[56:57], v[102:103], v[4:5]
	v_add_f64 v[0:1], v[0:1], v[56:57]
	v_mul_f64 v[56:57], v[110:111], v[62:63]
	v_fma_f64 v[248:249], v[108:109], v[60:61], -v[56:57]
	scratch_load_dwordx4 v[56:59], off, off offset:784
	scratch_load_dwordx4 v[60:63], off, off offset:800
	ds_read_b128 v[104:107], v2 offset:1616
	ds_read_b128 v[116:119], v2 offset:1664
	v_mul_f64 v[66:67], v[182:183], v[66:67]
	v_fma_f64 v[32:33], v[180:181], v[64:65], -v[66:67]
	scratch_load_dwordx4 v[64:67], off, off offset:816
	s_waitcnt vmcnt(13)
	v_mov_b64_e32 v[4:5], v[12:13]
	v_mov_b64_e32 v[6:7], v[14:15]
	s_waitcnt lgkmcnt(1)
	v_mul_f64 v[108:109], v[104:105], v[6:7]
	v_fmac_f64_e32 v[108:109], v[106:107], v[4:5]
	v_mul_f64 v[6:7], v[114:115], v[70:71]
	v_add_f64 v[0:1], v[0:1], v[108:109]
	ds_read_b128 v[108:111], v2 offset:1632
	v_fma_f64 v[28:29], v[112:113], v[68:69], -v[6:7]
	v_mul_f64 v[68:69], v[210:211], v[74:75]
	v_fma_f64 v[24:25], v[208:209], v[72:73], -v[68:69]
	scratch_load_dwordx4 v[68:71], off, off offset:832
	s_waitcnt vmcnt(13)
	v_mov_b64_e32 v[4:5], v[16:17]
	scratch_load_dwordx4 v[72:75], off, off offset:848
	v_accvgpr_write_b32 a153, v11
	v_mov_b64_e32 v[6:7], v[18:19]
	v_accvgpr_write_b32 a152, v10
	v_accvgpr_write_b32 a151, v9
	;; [unrolled: 1-line block ×3, first 2 shown]
	ds_read_b128 v[112:115], v2 offset:1648
	s_waitcnt lgkmcnt(1)
	v_mul_f64 v[10:11], v[108:109], v[6:7]
	v_fmac_f64_e32 v[10:11], v[110:111], v[4:5]
	v_add_f64 v[0:1], v[0:1], v[10:11]
	v_mul_f64 v[10:11], v[202:203], v[78:79]
	v_accvgpr_write_b32 a161, v19
	v_fma_f64 v[20:21], v[200:201], v[76:77], -v[10:11]
	v_mul_f64 v[76:77], v[190:191], v[86:87]
	v_accvgpr_write_b32 a160, v18
	v_accvgpr_write_b32 a159, v17
	;; [unrolled: 1-line block ×3, first 2 shown]
	v_fma_f64 v[16:17], v[188:189], v[84:85], -v[76:77]
	scratch_load_dwordx4 v[76:79], off, off offset:864
	v_accvgpr_write_b32 a157, v15
	v_accvgpr_write_b32 a156, v14
	;; [unrolled: 1-line block ×4, first 2 shown]
	v_mul_f64 v[14:15], v[122:123], v[90:91]
	v_mul_f64 v[84:85], v[134:135], v[94:95]
	v_fma_f64 v[14:15], v[120:121], v[88:89], -v[14:15]
	ds_read_b128 v[120:123], v2 offset:1680
	v_fma_f64 v[12:13], v[132:133], v[92:93], -v[84:85]
	scratch_load_dwordx4 v[88:91], off, off offset:880
	scratch_load_dwordx4 v[84:87], off, off offset:896
	v_mul_f64 v[92:93], v[198:199], v[98:99]
	v_fma_f64 v[250:251], v[196:197], v[96:97], -v[92:93]
	scratch_load_dwordx4 v[92:95], off, off offset:912
	v_mul_f64 v[96:97], v[194:195], v[126:127]
	v_fma_f64 v[10:11], v[192:193], v[124:125], -v[96:97]
	scratch_load_dwordx4 v[96:99], off, off offset:928
	s_waitcnt vmcnt(18)
	v_accvgpr_read_b32 v4, a130
	v_accvgpr_read_b32 v6, a132
	;; [unrolled: 1-line block ×4, first 2 shown]
	s_waitcnt lgkmcnt(1)
	v_mul_f64 v[180:181], v[112:113], v[6:7]
	v_fmac_f64_e32 v[180:181], v[114:115], v[4:5]
	s_waitcnt vmcnt(17)
	v_accvgpr_read_b32 v4, a134
	v_accvgpr_read_b32 v6, a136
	;; [unrolled: 1-line block ×3, first 2 shown]
	v_add_f64 v[0:1], v[0:1], v[180:181]
	v_accvgpr_read_b32 v5, a135
	v_mul_f64 v[180:181], v[116:117], v[6:7]
	v_fmac_f64_e32 v[180:181], v[118:119], v[4:5]
	s_waitcnt vmcnt(16)
	v_accvgpr_read_b32 v4, a138
	ds_read_b128 v[124:127], v2 offset:1696
	v_accvgpr_read_b32 v6, a140
	v_accvgpr_read_b32 v7, a141
	v_mul_f64 v[22:23], v[158:159], v[130:131]
	v_accvgpr_read_b32 v5, a139
	s_waitcnt lgkmcnt(1)
	v_mul_f64 v[18:19], v[120:121], v[6:7]
	v_fma_f64 v[22:23], v[156:157], v[128:129], -v[22:23]
	ds_read_b128 v[128:131], v2 offset:1712
	v_fmac_f64_e32 v[18:19], v[122:123], v[4:5]
	s_waitcnt vmcnt(15)
	v_accvgpr_read_b32 v4, a142
	v_add_f64 v[0:1], v[0:1], v[180:181]
	v_accvgpr_read_b32 v6, a144
	v_accvgpr_read_b32 v7, a145
	v_add_f64 v[0:1], v[0:1], v[18:19]
	v_accvgpr_read_b32 v5, a143
	s_waitcnt lgkmcnt(1)
	v_mul_f64 v[18:19], v[124:125], v[6:7]
	ds_read_b128 v[132:135], v2 offset:1728
	v_fmac_f64_e32 v[18:19], v[126:127], v[4:5]
	v_add_f64 v[0:1], v[0:1], v[18:19]
	s_waitcnt vmcnt(14) lgkmcnt(1)
	v_mul_f64 v[18:19], v[128:129], v[38:39]
	v_fmac_f64_e32 v[18:19], v[130:131], v[36:37]
	v_add_f64 v[0:1], v[0:1], v[18:19]
	v_mul_f64 v[18:19], v[146:147], v[138:139]
	v_fma_f64 v[8:9], v[144:145], v[136:137], -v[18:19]
	ds_read_b128 v[136:139], v2 offset:1744
	s_waitcnt vmcnt(13) lgkmcnt(1)
	v_mul_f64 v[18:19], v[132:133], v[42:43]
	v_fmac_f64_e32 v[18:19], v[134:135], v[40:41]
	v_add_f64 v[0:1], v[0:1], v[18:19]
	v_mul_f64 v[18:19], v[170:171], v[142:143]
	v_fma_f64 v[26:27], v[168:169], v[140:141], -v[18:19]
	ds_read_b128 v[140:143], v2 offset:1760
	ds_read_b128 v[144:147], v2 offset:1776
	s_waitcnt vmcnt(12) lgkmcnt(2)
	v_mul_f64 v[18:19], v[136:137], v[46:47]
	v_fmac_f64_e32 v[18:19], v[138:139], v[44:45]
	v_add_f64 v[0:1], v[0:1], v[18:19]
	s_waitcnt vmcnt(11) lgkmcnt(1)
	v_mul_f64 v[18:19], v[140:141], v[54:55]
	v_fmac_f64_e32 v[18:19], v[142:143], v[52:53]
	v_add_f64 v[0:1], v[0:1], v[18:19]
	v_mul_f64 v[18:19], v[214:215], v[150:151]
	v_fma_f64 v[6:7], v[212:213], v[148:149], -v[18:19]
	ds_read_b128 v[148:151], v2 offset:1792
	v_mul_f64 v[30:31], v[218:219], v[154:155]
	v_fma_f64 v[30:31], v[216:217], v[152:153], -v[30:31]
	ds_read_b128 v[152:155], v2 offset:1808
	s_waitcnt vmcnt(10) lgkmcnt(2)
	v_mul_f64 v[18:19], v[144:145], v[50:51]
	v_fmac_f64_e32 v[18:19], v[146:147], v[48:49]
	v_add_f64 v[0:1], v[0:1], v[18:19]
	s_waitcnt vmcnt(9) lgkmcnt(1)
	v_mul_f64 v[18:19], v[148:149], v[58:59]
	ds_read_b128 v[156:159], v2 offset:1824
	v_fmac_f64_e32 v[18:19], v[150:151], v[56:57]
	v_add_f64 v[0:1], v[0:1], v[18:19]
	s_waitcnt vmcnt(8) lgkmcnt(1)
	v_mul_f64 v[18:19], v[152:153], v[62:63]
	v_fmac_f64_e32 v[18:19], v[154:155], v[60:61]
	v_add_f64 v[0:1], v[0:1], v[18:19]
	v_mul_f64 v[18:19], v[222:223], v[162:163]
	v_fma_f64 v[4:5], v[220:221], v[160:161], -v[18:19]
	ds_read_b128 v[160:163], v2 offset:1840
	s_waitcnt vmcnt(7) lgkmcnt(1)
	v_mul_f64 v[18:19], v[156:157], v[66:67]
	v_fmac_f64_e32 v[18:19], v[158:159], v[64:65]
	v_add_f64 v[0:1], v[0:1], v[18:19]
	v_mul_f64 v[18:19], v[226:227], v[166:167]
	v_fma_f64 v[34:35], v[224:225], v[164:165], -v[18:19]
	ds_read_b128 v[164:167], v2 offset:1856
	ds_read_b128 v[168:171], v2 offset:1872
	s_waitcnt vmcnt(6) lgkmcnt(2)
	v_mul_f64 v[18:19], v[160:161], v[70:71]
	v_fmac_f64_e32 v[18:19], v[162:163], v[68:69]
	v_add_f64 v[0:1], v[0:1], v[18:19]
	s_waitcnt vmcnt(5) lgkmcnt(1)
	v_mul_f64 v[18:19], v[164:165], v[74:75]
	v_fmac_f64_e32 v[18:19], v[166:167], v[72:73]
	v_add_f64 v[18:19], v[0:1], v[18:19]
	v_mul_f64 v[0:1], v[230:231], v[174:175]
	v_fma_f64 v[0:1], v[228:229], v[172:173], -v[0:1]
	ds_read_b128 v[172:175], v2 offset:1888
	v_mul_f64 v[178:179], v[234:235], v[178:179]
	s_waitcnt vmcnt(4) lgkmcnt(1)
	v_mul_f64 v[180:181], v[168:169], v[78:79]
	v_fma_f64 v[176:177], v[232:233], v[176:177], -v[178:179]
	v_fmac_f64_e32 v[180:181], v[170:171], v[76:77]
	v_accvgpr_write_b32 a162, v176
	v_accvgpr_write_b32 a163, v177
	ds_read_b128 v[176:179], v2 offset:1904
	v_add_f64 v[18:19], v[18:19], v[180:181]
	s_waitcnt vmcnt(3) lgkmcnt(1)
	v_mul_f64 v[180:181], v[172:173], v[90:91]
	v_fmac_f64_e32 v[180:181], v[174:175], v[88:89]
	v_add_f64 v[188:189], v[18:19], v[180:181]
	ds_read_b128 v[180:183], v2 offset:1920
	v_mul_f64 v[18:19], v[238:239], v[186:187]
	v_fma_f64 v[18:19], v[236:237], v[184:185], -v[18:19]
	ds_read_b128 v[184:187], v2 offset:1936
	s_waitcnt vmcnt(2) lgkmcnt(2)
	v_mul_f64 v[190:191], v[176:177], v[86:87]
	v_fmac_f64_e32 v[190:191], v[178:179], v[84:85]
	v_add_f64 v[188:189], v[188:189], v[190:191]
	s_waitcnt vmcnt(1) lgkmcnt(1)
	v_mul_f64 v[190:191], v[180:181], v[94:95]
	v_fmac_f64_e32 v[190:191], v[182:183], v[92:93]
	v_add_f64 v[188:189], v[188:189], v[190:191]
	;; [unrolled: 4-line block ×3, first 2 shown]
	scratch_load_dwordx4 v[188:191], off, off offset:944
	scratch_load_dwordx4 v[232:235], off, off offset:1024
	ds_read_b128 v[192:195], v2 offset:1952
	ds_read_b128 v[200:203], v2 offset:1968
	;; [unrolled: 1-line block ×5, first 2 shown]
	s_waitcnt vmcnt(1) lgkmcnt(4)
	v_mul_f64 v[198:199], v[192:193], v[190:191]
	v_fmac_f64_e32 v[198:199], v[194:195], v[188:189]
	v_add_f64 v[204:205], v[196:197], v[198:199]
	scratch_load_dwordx4 v[196:199], off, off offset:960
	s_waitcnt vmcnt(0) lgkmcnt(3)
	v_mul_f64 v[206:207], v[200:201], v[198:199]
	v_fmac_f64_e32 v[206:207], v[202:203], v[196:197]
	v_add_f64 v[212:213], v[204:205], v[206:207]
	scratch_load_dwordx4 v[204:207], off, off offset:976
	;; [unrolled: 5-line block ×4, first 2 shown]
	s_waitcnt vmcnt(0) lgkmcnt(0)
	v_mul_f64 v[230:231], v[224:225], v[222:223]
	v_fmac_f64_e32 v[230:231], v[226:227], v[220:221]
	v_add_f64 v[236:237], v[228:229], v[230:231]
	ds_read_b128 v[228:231], v2 offset:2032
	s_waitcnt lgkmcnt(0)
	v_mul_f64 v[2:3], v[228:229], v[234:235]
	v_fmac_f64_e32 v[2:3], v[230:231], v[232:233]
	v_add_f64 v[2:3], v[236:237], v[2:3]
	v_add_f64 v[236:237], v[240:241], 0
	;; [unrolled: 1-line block ×11, first 2 shown]
	scratch_load_dwordx4 v[236:239], off, off offset:160
	v_add_f64 v[16:17], v[20:21], v[16:17]
	v_add_f64 v[14:15], v[16:17], v[14:15]
	;; [unrolled: 1-line block ×12, first 2 shown]
	v_accvgpr_read_b32 v6, a146
	v_add_f64 v[252:253], v[4:5], v[0:1]
	v_accvgpr_read_b32 v0, a162
	v_accvgpr_read_b32 v8, a148
	;; [unrolled: 1-line block ×5, first 2 shown]
	v_mul_f64 v[4:5], v[82:83], v[8:9]
	v_add_f64 v[0:1], v[252:253], v[0:1]
	v_fma_f64 v[4:5], v[80:81], v[6:7], -v[4:5]
	v_accvgpr_read_b32 v6, a150
	v_add_f64 v[0:1], v[0:1], v[18:19]
	v_accvgpr_read_b32 v8, a152
	v_accvgpr_read_b32 v9, a153
	v_add_f64 v[0:1], v[0:1], v[4:5]
	v_accvgpr_read_b32 v7, a151
	v_mul_f64 v[4:5], v[102:103], v[8:9]
	v_fma_f64 v[4:5], v[100:101], v[6:7], -v[4:5]
	v_accvgpr_read_b32 v6, a154
	v_accvgpr_read_b32 v8, a156
	v_accvgpr_read_b32 v9, a157
	v_add_f64 v[0:1], v[0:1], v[4:5]
	v_accvgpr_read_b32 v7, a155
	v_mul_f64 v[4:5], v[106:107], v[8:9]
	v_fma_f64 v[4:5], v[104:105], v[6:7], -v[4:5]
	v_accvgpr_read_b32 v6, a158
	;; [unrolled: 7-line block ×6, first 2 shown]
	v_accvgpr_read_b32 v8, a144
	v_accvgpr_read_b32 v9, a145
	v_add_f64 v[0:1], v[0:1], v[4:5]
	v_accvgpr_read_b32 v7, a143
	v_mul_f64 v[4:5], v[126:127], v[8:9]
	v_fma_f64 v[4:5], v[124:125], v[6:7], -v[4:5]
	v_add_f64 v[0:1], v[0:1], v[4:5]
	v_mul_f64 v[4:5], v[130:131], v[38:39]
	v_fma_f64 v[4:5], v[128:129], v[36:37], -v[4:5]
	v_add_f64 v[0:1], v[0:1], v[4:5]
	;; [unrolled: 3-line block ×22, first 2 shown]
	s_waitcnt vmcnt(0)
	v_add_f64 v[4:5], v[236:237], -v[0:1]
	v_add_f64 v[6:7], v[238:239], -v[2:3]
	scratch_store_dwordx4 off, v[4:7], off offset:160
	s_and_saveexec_b64 s[0:1], vcc
	s_cbranch_execz .LBB127_393
; %bb.392:
	scratch_load_dwordx4 v[2:5], off, s82
	v_mov_b32_e32 v6, 0
	v_mov_b32_e32 v7, v6
	;; [unrolled: 1-line block ×4, first 2 shown]
	v_accvgpr_read_b32 v0, a128
	scratch_store_dwordx4 off, v[6:9], off offset:144
	s_waitcnt vmcnt(1)
	ds_write_b128 v0, v[2:5]
.LBB127_393:
	s_or_b64 exec, exec, s[0:1]
	s_waitcnt lgkmcnt(0)
	; wave barrier
	scratch_load_dwordx4 v[16:19], off, off offset:160
	scratch_load_dwordx4 v[20:23], off, off offset:176
	;; [unrolled: 1-line block ×30, first 2 shown]
	v_mov_b32_e32 v2, 0
	ds_read_b128 v[84:87], v2 offset:1168
	ds_read_b128 v[96:99], v2 offset:1184
	;; [unrolled: 1-line block ×17, first 2 shown]
	scratch_load_dwordx4 a[138:141], off, off offset:640
	scratch_load_dwordx4 a[142:145], off, off offset:656
	;; [unrolled: 1-line block ×6, first 2 shown]
	ds_read_b128 v[228:231], v2 offset:1536
	ds_read_b128 v[236:239], v2 offset:1552
	;; [unrolled: 1-line block ×4, first 2 shown]
	v_cmp_lt_u32_e32 vcc, 7, v254
	ds_read_b128 v[224:227], v2 offset:1520
	s_waitcnt vmcnt(35) lgkmcnt(14)
	v_mul_f64 v[0:1], v[84:85], v[18:19]
	s_waitcnt vmcnt(34)
	v_mul_f64 v[40:41], v[96:97], v[22:23]
	v_fmac_f64_e32 v[0:1], v[86:87], v[16:17]
	s_waitcnt vmcnt(33)
	v_mul_f64 v[42:43], v[104:105], v[26:27]
	v_fmac_f64_e32 v[40:41], v[98:99], v[20:21]
	v_add_f64 v[0:1], v[0:1], 0
	s_waitcnt vmcnt(32)
	v_mul_f64 v[48:49], v[108:109], v[30:31]
	v_fmac_f64_e32 v[42:43], v[106:107], v[24:25]
	v_add_f64 v[0:1], v[0:1], v[40:41]
	;; [unrolled: 4-line block ×6, first 2 shown]
	s_waitcnt vmcnt(27) lgkmcnt(13)
	v_mul_f64 v[206:207], v[140:141], v[62:63]
	v_fmac_f64_e32 v[204:205], v[126:127], v[52:53]
	v_add_f64 v[0:1], v[0:1], v[58:59]
	s_waitcnt vmcnt(26) lgkmcnt(12)
	v_mul_f64 v[208:209], v[152:153], v[66:67]
	v_fmac_f64_e32 v[206:207], v[142:143], v[60:61]
	v_add_f64 v[0:1], v[0:1], v[204:205]
	;; [unrolled: 4-line block ×6, first 2 shown]
	ds_read_b128 v[204:207], v2 offset:1440
	ds_read_b128 v[208:211], v2 offset:1456
	s_waitcnt vmcnt(21) lgkmcnt(9)
	v_mul_f64 v[218:219], v[192:193], v[90:91]
	v_fmac_f64_e32 v[216:217], v[190:191], v[80:81]
	v_add_f64 v[0:1], v[0:1], v[214:215]
	s_waitcnt vmcnt(20) lgkmcnt(8)
	v_mul_f64 v[220:221], v[196:197], v[94:95]
	v_fmac_f64_e32 v[218:219], v[194:195], v[88:89]
	v_add_f64 v[0:1], v[0:1], v[216:217]
	v_fmac_f64_e32 v[220:221], v[198:199], v[92:93]
	v_add_f64 v[0:1], v[0:1], v[218:219]
	s_waitcnt vmcnt(19) lgkmcnt(7)
	v_mul_f64 v[40:41], v[200:201], v[102:103]
	ds_read_b128 v[212:215], v2 offset:1472
	ds_read_b128 v[216:219], v2 offset:1488
	v_add_f64 v[0:1], v[0:1], v[220:221]
	v_fmac_f64_e32 v[40:41], v[202:203], v[100:101]
	v_add_f64 v[0:1], v[0:1], v[40:41]
	s_waitcnt vmcnt(18) lgkmcnt(3)
	v_mul_f64 v[40:41], v[204:205], v[130:131]
	v_fmac_f64_e32 v[40:41], v[206:207], v[128:129]
	ds_read_b128 v[220:223], v2 offset:1504
	v_add_f64 v[0:1], v[0:1], v[40:41]
	s_waitcnt vmcnt(17) lgkmcnt(3)
	v_mul_f64 v[40:41], v[208:209], v[134:135]
	v_fmac_f64_e32 v[40:41], v[210:211], v[132:133]
	s_waitcnt vmcnt(16) lgkmcnt(2)
	v_mul_f64 v[48:49], v[212:213], v[138:139]
	v_add_f64 v[0:1], v[0:1], v[40:41]
	v_fmac_f64_e32 v[48:49], v[214:215], v[136:137]
	s_waitcnt vmcnt(15) lgkmcnt(1)
	v_mul_f64 v[56:57], v[216:217], v[146:147]
	v_add_f64 v[0:1], v[0:1], v[48:49]
	v_fmac_f64_e32 v[56:57], v[218:219], v[144:145]
	v_add_f64 v[0:1], v[0:1], v[56:57]
	s_waitcnt vmcnt(14) lgkmcnt(0)
	v_mul_f64 v[56:57], v[220:221], v[150:151]
	v_fmac_f64_e32 v[56:57], v[222:223], v[148:149]
	v_add_f64 v[0:1], v[0:1], v[56:57]
	s_waitcnt vmcnt(13)
	v_mul_f64 v[56:57], v[224:225], v[158:159]
	v_fmac_f64_e32 v[56:57], v[226:227], v[156:157]
	v_add_f64 v[0:1], v[0:1], v[56:57]
	scratch_load_dwordx4 v[56:59], off, off offset:736
	scratch_load_dwordx4 v[48:51], off, off offset:752
	;; [unrolled: 1-line block ×3, first 2 shown]
	s_waitcnt vmcnt(15)
	v_mul_f64 v[232:233], v[228:229], v[162:163]
	v_fmac_f64_e32 v[232:233], v[230:231], v[160:161]
	v_add_f64 v[0:1], v[0:1], v[232:233]
	s_waitcnt vmcnt(14)
	v_mul_f64 v[232:233], v[236:237], v[170:171]
	v_mul_f64 v[18:19], v[86:87], v[18:19]
	v_fmac_f64_e32 v[232:233], v[238:239], v[168:169]
	v_fma_f64 v[240:241], v[84:85], v[16:17], -v[18:19]
	s_waitcnt vmcnt(13)
	v_mul_f64 v[84:85], v[242:243], v[174:175]
	v_add_f64 v[0:1], v[0:1], v[232:233]
	v_fmac_f64_e32 v[84:85], v[244:245], v[172:173]
	v_add_f64 v[0:1], v[0:1], v[84:85]
	ds_read_b128 v[84:87], v2 offset:1600
	v_mul_f64 v[30:31], v[110:111], v[30:31]
	v_mul_f64 v[22:23], v[98:99], v[22:23]
	v_fma_f64 v[232:233], v[108:109], v[28:29], -v[30:31]
	s_waitcnt vmcnt(12)
	v_mul_f64 v[28:29], v[248:249], v[182:183]
	v_fma_f64 v[246:247], v[96:97], v[20:21], -v[22:23]
	v_fmac_f64_e32 v[28:29], v[250:251], v[180:181]
	ds_read_b128 v[96:99], v2 offset:1616
	s_waitcnt vmcnt(11) lgkmcnt(1)
	v_mul_f64 v[6:7], v[84:85], v[14:15]
	v_add_f64 v[0:1], v[0:1], v[28:29]
	v_fmac_f64_e32 v[6:7], v[86:87], v[12:13]
	v_mul_f64 v[26:27], v[106:107], v[26:27]
	v_mul_f64 v[34:35], v[114:115], v[34:35]
	v_add_f64 v[0:1], v[0:1], v[6:7]
	v_mul_f64 v[6:7], v[118:119], v[10:11]
	v_mul_f64 v[46:47], v[122:123], v[46:47]
	v_fma_f64 v[252:253], v[104:105], v[24:25], -v[26:27]
	v_fma_f64 v[36:37], v[112:113], v[32:33], -v[34:35]
	;; [unrolled: 1-line block ×4, first 2 shown]
	ds_read_b128 v[104:107], v2 offset:1632
	ds_read_b128 v[108:111], v2 offset:1648
	s_waitcnt vmcnt(10)
	v_accvgpr_read_b32 v4, a130
	v_mul_f64 v[44:45], v[126:127], v[54:55]
	v_accvgpr_read_b32 v6, a132
	v_accvgpr_read_b32 v7, a133
	v_fma_f64 v[234:235], v[124:125], v[52:53], -v[44:45]
	scratch_load_dwordx4 v[52:55], off, off offset:784
	v_accvgpr_read_b32 v5, a131
	s_waitcnt lgkmcnt(2)
	v_mul_f64 v[10:11], v[96:97], v[6:7]
	v_fmac_f64_e32 v[10:11], v[98:99], v[4:5]
	scratch_load_dwordx4 v[44:47], off, off offset:800
	s_waitcnt vmcnt(11)
	v_accvgpr_read_b32 v4, a134
	v_add_f64 v[0:1], v[0:1], v[10:11]
	v_mul_f64 v[10:11], v[142:143], v[62:63]
	v_accvgpr_read_b32 v6, a136
	v_accvgpr_read_b32 v7, a137
	v_fma_f64 v[24:25], v[140:141], v[60:61], -v[10:11]
	v_accvgpr_read_b32 v5, a135
	s_waitcnt lgkmcnt(1)
	v_mul_f64 v[10:11], v[104:105], v[6:7]
	v_fmac_f64_e32 v[10:11], v[106:107], v[4:5]
	v_add_f64 v[0:1], v[0:1], v[10:11]
	v_mul_f64 v[10:11], v[154:155], v[66:67]
	ds_read_b128 v[112:115], v2 offset:1664
	ds_read_b128 v[116:119], v2 offset:1680
	s_waitcnt vmcnt(10)
	v_accvgpr_read_b32 v4, a138
	v_fma_f64 v[20:21], v[152:153], v[64:65], -v[10:11]
	v_mul_f64 v[10:11], v[166:167], v[70:71]
	v_accvgpr_read_b32 v6, a140
	v_accvgpr_read_b32 v7, a141
	scratch_load_dwordx4 v[60:63], off, off offset:816
	v_fma_f64 v[16:17], v[164:165], v[68:69], -v[10:11]
	v_accvgpr_read_b32 v5, a139
	s_waitcnt lgkmcnt(2)
	v_mul_f64 v[10:11], v[108:109], v[6:7]
	v_fmac_f64_e32 v[10:11], v[110:111], v[4:5]
	s_waitcnt vmcnt(10)
	v_accvgpr_read_b32 v4, a142
	scratch_load_dwordx4 v[64:67], off, off offset:832
	scratch_load_dwordx4 v[68:71], off, off offset:848
	v_accvgpr_read_b32 v6, a144
	v_accvgpr_read_b32 v7, a145
	v_add_f64 v[0:1], v[0:1], v[10:11]
	v_accvgpr_read_b32 v5, a143
	s_waitcnt lgkmcnt(1)
	v_mul_f64 v[10:11], v[112:113], v[6:7]
	v_fmac_f64_e32 v[10:11], v[114:115], v[4:5]
	v_mul_f64 v[18:19], v[178:179], v[74:75]
	v_add_f64 v[0:1], v[0:1], v[10:11]
	v_mul_f64 v[10:11], v[186:187], v[78:79]
	v_fma_f64 v[18:19], v[176:177], v[72:73], -v[18:19]
	v_fma_f64 v[176:177], v[184:185], v[76:77], -v[10:11]
	v_mul_f64 v[10:11], v[190:191], v[82:83]
	s_waitcnt vmcnt(11)
	v_accvgpr_read_b32 v4, a146
	v_accvgpr_write_b32 a165, v15
	v_fma_f64 v[178:179], v[188:189], v[80:81], -v[10:11]
	v_mul_f64 v[10:11], v[194:195], v[90:91]
	v_accvgpr_read_b32 v6, a148
	v_accvgpr_read_b32 v7, a149
	v_accvgpr_write_b32 a164, v14
	v_accvgpr_write_b32 a163, v13
	;; [unrolled: 1-line block ×3, first 2 shown]
	scratch_load_dwordx4 v[72:75], off, off offset:864
	scratch_load_dwordx4 v[80:83], off, off offset:880
	;; [unrolled: 1-line block ×3, first 2 shown]
	v_fma_f64 v[14:15], v[192:193], v[88:89], -v[10:11]
	ds_read_b128 v[120:123], v2 offset:1696
	v_accvgpr_read_b32 v5, a147
	s_waitcnt lgkmcnt(1)
	v_mul_f64 v[10:11], v[116:117], v[6:7]
	v_fmac_f64_e32 v[10:11], v[118:119], v[4:5]
	v_add_f64 v[0:1], v[0:1], v[10:11]
	v_mul_f64 v[10:11], v[198:199], v[94:95]
	v_fma_f64 v[22:23], v[196:197], v[92:93], -v[10:11]
	scratch_load_dwordx4 v[92:95], off, off offset:912
	scratch_load_dwordx4 v[88:91], off, off offset:928
	ds_read_b128 v[124:127], v2 offset:1712
	s_waitcnt vmcnt(15)
	v_accvgpr_read_b32 v4, a150
	v_mul_f64 v[10:11], v[202:203], v[102:103]
	v_accvgpr_read_b32 v6, a152
	v_accvgpr_read_b32 v7, a153
	v_fma_f64 v[12:13], v[200:201], v[100:101], -v[10:11]
	v_accvgpr_read_b32 v5, a151
	s_waitcnt lgkmcnt(1)
	v_mul_f64 v[10:11], v[120:121], v[6:7]
	v_fmac_f64_e32 v[10:11], v[122:123], v[4:5]
	s_waitcnt vmcnt(14)
	v_accvgpr_read_b32 v4, a154
	v_add_f64 v[0:1], v[0:1], v[10:11]
	v_mul_f64 v[10:11], v[206:207], v[130:131]
	v_accvgpr_read_b32 v6, a156
	v_accvgpr_read_b32 v7, a157
	v_fma_f64 v[26:27], v[204:205], v[128:129], -v[10:11]
	ds_read_b128 v[128:131], v2 offset:1728
	v_accvgpr_read_b32 v5, a155
	s_waitcnt lgkmcnt(1)
	v_mul_f64 v[10:11], v[124:125], v[6:7]
	v_fmac_f64_e32 v[10:11], v[126:127], v[4:5]
	v_add_f64 v[0:1], v[0:1], v[10:11]
	v_mul_f64 v[10:11], v[210:211], v[134:135]
	v_fma_f64 v[8:9], v[208:209], v[132:133], -v[10:11]
	ds_read_b128 v[132:135], v2 offset:1744
	s_waitcnt vmcnt(13)
	v_accvgpr_read_b32 v4, a158
	v_mul_f64 v[30:31], v[214:215], v[138:139]
	v_accvgpr_read_b32 v6, a160
	v_accvgpr_read_b32 v7, a161
	v_fma_f64 v[30:31], v[212:213], v[136:137], -v[30:31]
	ds_read_b128 v[136:139], v2 offset:1760
	scratch_load_dwordx4 v[100:103], off, off offset:944
	v_accvgpr_read_b32 v5, a159
	s_waitcnt lgkmcnt(2)
	v_mul_f64 v[10:11], v[128:129], v[6:7]
	v_fmac_f64_e32 v[10:11], v[130:131], v[4:5]
	v_add_f64 v[0:1], v[0:1], v[10:11]
	s_waitcnt vmcnt(13) lgkmcnt(1)
	v_mul_f64 v[10:11], v[132:133], v[58:59]
	ds_read_b128 v[140:143], v2 offset:1776
	scratch_load_dwordx4 v[188:191], off, off offset:960
	scratch_load_dwordx4 v[196:199], off, off offset:976
	v_fmac_f64_e32 v[10:11], v[134:135], v[56:57]
	v_add_f64 v[0:1], v[0:1], v[10:11]
	s_waitcnt vmcnt(14) lgkmcnt(1)
	v_mul_f64 v[10:11], v[136:137], v[50:51]
	v_fmac_f64_e32 v[10:11], v[138:139], v[48:49]
	v_add_f64 v[0:1], v[0:1], v[10:11]
	v_mul_f64 v[10:11], v[218:219], v[146:147]
	scratch_load_dwordx4 v[204:207], off, off offset:992
	scratch_load_dwordx4 v[212:215], off, off offset:1008
	v_fma_f64 v[6:7], v[216:217], v[144:145], -v[10:11]
	ds_read_b128 v[144:147], v2 offset:1792
	s_waitcnt vmcnt(15) lgkmcnt(1)
	v_mul_f64 v[10:11], v[140:141], v[40:41]
	v_fmac_f64_e32 v[10:11], v[142:143], v[38:39]
	v_add_f64 v[0:1], v[0:1], v[10:11]
	v_mul_f64 v[10:11], v[222:223], v[150:151]
	v_fma_f64 v[34:35], v[220:221], v[148:149], -v[10:11]
	scratch_load_dwordx4 v[220:223], off, off offset:1024
	ds_read_b128 v[148:151], v2 offset:1808
	ds_read_b128 v[152:155], v2 offset:1824
	s_waitcnt vmcnt(15) lgkmcnt(2)
	v_mul_f64 v[10:11], v[144:145], v[54:55]
	v_fmac_f64_e32 v[10:11], v[146:147], v[52:53]
	v_add_f64 v[0:1], v[0:1], v[10:11]
	s_waitcnt vmcnt(14) lgkmcnt(1)
	v_mul_f64 v[10:11], v[148:149], v[46:47]
	v_fmac_f64_e32 v[10:11], v[150:151], v[44:45]
	v_add_f64 v[0:1], v[0:1], v[10:11]
	v_mul_f64 v[10:11], v[226:227], v[158:159]
	v_fma_f64 v[4:5], v[224:225], v[156:157], -v[10:11]
	ds_read_b128 v[156:159], v2 offset:1840
	v_mul_f64 v[10:11], v[230:231], v[162:163]
	v_fma_f64 v[10:11], v[228:229], v[160:161], -v[10:11]
	ds_read_b128 v[160:163], v2 offset:1856
	s_waitcnt vmcnt(13) lgkmcnt(2)
	v_mul_f64 v[42:43], v[152:153], v[62:63]
	v_fmac_f64_e32 v[42:43], v[154:155], v[60:61]
	v_add_f64 v[0:1], v[0:1], v[42:43]
	s_waitcnt vmcnt(12) lgkmcnt(1)
	v_mul_f64 v[42:43], v[156:157], v[66:67]
	v_fmac_f64_e32 v[42:43], v[158:159], v[64:65]
	ds_read_b128 v[164:167], v2 offset:1872
	v_add_f64 v[0:1], v[0:1], v[42:43]
	s_waitcnt vmcnt(11) lgkmcnt(1)
	v_mul_f64 v[42:43], v[160:161], v[70:71]
	v_fmac_f64_e32 v[42:43], v[162:163], v[68:69]
	v_add_f64 v[0:1], v[0:1], v[42:43]
	v_mul_f64 v[42:43], v[238:239], v[170:171]
	v_fma_f64 v[236:237], v[236:237], v[168:169], -v[42:43]
	ds_read_b128 v[168:171], v2 offset:1888
	s_waitcnt vmcnt(10) lgkmcnt(1)
	v_mul_f64 v[42:43], v[164:165], v[74:75]
	v_fmac_f64_e32 v[42:43], v[166:167], v[72:73]
	v_add_f64 v[0:1], v[0:1], v[42:43]
	v_mul_f64 v[42:43], v[244:245], v[174:175]
	v_fma_f64 v[238:239], v[242:243], v[172:173], -v[42:43]
	ds_read_b128 v[172:175], v2 offset:1904
	ds_read_b128 v[242:245], v2 offset:1920
	s_waitcnt vmcnt(9) lgkmcnt(2)
	v_mul_f64 v[42:43], v[168:169], v[82:83]
	v_fmac_f64_e32 v[42:43], v[170:171], v[80:81]
	v_add_f64 v[0:1], v[0:1], v[42:43]
	v_mul_f64 v[42:43], v[250:251], v[182:183]
	v_fma_f64 v[248:249], v[248:249], v[180:181], -v[42:43]
	ds_read_b128 v[180:183], v2 offset:1936
	ds_read_b128 v[184:187], v2 offset:1952
	s_waitcnt vmcnt(8) lgkmcnt(3)
	v_mul_f64 v[42:43], v[172:173], v[78:79]
	v_fmac_f64_e32 v[42:43], v[174:175], v[76:77]
	v_add_f64 v[0:1], v[0:1], v[42:43]
	s_waitcnt vmcnt(7) lgkmcnt(2)
	v_mul_f64 v[42:43], v[242:243], v[94:95]
	v_fmac_f64_e32 v[42:43], v[244:245], v[92:93]
	ds_read_b128 v[192:195], v2 offset:1968
	ds_read_b128 v[200:203], v2 offset:1984
	v_add_f64 v[0:1], v[0:1], v[42:43]
	s_waitcnt vmcnt(6) lgkmcnt(3)
	v_mul_f64 v[42:43], v[180:181], v[90:91]
	v_fmac_f64_e32 v[42:43], v[182:183], v[88:89]
	v_add_f64 v[0:1], v[0:1], v[42:43]
	scratch_load_dwordx4 v[228:231], off, off offset:144
	ds_read_b128 v[208:211], v2 offset:2000
	ds_read_b128 v[216:219], v2 offset:2016
	s_waitcnt vmcnt(6) lgkmcnt(4)
	v_mul_f64 v[42:43], v[184:185], v[102:103]
	v_fmac_f64_e32 v[42:43], v[186:187], v[100:101]
	v_add_f64 v[0:1], v[0:1], v[42:43]
	ds_read_b128 v[224:227], v2 offset:2032
	s_waitcnt vmcnt(5) lgkmcnt(4)
	v_mul_f64 v[42:43], v[192:193], v[190:191]
	v_fmac_f64_e32 v[42:43], v[194:195], v[188:189]
	v_add_f64 v[0:1], v[0:1], v[42:43]
	s_waitcnt vmcnt(4) lgkmcnt(3)
	v_mul_f64 v[42:43], v[200:201], v[198:199]
	v_fmac_f64_e32 v[42:43], v[202:203], v[196:197]
	v_add_f64 v[0:1], v[0:1], v[42:43]
	;; [unrolled: 4-line block ×5, first 2 shown]
	v_add_f64 v[42:43], v[240:241], 0
	v_add_f64 v[42:43], v[42:43], v[246:247]
	;; [unrolled: 1-line block ×24, first 2 shown]
	v_accvgpr_read_b32 v8, a162
	v_accvgpr_read_b32 v10, a164
	;; [unrolled: 1-line block ×3, first 2 shown]
	v_add_f64 v[4:5], v[4:5], v[236:237]
	v_accvgpr_read_b32 v9, a163
	v_mul_f64 v[6:7], v[86:87], v[10:11]
	v_add_f64 v[4:5], v[4:5], v[238:239]
	v_fma_f64 v[6:7], v[84:85], v[8:9], -v[6:7]
	v_accvgpr_read_b32 v8, a130
	v_add_f64 v[4:5], v[4:5], v[248:249]
	v_accvgpr_read_b32 v10, a132
	v_accvgpr_read_b32 v11, a133
	v_add_f64 v[4:5], v[4:5], v[6:7]
	v_accvgpr_read_b32 v9, a131
	v_mul_f64 v[6:7], v[98:99], v[10:11]
	v_fma_f64 v[6:7], v[96:97], v[8:9], -v[6:7]
	v_accvgpr_read_b32 v8, a134
	v_accvgpr_read_b32 v10, a136
	v_accvgpr_read_b32 v11, a137
	v_add_f64 v[4:5], v[4:5], v[6:7]
	v_accvgpr_read_b32 v9, a135
	v_mul_f64 v[6:7], v[106:107], v[10:11]
	v_fma_f64 v[6:7], v[104:105], v[8:9], -v[6:7]
	v_accvgpr_read_b32 v8, a138
	;; [unrolled: 7-line block ×7, first 2 shown]
	v_accvgpr_read_b32 v10, a160
	v_accvgpr_read_b32 v11, a161
	v_add_f64 v[4:5], v[4:5], v[6:7]
	v_accvgpr_read_b32 v9, a159
	v_mul_f64 v[6:7], v[130:131], v[10:11]
	v_fma_f64 v[6:7], v[128:129], v[8:9], -v[6:7]
	v_add_f64 v[4:5], v[4:5], v[6:7]
	v_mul_f64 v[6:7], v[134:135], v[58:59]
	v_fma_f64 v[6:7], v[132:133], v[56:57], -v[6:7]
	v_add_f64 v[4:5], v[4:5], v[6:7]
	;; [unrolled: 3-line block ×20, first 2 shown]
	s_waitcnt vmcnt(0)
	v_add_f64 v[4:5], v[228:229], -v[4:5]
	v_add_f64 v[6:7], v[230:231], -v[0:1]
	scratch_store_dwordx4 off, v[4:7], off offset:144
	s_and_saveexec_b64 s[0:1], vcc
	s_cbranch_execz .LBB127_395
; %bb.394:
	scratch_load_dwordx4 v[6:9], off, s83
	v_mov_b32_e32 v3, v2
	v_mov_b32_e32 v4, v2
	;; [unrolled: 1-line block ×3, first 2 shown]
	v_accvgpr_read_b32 v0, a128
	scratch_store_dwordx4 off, v[2:5], off offset:128
	s_waitcnt vmcnt(1)
	ds_write_b128 v0, v[6:9]
.LBB127_395:
	s_or_b64 exec, exec, s[0:1]
	s_waitcnt lgkmcnt(0)
	; wave barrier
	scratch_load_dwordx4 v[16:19], off, off offset:144
	scratch_load_dwordx4 v[20:23], off, off offset:160
	;; [unrolled: 1-line block ×17, first 2 shown]
	ds_read_b128 v[112:115], v2 offset:1152
	ds_read_b128 v[96:99], v2 offset:1168
	ds_read_b128 v[84:87], v2 offset:1184
	scratch_load_dwordx4 v[120:123], off, off offset:416
	ds_read_b128 v[184:187], v2 offset:1200
	ds_read_b128 v[140:143], v2 offset:1216
	ds_read_b128 v[104:107], v2 offset:1232
	scratch_load_dwordx4 v[132:135], off, off offset:432
	;; [unrolled: 4-line block ×3, first 2 shown]
	ds_read_b128 v[200:203], v2 offset:1296
	ds_read_b128 v[192:195], v2 offset:1312
	;; [unrolled: 1-line block ×5, first 2 shown]
	scratch_load_dwordx4 v[144:147], off, off offset:464
	ds_read_b128 v[180:183], v2 offset:1376
	ds_read_b128 v[152:155], v2 offset:1392
	;; [unrolled: 1-line block ×3, first 2 shown]
	scratch_load_dwordx4 v[148:151], off, off offset:480
	scratch_load_dwordx4 v[156:159], off, off offset:496
	;; [unrolled: 1-line block ×13, first 2 shown]
	ds_read_b128 v[204:207], v2 offset:1424
	scratch_load_dwordx4 a[150:153], off, off offset:688
	scratch_load_dwordx4 a[154:157], off, off offset:704
	ds_read_b128 v[228:231], v2 offset:1520
	ds_read_b128 v[232:235], v2 offset:1536
	;; [unrolled: 1-line block ×4, first 2 shown]
	v_cmp_lt_u32_e32 vcc, 6, v254
	s_waitcnt vmcnt(35) lgkmcnt(14)
	v_mul_f64 v[0:1], v[112:113], v[18:19]
	s_waitcnt vmcnt(34)
	v_mul_f64 v[48:49], v[96:97], v[22:23]
	v_fmac_f64_e32 v[0:1], v[114:115], v[16:17]
	s_waitcnt vmcnt(33)
	v_mul_f64 v[50:51], v[84:85], v[26:27]
	v_fmac_f64_e32 v[48:49], v[98:99], v[20:21]
	v_add_f64 v[0:1], v[0:1], 0
	s_waitcnt vmcnt(32)
	v_mul_f64 v[56:57], v[184:185], v[30:31]
	v_fmac_f64_e32 v[50:51], v[86:87], v[24:25]
	v_add_f64 v[0:1], v[0:1], v[48:49]
	;; [unrolled: 4-line block ×6, first 2 shown]
	s_waitcnt vmcnt(27) lgkmcnt(13)
	v_mul_f64 v[210:211], v[108:109], v[54:55]
	v_fmac_f64_e32 v[208:209], v[166:167], v[8:9]
	v_add_f64 v[0:1], v[0:1], v[66:67]
	s_waitcnt vmcnt(26) lgkmcnt(12)
	v_mul_f64 v[212:213], v[200:201], v[62:63]
	v_fmac_f64_e32 v[210:211], v[110:111], v[52:53]
	v_add_f64 v[0:1], v[0:1], v[208:209]
	;; [unrolled: 4-line block ×8, first 2 shown]
	ds_read_b128 v[208:211], v2 offset:1440
	v_fmac_f64_e32 v[224:225], v[154:155], v[92:93]
	v_add_f64 v[0:1], v[0:1], v[222:223]
	s_waitcnt vmcnt(19) lgkmcnt(6)
	v_mul_f64 v[48:49], v[128:129], v[102:103]
	ds_read_b128 v[212:215], v2 offset:1456
	ds_read_b128 v[216:219], v2 offset:1472
	v_add_f64 v[0:1], v[0:1], v[224:225]
	v_fmac_f64_e32 v[48:49], v[130:131], v[100:101]
	v_add_f64 v[0:1], v[0:1], v[48:49]
	s_waitcnt vmcnt(18) lgkmcnt(7)
	v_mul_f64 v[48:49], v[204:205], v[122:123]
	v_fmac_f64_e32 v[48:49], v[206:207], v[120:121]
	ds_read_b128 v[220:223], v2 offset:1488
	ds_read_b128 v[224:227], v2 offset:1504
	v_add_f64 v[0:1], v[0:1], v[48:49]
	s_waitcnt vmcnt(17) lgkmcnt(4)
	v_mul_f64 v[48:49], v[208:209], v[134:135]
	v_fmac_f64_e32 v[48:49], v[210:211], v[132:133]
	s_waitcnt vmcnt(16) lgkmcnt(3)
	v_mul_f64 v[56:57], v[212:213], v[138:139]
	v_add_f64 v[0:1], v[0:1], v[48:49]
	v_fmac_f64_e32 v[56:57], v[214:215], v[136:137]
	s_waitcnt vmcnt(15) lgkmcnt(2)
	v_mul_f64 v[64:65], v[216:217], v[146:147]
	v_add_f64 v[0:1], v[0:1], v[56:57]
	v_fmac_f64_e32 v[64:65], v[218:219], v[144:145]
	v_add_f64 v[0:1], v[0:1], v[64:65]
	s_waitcnt vmcnt(14) lgkmcnt(1)
	v_mul_f64 v[64:65], v[220:221], v[150:151]
	v_fmac_f64_e32 v[64:65], v[222:223], v[148:149]
	v_add_f64 v[0:1], v[0:1], v[64:65]
	s_waitcnt vmcnt(13) lgkmcnt(0)
	v_mul_f64 v[64:65], v[224:225], v[158:159]
	v_fmac_f64_e32 v[64:65], v[226:227], v[156:157]
	s_waitcnt vmcnt(12)
	v_mul_f64 v[240:241], v[228:229], v[162:163]
	v_mul_f64 v[26:27], v[86:87], v[26:27]
	v_add_f64 v[0:1], v[0:1], v[64:65]
	v_fmac_f64_e32 v[240:241], v[230:231], v[160:161]
	v_fma_f64 v[252:253], v[84:85], v[24:25], -v[26:27]
	ds_read_b128 v[84:87], v2 offset:1584
	v_add_f64 v[0:1], v[0:1], v[240:241]
	s_waitcnt vmcnt(11)
	v_mul_f64 v[240:241], v[232:233], v[170:171]
	v_mul_f64 v[30:31], v[186:187], v[30:31]
	v_fmac_f64_e32 v[240:241], v[234:235], v[168:169]
	v_mul_f64 v[18:19], v[114:115], v[18:19]
	v_fma_f64 v[248:249], v[184:185], v[28:29], -v[30:31]
	scratch_load_dwordx4 v[64:67], off, off offset:720
	scratch_load_dwordx4 v[184:187], off, off offset:736
	v_add_f64 v[0:1], v[0:1], v[240:241]
	v_fma_f64 v[240:241], v[112:113], v[16:17], -v[18:19]
	s_waitcnt vmcnt(12)
	v_mul_f64 v[112:113], v[236:237], v[174:175]
	v_fmac_f64_e32 v[112:113], v[238:239], v[172:173]
	v_mul_f64 v[22:23], v[98:99], v[22:23]
	s_waitcnt vmcnt(11)
	v_mul_f64 v[28:29], v[242:243], v[198:199]
	v_mul_f64 v[38:39], v[106:107], v[38:39]
	v_add_f64 v[0:1], v[0:1], v[112:113]
	v_fma_f64 v[246:247], v[96:97], v[20:21], -v[22:23]
	v_fmac_f64_e32 v[28:29], v[244:245], v[196:197]
	v_fma_f64 v[44:45], v[104:105], v[36:37], -v[38:39]
	ds_read_b128 v[104:107], v2 offset:1616
	s_waitcnt vmcnt(10) lgkmcnt(1)
	v_mul_f64 v[96:97], v[84:85], v[6:7]
	v_add_f64 v[0:1], v[0:1], v[28:29]
	v_fmac_f64_e32 v[96:97], v[86:87], v[4:5]
	v_add_f64 v[0:1], v[0:1], v[96:97]
	ds_read_b128 v[96:99], v2 offset:1600
	ds_read_b128 v[112:115], v2 offset:1648
	v_accvgpr_write_b32 a161, v7
	v_accvgpr_write_b32 a160, v6
	;; [unrolled: 1-line block ×4, first 2 shown]
	scratch_load_dwordx4 v[56:59], off, off offset:752
	scratch_load_dwordx4 v[46:49], off, off offset:768
	v_mul_f64 v[6:7], v[190:191], v[42:43]
	v_fma_f64 v[36:37], v[188:189], v[40:41], -v[6:7]
	s_waitcnt vmcnt(11) lgkmcnt(1)
	v_mul_f64 v[40:41], v[96:97], v[14:15]
	v_mul_f64 v[34:35], v[142:143], v[34:35]
	v_fmac_f64_e32 v[40:41], v[98:99], v[12:13]
	v_mul_f64 v[42:43], v[166:167], v[10:11]
	v_fma_f64 v[250:251], v[140:141], v[32:33], -v[34:35]
	v_fma_f64 v[32:33], v[164:165], v[8:9], -v[42:43]
	v_add_f64 v[0:1], v[0:1], v[40:41]
	scratch_load_dwordx4 v[40:43], off, off offset:784
	s_waitcnt vmcnt(11)
	v_accvgpr_read_b32 v4, a130
	v_mul_f64 v[10:11], v[110:111], v[54:55]
	v_accvgpr_read_b32 v6, a132
	v_accvgpr_read_b32 v7, a133
	v_fma_f64 v[28:29], v[108:109], v[52:53], -v[10:11]
	v_accvgpr_read_b32 v5, a131
	v_mul_f64 v[108:109], v[104:105], v[6:7]
	v_fmac_f64_e32 v[108:109], v[106:107], v[4:5]
	v_accvgpr_write_b32 a165, v15
	scratch_load_dwordx4 v[52:55], off, off offset:800
	v_add_f64 v[0:1], v[0:1], v[108:109]
	v_mul_f64 v[62:63], v[202:203], v[62:63]
	ds_read_b128 v[108:111], v2 offset:1632
	v_accvgpr_write_b32 a164, v14
	v_accvgpr_write_b32 a163, v13
	;; [unrolled: 1-line block ×3, first 2 shown]
	v_fma_f64 v[24:25], v[200:201], v[60:61], -v[62:63]
	scratch_load_dwordx4 v[60:63], off, off offset:816
	v_mul_f64 v[14:15], v[194:195], v[70:71]
	v_fma_f64 v[20:21], v[192:193], v[68:69], -v[14:15]
	v_mul_f64 v[68:69], v[178:179], v[74:75]
	s_waitcnt vmcnt(12)
	v_accvgpr_read_b32 v4, a134
	v_fma_f64 v[16:17], v[176:177], v[72:73], -v[68:69]
	scratch_load_dwordx4 v[68:71], off, off offset:832
	v_accvgpr_read_b32 v6, a136
	v_accvgpr_read_b32 v7, a137
	;; [unrolled: 1-line block ×3, first 2 shown]
	s_waitcnt lgkmcnt(0)
	v_mul_f64 v[140:141], v[108:109], v[6:7]
	v_fmac_f64_e32 v[140:141], v[110:111], v[4:5]
	s_waitcnt vmcnt(12)
	v_accvgpr_read_b32 v4, a138
	v_accvgpr_read_b32 v6, a140
	;; [unrolled: 1-line block ×4, first 2 shown]
	v_mul_f64 v[18:19], v[112:113], v[6:7]
	scratch_load_dwordx4 v[72:75], off, off offset:848
	v_add_f64 v[0:1], v[0:1], v[140:141]
	v_fmac_f64_e32 v[18:19], v[114:115], v[4:5]
	v_add_f64 v[0:1], v[0:1], v[18:19]
	v_mul_f64 v[18:19], v[118:119], v[78:79]
	v_fma_f64 v[18:19], v[116:117], v[76:77], -v[18:19]
	ds_read_b128 v[116:119], v2 offset:1664
	v_mul_f64 v[76:77], v[126:127], v[82:83]
	v_fma_f64 v[14:15], v[124:125], v[80:81], -v[76:77]
	scratch_load_dwordx4 v[80:83], off, off offset:864
	scratch_load_dwordx4 v[76:79], off, off offset:880
	s_waitcnt vmcnt(14)
	v_accvgpr_read_b32 v4, a142
	v_mul_f64 v[22:23], v[182:183], v[90:91]
	v_accvgpr_read_b32 v6, a144
	v_accvgpr_read_b32 v7, a145
	v_fma_f64 v[22:23], v[180:181], v[88:89], -v[22:23]
	v_accvgpr_read_b32 v5, a143
	s_waitcnt lgkmcnt(0)
	v_mul_f64 v[88:89], v[116:117], v[6:7]
	v_fmac_f64_e32 v[88:89], v[118:119], v[4:5]
	v_add_f64 v[0:1], v[0:1], v[88:89]
	v_mul_f64 v[88:89], v[154:155], v[94:95]
	ds_read_b128 v[124:127], v2 offset:1680
	v_fma_f64 v[12:13], v[152:153], v[92:93], -v[88:89]
	scratch_load_dwordx4 v[92:95], off, off offset:896
	scratch_load_dwordx4 v[88:91], off, off offset:912
	s_waitcnt vmcnt(15)
	v_accvgpr_read_b32 v4, a146
	v_mul_f64 v[26:27], v[130:131], v[102:103]
	v_accvgpr_read_b32 v6, a148
	v_accvgpr_read_b32 v7, a149
	v_fma_f64 v[26:27], v[128:129], v[100:101], -v[26:27]
	v_accvgpr_read_b32 v5, a147
	s_waitcnt lgkmcnt(0)
	v_mul_f64 v[100:101], v[124:125], v[6:7]
	v_fmac_f64_e32 v[100:101], v[126:127], v[4:5]
	v_add_f64 v[0:1], v[0:1], v[100:101]
	v_mul_f64 v[100:101], v[206:207], v[122:123]
	v_fma_f64 v[10:11], v[204:205], v[120:121], -v[100:101]
	scratch_load_dwordx4 v[100:103], off, off offset:928
	ds_read_b128 v[128:131], v2 offset:1696
	ds_read_b128 v[120:123], v2 offset:1712
	s_waitcnt vmcnt(15)
	v_accvgpr_read_b32 v4, a150
	v_accvgpr_read_b32 v6, a152
	v_accvgpr_read_b32 v7, a153
	v_accvgpr_read_b32 v5, a151
	s_waitcnt lgkmcnt(1)
	v_mul_f64 v[30:31], v[128:129], v[6:7]
	v_fmac_f64_e32 v[30:31], v[130:131], v[4:5]
	v_add_f64 v[0:1], v[0:1], v[30:31]
	v_mul_f64 v[30:31], v[210:211], v[134:135]
	v_fma_f64 v[30:31], v[208:209], v[132:133], -v[30:31]
	ds_read_b128 v[132:135], v2 offset:1728
	v_mul_f64 v[138:139], v[214:215], v[138:139]
	s_waitcnt vmcnt(14)
	v_accvgpr_read_b32 v4, a154
	v_fma_f64 v[8:9], v[212:213], v[136:137], -v[138:139]
	ds_read_b128 v[136:139], v2 offset:1744
	v_accvgpr_read_b32 v6, a156
	v_accvgpr_read_b32 v7, a157
	;; [unrolled: 1-line block ×3, first 2 shown]
	s_waitcnt lgkmcnt(2)
	v_mul_f64 v[140:141], v[120:121], v[6:7]
	v_fmac_f64_e32 v[140:141], v[122:123], v[4:5]
	s_waitcnt vmcnt(13) lgkmcnt(1)
	v_mul_f64 v[34:35], v[132:133], v[66:67]
	s_waitcnt vmcnt(12)
	v_mov_b64_e32 v[4:5], v[184:185]
	v_add_f64 v[0:1], v[0:1], v[140:141]
	v_fmac_f64_e32 v[34:35], v[134:135], v[64:65]
	v_mov_b64_e32 v[6:7], v[186:187]
	v_add_f64 v[0:1], v[0:1], v[34:35]
	s_waitcnt lgkmcnt(0)
	v_mul_f64 v[34:35], v[136:137], v[6:7]
	v_fmac_f64_e32 v[34:35], v[138:139], v[4:5]
	ds_read_b128 v[140:143], v2 offset:1760
	v_add_f64 v[0:1], v[0:1], v[34:35]
	v_mul_f64 v[34:35], v[218:219], v[146:147]
	v_fma_f64 v[34:35], v[216:217], v[144:145], -v[34:35]
	ds_read_b128 v[144:147], v2 offset:1776
	v_mul_f64 v[150:151], v[222:223], v[150:151]
	v_fma_f64 v[6:7], v[220:221], v[148:149], -v[150:151]
	ds_read_b128 v[148:151], v2 offset:1792
	s_waitcnt vmcnt(11) lgkmcnt(2)
	v_mul_f64 v[152:153], v[140:141], v[58:59]
	v_fmac_f64_e32 v[152:153], v[142:143], v[56:57]
	s_waitcnt vmcnt(10) lgkmcnt(1)
	v_mul_f64 v[38:39], v[144:145], v[48:49]
	v_add_f64 v[0:1], v[0:1], v[152:153]
	v_fmac_f64_e32 v[38:39], v[146:147], v[46:47]
	v_add_f64 v[0:1], v[0:1], v[38:39]
	ds_read_b128 v[152:155], v2 offset:1808
	s_waitcnt vmcnt(9) lgkmcnt(1)
	v_mul_f64 v[38:39], v[148:149], v[42:43]
	v_fmac_f64_e32 v[38:39], v[150:151], v[40:41]
	v_add_f64 v[0:1], v[0:1], v[38:39]
	v_mul_f64 v[38:39], v[226:227], v[158:159]
	v_fma_f64 v[38:39], v[224:225], v[156:157], -v[38:39]
	ds_read_b128 v[156:159], v2 offset:1824
	v_mul_f64 v[162:163], v[230:231], v[162:163]
	v_fma_f64 v[4:5], v[228:229], v[160:161], -v[162:163]
	ds_read_b128 v[160:163], v2 offset:1840
	s_waitcnt vmcnt(8) lgkmcnt(2)
	v_mul_f64 v[164:165], v[152:153], v[54:55]
	v_fmac_f64_e32 v[164:165], v[154:155], v[52:53]
	s_waitcnt vmcnt(7) lgkmcnt(1)
	v_mul_f64 v[50:51], v[156:157], v[62:63]
	v_add_f64 v[0:1], v[0:1], v[164:165]
	v_fmac_f64_e32 v[50:51], v[158:159], v[60:61]
	v_add_f64 v[0:1], v[0:1], v[50:51]
	s_waitcnt vmcnt(6) lgkmcnt(0)
	v_mul_f64 v[50:51], v[160:161], v[70:71]
	ds_read_b128 v[164:167], v2 offset:1856
	v_fmac_f64_e32 v[50:51], v[162:163], v[68:69]
	v_add_f64 v[0:1], v[0:1], v[50:51]
	v_mul_f64 v[50:51], v[234:235], v[170:171]
	v_fma_f64 v[50:51], v[232:233], v[168:169], -v[50:51]
	ds_read_b128 v[168:171], v2 offset:1872
	s_waitcnt vmcnt(5) lgkmcnt(1)
	v_mul_f64 v[176:177], v[164:165], v[74:75]
	v_fmac_f64_e32 v[176:177], v[166:167], v[72:73]
	v_add_f64 v[176:177], v[0:1], v[176:177]
	v_mul_f64 v[0:1], v[238:239], v[174:175]
	v_fma_f64 v[0:1], v[236:237], v[172:173], -v[0:1]
	ds_read_b128 v[172:175], v2 offset:1888
	s_waitcnt vmcnt(4) lgkmcnt(1)
	v_mul_f64 v[178:179], v[168:169], v[82:83]
	v_accvgpr_write_b32 a166, v184
	v_fmac_f64_e32 v[178:179], v[170:171], v[80:81]
	v_accvgpr_write_b32 a167, v185
	v_accvgpr_write_b32 a168, v186
	;; [unrolled: 1-line block ×3, first 2 shown]
	v_add_f64 v[184:185], v[176:177], v[178:179]
	ds_read_b128 v[176:179], v2 offset:1904
	v_mul_f64 v[180:181], v[244:245], v[198:199]
	v_fma_f64 v[242:243], v[242:243], v[196:197], -v[180:181]
	ds_read_b128 v[180:183], v2 offset:1920
	ds_read_b128 v[192:195], v2 offset:1952
	s_waitcnt vmcnt(3) lgkmcnt(3)
	v_mul_f64 v[186:187], v[172:173], v[78:79]
	v_fmac_f64_e32 v[186:187], v[174:175], v[76:77]
	v_add_f64 v[184:185], v[184:185], v[186:187]
	s_waitcnt vmcnt(2) lgkmcnt(2)
	v_mul_f64 v[186:187], v[176:177], v[94:95]
	v_fmac_f64_e32 v[186:187], v[178:179], v[92:93]
	v_add_f64 v[184:185], v[184:185], v[186:187]
	;; [unrolled: 4-line block ×3, first 2 shown]
	ds_read_b128 v[184:187], v2 offset:1936
	ds_read_b128 v[200:203], v2 offset:1968
	scratch_load_dwordx4 v[232:235], off, off offset:1024
	ds_read_b128 v[208:211], v2 offset:1984
	ds_read_b128 v[216:219], v2 offset:2000
	s_waitcnt vmcnt(1) lgkmcnt(3)
	v_mul_f64 v[190:191], v[184:185], v[102:103]
	v_fmac_f64_e32 v[190:191], v[186:187], v[100:101]
	v_add_f64 v[196:197], v[188:189], v[190:191]
	scratch_load_dwordx4 v[188:191], off, off offset:944
	ds_read_b128 v[224:227], v2 offset:2016
	s_waitcnt vmcnt(0)
	v_mul_f64 v[198:199], v[192:193], v[190:191]
	v_fmac_f64_e32 v[198:199], v[194:195], v[188:189]
	v_add_f64 v[204:205], v[196:197], v[198:199]
	scratch_load_dwordx4 v[196:199], off, off offset:960
	s_waitcnt vmcnt(0) lgkmcnt(3)
	v_mul_f64 v[206:207], v[200:201], v[198:199]
	v_fmac_f64_e32 v[206:207], v[202:203], v[196:197]
	v_add_f64 v[212:213], v[204:205], v[206:207]
	scratch_load_dwordx4 v[204:207], off, off offset:976
	s_waitcnt vmcnt(0) lgkmcnt(2)
	;; [unrolled: 5-line block ×4, first 2 shown]
	v_mul_f64 v[230:231], v[224:225], v[222:223]
	v_fmac_f64_e32 v[230:231], v[226:227], v[220:221]
	v_add_f64 v[236:237], v[228:229], v[230:231]
	ds_read_b128 v[228:231], v2 offset:2032
	s_waitcnt lgkmcnt(0)
	v_mul_f64 v[2:3], v[228:229], v[234:235]
	v_fmac_f64_e32 v[2:3], v[230:231], v[232:233]
	v_add_f64 v[2:3], v[236:237], v[2:3]
	v_add_f64 v[236:237], v[240:241], 0
	;; [unrolled: 1-line block ×14, first 2 shown]
	scratch_load_dwordx4 v[236:239], off, off offset:128
	v_add_f64 v[14:15], v[16:17], v[14:15]
	v_add_f64 v[14:15], v[14:15], v[22:23]
	;; [unrolled: 1-line block ×11, first 2 shown]
	v_accvgpr_read_b32 v6, a158
	v_accvgpr_read_b32 v8, a160
	;; [unrolled: 1-line block ×3, first 2 shown]
	v_add_f64 v[252:253], v[4:5], v[50:51]
	v_accvgpr_read_b32 v7, a159
	v_mul_f64 v[4:5], v[86:87], v[8:9]
	v_add_f64 v[0:1], v[252:253], v[0:1]
	v_fma_f64 v[4:5], v[84:85], v[6:7], -v[4:5]
	v_accvgpr_read_b32 v6, a162
	v_add_f64 v[0:1], v[0:1], v[242:243]
	v_accvgpr_read_b32 v8, a164
	v_accvgpr_read_b32 v9, a165
	v_add_f64 v[0:1], v[0:1], v[4:5]
	v_accvgpr_read_b32 v7, a163
	v_mul_f64 v[4:5], v[98:99], v[8:9]
	v_fma_f64 v[4:5], v[96:97], v[6:7], -v[4:5]
	v_accvgpr_read_b32 v6, a130
	v_accvgpr_read_b32 v8, a132
	v_accvgpr_read_b32 v9, a133
	v_add_f64 v[0:1], v[0:1], v[4:5]
	v_accvgpr_read_b32 v7, a131
	v_mul_f64 v[4:5], v[106:107], v[8:9]
	v_fma_f64 v[4:5], v[104:105], v[6:7], -v[4:5]
	v_accvgpr_read_b32 v6, a134
	;; [unrolled: 7-line block ×7, first 2 shown]
	v_accvgpr_read_b32 v8, a156
	v_accvgpr_read_b32 v9, a157
	v_add_f64 v[0:1], v[0:1], v[4:5]
	v_accvgpr_read_b32 v7, a155
	v_mul_f64 v[4:5], v[122:123], v[8:9]
	v_fma_f64 v[4:5], v[120:121], v[6:7], -v[4:5]
	v_add_f64 v[0:1], v[0:1], v[4:5]
	v_mul_f64 v[4:5], v[134:135], v[66:67]
	v_accvgpr_read_b32 v6, a166
	v_fma_f64 v[4:5], v[132:133], v[64:65], -v[4:5]
	v_accvgpr_read_b32 v8, a168
	v_accvgpr_read_b32 v9, a169
	v_add_f64 v[0:1], v[0:1], v[4:5]
	v_accvgpr_read_b32 v7, a167
	v_mul_f64 v[4:5], v[138:139], v[8:9]
	v_fma_f64 v[4:5], v[136:137], v[6:7], -v[4:5]
	v_add_f64 v[0:1], v[0:1], v[4:5]
	v_mul_f64 v[4:5], v[142:143], v[58:59]
	v_fma_f64 v[4:5], v[140:141], v[56:57], -v[4:5]
	v_add_f64 v[0:1], v[0:1], v[4:5]
	;; [unrolled: 3-line block ×19, first 2 shown]
	s_waitcnt vmcnt(0)
	v_add_f64 v[4:5], v[236:237], -v[0:1]
	v_add_f64 v[6:7], v[238:239], -v[2:3]
	scratch_store_dwordx4 off, v[4:7], off offset:128
	s_and_saveexec_b64 s[0:1], vcc
	s_cbranch_execz .LBB127_397
; %bb.396:
	scratch_load_dwordx4 v[2:5], off, s84
	v_mov_b32_e32 v6, 0
	v_mov_b32_e32 v7, v6
	;; [unrolled: 1-line block ×4, first 2 shown]
	v_accvgpr_read_b32 v0, a128
	scratch_store_dwordx4 off, v[6:9], off offset:112
	s_waitcnt vmcnt(1)
	ds_write_b128 v0, v[2:5]
.LBB127_397:
	s_or_b64 exec, exec, s[0:1]
	s_waitcnt lgkmcnt(0)
	; wave barrier
	scratch_load_dwordx4 v[24:27], off, off offset:128
	scratch_load_dwordx4 v[28:31], off, off offset:144
	;; [unrolled: 1-line block ×30, first 2 shown]
	v_mov_b32_e32 v2, 0
	ds_read_b128 v[80:83], v2 offset:1136
	ds_read_b128 v[96:99], v2 offset:1152
	;; [unrolled: 1-line block ×17, first 2 shown]
	scratch_load_dwordx4 a[134:137], off, off offset:608
	scratch_load_dwordx4 a[138:141], off, off offset:624
	;; [unrolled: 1-line block ×4, first 2 shown]
	ds_read_b128 v[224:227], v2 offset:1472
	ds_read_b128 v[228:231], v2 offset:1488
	;; [unrolled: 1-line block ×6, first 2 shown]
	scratch_load_dwordx4 a[150:153], off, off offset:672
	scratch_load_dwordx4 a[154:157], off, off offset:688
	;; [unrolled: 1-line block ×4, first 2 shown]
	v_cmp_lt_u32_e32 vcc, 5, v254
	ds_read_b128 v[220:223], v2 offset:1456
	s_waitcnt vmcnt(37) lgkmcnt(14)
	v_mul_f64 v[0:1], v[80:81], v[26:27]
	s_waitcnt vmcnt(36)
	v_mul_f64 v[4:5], v[96:97], v[30:31]
	v_fmac_f64_e32 v[0:1], v[82:83], v[24:25]
	s_waitcnt vmcnt(35)
	v_mul_f64 v[6:7], v[100:101], v[34:35]
	v_fmac_f64_e32 v[4:5], v[98:99], v[28:29]
	v_add_f64 v[0:1], v[0:1], 0
	s_waitcnt vmcnt(34)
	v_mul_f64 v[8:9], v[104:105], v[38:39]
	v_fmac_f64_e32 v[6:7], v[102:103], v[32:33]
	v_add_f64 v[0:1], v[0:1], v[4:5]
	;; [unrolled: 4-line block ×8, first 2 shown]
	s_waitcnt vmcnt(27) lgkmcnt(13)
	v_mul_f64 v[22:23], v[180:181], v[66:67]
	v_fmac_f64_e32 v[20:21], v[174:175], v[60:61]
	v_add_f64 v[0:1], v[0:1], v[18:19]
	s_waitcnt vmcnt(26) lgkmcnt(12)
	v_mul_f64 v[208:209], v[184:185], v[70:71]
	v_fmac_f64_e32 v[22:23], v[182:183], v[64:65]
	v_add_f64 v[0:1], v[0:1], v[20:21]
	;; [unrolled: 4-line block ×5, first 2 shown]
	ds_read_b128 v[208:211], v2 offset:1408
	v_fmac_f64_e32 v[214:215], v[198:199], v[84:85]
	v_add_f64 v[0:1], v[0:1], v[212:213]
	s_waitcnt vmcnt(22) lgkmcnt(9)
	v_mul_f64 v[216:217], v[200:201], v[90:91]
	v_add_f64 v[0:1], v[0:1], v[214:215]
	ds_read_b128 v[212:215], v2 offset:1424
	v_fmac_f64_e32 v[216:217], v[202:203], v[88:89]
	s_waitcnt vmcnt(21) lgkmcnt(9)
	v_mul_f64 v[4:5], v[204:205], v[94:95]
	v_add_f64 v[0:1], v[0:1], v[216:217]
	v_fmac_f64_e32 v[4:5], v[206:207], v[92:93]
	ds_read_b128 v[216:219], v2 offset:1440
	v_add_f64 v[0:1], v[0:1], v[4:5]
	s_waitcnt vmcnt(20) lgkmcnt(2)
	v_mul_f64 v[4:5], v[208:209], v[122:123]
	v_fmac_f64_e32 v[4:5], v[210:211], v[120:121]
	v_add_f64 v[0:1], v[0:1], v[4:5]
	s_waitcnt vmcnt(19) lgkmcnt(1)
	v_mul_f64 v[4:5], v[212:213], v[126:127]
	v_fmac_f64_e32 v[4:5], v[214:215], v[124:125]
	;; [unrolled: 4-line block ×3, first 2 shown]
	v_add_f64 v[0:1], v[0:1], v[4:5]
	s_waitcnt vmcnt(17)
	v_mul_f64 v[4:5], v[220:221], v[134:135]
	v_fmac_f64_e32 v[4:5], v[222:223], v[132:133]
	v_add_f64 v[0:1], v[0:1], v[4:5]
	s_waitcnt vmcnt(16)
	v_mul_f64 v[4:5], v[224:225], v[138:139]
	v_fmac_f64_e32 v[4:5], v[226:227], v[136:137]
	;; [unrolled: 4-line block ×3, first 2 shown]
	v_add_f64 v[0:1], v[0:1], v[4:5]
	v_mul_f64 v[4:5], v[82:83], v[26:27]
	v_fma_f64 v[240:241], v[80:81], v[24:25], -v[4:5]
	s_waitcnt vmcnt(14)
	v_mul_f64 v[4:5], v[232:233], v[146:147]
	v_fmac_f64_e32 v[4:5], v[234:235], v[144:145]
	v_add_f64 v[0:1], v[0:1], v[4:5]
	s_waitcnt vmcnt(13)
	v_mul_f64 v[4:5], v[236:237], v[154:155]
	v_fmac_f64_e32 v[4:5], v[238:239], v[152:153]
	v_add_f64 v[0:1], v[0:1], v[4:5]
	;; [unrolled: 4-line block ×3, first 2 shown]
	v_mul_f64 v[4:5], v[98:99], v[30:31]
	ds_read_b128 v[8:11], v2 offset:1568
	ds_read_b128 v[80:83], v2 offset:1600
	v_fma_f64 v[246:247], v[96:97], v[28:29], -v[4:5]
	v_mul_f64 v[4:5], v[102:103], v[34:35]
	v_fma_f64 v[252:253], v[100:101], v[32:33], -v[4:5]
	v_mul_f64 v[4:5], v[106:107], v[38:39]
	v_fma_f64 v[38:39], v[104:105], v[36:37], -v[4:5]
	s_waitcnt vmcnt(11)
	v_mul_f64 v[4:5], v[248:249], v[166:167]
	v_fmac_f64_e32 v[4:5], v[250:251], v[164:165]
	v_add_f64 v[0:1], v[0:1], v[4:5]
	s_waitcnt vmcnt(10) lgkmcnt(1)
	v_mul_f64 v[4:5], v[8:9], v[170:171]
	v_fmac_f64_e32 v[4:5], v[10:11], v[168:169]
	v_add_f64 v[0:1], v[0:1], v[4:5]
	v_mul_f64 v[4:5], v[110:111], v[42:43]
	v_fma_f64 v[32:33], v[108:109], v[40:41], -v[4:5]
	ds_read_b128 v[4:7], v2 offset:1584
	ds_read_b128 v[96:99], v2 offset:1616
	v_mul_f64 v[36:37], v[114:115], v[46:47]
	scratch_load_dwordx4 v[40:43], off, off offset:736
	v_fma_f64 v[28:29], v[112:113], v[44:45], -v[36:37]
	s_waitcnt vmcnt(10) lgkmcnt(1)
	v_mul_f64 v[44:45], v[4:5], v[178:179]
	v_fmac_f64_e32 v[44:45], v[6:7], v[176:177]
	s_waitcnt vmcnt(9)
	v_accvgpr_read_b32 v12, a130
	v_mul_f64 v[18:19], v[118:119], v[50:51]
	v_add_f64 v[0:1], v[0:1], v[44:45]
	v_accvgpr_read_b32 v14, a132
	v_accvgpr_read_b32 v15, a133
	v_mul_f64 v[44:45], v[150:151], v[54:55]
	v_fma_f64 v[24:25], v[116:117], v[48:49], -v[18:19]
	v_accvgpr_read_b32 v13, a131
	v_mul_f64 v[48:49], v[80:81], v[14:15]
	v_fma_f64 v[20:21], v[148:149], v[52:53], -v[44:45]
	scratch_load_dwordx4 v[44:47], off, off offset:752
	v_fmac_f64_e32 v[48:49], v[82:83], v[12:13]
	v_add_f64 v[0:1], v[0:1], v[48:49]
	scratch_load_dwordx4 v[48:51], off, off offset:768
	v_mul_f64 v[22:23], v[162:163], v[58:59]
	v_mul_f64 v[52:53], v[174:175], v[62:63]
	ds_read_b128 v[100:103], v2 offset:1632
	ds_read_b128 v[104:107], v2 offset:1648
	s_waitcnt vmcnt(10)
	v_accvgpr_read_b32 v12, a134
	v_fma_f64 v[22:23], v[160:161], v[56:57], -v[22:23]
	v_fma_f64 v[160:161], v[172:173], v[60:61], -v[52:53]
	scratch_load_dwordx4 v[52:55], off, off offset:784
	v_accvgpr_read_b32 v14, a136
	v_accvgpr_read_b32 v15, a137
	;; [unrolled: 1-line block ×3, first 2 shown]
	s_waitcnt lgkmcnt(2)
	v_mul_f64 v[56:57], v[96:97], v[14:15]
	v_fmac_f64_e32 v[56:57], v[98:99], v[12:13]
	s_waitcnt vmcnt(10)
	v_accvgpr_read_b32 v12, a138
	v_accvgpr_read_b32 v14, a140
	;; [unrolled: 1-line block ×3, first 2 shown]
	v_add_f64 v[0:1], v[0:1], v[56:57]
	v_mul_f64 v[56:57], v[182:183], v[66:67]
	v_accvgpr_read_b32 v13, a139
	s_waitcnt lgkmcnt(1)
	v_mul_f64 v[60:61], v[100:101], v[14:15]
	v_fma_f64 v[162:163], v[180:181], v[64:65], -v[56:57]
	scratch_load_dwordx4 v[56:59], off, off offset:800
	v_fmac_f64_e32 v[60:61], v[102:103], v[12:13]
	v_add_f64 v[0:1], v[0:1], v[60:61]
	v_mul_f64 v[60:61], v[186:187], v[70:71]
	v_fma_f64 v[172:173], v[184:185], v[68:69], -v[60:61]
	scratch_load_dwordx4 v[60:63], off, off offset:816
	ds_read_b128 v[108:111], v2 offset:1664
	s_waitcnt vmcnt(11)
	v_accvgpr_read_b32 v12, a142
	v_mul_f64 v[64:65], v[190:191], v[74:75]
	v_accvgpr_read_b32 v14, a144
	v_accvgpr_read_b32 v15, a145
	v_fma_f64 v[174:175], v[188:189], v[72:73], -v[64:65]
	scratch_load_dwordx4 v[64:67], off, off offset:832
	v_accvgpr_read_b32 v13, a143
	s_waitcnt lgkmcnt(1)
	v_mul_f64 v[72:73], v[104:105], v[14:15]
	v_mul_f64 v[68:69], v[194:195], v[78:79]
	v_fmac_f64_e32 v[72:73], v[106:107], v[12:13]
	s_waitcnt vmcnt(11)
	v_accvgpr_read_b32 v12, a146
	v_fma_f64 v[180:181], v[192:193], v[76:77], -v[68:69]
	scratch_load_dwordx4 v[68:71], off, off offset:848
	v_accvgpr_read_b32 v14, a148
	v_accvgpr_read_b32 v15, a149
	v_add_f64 v[0:1], v[0:1], v[72:73]
	v_mul_f64 v[72:73], v[198:199], v[86:87]
	v_accvgpr_read_b32 v13, a147
	s_waitcnt lgkmcnt(0)
	v_mul_f64 v[76:77], v[108:109], v[14:15]
	v_fma_f64 v[182:183], v[196:197], v[84:85], -v[72:73]
	v_fmac_f64_e32 v[76:77], v[110:111], v[12:13]
	scratch_load_dwordx4 v[72:75], off, off offset:864
	v_add_f64 v[0:1], v[0:1], v[76:77]
	v_mul_f64 v[76:77], v[202:203], v[90:91]
	v_fma_f64 v[18:19], v[200:201], v[88:89], -v[76:77]
	scratch_load_dwordx4 v[76:79], off, off offset:880
	ds_read_b128 v[116:119], v2 offset:1680
	ds_read_b128 v[112:115], v2 offset:1696
	scratch_load_dwordx4 v[88:91], off, off offset:896
	v_mul_f64 v[84:85], v[210:211], v[122:123]
	v_fma_f64 v[16:17], v[208:209], v[120:121], -v[84:85]
	scratch_load_dwordx4 v[84:87], off, off offset:912
	v_mul_f64 v[26:27], v[206:207], v[94:95]
	v_fma_f64 v[26:27], v[204:205], v[92:93], -v[26:27]
	scratch_load_dwordx4 v[92:95], off, off offset:928
	s_waitcnt vmcnt(16)
	v_accvgpr_read_b32 v12, a150
	v_accvgpr_read_b32 v14, a152
	;; [unrolled: 1-line block ×4, first 2 shown]
	s_waitcnt lgkmcnt(1)
	v_mul_f64 v[30:31], v[116:117], v[14:15]
	v_fmac_f64_e32 v[30:31], v[118:119], v[12:13]
	v_add_f64 v[0:1], v[0:1], v[30:31]
	v_mul_f64 v[30:31], v[214:215], v[126:127]
	v_mul_f64 v[120:121], v[218:219], v[130:131]
	v_fma_f64 v[30:31], v[212:213], v[124:125], -v[30:31]
	v_fma_f64 v[14:15], v[216:217], v[128:129], -v[120:121]
	ds_read_b128 v[120:123], v2 offset:1712
	s_waitcnt vmcnt(15)
	v_accvgpr_read_b32 v124, a154
	v_accvgpr_read_b32 v126, a156
	;; [unrolled: 1-line block ×4, first 2 shown]
	s_waitcnt lgkmcnt(1)
	v_mul_f64 v[34:35], v[112:113], v[126:127]
	v_fmac_f64_e32 v[34:35], v[114:115], v[124:125]
	ds_read_b128 v[124:127], v2 offset:1728
	s_waitcnt vmcnt(14)
	v_accvgpr_read_b32 v128, a158
	v_accvgpr_read_b32 v130, a160
	;; [unrolled: 1-line block ×3, first 2 shown]
	v_add_f64 v[0:1], v[0:1], v[34:35]
	v_accvgpr_read_b32 v129, a159
	s_waitcnt lgkmcnt(1)
	v_mul_f64 v[34:35], v[120:121], v[130:131]
	v_fmac_f64_e32 v[34:35], v[122:123], v[128:129]
	s_waitcnt vmcnt(13)
	v_accvgpr_read_b32 v148, a162
	v_add_f64 v[0:1], v[0:1], v[34:35]
	v_mul_f64 v[34:35], v[222:223], v[134:135]
	ds_read_b128 v[128:131], v2 offset:1744
	v_accvgpr_read_b32 v150, a164
	v_accvgpr_read_b32 v151, a165
	v_fma_f64 v[34:35], v[220:221], v[132:133], -v[34:35]
	v_accvgpr_read_b32 v149, a163
	s_waitcnt lgkmcnt(1)
	v_mul_f64 v[132:133], v[124:125], v[150:151]
	v_fmac_f64_e32 v[132:133], v[126:127], v[148:149]
	v_add_f64 v[0:1], v[0:1], v[132:133]
	v_mul_f64 v[132:133], v[226:227], v[138:139]
	v_fma_f64 v[12:13], v[224:225], v[136:137], -v[132:133]
	ds_read_b128 v[132:135], v2 offset:1760
	s_waitcnt vmcnt(12) lgkmcnt(1)
	v_mul_f64 v[36:37], v[128:129], v[42:43]
	v_fmac_f64_e32 v[36:37], v[130:131], v[40:41]
	ds_read_b128 v[136:139], v2 offset:1776
	v_add_f64 v[0:1], v[0:1], v[36:37]
	v_mul_f64 v[36:37], v[230:231], v[142:143]
	v_fma_f64 v[36:37], v[228:229], v[140:141], -v[36:37]
	ds_read_b128 v[140:143], v2 offset:1792
	s_waitcnt vmcnt(11) lgkmcnt(2)
	v_mul_f64 v[148:149], v[132:133], v[46:47]
	v_fmac_f64_e32 v[148:149], v[134:135], v[44:45]
	v_add_f64 v[0:1], v[0:1], v[148:149]
	s_waitcnt vmcnt(10) lgkmcnt(1)
	v_mul_f64 v[148:149], v[136:137], v[50:51]
	v_fmac_f64_e32 v[148:149], v[138:139], v[48:49]
	v_mul_f64 v[146:147], v[234:235], v[146:147]
	v_add_f64 v[0:1], v[0:1], v[148:149]
	v_fma_f64 v[228:229], v[232:233], v[144:145], -v[146:147]
	ds_read_b128 v[144:147], v2 offset:1808
	s_waitcnt vmcnt(9) lgkmcnt(1)
	v_mul_f64 v[148:149], v[140:141], v[54:55]
	v_fmac_f64_e32 v[148:149], v[142:143], v[52:53]
	v_add_f64 v[0:1], v[0:1], v[148:149]
	ds_read_b128 v[148:151], v2 offset:1824
	v_mul_f64 v[154:155], v[238:239], v[154:155]
	v_fma_f64 v[230:231], v[236:237], v[152:153], -v[154:155]
	ds_read_b128 v[152:155], v2 offset:1840
	s_waitcnt vmcnt(8) lgkmcnt(2)
	v_mul_f64 v[184:185], v[144:145], v[58:59]
	v_mul_f64 v[158:159], v[244:245], v[158:159]
	v_fmac_f64_e32 v[184:185], v[146:147], v[56:57]
	v_fma_f64 v[234:235], v[242:243], v[156:157], -v[158:159]
	ds_read_b128 v[156:159], v2 offset:1856
	v_add_f64 v[0:1], v[0:1], v[184:185]
	s_waitcnt vmcnt(7) lgkmcnt(2)
	v_mul_f64 v[184:185], v[148:149], v[62:63]
	v_fmac_f64_e32 v[184:185], v[150:151], v[60:61]
	ds_read_b128 v[242:245], v2 offset:1872
	v_add_f64 v[0:1], v[0:1], v[184:185]
	s_waitcnt vmcnt(6) lgkmcnt(2)
	v_mul_f64 v[184:185], v[152:153], v[66:67]
	v_mul_f64 v[166:167], v[250:251], v[166:167]
	v_fmac_f64_e32 v[184:185], v[154:155], v[64:65]
	v_fma_f64 v[236:237], v[248:249], v[164:165], -v[166:167]
	ds_read_b128 v[164:167], v2 offset:1888
	v_mul_f64 v[10:11], v[10:11], v[170:171]
	v_add_f64 v[0:1], v[0:1], v[184:185]
	s_waitcnt vmcnt(5) lgkmcnt(2)
	v_mul_f64 v[184:185], v[156:157], v[70:71]
	v_fma_f64 v[238:239], v[8:9], v[168:169], -v[10:11]
	ds_read_b128 v[168:171], v2 offset:1904
	ds_read_b128 v[8:11], v2 offset:1920
	v_fmac_f64_e32 v[184:185], v[158:159], v[68:69]
	v_add_f64 v[0:1], v[0:1], v[184:185]
	s_waitcnt vmcnt(4) lgkmcnt(3)
	v_mul_f64 v[184:185], v[242:243], v[74:75]
	v_fmac_f64_e32 v[184:185], v[244:245], v[72:73]
	v_mul_f64 v[6:7], v[6:7], v[178:179]
	v_add_f64 v[0:1], v[0:1], v[184:185]
	s_waitcnt vmcnt(3) lgkmcnt(2)
	v_mul_f64 v[184:185], v[164:165], v[78:79]
	v_fma_f64 v[248:249], v[4:5], v[176:177], -v[6:7]
	ds_read_b128 v[176:179], v2 offset:1936
	v_fmac_f64_e32 v[184:185], v[166:167], v[76:77]
	s_waitcnt vmcnt(2) lgkmcnt(2)
	v_mul_f64 v[4:5], v[168:169], v[90:91]
	v_add_f64 v[0:1], v[0:1], v[184:185]
	v_fmac_f64_e32 v[4:5], v[170:171], v[88:89]
	v_add_f64 v[0:1], v[0:1], v[4:5]
	s_waitcnt vmcnt(1) lgkmcnt(1)
	v_mul_f64 v[4:5], v[8:9], v[86:87]
	v_fmac_f64_e32 v[4:5], v[10:11], v[84:85]
	v_add_f64 v[0:1], v[0:1], v[4:5]
	ds_read_b128 v[184:187], v2 offset:1952
	s_waitcnt vmcnt(0) lgkmcnt(1)
	v_mul_f64 v[4:5], v[176:177], v[94:95]
	v_fmac_f64_e32 v[4:5], v[178:179], v[92:93]
	v_add_f64 v[0:1], v[0:1], v[4:5]
	scratch_load_dwordx4 v[4:7], off, off offset:944
	ds_read_b128 v[192:195], v2 offset:1968
	ds_read_b128 v[200:203], v2 offset:1984
	;; [unrolled: 1-line block ×5, first 2 shown]
	v_mul_f64 v[10:11], v[10:11], v[86:87]
	v_fma_f64 v[8:9], v[8:9], v[84:85], -v[10:11]
	s_waitcnt vmcnt(0) lgkmcnt(5)
	v_mul_f64 v[188:189], v[184:185], v[6:7]
	v_fmac_f64_e32 v[188:189], v[186:187], v[4:5]
	v_add_f64 v[0:1], v[0:1], v[188:189]
	scratch_load_dwordx4 v[188:191], off, off offset:960
	v_mul_f64 v[6:7], v[186:187], v[6:7]
	v_fma_f64 v[4:5], v[184:185], v[4:5], -v[6:7]
	s_waitcnt vmcnt(0) lgkmcnt(4)
	v_mul_f64 v[196:197], v[192:193], v[190:191]
	v_fmac_f64_e32 v[196:197], v[194:195], v[188:189]
	v_add_f64 v[0:1], v[0:1], v[196:197]
	scratch_load_dwordx4 v[196:199], off, off offset:976
	s_waitcnt vmcnt(0) lgkmcnt(3)
	v_mul_f64 v[204:205], v[200:201], v[198:199]
	v_fmac_f64_e32 v[204:205], v[202:203], v[196:197]
	v_add_f64 v[0:1], v[0:1], v[204:205]
	scratch_load_dwordx4 v[204:207], off, off offset:992
	;; [unrolled: 5-line block ×4, first 2 shown]
	s_waitcnt vmcnt(0) lgkmcnt(0)
	v_mul_f64 v[232:233], v[224:225], v[222:223]
	v_fmac_f64_e32 v[232:233], v[226:227], v[220:221]
	v_add_f64 v[232:233], v[0:1], v[232:233]
	v_add_f64 v[0:1], v[240:241], 0
	;; [unrolled: 1-line block ×26, first 2 shown]
	scratch_load_dwordx4 v[228:231], off, off offset:112
	v_accvgpr_read_b32 v14, a130
	v_add_f64 v[0:1], v[250:251], v[234:235]
	v_accvgpr_read_b32 v16, a132
	v_accvgpr_read_b32 v17, a133
	v_add_f64 v[0:1], v[0:1], v[236:237]
	v_accvgpr_read_b32 v15, a131
	v_mul_f64 v[12:13], v[82:83], v[16:17]
	v_add_f64 v[0:1], v[0:1], v[238:239]
	v_fma_f64 v[12:13], v[80:81], v[14:15], -v[12:13]
	v_accvgpr_read_b32 v14, a134
	v_add_f64 v[0:1], v[0:1], v[248:249]
	v_accvgpr_read_b32 v16, a136
	v_accvgpr_read_b32 v17, a137
	v_add_f64 v[0:1], v[0:1], v[12:13]
	v_accvgpr_read_b32 v15, a135
	v_mul_f64 v[12:13], v[98:99], v[16:17]
	v_fma_f64 v[12:13], v[96:97], v[14:15], -v[12:13]
	v_accvgpr_read_b32 v14, a138
	v_accvgpr_read_b32 v16, a140
	v_accvgpr_read_b32 v17, a141
	v_add_f64 v[0:1], v[0:1], v[12:13]
	v_accvgpr_read_b32 v15, a139
	v_mul_f64 v[12:13], v[102:103], v[16:17]
	v_fma_f64 v[12:13], v[100:101], v[14:15], -v[12:13]
	v_accvgpr_read_b32 v14, a142
	v_accvgpr_read_b32 v16, a144
	v_accvgpr_read_b32 v17, a145
	v_add_f64 v[0:1], v[0:1], v[12:13]
	v_accvgpr_read_b32 v15, a143
	v_mul_f64 v[12:13], v[106:107], v[16:17]
	v_fma_f64 v[12:13], v[104:105], v[14:15], -v[12:13]
	v_accvgpr_read_b32 v14, a146
	v_accvgpr_read_b32 v16, a148
	v_accvgpr_read_b32 v17, a149
	v_add_f64 v[0:1], v[0:1], v[12:13]
	v_accvgpr_read_b32 v15, a147
	v_mul_f64 v[12:13], v[110:111], v[16:17]
	v_fma_f64 v[12:13], v[108:109], v[14:15], -v[12:13]
	v_accvgpr_read_b32 v14, a150
	v_accvgpr_read_b32 v16, a152
	v_accvgpr_read_b32 v17, a153
	v_add_f64 v[0:1], v[0:1], v[12:13]
	v_accvgpr_read_b32 v15, a151
	v_mul_f64 v[12:13], v[118:119], v[16:17]
	v_fma_f64 v[12:13], v[116:117], v[14:15], -v[12:13]
	v_accvgpr_read_b32 v14, a154
	v_accvgpr_read_b32 v16, a156
	v_accvgpr_read_b32 v17, a157
	v_add_f64 v[0:1], v[0:1], v[12:13]
	v_accvgpr_read_b32 v15, a155
	v_mul_f64 v[12:13], v[114:115], v[16:17]
	v_fma_f64 v[12:13], v[112:113], v[14:15], -v[12:13]
	v_accvgpr_read_b32 v14, a158
	v_accvgpr_read_b32 v16, a160
	v_accvgpr_read_b32 v17, a161
	v_add_f64 v[0:1], v[0:1], v[12:13]
	v_accvgpr_read_b32 v15, a159
	v_mul_f64 v[12:13], v[122:123], v[16:17]
	v_fma_f64 v[12:13], v[120:121], v[14:15], -v[12:13]
	v_accvgpr_read_b32 v14, a162
	v_accvgpr_read_b32 v16, a164
	v_accvgpr_read_b32 v17, a165
	v_add_f64 v[0:1], v[0:1], v[12:13]
	v_accvgpr_read_b32 v15, a163
	v_mul_f64 v[12:13], v[126:127], v[16:17]
	v_fma_f64 v[12:13], v[124:125], v[14:15], -v[12:13]
	v_add_f64 v[0:1], v[0:1], v[12:13]
	v_mul_f64 v[12:13], v[130:131], v[42:43]
	v_fma_f64 v[12:13], v[128:129], v[40:41], -v[12:13]
	v_add_f64 v[0:1], v[0:1], v[12:13]
	;; [unrolled: 3-line block ×12, first 2 shown]
	v_add_f64 v[0:1], v[0:1], v[8:9]
	v_mul_f64 v[8:9], v[178:179], v[94:95]
	v_fma_f64 v[8:9], v[176:177], v[92:93], -v[8:9]
	v_add_f64 v[0:1], v[0:1], v[8:9]
	v_add_f64 v[0:1], v[0:1], v[4:5]
	v_mul_f64 v[4:5], v[194:195], v[190:191]
	v_fma_f64 v[4:5], v[192:193], v[188:189], -v[4:5]
	v_add_f64 v[0:1], v[0:1], v[4:5]
	v_mul_f64 v[4:5], v[202:203], v[198:199]
	v_fma_f64 v[4:5], v[200:201], v[196:197], -v[4:5]
	;; [unrolled: 3-line block ×5, first 2 shown]
	v_add_f64 v[0:1], v[0:1], v[4:5]
	s_waitcnt vmcnt(0)
	v_add_f64 v[4:5], v[228:229], -v[0:1]
	v_add_f64 v[6:7], v[230:231], -v[232:233]
	scratch_store_dwordx4 off, v[4:7], off offset:112
	s_and_saveexec_b64 s[0:1], vcc
	s_cbranch_execz .LBB127_399
; %bb.398:
	scratch_load_dwordx4 v[6:9], off, s85
	v_mov_b32_e32 v3, v2
	v_mov_b32_e32 v4, v2
	v_mov_b32_e32 v5, v2
	v_accvgpr_read_b32 v0, a128
	scratch_store_dwordx4 off, v[2:5], off offset:96
	s_waitcnt vmcnt(1)
	ds_write_b128 v0, v[6:9]
.LBB127_399:
	s_or_b64 exec, exec, s[0:1]
	s_waitcnt lgkmcnt(0)
	; wave barrier
	scratch_load_dwordx4 v[8:11], off, off offset:112
	scratch_load_dwordx4 v[4:7], off, off offset:128
	;; [unrolled: 1-line block ×17, first 2 shown]
	ds_read_b128 v[180:183], v2 offset:1120
	ds_read_b128 v[108:111], v2 offset:1136
	scratch_load_dwordx4 v[92:95], off, off offset:384
	ds_read_b128 v[184:187], v2 offset:1152
	ds_read_b128 v[172:175], v2 offset:1168
	;; [unrolled: 1-line block ×5, first 2 shown]
	scratch_load_dwordx4 v[100:103], off, off offset:400
	ds_read_b128 v[160:163], v2 offset:1232
	ds_read_b128 v[128:131], v2 offset:1248
	scratch_load_dwordx4 v[116:119], off, off offset:416
	ds_read_b128 v[196:199], v2 offset:1264
	ds_read_b128 v[176:179], v2 offset:1280
	;; [unrolled: 1-line block ×5, first 2 shown]
	scratch_load_dwordx4 v[124:127], off, off offset:432
	ds_read_b128 v[168:171], v2 offset:1344
	ds_read_b128 v[156:159], v2 offset:1360
	;; [unrolled: 1-line block ×3, first 2 shown]
	scratch_load_dwordx4 v[136:139], off, off offset:448
	scratch_load_dwordx4 v[140:143], off, off offset:464
	;; [unrolled: 1-line block ×9, first 2 shown]
	ds_read_b128 v[208:211], v2 offset:1392
	scratch_load_dwordx4 a[138:141], off, off offset:624
	scratch_load_dwordx4 a[142:145], off, off offset:640
	;; [unrolled: 1-line block ×4, first 2 shown]
	ds_read_b128 v[232:235], v2 offset:1488
	ds_read_b128 v[236:239], v2 offset:1504
	scratch_load_dwordx4 a[154:157], off, off offset:688
	scratch_load_dwordx4 a[158:161], off, off offset:704
	scratch_load_dwordx4 a[162:165], off, off offset:720
	v_cmp_lt_u32_e32 vcc, 4, v254
	ds_read_b128 v[242:245], v2 offset:1536
	ds_read_b128 v[228:231], v2 offset:1472
	scratch_load_dwordx4 a[134:137], off, off offset:608
	s_waitcnt vmcnt(37) lgkmcnt(14)
	v_mul_f64 v[0:1], v[180:181], v[10:11]
	s_waitcnt vmcnt(36)
	v_mul_f64 v[56:57], v[108:109], v[6:7]
	v_fmac_f64_e32 v[0:1], v[182:183], v[8:9]
	s_waitcnt vmcnt(35)
	v_mul_f64 v[58:59], v[184:185], v[40:41]
	v_fmac_f64_e32 v[56:57], v[110:111], v[4:5]
	v_add_f64 v[0:1], v[0:1], 0
	s_waitcnt vmcnt(34)
	v_mul_f64 v[60:61], v[172:173], v[22:23]
	v_fmac_f64_e32 v[58:59], v[186:187], v[38:39]
	v_add_f64 v[0:1], v[0:1], v[56:57]
	;; [unrolled: 4-line block ×6, first 2 shown]
	s_waitcnt vmcnt(29) lgkmcnt(13)
	v_mul_f64 v[74:75], v[128:129], v[16:17]
	v_fmac_f64_e32 v[72:73], v[162:163], v[34:35]
	v_add_f64 v[0:1], v[0:1], v[70:71]
	s_waitcnt vmcnt(28) lgkmcnt(12)
	v_mul_f64 v[212:213], v[196:197], v[46:47]
	v_fmac_f64_e32 v[74:75], v[130:131], v[14:15]
	v_add_f64 v[0:1], v[0:1], v[72:73]
	;; [unrolled: 4-line block ×8, first 2 shown]
	v_fmac_f64_e32 v[224:225], v[158:159], v[84:85]
	v_add_f64 v[0:1], v[0:1], v[222:223]
	s_waitcnt vmcnt(21) lgkmcnt(5)
	v_mul_f64 v[56:57], v[132:133], v[90:91]
	v_add_f64 v[0:1], v[0:1], v[224:225]
	v_fmac_f64_e32 v[56:57], v[134:135], v[88:89]
	v_add_f64 v[0:1], v[0:1], v[56:57]
	ds_read_b128 v[212:215], v2 offset:1408
	s_waitcnt vmcnt(20) lgkmcnt(5)
	v_mul_f64 v[56:57], v[208:209], v[94:95]
	v_fmac_f64_e32 v[56:57], v[210:211], v[92:93]
	v_add_f64 v[0:1], v[0:1], v[56:57]
	scratch_load_dwordx4 v[56:59], off, off offset:592
	ds_read_b128 v[216:219], v2 offset:1424
	ds_read_b128 v[220:223], v2 offset:1440
	s_waitcnt vmcnt(20) lgkmcnt(2)
	v_mul_f64 v[60:61], v[212:213], v[102:103]
	ds_read_b128 v[224:227], v2 offset:1456
	v_fmac_f64_e32 v[60:61], v[214:215], v[100:101]
	s_waitcnt vmcnt(19) lgkmcnt(2)
	v_mul_f64 v[68:69], v[216:217], v[118:119]
	v_add_f64 v[0:1], v[0:1], v[60:61]
	v_fmac_f64_e32 v[68:69], v[218:219], v[116:117]
	v_add_f64 v[0:1], v[0:1], v[68:69]
	s_waitcnt vmcnt(18) lgkmcnt(1)
	v_mul_f64 v[68:69], v[220:221], v[126:127]
	v_fmac_f64_e32 v[68:69], v[222:223], v[124:125]
	v_add_f64 v[0:1], v[0:1], v[68:69]
	s_waitcnt vmcnt(17) lgkmcnt(0)
	v_mul_f64 v[68:69], v[224:225], v[138:139]
	v_mul_f64 v[10:11], v[182:183], v[10:11]
	v_fmac_f64_e32 v[68:69], v[226:227], v[136:137]
	s_waitcnt vmcnt(16)
	v_mul_f64 v[72:73], v[228:229], v[142:143]
	v_fma_f64 v[240:241], v[180:181], v[8:9], -v[10:11]
	ds_read_b128 v[180:183], v2 offset:1520
	v_add_f64 v[0:1], v[0:1], v[68:69]
	v_fmac_f64_e32 v[72:73], v[230:231], v[140:141]
	s_waitcnt vmcnt(15)
	v_mul_f64 v[8:9], v[232:233], v[146:147]
	v_add_f64 v[0:1], v[0:1], v[72:73]
	v_fmac_f64_e32 v[8:9], v[234:235], v[144:145]
	v_add_f64 v[0:1], v[0:1], v[8:9]
	s_waitcnt vmcnt(14)
	v_mul_f64 v[8:9], v[236:237], v[154:155]
	v_mul_f64 v[12:13], v[186:187], v[40:41]
	v_fmac_f64_e32 v[8:9], v[238:239], v[152:153]
	v_fma_f64 v[248:249], v[184:185], v[38:39], -v[12:13]
	ds_read_b128 v[184:187], v2 offset:1552
	v_add_f64 v[0:1], v[0:1], v[8:9]
	s_waitcnt vmcnt(13) lgkmcnt(1)
	v_mul_f64 v[8:9], v[180:181], v[190:191]
	v_fmac_f64_e32 v[8:9], v[182:183], v[188:189]
	v_add_f64 v[0:1], v[0:1], v[8:9]
	v_mul_f64 v[8:9], v[110:111], v[6:7]
	v_mul_f64 v[12:13], v[174:175], v[22:23]
	s_waitcnt vmcnt(12)
	v_mul_f64 v[6:7], v[242:243], v[194:195]
	v_fma_f64 v[40:41], v[172:173], v[20:21], -v[12:13]
	v_fmac_f64_e32 v[6:7], v[244:245], v[192:193]
	v_mul_f64 v[20:21], v[98:99], v[32:33]
	v_add_f64 v[0:1], v[0:1], v[6:7]
	v_fma_f64 v[172:173], v[96:97], v[30:31], -v[20:21]
	ds_read_b128 v[96:99], v2 offset:1584
	s_waitcnt vmcnt(11) lgkmcnt(1)
	v_mul_f64 v[6:7], v[184:185], v[202:203]
	v_fmac_f64_e32 v[6:7], v[186:187], v[200:201]
	v_add_f64 v[0:1], v[0:1], v[6:7]
	v_mul_f64 v[6:7], v[114:115], v[252:253]
	v_mul_f64 v[24:25], v[106:107], v[28:29]
	v_fma_f64 v[246:247], v[108:109], v[4:5], -v[8:9]
	v_fma_f64 v[38:39], v[112:113], v[250:251], -v[6:7]
	ds_read_b128 v[250:253], v2 offset:1568
	v_fma_f64 v[174:175], v[104:105], v[26:27], -v[24:25]
	s_waitcnt vmcnt(9)
	v_accvgpr_read_b32 v4, a130
	scratch_load_dwordx4 v[72:75], off, off offset:736
	ds_read_b128 v[104:107], v2 offset:1600
	v_accvgpr_read_b32 v6, a132
	v_accvgpr_read_b32 v7, a133
	;; [unrolled: 1-line block ×3, first 2 shown]
	s_waitcnt lgkmcnt(2)
	v_mul_f64 v[32:33], v[96:97], v[6:7]
	scratch_load_dwordx4 v[68:71], off, off offset:752
	scratch_load_dwordx4 v[60:63], off, off offset:768
	v_fmac_f64_e32 v[32:33], v[98:99], v[4:5]
	ds_read_b128 v[108:111], v2 offset:1616
	ds_read_b128 v[112:115], v2 offset:1632
	v_mul_f64 v[10:11], v[130:131], v[16:17]
	s_waitcnt lgkmcnt(3)
	v_mul_f64 v[28:29], v[250:251], v[206:207]
	v_fma_f64 v[30:31], v[128:129], v[14:15], -v[10:11]
	v_fmac_f64_e32 v[28:29], v[252:253], v[204:205]
	v_add_f64 v[0:1], v[0:1], v[28:29]
	v_mul_f64 v[28:29], v[162:163], v[36:37]
	v_mul_f64 v[36:37], v[198:199], v[46:47]
	v_add_f64 v[0:1], v[0:1], v[32:33]
	v_fma_f64 v[26:27], v[196:197], v[44:45], -v[36:37]
	v_mul_f64 v[18:19], v[150:151], v[66:67]
	v_fma_f64 v[18:19], v[148:149], v[64:65], -v[18:19]
	scratch_load_dwordx4 v[64:67], off, off offset:848
	v_mul_f64 v[24:25], v[134:135], v[90:91]
	v_fma_f64 v[24:25], v[132:133], v[88:89], -v[24:25]
	v_fma_f64 v[34:35], v[160:161], v[34:35], -v[28:29]
	v_mul_f64 v[146:147], v[234:235], v[146:147]
	s_waitcnt vmcnt(4)
	v_mov_b64_e32 v[4:5], v[56:57]
	v_mov_b64_e32 v[6:7], v[58:59]
	v_accvgpr_write_b32 a169, v59
	s_waitcnt lgkmcnt(2)
	v_mul_f64 v[14:15], v[104:105], v[6:7]
	v_accvgpr_write_b32 a168, v58
	v_accvgpr_write_b32 a167, v57
	;; [unrolled: 1-line block ×3, first 2 shown]
	scratch_load_dwordx4 v[56:59], off, off offset:784
	v_fmac_f64_e32 v[14:15], v[106:107], v[4:5]
	v_accvgpr_read_b32 v4, a134
	v_accvgpr_read_b32 v6, a136
	;; [unrolled: 1-line block ×4, first 2 shown]
	s_waitcnt lgkmcnt(1)
	v_mul_f64 v[44:45], v[108:109], v[6:7]
	v_add_f64 v[0:1], v[0:1], v[14:15]
	v_fmac_f64_e32 v[44:45], v[110:111], v[4:5]
	v_add_f64 v[0:1], v[0:1], v[44:45]
	v_mul_f64 v[44:45], v[166:167], v[54:55]
	v_fma_f64 v[16:17], v[164:165], v[52:53], -v[44:45]
	scratch_load_dwordx4 v[44:47], off, off offset:800
	v_mul_f64 v[14:15], v[178:179], v[50:51]
	v_fma_f64 v[22:23], v[176:177], v[48:49], -v[14:15]
	scratch_load_dwordx4 v[48:51], off, off offset:816
	v_mul_f64 v[52:53], v[122:123], v[78:79]
	v_fma_f64 v[14:15], v[120:121], v[76:77], -v[52:53]
	ds_read_b128 v[120:123], v2 offset:1648
	v_accvgpr_read_b32 v4, a138
	scratch_load_dwordx4 v[52:55], off, off offset:832
	v_accvgpr_read_b32 v6, a140
	v_accvgpr_read_b32 v7, a141
	;; [unrolled: 1-line block ×3, first 2 shown]
	s_waitcnt lgkmcnt(1)
	v_mul_f64 v[20:21], v[112:113], v[6:7]
	v_fmac_f64_e32 v[20:21], v[114:115], v[4:5]
	v_accvgpr_read_b32 v4, a142
	v_accvgpr_read_b32 v6, a144
	;; [unrolled: 1-line block ×4, first 2 shown]
	s_waitcnt lgkmcnt(0)
	v_mul_f64 v[76:77], v[120:121], v[6:7]
	v_add_f64 v[0:1], v[0:1], v[20:21]
	v_fmac_f64_e32 v[76:77], v[122:123], v[4:5]
	v_add_f64 v[0:1], v[0:1], v[76:77]
	v_mul_f64 v[76:77], v[158:159], v[86:87]
	v_fma_f64 v[12:13], v[156:157], v[84:85], -v[76:77]
	scratch_load_dwordx4 v[76:79], off, off offset:864
	v_mul_f64 v[20:21], v[170:171], v[82:83]
	ds_read_b128 v[132:135], v2 offset:1664
	ds_read_b128 v[128:131], v2 offset:1680
	scratch_load_dwordx4 v[84:87], off, off offset:880
	v_fma_f64 v[20:21], v[168:169], v[80:81], -v[20:21]
	v_mul_f64 v[80:81], v[210:211], v[94:95]
	v_fma_f64 v[10:11], v[208:209], v[92:93], -v[80:81]
	scratch_load_dwordx4 v[80:83], off, off offset:896
	scratch_load_dwordx4 v[88:91], off, off offset:912
	v_accvgpr_read_b32 v4, a146
	v_accvgpr_read_b32 v6, a148
	;; [unrolled: 1-line block ×4, first 2 shown]
	s_waitcnt lgkmcnt(1)
	v_mul_f64 v[28:29], v[132:133], v[6:7]
	v_mul_f64 v[92:93], v[218:219], v[118:119]
	v_fmac_f64_e32 v[28:29], v[134:135], v[4:5]
	v_fma_f64 v[8:9], v[216:217], v[116:117], -v[92:93]
	ds_read_b128 v[92:95], v2 offset:1696
	v_accvgpr_read_b32 v4, a150
	v_accvgpr_read_b32 v6, a152
	;; [unrolled: 1-line block ×3, first 2 shown]
	v_add_f64 v[0:1], v[0:1], v[28:29]
	v_mul_f64 v[28:29], v[214:215], v[102:103]
	v_accvgpr_read_b32 v5, a151
	s_waitcnt lgkmcnt(1)
	v_mul_f64 v[32:33], v[128:129], v[6:7]
	v_fma_f64 v[28:29], v[212:213], v[100:101], -v[28:29]
	v_fmac_f64_e32 v[32:33], v[130:131], v[4:5]
	ds_read_b128 v[100:103], v2 offset:1712
	v_accvgpr_read_b32 v4, a154
	v_accvgpr_read_b32 v6, a156
	;; [unrolled: 1-line block ×3, first 2 shown]
	v_add_f64 v[0:1], v[0:1], v[32:33]
	v_accvgpr_read_b32 v5, a155
	s_waitcnt lgkmcnt(1)
	v_mul_f64 v[32:33], v[92:93], v[6:7]
	v_fmac_f64_e32 v[32:33], v[94:95], v[4:5]
	v_accvgpr_read_b32 v4, a158
	v_add_f64 v[0:1], v[0:1], v[32:33]
	v_mul_f64 v[32:33], v[222:223], v[126:127]
	v_accvgpr_read_b32 v6, a160
	v_accvgpr_read_b32 v7, a161
	v_fma_f64 v[32:33], v[220:221], v[124:125], -v[32:33]
	ds_read_b128 v[116:119], v2 offset:1728
	v_accvgpr_read_b32 v5, a159
	s_waitcnt lgkmcnt(1)
	v_mul_f64 v[124:125], v[100:101], v[6:7]
	v_fmac_f64_e32 v[124:125], v[102:103], v[4:5]
	v_add_f64 v[0:1], v[0:1], v[124:125]
	v_mul_f64 v[124:125], v[226:227], v[138:139]
	v_fma_f64 v[6:7], v[224:225], v[136:137], -v[124:125]
	v_accvgpr_read_b32 v136, a162
	v_accvgpr_read_b32 v138, a164
	;; [unrolled: 1-line block ×3, first 2 shown]
	ds_read_b128 v[124:127], v2 offset:1744
	v_accvgpr_read_b32 v137, a163
	s_waitcnt lgkmcnt(1)
	v_mul_f64 v[36:37], v[116:117], v[138:139]
	v_fmac_f64_e32 v[36:37], v[118:119], v[136:137]
	v_add_f64 v[0:1], v[0:1], v[36:37]
	ds_read_b128 v[136:139], v2 offset:1760
	v_mul_f64 v[36:37], v[230:231], v[142:143]
	v_fma_f64 v[36:37], v[228:229], v[140:141], -v[36:37]
	ds_read_b128 v[140:143], v2 offset:1776
	s_waitcnt vmcnt(11) lgkmcnt(2)
	v_mul_f64 v[148:149], v[124:125], v[74:75]
	v_fma_f64 v[4:5], v[232:233], v[144:145], -v[146:147]
	ds_read_b128 v[144:147], v2 offset:1792
	v_fmac_f64_e32 v[148:149], v[126:127], v[72:73]
	v_add_f64 v[0:1], v[0:1], v[148:149]
	s_waitcnt vmcnt(10) lgkmcnt(2)
	v_mul_f64 v[148:149], v[136:137], v[70:71]
	v_fmac_f64_e32 v[148:149], v[138:139], v[68:69]
	s_waitcnt vmcnt(9) lgkmcnt(1)
	v_mul_f64 v[42:43], v[140:141], v[62:63]
	v_add_f64 v[0:1], v[0:1], v[148:149]
	v_fmac_f64_e32 v[42:43], v[142:143], v[60:61]
	v_add_f64 v[0:1], v[0:1], v[42:43]
	ds_read_b128 v[148:151], v2 offset:1808
	s_waitcnt vmcnt(7) lgkmcnt(1)
	v_mul_f64 v[42:43], v[144:145], v[58:59]
	v_fmac_f64_e32 v[42:43], v[146:147], v[56:57]
	v_add_f64 v[0:1], v[0:1], v[42:43]
	v_mul_f64 v[42:43], v[238:239], v[154:155]
	v_fma_f64 v[42:43], v[236:237], v[152:153], -v[42:43]
	ds_read_b128 v[152:155], v2 offset:1824
	v_mul_f64 v[156:157], v[182:183], v[190:191]
	v_fma_f64 v[236:237], v[180:181], v[188:189], -v[156:157]
	ds_read_b128 v[156:159], v2 offset:1840
	s_waitcnt vmcnt(6) lgkmcnt(2)
	v_mul_f64 v[160:161], v[148:149], v[46:47]
	v_fmac_f64_e32 v[160:161], v[150:151], v[44:45]
	v_add_f64 v[0:1], v[0:1], v[160:161]
	s_waitcnt vmcnt(5) lgkmcnt(1)
	v_mul_f64 v[160:161], v[152:153], v[50:51]
	v_fmac_f64_e32 v[160:161], v[154:155], v[48:49]
	v_add_f64 v[0:1], v[0:1], v[160:161]
	s_waitcnt vmcnt(4) lgkmcnt(0)
	v_mul_f64 v[164:165], v[156:157], v[54:55]
	ds_read_b128 v[160:163], v2 offset:1856
	v_fmac_f64_e32 v[164:165], v[158:159], v[52:53]
	v_add_f64 v[0:1], v[0:1], v[164:165]
	v_mul_f64 v[164:165], v[244:245], v[194:195]
	v_fma_f64 v[238:239], v[242:243], v[192:193], -v[164:165]
	ds_read_b128 v[164:167], v2 offset:1872
	s_waitcnt lgkmcnt(1)
	v_mul_f64 v[168:169], v[160:161], v[66:67]
	v_fmac_f64_e32 v[168:169], v[162:163], v[64:65]
	v_add_f64 v[176:177], v[0:1], v[168:169]
	ds_read_b128 v[168:171], v2 offset:1888
	ds_read_b128 v[242:245], v2 offset:1904
	s_waitcnt vmcnt(3) lgkmcnt(2)
	v_mul_f64 v[178:179], v[164:165], v[78:79]
	v_fmac_f64_e32 v[178:179], v[166:167], v[76:77]
	v_add_f64 v[180:181], v[176:177], v[178:179]
	v_mul_f64 v[176:177], v[252:253], v[206:207]
	v_fma_f64 v[250:251], v[250:251], v[204:205], -v[176:177]
	ds_read_b128 v[176:179], v2 offset:1920
	s_waitcnt vmcnt(2) lgkmcnt(2)
	v_mul_f64 v[182:183], v[168:169], v[86:87]
	v_fmac_f64_e32 v[182:183], v[170:171], v[84:85]
	v_add_f64 v[180:181], v[180:181], v[182:183]
	s_waitcnt vmcnt(1) lgkmcnt(1)
	v_mul_f64 v[182:183], v[242:243], v[82:83]
	v_mul_f64 v[0:1], v[186:187], v[202:203]
	v_fmac_f64_e32 v[182:183], v[244:245], v[80:81]
	v_fma_f64 v[0:1], v[184:185], v[200:201], -v[0:1]
	v_add_f64 v[180:181], v[180:181], v[182:183]
	ds_read_b128 v[184:187], v2 offset:1936
	scratch_load_dwordx4 v[232:235], off, off offset:1024
	s_waitcnt vmcnt(1) lgkmcnt(1)
	v_mul_f64 v[182:183], v[176:177], v[90:91]
	v_fmac_f64_e32 v[182:183], v[178:179], v[88:89]
	v_add_f64 v[188:189], v[180:181], v[182:183]
	scratch_load_dwordx4 v[180:183], off, off offset:928
	ds_read_b128 v[192:195], v2 offset:1952
	ds_read_b128 v[200:203], v2 offset:1968
	;; [unrolled: 1-line block ×4, first 2 shown]
	v_add_f64 v[240:241], v[240:241], 0
	v_add_f64 v[240:241], v[240:241], v[246:247]
	;; [unrolled: 1-line block ×12, first 2 shown]
	ds_read_b128 v[224:227], v2 offset:2016
	v_add_f64 v[16:17], v[16:17], v[18:19]
	v_add_f64 v[14:15], v[16:17], v[14:15]
	;; [unrolled: 1-line block ×14, first 2 shown]
	v_accvgpr_read_b32 v6, a130
	v_accvgpr_read_b32 v8, a132
	;; [unrolled: 1-line block ×4, first 2 shown]
	s_waitcnt vmcnt(0) lgkmcnt(5)
	v_mul_f64 v[190:191], v[184:185], v[182:183]
	v_fmac_f64_e32 v[190:191], v[186:187], v[180:181]
	v_add_f64 v[196:197], v[188:189], v[190:191]
	scratch_load_dwordx4 v[188:191], off, off offset:944
	s_waitcnt vmcnt(0) lgkmcnt(4)
	v_mul_f64 v[198:199], v[192:193], v[190:191]
	v_fmac_f64_e32 v[198:199], v[194:195], v[188:189]
	v_add_f64 v[204:205], v[196:197], v[198:199]
	scratch_load_dwordx4 v[196:199], off, off offset:960
	;; [unrolled: 5-line block ×5, first 2 shown]
	s_waitcnt vmcnt(0) lgkmcnt(0)
	v_mul_f64 v[230:231], v[224:225], v[222:223]
	v_fmac_f64_e32 v[230:231], v[226:227], v[220:221]
	v_add_f64 v[252:253], v[228:229], v[230:231]
	ds_read_b128 v[228:231], v2 offset:2032
	s_waitcnt lgkmcnt(0)
	v_mul_f64 v[2:3], v[228:229], v[234:235]
	v_fmac_f64_e32 v[2:3], v[230:231], v[232:233]
	v_add_f64 v[2:3], v[252:253], v[2:3]
	v_add_f64 v[252:253], v[4:5], v[238:239]
	scratch_load_dwordx4 v[236:239], off, off offset:96
	v_mul_f64 v[4:5], v[98:99], v[8:9]
	v_add_f64 v[0:1], v[252:253], v[0:1]
	v_fma_f64 v[4:5], v[96:97], v[6:7], -v[4:5]
	v_accvgpr_read_b32 v6, a166
	v_add_f64 v[0:1], v[0:1], v[250:251]
	v_accvgpr_read_b32 v8, a168
	v_accvgpr_read_b32 v9, a169
	v_add_f64 v[0:1], v[0:1], v[4:5]
	v_accvgpr_read_b32 v7, a167
	v_mul_f64 v[4:5], v[106:107], v[8:9]
	v_fma_f64 v[4:5], v[104:105], v[6:7], -v[4:5]
	v_accvgpr_read_b32 v6, a134
	v_accvgpr_read_b32 v8, a136
	v_accvgpr_read_b32 v9, a137
	v_add_f64 v[0:1], v[0:1], v[4:5]
	v_accvgpr_read_b32 v7, a135
	v_mul_f64 v[4:5], v[110:111], v[8:9]
	v_fma_f64 v[4:5], v[108:109], v[6:7], -v[4:5]
	v_accvgpr_read_b32 v6, a138
	;; [unrolled: 7-line block ×8, first 2 shown]
	v_accvgpr_read_b32 v8, a164
	v_accvgpr_read_b32 v9, a165
	v_add_f64 v[0:1], v[0:1], v[4:5]
	v_accvgpr_read_b32 v7, a163
	v_mul_f64 v[4:5], v[118:119], v[8:9]
	v_fma_f64 v[4:5], v[116:117], v[6:7], -v[4:5]
	v_add_f64 v[0:1], v[0:1], v[4:5]
	v_mul_f64 v[4:5], v[126:127], v[74:75]
	v_fma_f64 v[4:5], v[124:125], v[72:73], -v[4:5]
	v_add_f64 v[0:1], v[0:1], v[4:5]
	;; [unrolled: 3-line block ×20, first 2 shown]
	s_waitcnt vmcnt(0)
	v_add_f64 v[4:5], v[236:237], -v[0:1]
	v_add_f64 v[6:7], v[238:239], -v[2:3]
	scratch_store_dwordx4 off, v[4:7], off offset:96
	s_and_saveexec_b64 s[0:1], vcc
	s_cbranch_execz .LBB127_401
; %bb.400:
	scratch_load_dwordx4 v[2:5], off, s86
	v_mov_b32_e32 v6, 0
	v_mov_b32_e32 v7, v6
	;; [unrolled: 1-line block ×4, first 2 shown]
	v_accvgpr_read_b32 v0, a128
	scratch_store_dwordx4 off, v[6:9], off offset:80
	s_waitcnt vmcnt(1)
	ds_write_b128 v0, v[2:5]
.LBB127_401:
	s_or_b64 exec, exec, s[0:1]
	s_waitcnt lgkmcnt(0)
	; wave barrier
	scratch_load_dwordx4 v[16:19], off, off offset:96
	scratch_load_dwordx4 v[20:23], off, off offset:112
	;; [unrolled: 1-line block ×30, first 2 shown]
	v_mov_b32_e32 v2, 0
	ds_read_b128 v[88:91], v2 offset:1104
	ds_read_b128 v[96:99], v2 offset:1120
	;; [unrolled: 1-line block ×17, first 2 shown]
	scratch_load_dwordx4 a[134:137], off, off offset:608
	scratch_load_dwordx4 a[138:141], off, off offset:624
	;; [unrolled: 1-line block ×6, first 2 shown]
	ds_read_b128 v[224:227], v2 offset:1440
	ds_read_b128 v[228:231], v2 offset:1456
	;; [unrolled: 1-line block ×6, first 2 shown]
	scratch_load_dwordx4 a[158:161], off, off offset:704
	scratch_load_dwordx4 a[162:165], off, off offset:720
	v_cmp_lt_u32_e32 vcc, 3, v254
	scratch_load_dwordx4 a[130:133], off, off offset:592
	s_waitcnt vmcnt(38) lgkmcnt(14)
	v_mul_f64 v[0:1], v[88:89], v[18:19]
	s_waitcnt vmcnt(37)
	v_mul_f64 v[4:5], v[96:97], v[22:23]
	v_fmac_f64_e32 v[0:1], v[90:91], v[16:17]
	s_waitcnt vmcnt(36)
	v_mul_f64 v[6:7], v[100:101], v[26:27]
	v_fmac_f64_e32 v[4:5], v[98:99], v[20:21]
	v_add_f64 v[0:1], v[0:1], 0
	s_waitcnt vmcnt(35)
	v_mul_f64 v[8:9], v[104:105], v[30:31]
	v_fmac_f64_e32 v[6:7], v[102:103], v[24:25]
	v_add_f64 v[0:1], v[0:1], v[4:5]
	;; [unrolled: 4-line block ×7, first 2 shown]
	s_waitcnt vmcnt(29) lgkmcnt(13)
	v_mul_f64 v[208:209], v[172:173], v[54:55]
	v_fmac_f64_e32 v[206:207], v[170:171], v[48:49]
	v_add_f64 v[0:1], v[0:1], v[204:205]
	s_waitcnt vmcnt(28) lgkmcnt(12)
	v_mul_f64 v[210:211], v[176:177], v[58:59]
	v_fmac_f64_e32 v[208:209], v[174:175], v[52:53]
	v_add_f64 v[0:1], v[0:1], v[206:207]
	;; [unrolled: 4-line block ×6, first 2 shown]
	v_fmac_f64_e32 v[218:219], v[194:195], v[72:73]
	v_add_f64 v[0:1], v[0:1], v[216:217]
	v_add_f64 v[0:1], v[0:1], v[218:219]
	scratch_load_dwordx4 v[216:219], off, off offset:576
	ds_read_b128 v[204:207], v2 offset:1376
	ds_read_b128 v[208:211], v2 offset:1392
	s_waitcnt vmcnt(24) lgkmcnt(9)
	v_mul_f64 v[220:221], v[196:197], v[78:79]
	v_fmac_f64_e32 v[220:221], v[198:199], v[76:77]
	s_waitcnt vmcnt(23) lgkmcnt(8)
	v_mul_f64 v[4:5], v[200:201], v[82:83]
	v_add_f64 v[0:1], v[0:1], v[220:221]
	v_fmac_f64_e32 v[4:5], v[202:203], v[80:81]
	ds_read_b128 v[212:215], v2 offset:1408
	ds_read_b128 v[220:223], v2 offset:1424
	v_add_f64 v[0:1], v[0:1], v[4:5]
	s_waitcnt vmcnt(22) lgkmcnt(3)
	v_mul_f64 v[4:5], v[204:205], v[86:87]
	v_fmac_f64_e32 v[4:5], v[206:207], v[84:85]
	v_add_f64 v[0:1], v[0:1], v[4:5]
	s_waitcnt vmcnt(21) lgkmcnt(2)
	v_mul_f64 v[4:5], v[208:209], v[94:95]
	v_fmac_f64_e32 v[4:5], v[210:211], v[92:93]
	;; [unrolled: 4-line block ×4, first 2 shown]
	v_add_f64 v[0:1], v[0:1], v[4:5]
	s_waitcnt vmcnt(18)
	v_mul_f64 v[4:5], v[224:225], v[126:127]
	v_fmac_f64_e32 v[4:5], v[226:227], v[124:125]
	v_add_f64 v[0:1], v[0:1], v[4:5]
	s_waitcnt vmcnt(17)
	v_mul_f64 v[4:5], v[228:229], v[130:131]
	v_fmac_f64_e32 v[4:5], v[230:231], v[128:129]
	v_add_f64 v[0:1], v[0:1], v[4:5]
	v_mul_f64 v[4:5], v[90:91], v[18:19]
	v_fma_f64 v[240:241], v[88:89], v[16:17], -v[4:5]
	s_waitcnt vmcnt(16)
	v_mul_f64 v[4:5], v[232:233], v[134:135]
	v_fmac_f64_e32 v[4:5], v[234:235], v[132:133]
	v_add_f64 v[0:1], v[0:1], v[4:5]
	s_waitcnt vmcnt(15)
	v_mul_f64 v[4:5], v[236:237], v[138:139]
	v_fmac_f64_e32 v[4:5], v[238:239], v[136:137]
	ds_read_b128 v[8:11], v2 offset:1536
	v_add_f64 v[0:1], v[0:1], v[4:5]
	s_waitcnt vmcnt(14)
	v_mul_f64 v[4:5], v[242:243], v[142:143]
	v_fmac_f64_e32 v[4:5], v[244:245], v[140:141]
	v_mul_f64 v[6:7], v[98:99], v[22:23]
	v_fma_f64 v[246:247], v[96:97], v[20:21], -v[6:7]
	v_mul_f64 v[6:7], v[102:103], v[26:27]
	v_add_f64 v[0:1], v[0:1], v[4:5]
	s_waitcnt vmcnt(13)
	v_mul_f64 v[4:5], v[248:249], v[150:151]
	v_fma_f64 v[252:253], v[100:101], v[24:25], -v[6:7]
	v_mul_f64 v[6:7], v[106:107], v[30:31]
	v_fmac_f64_e32 v[4:5], v[250:251], v[148:149]
	v_mul_f64 v[12:13], v[114:115], v[38:39]
	v_fma_f64 v[88:89], v[104:105], v[28:29], -v[6:7]
	v_add_f64 v[0:1], v[0:1], v[4:5]
	v_fma_f64 v[28:29], v[112:113], v[36:37], -v[12:13]
	ds_read_b128 v[12:15], v2 offset:1568
	s_waitcnt vmcnt(12) lgkmcnt(1)
	v_mul_f64 v[4:5], v[8:9], v[154:155]
	v_fmac_f64_e32 v[4:5], v[10:11], v[152:153]
	v_add_f64 v[0:1], v[0:1], v[4:5]
	v_mul_f64 v[4:5], v[110:111], v[34:35]
	v_fma_f64 v[32:33], v[108:109], v[32:33], -v[4:5]
	ds_read_b128 v[4:7], v2 offset:1552
	v_mul_f64 v[22:23], v[146:147], v[42:43]
	v_fma_f64 v[24:25], v[144:145], v[40:41], -v[22:23]
	ds_read_b128 v[144:147], v2 offset:1584
	s_waitcnt vmcnt(10) lgkmcnt(2)
	v_mul_f64 v[40:41], v[12:13], v[166:167]
	s_waitcnt lgkmcnt(1)
	v_mul_f64 v[36:37], v[4:5], v[162:163]
	v_fmac_f64_e32 v[36:37], v[6:7], v[160:161]
	v_add_f64 v[0:1], v[0:1], v[36:37]
	v_mul_f64 v[36:37], v[158:159], v[46:47]
	v_fmac_f64_e32 v[40:41], v[14:15], v[164:165]
	v_fma_f64 v[156:157], v[156:157], v[44:45], -v[36:37]
	ds_read_b128 v[34:37], v2 offset:1600
	ds_read_b128 v[96:99], v2 offset:1616
	v_add_f64 v[0:1], v[0:1], v[40:41]
	v_mul_f64 v[40:41], v[170:171], v[50:51]
	v_fma_f64 v[158:159], v[168:169], v[48:49], -v[40:41]
	scratch_load_dwordx4 v[40:43], off, off offset:736
	v_mul_f64 v[44:45], v[174:175], v[54:55]
	s_waitcnt vmcnt(2)
	v_accvgpr_read_b32 v16, a130
	v_fma_f64 v[168:169], v[172:173], v[52:53], -v[44:45]
	scratch_load_dwordx4 v[44:47], off, off offset:752
	v_accvgpr_read_b32 v18, a132
	s_waitcnt vmcnt(2) lgkmcnt(2)
	v_mul_f64 v[48:49], v[144:145], v[218:219]
	v_fmac_f64_e32 v[48:49], v[146:147], v[216:217]
	v_accvgpr_read_b32 v19, a133
	v_add_f64 v[0:1], v[0:1], v[48:49]
	v_mul_f64 v[48:49], v[178:179], v[58:59]
	v_accvgpr_read_b32 v17, a131
	s_waitcnt lgkmcnt(1)
	v_mul_f64 v[52:53], v[34:35], v[18:19]
	v_fma_f64 v[170:171], v[176:177], v[56:57], -v[48:49]
	scratch_load_dwordx4 v[48:51], off, off offset:768
	v_fmac_f64_e32 v[52:53], v[36:37], v[16:17]
	v_add_f64 v[0:1], v[0:1], v[52:53]
	v_mul_f64 v[52:53], v[182:183], v[62:63]
	v_fma_f64 v[172:173], v[180:181], v[60:61], -v[52:53]
	scratch_load_dwordx4 v[52:55], off, off offset:784
	v_mul_f64 v[56:57], v[186:187], v[66:67]
	v_fma_f64 v[174:175], v[184:185], v[64:65], -v[56:57]
	scratch_load_dwordx4 v[56:59], off, off offset:800
	v_mul_f64 v[60:61], v[190:191], v[70:71]
	ds_read_b128 v[100:103], v2 offset:1632
	v_accvgpr_read_b32 v16, a134
	v_fma_f64 v[176:177], v[188:189], v[68:69], -v[60:61]
	v_accvgpr_read_b32 v18, a136
	v_accvgpr_read_b32 v19, a137
	scratch_load_dwordx4 v[60:63], off, off offset:816
	v_accvgpr_read_b32 v17, a135
	s_waitcnt lgkmcnt(1)
	v_mul_f64 v[64:65], v[96:97], v[18:19]
	v_fmac_f64_e32 v[64:65], v[98:99], v[16:17]
	v_accvgpr_read_b32 v16, a138
	v_accvgpr_read_b32 v18, a140
	;; [unrolled: 1-line block ×4, first 2 shown]
	s_waitcnt lgkmcnt(0)
	v_mul_f64 v[68:69], v[100:101], v[18:19]
	v_add_f64 v[0:1], v[0:1], v[64:65]
	v_mul_f64 v[64:65], v[194:195], v[74:75]
	v_fmac_f64_e32 v[68:69], v[102:103], v[16:17]
	v_fma_f64 v[178:179], v[192:193], v[72:73], -v[64:65]
	scratch_load_dwordx4 v[64:67], off, off offset:832
	v_add_f64 v[0:1], v[0:1], v[68:69]
	v_mul_f64 v[68:69], v[198:199], v[78:79]
	v_fma_f64 v[22:23], v[196:197], v[76:77], -v[68:69]
	scratch_load_dwordx4 v[68:71], off, off offset:848
	ds_read_b128 v[108:111], v2 offset:1648
	ds_read_b128 v[104:107], v2 offset:1664
	scratch_load_dwordx4 v[76:79], off, off offset:864
	v_accvgpr_read_b32 v16, a142
	v_accvgpr_read_b32 v18, a144
	;; [unrolled: 1-line block ×3, first 2 shown]
	v_mul_f64 v[72:73], v[206:207], v[86:87]
	v_accvgpr_read_b32 v17, a143
	s_waitcnt lgkmcnt(1)
	v_mul_f64 v[30:31], v[108:109], v[18:19]
	v_mul_f64 v[26:27], v[202:203], v[82:83]
	v_fma_f64 v[20:21], v[204:205], v[84:85], -v[72:73]
	scratch_load_dwordx4 v[72:75], off, off offset:880
	v_fmac_f64_e32 v[30:31], v[110:111], v[16:17]
	v_accvgpr_read_b32 v16, a146
	ds_read_b128 v[112:115], v2 offset:1680
	v_fma_f64 v[26:27], v[200:201], v[80:81], -v[26:27]
	v_accvgpr_read_b32 v18, a148
	v_accvgpr_read_b32 v19, a149
	v_mul_f64 v[80:81], v[214:215], v[118:119]
	v_add_f64 v[0:1], v[0:1], v[30:31]
	v_accvgpr_read_b32 v17, a147
	s_waitcnt lgkmcnt(1)
	v_mul_f64 v[30:31], v[104:105], v[18:19]
	v_fma_f64 v[18:19], v[212:213], v[116:117], -v[80:81]
	scratch_load_dwordx4 v[80:83], off, off offset:896
	v_mul_f64 v[84:85], v[222:223], v[122:123]
	v_fmac_f64_e32 v[30:31], v[106:107], v[16:17]
	v_fma_f64 v[90:91], v[220:221], v[120:121], -v[84:85]
	v_accvgpr_read_b32 v120, a150
	v_add_f64 v[0:1], v[0:1], v[30:31]
	v_mul_f64 v[30:31], v[210:211], v[94:95]
	v_accvgpr_read_b32 v122, a152
	v_accvgpr_read_b32 v123, a153
	scratch_load_dwordx4 v[84:87], off, off offset:912
	v_fma_f64 v[30:31], v[208:209], v[92:93], -v[30:31]
	ds_read_b128 v[116:119], v2 offset:1696
	v_accvgpr_read_b32 v121, a151
	s_waitcnt lgkmcnt(1)
	v_mul_f64 v[92:93], v[112:113], v[122:123]
	v_fmac_f64_e32 v[92:93], v[114:115], v[120:121]
	v_add_f64 v[0:1], v[0:1], v[92:93]
	v_mul_f64 v[92:93], v[226:227], v[126:127]
	v_fma_f64 v[16:17], v[224:225], v[124:125], -v[92:93]
	v_accvgpr_read_b32 v92, a154
	v_accvgpr_read_b32 v94, a156
	v_accvgpr_read_b32 v95, a157
	v_accvgpr_read_b32 v93, a155
	s_waitcnt lgkmcnt(0)
	v_mul_f64 v[38:39], v[116:117], v[94:95]
	v_fmac_f64_e32 v[38:39], v[118:119], v[92:93]
	scratch_load_dwordx4 v[92:95], off, off offset:928
	ds_read_b128 v[120:123], v2 offset:1712
	ds_read_b128 v[124:127], v2 offset:1728
	v_accvgpr_read_b32 v183, a161
	v_add_f64 v[0:1], v[0:1], v[38:39]
	v_mul_f64 v[38:39], v[230:231], v[130:131]
	v_accvgpr_read_b32 v182, a160
	v_fma_f64 v[38:39], v[228:229], v[128:129], -v[38:39]
	v_accvgpr_read_b32 v181, a159
	v_accvgpr_read_b32 v180, a158
	s_waitcnt lgkmcnt(1)
	v_mul_f64 v[128:129], v[120:121], v[182:183]
	v_fmac_f64_e32 v[128:129], v[122:123], v[180:181]
	v_add_f64 v[0:1], v[0:1], v[128:129]
	v_mul_f64 v[128:129], v[234:235], v[134:135]
	v_fma_f64 v[228:229], v[232:233], v[132:133], -v[128:129]
	v_accvgpr_read_b32 v132, a162
	ds_read_b128 v[128:131], v2 offset:1744
	v_accvgpr_read_b32 v134, a164
	v_accvgpr_read_b32 v135, a165
	v_accvgpr_read_b32 v133, a163
	s_waitcnt lgkmcnt(1)
	v_mul_f64 v[180:181], v[124:125], v[134:135]
	v_fmac_f64_e32 v[180:181], v[126:127], v[132:133]
	ds_read_b128 v[132:135], v2 offset:1760
	v_mul_f64 v[138:139], v[238:239], v[138:139]
	v_fma_f64 v[230:231], v[236:237], v[136:137], -v[138:139]
	ds_read_b128 v[136:139], v2 offset:1776
	v_add_f64 v[0:1], v[0:1], v[180:181]
	s_waitcnt vmcnt(12) lgkmcnt(2)
	v_mul_f64 v[180:181], v[128:129], v[42:43]
	v_mul_f64 v[142:143], v[244:245], v[142:143]
	v_fmac_f64_e32 v[180:181], v[130:131], v[40:41]
	v_fma_f64 v[232:233], v[242:243], v[140:141], -v[142:143]
	ds_read_b128 v[140:143], v2 offset:1792
	v_add_f64 v[0:1], v[0:1], v[180:181]
	s_waitcnt vmcnt(11) lgkmcnt(2)
	v_mul_f64 v[180:181], v[132:133], v[46:47]
	v_fmac_f64_e32 v[180:181], v[134:135], v[44:45]
	ds_read_b128 v[242:245], v2 offset:1808
	v_mul_f64 v[150:151], v[250:251], v[150:151]
	v_add_f64 v[0:1], v[0:1], v[180:181]
	s_waitcnt vmcnt(10) lgkmcnt(2)
	v_mul_f64 v[180:181], v[136:137], v[50:51]
	v_fma_f64 v[250:251], v[248:249], v[148:149], -v[150:151]
	ds_read_b128 v[148:151], v2 offset:1824
	v_fmac_f64_e32 v[180:181], v[138:139], v[48:49]
	v_add_f64 v[0:1], v[0:1], v[180:181]
	s_waitcnt vmcnt(9) lgkmcnt(2)
	v_mul_f64 v[180:181], v[140:141], v[54:55]
	v_mul_f64 v[10:11], v[10:11], v[154:155]
	v_fmac_f64_e32 v[180:181], v[142:143], v[52:53]
	v_fma_f64 v[8:9], v[8:9], v[152:153], -v[10:11]
	v_add_f64 v[0:1], v[0:1], v[180:181]
	s_waitcnt vmcnt(8) lgkmcnt(1)
	v_mul_f64 v[180:181], v[242:243], v[58:59]
	v_accvgpr_write_b32 a167, v9
	v_fmac_f64_e32 v[180:181], v[244:245], v[56:57]
	v_accvgpr_write_b32 a166, v8
	s_waitcnt vmcnt(7) lgkmcnt(0)
	v_mul_f64 v[8:9], v[148:149], v[62:63]
	v_add_f64 v[0:1], v[0:1], v[180:181]
	ds_read_b128 v[152:155], v2 offset:1840
	v_fmac_f64_e32 v[8:9], v[150:151], v[60:61]
	v_add_f64 v[0:1], v[0:1], v[8:9]
	ds_read_b128 v[8:11], v2 offset:1856
	v_mul_f64 v[6:7], v[6:7], v[162:163]
	v_fma_f64 v[236:237], v[4:5], v[160:161], -v[6:7]
	ds_read_b128 v[160:163], v2 offset:1872
	s_waitcnt vmcnt(6) lgkmcnt(2)
	v_mul_f64 v[180:181], v[152:153], v[66:67]
	v_fmac_f64_e32 v[180:181], v[154:155], v[64:65]
	s_waitcnt vmcnt(5) lgkmcnt(1)
	v_mul_f64 v[4:5], v[8:9], v[70:71]
	v_add_f64 v[0:1], v[0:1], v[180:181]
	v_fmac_f64_e32 v[4:5], v[10:11], v[68:69]
	v_mul_f64 v[6:7], v[14:15], v[166:167]
	v_fma_f64 v[238:239], v[12:13], v[164:165], -v[6:7]
	ds_read_b128 v[164:167], v2 offset:1888
	v_add_f64 v[0:1], v[0:1], v[4:5]
	s_waitcnt vmcnt(4) lgkmcnt(1)
	v_mul_f64 v[4:5], v[160:161], v[78:79]
	v_fmac_f64_e32 v[4:5], v[162:163], v[76:77]
	v_add_f64 v[0:1], v[0:1], v[4:5]
	ds_read_b128 v[4:7], v2 offset:1904
	v_mul_f64 v[12:13], v[146:147], v[218:219]
	v_fma_f64 v[248:249], v[144:145], v[216:217], -v[12:13]
	ds_read_b128 v[12:15], v2 offset:1920
	s_waitcnt vmcnt(3) lgkmcnt(2)
	v_mul_f64 v[144:145], v[164:165], v[74:75]
	v_fmac_f64_e32 v[144:145], v[166:167], v[72:73]
	v_add_f64 v[0:1], v[0:1], v[144:145]
	s_waitcnt vmcnt(2) lgkmcnt(1)
	v_mul_f64 v[144:145], v[4:5], v[82:83]
	v_fmac_f64_e32 v[144:145], v[6:7], v[80:81]
	v_add_f64 v[0:1], v[0:1], v[144:145]
	;; [unrolled: 4-line block ×3, first 2 shown]
	ds_read_b128 v[144:147], v2 offset:1936
	ds_read_b128 v[184:187], v2 offset:1952
	;; [unrolled: 1-line block ×6, first 2 shown]
	s_waitcnt vmcnt(0) lgkmcnt(5)
	v_mul_f64 v[180:181], v[144:145], v[94:95]
	v_fmac_f64_e32 v[180:181], v[146:147], v[92:93]
	v_add_f64 v[0:1], v[0:1], v[180:181]
	scratch_load_dwordx4 v[180:183], off, off offset:944
	ds_read_b128 v[224:227], v2 offset:2032
	v_mul_f64 v[10:11], v[10:11], v[70:71]
	v_fma_f64 v[8:9], v[8:9], v[68:69], -v[10:11]
	v_mul_f64 v[10:11], v[162:163], v[78:79]
	v_fma_f64 v[10:11], v[160:161], v[76:77], -v[10:11]
	;; [unrolled: 2-line block ×4, first 2 shown]
	s_waitcnt vmcnt(0) lgkmcnt(5)
	v_mul_f64 v[188:189], v[184:185], v[182:183]
	v_fmac_f64_e32 v[188:189], v[186:187], v[180:181]
	v_add_f64 v[0:1], v[0:1], v[188:189]
	scratch_load_dwordx4 v[188:191], off, off offset:960
	s_waitcnt vmcnt(0) lgkmcnt(4)
	v_mul_f64 v[196:197], v[192:193], v[190:191]
	v_fmac_f64_e32 v[196:197], v[194:195], v[188:189]
	v_add_f64 v[0:1], v[0:1], v[196:197]
	scratch_load_dwordx4 v[196:199], off, off offset:976
	;; [unrolled: 5-line block ×5, first 2 shown]
	s_waitcnt vmcnt(0) lgkmcnt(0)
	v_mul_f64 v[234:235], v[224:225], v[222:223]
	v_fmac_f64_e32 v[234:235], v[226:227], v[220:221]
	v_add_f64 v[0:1], v[0:1], v[234:235]
	v_add_f64 v[234:235], v[240:241], 0
	v_add_f64 v[234:235], v[234:235], v[246:247]
	v_add_f64 v[234:235], v[234:235], v[252:253]
	v_add_f64 v[88:89], v[234:235], v[88:89]
	v_add_f64 v[32:33], v[88:89], v[32:33]
	v_add_f64 v[28:29], v[32:33], v[28:29]
	v_add_f64 v[24:25], v[28:29], v[24:25]
	v_add_f64 v[24:25], v[24:25], v[156:157]
	v_add_f64 v[24:25], v[24:25], v[158:159]
	v_add_f64 v[24:25], v[24:25], v[168:169]
	v_add_f64 v[24:25], v[24:25], v[170:171]
	v_add_f64 v[24:25], v[24:25], v[172:173]
	v_add_f64 v[24:25], v[24:25], v[174:175]
	v_add_f64 v[24:25], v[24:25], v[176:177]
	v_add_f64 v[24:25], v[24:25], v[178:179]
	v_add_f64 v[22:23], v[24:25], v[22:23]
	v_add_f64 v[22:23], v[22:23], v[26:27]
	v_add_f64 v[20:21], v[22:23], v[20:21]
	v_add_f64 v[20:21], v[20:21], v[30:31]
	v_add_f64 v[18:19], v[20:21], v[18:19]
	v_add_f64 v[18:19], v[18:19], v[90:91]
	v_add_f64 v[16:17], v[18:19], v[16:17]
	v_add_f64 v[16:17], v[16:17], v[38:39]
	v_add_f64 v[16:17], v[16:17], v[228:229]
	v_add_f64 v[16:17], v[16:17], v[230:231]
	scratch_load_dwordx4 v[228:231], off, off offset:80
	v_add_f64 v[16:17], v[16:17], v[232:233]
	v_add_f64 v[250:251], v[16:17], v[250:251]
	v_accvgpr_read_b32 v16, a166
	v_accvgpr_read_b32 v17, a167
	;; [unrolled: 1-line block ×3, first 2 shown]
	v_add_f64 v[16:17], v[250:251], v[16:17]
	v_accvgpr_read_b32 v22, a132
	v_accvgpr_read_b32 v23, a133
	v_add_f64 v[16:17], v[16:17], v[236:237]
	v_accvgpr_read_b32 v21, a131
	v_mul_f64 v[18:19], v[36:37], v[22:23]
	v_add_f64 v[16:17], v[16:17], v[238:239]
	v_fma_f64 v[18:19], v[34:35], v[20:21], -v[18:19]
	v_accvgpr_read_b32 v20, a134
	v_add_f64 v[16:17], v[16:17], v[248:249]
	v_accvgpr_read_b32 v22, a136
	v_accvgpr_read_b32 v23, a137
	v_add_f64 v[16:17], v[16:17], v[18:19]
	v_accvgpr_read_b32 v21, a135
	v_mul_f64 v[18:19], v[98:99], v[22:23]
	v_fma_f64 v[18:19], v[96:97], v[20:21], -v[18:19]
	v_accvgpr_read_b32 v20, a138
	v_accvgpr_read_b32 v22, a140
	v_accvgpr_read_b32 v23, a141
	v_add_f64 v[16:17], v[16:17], v[18:19]
	v_accvgpr_read_b32 v21, a139
	v_mul_f64 v[18:19], v[102:103], v[22:23]
	v_fma_f64 v[18:19], v[100:101], v[20:21], -v[18:19]
	v_accvgpr_read_b32 v20, a142
	;; [unrolled: 7-line block ×7, first 2 shown]
	v_accvgpr_read_b32 v22, a164
	v_accvgpr_read_b32 v23, a165
	v_add_f64 v[16:17], v[16:17], v[18:19]
	v_accvgpr_read_b32 v21, a163
	v_mul_f64 v[18:19], v[126:127], v[22:23]
	v_fma_f64 v[18:19], v[124:125], v[20:21], -v[18:19]
	v_add_f64 v[16:17], v[16:17], v[18:19]
	v_mul_f64 v[18:19], v[130:131], v[42:43]
	v_fma_f64 v[18:19], v[128:129], v[40:41], -v[18:19]
	v_add_f64 v[16:17], v[16:17], v[18:19]
	;; [unrolled: 3-line block ×8, first 2 shown]
	v_add_f64 v[8:9], v[16:17], v[8:9]
	v_add_f64 v[8:9], v[8:9], v[10:11]
	v_mul_f64 v[10:11], v[166:167], v[74:75]
	v_fma_f64 v[10:11], v[164:165], v[72:73], -v[10:11]
	v_add_f64 v[8:9], v[8:9], v[10:11]
	v_add_f64 v[4:5], v[8:9], v[4:5]
	;; [unrolled: 1-line block ×3, first 2 shown]
	v_mul_f64 v[6:7], v[146:147], v[94:95]
	v_fma_f64 v[6:7], v[144:145], v[92:93], -v[6:7]
	v_add_f64 v[4:5], v[4:5], v[6:7]
	v_mul_f64 v[6:7], v[186:187], v[182:183]
	v_fma_f64 v[6:7], v[184:185], v[180:181], -v[6:7]
	v_add_f64 v[4:5], v[4:5], v[6:7]
	;; [unrolled: 3-line block ×7, first 2 shown]
	s_waitcnt vmcnt(0)
	v_add_f64 v[4:5], v[228:229], -v[4:5]
	v_add_f64 v[6:7], v[230:231], -v[0:1]
	scratch_store_dwordx4 off, v[4:7], off offset:80
	s_and_saveexec_b64 s[0:1], vcc
	s_cbranch_execz .LBB127_403
; %bb.402:
	scratch_load_dwordx4 v[6:9], off, s87
	v_mov_b32_e32 v3, v2
	v_mov_b32_e32 v4, v2
	;; [unrolled: 1-line block ×3, first 2 shown]
	v_accvgpr_read_b32 v0, a128
	scratch_store_dwordx4 off, v[2:5], off offset:64
	s_waitcnt vmcnt(1)
	ds_write_b128 v0, v[6:9]
.LBB127_403:
	s_or_b64 exec, exec, s[0:1]
	s_waitcnt lgkmcnt(0)
	; wave barrier
	scratch_load_dwordx4 v[4:7], off, off offset:80
	scratch_load_dwordx4 v[36:39], off, off offset:96
	;; [unrolled: 1-line block ×17, first 2 shown]
	ds_read_b128 v[172:175], v2 offset:1088
	ds_read_b128 v[108:111], v2 offset:1104
	scratch_load_dwordx4 v[84:87], off, off offset:352
	ds_read_b128 v[176:179], v2 offset:1120
	ds_read_b128 v[164:167], v2 offset:1136
	;; [unrolled: 1-line block ×5, first 2 shown]
	scratch_load_dwordx4 v[92:95], off, off offset:368
	ds_read_b128 v[148:151], v2 offset:1200
	ds_read_b128 v[112:115], v2 offset:1216
	scratch_load_dwordx4 v[116:119], off, off offset:384
	ds_read_b128 v[180:183], v2 offset:1232
	ds_read_b128 v[168:171], v2 offset:1248
	;; [unrolled: 1-line block ×5, first 2 shown]
	scratch_load_dwordx4 v[120:123], off, off offset:400
	ds_read_b128 v[156:159], v2 offset:1312
	ds_read_b128 v[140:143], v2 offset:1328
	;; [unrolled: 1-line block ×3, first 2 shown]
	scratch_load_dwordx4 v[124:127], off, off offset:416
	scratch_load_dwordx4 v[128:131], off, off offset:432
	;; [unrolled: 1-line block ×12, first 2 shown]
	ds_read_b128 v[204:207], v2 offset:1360
	ds_read_b128 v[232:235], v2 offset:1456
	;; [unrolled: 1-line block ×3, first 2 shown]
	scratch_load_dwordx4 a[146:149], off, off offset:688
	scratch_load_dwordx4 a[150:153], off, off offset:720
	;; [unrolled: 1-line block ×3, first 2 shown]
	v_cmp_lt_u32_e32 vcc, 2, v254
	ds_read_b128 v[248:251], v2 offset:1552
	scratch_load_dwordx4 a[130:133], off, off offset:608
	ds_read_b128 v[228:231], v2 offset:1440
	s_waitcnt vmcnt(36) lgkmcnt(14)
	v_mul_f64 v[0:1], v[172:173], v[6:7]
	s_waitcnt vmcnt(35)
	v_mul_f64 v[24:25], v[108:109], v[38:39]
	v_fmac_f64_e32 v[0:1], v[174:175], v[4:5]
	s_waitcnt vmcnt(34)
	v_mul_f64 v[26:27], v[176:177], v[14:15]
	v_fmac_f64_e32 v[24:25], v[110:111], v[36:37]
	v_add_f64 v[0:1], v[0:1], 0
	s_waitcnt vmcnt(33)
	v_mul_f64 v[28:29], v[164:165], v[18:19]
	v_fmac_f64_e32 v[26:27], v[178:179], v[12:13]
	v_add_f64 v[0:1], v[0:1], v[24:25]
	;; [unrolled: 4-line block ×6, first 2 shown]
	s_waitcnt vmcnt(28) lgkmcnt(13)
	v_mul_f64 v[210:211], v[112:113], v[50:51]
	v_fmac_f64_e32 v[208:209], v[150:151], v[42:43]
	v_add_f64 v[0:1], v[0:1], v[34:35]
	s_waitcnt vmcnt(27) lgkmcnt(12)
	v_mul_f64 v[212:213], v[180:181], v[54:55]
	v_fmac_f64_e32 v[210:211], v[114:115], v[48:49]
	v_add_f64 v[0:1], v[0:1], v[208:209]
	;; [unrolled: 4-line block ×5, first 2 shown]
	v_fmac_f64_e32 v[218:219], v[138:139], v[64:65]
	v_add_f64 v[0:1], v[0:1], v[216:217]
	v_add_f64 v[0:1], v[0:1], v[218:219]
	scratch_load_dwordx4 v[216:219], off, off offset:560
	scratch_load_dwordx4 v[28:31], off, off offset:576
	;; [unrolled: 1-line block ×3, first 2 shown]
	v_mul_f64 v[6:7], v[174:175], v[6:7]
	v_fma_f64 v[240:241], v[172:173], v[4:5], -v[6:7]
	v_mul_f64 v[6:7], v[110:111], v[38:39]
	v_fma_f64 v[246:247], v[108:109], v[36:37], -v[6:7]
	;; [unrolled: 2-line block ×3, first 2 shown]
	scratch_load_dwordx4 v[12:15], off, off offset:640
	s_waitcnt vmcnt(27) lgkmcnt(8)
	v_mul_f64 v[220:221], v[104:105], v[70:71]
	s_waitcnt vmcnt(26) lgkmcnt(7)
	v_mul_f64 v[222:223], v[156:157], v[74:75]
	v_fmac_f64_e32 v[220:221], v[106:107], v[68:69]
	s_waitcnt vmcnt(25) lgkmcnt(6)
	v_mul_f64 v[224:225], v[140:141], v[78:79]
	v_fmac_f64_e32 v[222:223], v[158:159], v[72:73]
	v_add_f64 v[0:1], v[0:1], v[220:221]
	ds_read_b128 v[208:211], v2 offset:1376
	v_fmac_f64_e32 v[224:225], v[142:143], v[76:77]
	v_add_f64 v[0:1], v[0:1], v[222:223]
	s_waitcnt vmcnt(24) lgkmcnt(6)
	v_mul_f64 v[24:25], v[132:133], v[82:83]
	v_add_f64 v[0:1], v[0:1], v[224:225]
	v_fmac_f64_e32 v[24:25], v[134:135], v[80:81]
	ds_read_b128 v[212:215], v2 offset:1392
	ds_read_b128 v[220:223], v2 offset:1408
	v_add_f64 v[0:1], v[0:1], v[24:25]
	s_waitcnt vmcnt(23) lgkmcnt(7)
	v_mul_f64 v[24:25], v[204:205], v[86:87]
	v_fmac_f64_e32 v[24:25], v[206:207], v[84:85]
	v_add_f64 v[0:1], v[0:1], v[24:25]
	s_waitcnt vmcnt(22) lgkmcnt(2)
	v_mul_f64 v[24:25], v[208:209], v[94:95]
	v_fmac_f64_e32 v[24:25], v[210:211], v[92:93]
	ds_read_b128 v[224:227], v2 offset:1424
	v_add_f64 v[0:1], v[0:1], v[24:25]
	s_waitcnt vmcnt(21) lgkmcnt(2)
	v_mul_f64 v[24:25], v[212:213], v[118:119]
	v_fmac_f64_e32 v[24:25], v[214:215], v[116:117]
	v_add_f64 v[0:1], v[0:1], v[24:25]
	s_waitcnt vmcnt(20) lgkmcnt(1)
	v_mul_f64 v[24:25], v[220:221], v[122:123]
	v_fmac_f64_e32 v[24:25], v[222:223], v[120:121]
	;; [unrolled: 4-line block ×3, first 2 shown]
	v_add_f64 v[0:1], v[0:1], v[24:25]
	s_waitcnt vmcnt(18)
	v_mul_f64 v[24:25], v[228:229], v[130:131]
	ds_read_b128 v[172:175], v2 offset:1488
	ds_read_b128 v[176:179], v2 offset:1504
	v_fmac_f64_e32 v[24:25], v[230:231], v[128:129]
	s_waitcnt vmcnt(17)
	v_mul_f64 v[4:5], v[232:233], v[146:147]
	v_add_f64 v[0:1], v[0:1], v[24:25]
	v_fmac_f64_e32 v[4:5], v[234:235], v[144:145]
	v_add_f64 v[0:1], v[0:1], v[4:5]
	s_waitcnt vmcnt(16)
	v_mul_f64 v[4:5], v[236:237], v[162:163]
	v_mul_f64 v[6:7], v[166:167], v[18:19]
	v_fmac_f64_e32 v[4:5], v[238:239], v[160:161]
	v_fma_f64 v[46:47], v[164:165], v[16:17], -v[6:7]
	ds_read_b128 v[164:167], v2 offset:1520
	v_add_f64 v[0:1], v[0:1], v[4:5]
	s_waitcnt vmcnt(15) lgkmcnt(2)
	v_mul_f64 v[4:5], v[172:173], v[186:187]
	v_fmac_f64_e32 v[4:5], v[174:175], v[184:185]
	v_add_f64 v[0:1], v[0:1], v[4:5]
	s_waitcnt vmcnt(14) lgkmcnt(1)
	v_mul_f64 v[4:5], v[176:177], v[190:191]
	v_fmac_f64_e32 v[4:5], v[178:179], v[188:189]
	;; [unrolled: 4-line block ×3, first 2 shown]
	v_add_f64 v[0:1], v[0:1], v[4:5]
	v_mul_f64 v[4:5], v[102:103], v[244:245]
	v_fma_f64 v[40:41], v[100:101], v[242:243], -v[4:5]
	ds_read_b128 v[242:245], v2 offset:1536
	v_mul_f64 v[6:7], v[150:151], v[44:45]
	v_mul_f64 v[4:5], v[98:99], v[22:23]
	v_fma_f64 v[24:25], v[148:149], v[42:43], -v[6:7]
	scratch_load_dwordx4 v[148:151], off, off offset:704
	v_fma_f64 v[36:37], v[96:97], v[20:21], -v[4:5]
	v_mul_f64 v[4:5], v[90:91], v[10:11]
	v_fma_f64 v[26:27], v[88:89], v[8:9], -v[4:5]
	ds_read_b128 v[88:91], v2 offset:1584
	s_waitcnt vmcnt(13) lgkmcnt(1)
	v_mul_f64 v[4:5], v[242:243], v[198:199]
	v_fmac_f64_e32 v[4:5], v[244:245], v[196:197]
	v_add_f64 v[0:1], v[0:1], v[4:5]
	s_waitcnt vmcnt(12)
	v_mul_f64 v[4:5], v[248:249], v[202:203]
	v_fmac_f64_e32 v[4:5], v[250:251], v[200:201]
	v_add_f64 v[0:1], v[0:1], v[4:5]
	ds_read_b128 v[4:7], v2 offset:1568
	ds_read_b128 v[96:99], v2 offset:1600
	v_mul_f64 v[18:19], v[114:115], v[50:51]
	v_fma_f64 v[22:23], v[112:113], v[48:49], -v[18:19]
	s_waitcnt vmcnt(3)
	v_mov_b64_e32 v[8:9], v[28:29]
	s_waitcnt lgkmcnt(1)
	v_mul_f64 v[48:49], v[4:5], v[218:219]
	v_fmac_f64_e32 v[48:49], v[6:7], v[216:217]
	v_add_f64 v[0:1], v[0:1], v[48:49]
	v_mul_f64 v[48:49], v[170:171], v[58:59]
	v_mul_f64 v[44:45], v[182:183], v[54:55]
	v_fma_f64 v[182:183], v[168:169], v[56:57], -v[48:49]
	scratch_load_dwordx4 v[48:51], off, off offset:752
	v_mov_b64_e32 v[10:11], v[30:31]
	v_fma_f64 v[180:181], v[180:181], v[52:53], -v[44:45]
	v_mul_f64 v[52:53], v[88:89], v[10:11]
	v_fmac_f64_e32 v[52:53], v[90:91], v[8:9]
	v_add_f64 v[0:1], v[0:1], v[52:53]
	v_mul_f64 v[52:53], v[154:155], v[62:63]
	v_fma_f64 v[168:169], v[152:153], v[60:61], -v[52:53]
	scratch_load_dwordx4 v[52:55], off, off offset:768
	v_mul_f64 v[56:57], v[138:139], v[66:67]
	ds_read_b128 v[100:103], v2 offset:1616
	s_waitcnt vmcnt(4)
	v_mov_b64_e32 v[8:9], v[32:33]
	v_fma_f64 v[170:171], v[136:137], v[64:65], -v[56:57]
	scratch_load_dwordx4 v[56:59], off, off offset:784
	v_mov_b64_e32 v[10:11], v[34:35]
	s_waitcnt lgkmcnt(1)
	v_mul_f64 v[34:35], v[96:97], v[10:11]
	v_accvgpr_write_b32 a165, v11
	v_fmac_f64_e32 v[34:35], v[98:99], v[8:9]
	v_accvgpr_write_b32 a164, v10
	v_accvgpr_write_b32 a163, v9
	;; [unrolled: 1-line block ×3, first 2 shown]
	v_accvgpr_read_b32 v8, a130
	v_mul_f64 v[60:61], v[106:107], v[70:71]
	v_accvgpr_read_b32 v10, a132
	v_accvgpr_read_b32 v11, a133
	v_fma_f64 v[20:21], v[104:105], v[68:69], -v[60:61]
	v_accvgpr_read_b32 v9, a131
	s_waitcnt lgkmcnt(0)
	v_mul_f64 v[68:69], v[100:101], v[10:11]
	v_add_f64 v[0:1], v[0:1], v[34:35]
	v_fmac_f64_e32 v[68:69], v[102:103], v[8:9]
	scratch_load_dwordx4 v[60:63], off, off offset:800
	v_add_f64 v[0:1], v[0:1], v[68:69]
	v_mul_f64 v[68:69], v[142:143], v[78:79]
	scratch_load_dwordx4 v[64:67], off, off offset:816
	v_fma_f64 v[18:19], v[140:141], v[76:77], -v[68:69]
	scratch_load_dwordx4 v[68:71], off, off offset:832
	ds_read_b128 v[108:111], v2 offset:1632
	ds_read_b128 v[104:107], v2 offset:1648
	v_accvgpr_read_b32 v8, a134
	v_accvgpr_write_b32 a161, v31
	v_accvgpr_read_b32 v10, a136
	v_accvgpr_read_b32 v11, a137
	v_accvgpr_write_b32 a160, v30
	v_accvgpr_write_b32 a159, v29
	;; [unrolled: 1-line block ×3, first 2 shown]
	scratch_load_dwordx4 v[76:79], off, off offset:848
	v_accvgpr_read_b32 v9, a135
	s_waitcnt lgkmcnt(1)
	v_mul_f64 v[30:31], v[108:109], v[10:11]
	v_mul_f64 v[34:35], v[158:159], v[74:75]
	v_fmac_f64_e32 v[30:31], v[110:111], v[8:9]
	s_waitcnt vmcnt(8)
	v_mov_b64_e32 v[8:9], v[12:13]
	ds_read_b128 v[112:115], v2 offset:1664
	v_fma_f64 v[34:35], v[156:157], v[72:73], -v[34:35]
	v_mul_f64 v[72:73], v[206:207], v[86:87]
	v_mov_b64_e32 v[10:11], v[14:15]
	v_mul_f64 v[32:33], v[134:135], v[82:83]
	v_fma_f64 v[16:17], v[204:205], v[84:85], -v[72:73]
	scratch_load_dwordx4 v[72:75], off, off offset:864
	v_add_f64 v[0:1], v[0:1], v[30:31]
	s_waitcnt lgkmcnt(1)
	v_mul_f64 v[30:31], v[104:105], v[10:11]
	v_fma_f64 v[32:33], v[132:133], v[80:81], -v[32:33]
	v_fmac_f64_e32 v[30:31], v[106:107], v[8:9]
	v_accvgpr_write_b32 a169, v15
	v_mul_f64 v[80:81], v[214:215], v[118:119]
	v_accvgpr_read_b32 v8, a138
	v_accvgpr_write_b32 a168, v14
	v_accvgpr_write_b32 a167, v13
	;; [unrolled: 1-line block ×3, first 2 shown]
	v_add_f64 v[0:1], v[0:1], v[30:31]
	v_mul_f64 v[30:31], v[210:211], v[94:95]
	v_fma_f64 v[14:15], v[212:213], v[116:117], -v[80:81]
	scratch_load_dwordx4 v[80:83], off, off offset:880
	scratch_load_dwordx4 v[84:87], off, off offset:896
	v_accvgpr_read_b32 v10, a140
	v_accvgpr_read_b32 v11, a141
	v_fma_f64 v[30:31], v[208:209], v[92:93], -v[30:31]
	ds_read_b128 v[116:119], v2 offset:1680
	v_accvgpr_read_b32 v9, a139
	s_waitcnt lgkmcnt(1)
	v_mul_f64 v[92:93], v[112:113], v[10:11]
	v_fmac_f64_e32 v[92:93], v[114:115], v[8:9]
	v_add_f64 v[0:1], v[0:1], v[92:93]
	v_mul_f64 v[92:93], v[226:227], v[126:127]
	v_fma_f64 v[12:13], v[224:225], v[124:125], -v[92:93]
	scratch_load_dwordx4 v[92:95], off, off offset:912
	v_mul_f64 v[28:29], v[222:223], v[122:123]
	v_fma_f64 v[28:29], v[220:221], v[120:121], -v[28:29]
	ds_read_b128 v[120:123], v2 offset:1696
	ds_read_b128 v[124:127], v2 offset:1712
	v_accvgpr_read_b32 v8, a142
	v_accvgpr_read_b32 v10, a144
	;; [unrolled: 1-line block ×4, first 2 shown]
	s_waitcnt lgkmcnt(2)
	v_mul_f64 v[38:39], v[116:117], v[10:11]
	v_fmac_f64_e32 v[38:39], v[118:119], v[8:9]
	v_accvgpr_read_b32 v8, a146
	v_add_f64 v[0:1], v[0:1], v[38:39]
	v_mul_f64 v[38:39], v[230:231], v[130:131]
	v_accvgpr_read_b32 v10, a148
	v_accvgpr_read_b32 v11, a149
	v_fma_f64 v[38:39], v[228:229], v[128:129], -v[38:39]
	v_accvgpr_read_b32 v9, a147
	s_waitcnt lgkmcnt(1)
	v_mul_f64 v[128:129], v[120:121], v[10:11]
	v_fmac_f64_e32 v[128:129], v[122:123], v[8:9]
	v_add_f64 v[0:1], v[0:1], v[128:129]
	v_mul_f64 v[128:129], v[234:235], v[146:147]
	v_fma_f64 v[10:11], v[232:233], v[144:145], -v[128:129]
	ds_read_b128 v[128:131], v2 offset:1728
	s_waitcnt vmcnt(11)
	v_mov_b64_e32 v[132:133], v[148:149]
	v_mov_b64_e32 v[134:135], v[150:151]
	s_waitcnt lgkmcnt(1)
	v_mul_f64 v[42:43], v[124:125], v[134:135]
	v_fmac_f64_e32 v[42:43], v[126:127], v[132:133]
	ds_read_b128 v[132:135], v2 offset:1744
	v_accvgpr_read_b32 v136, a150
	v_accvgpr_read_b32 v138, a152
	;; [unrolled: 1-line block ×3, first 2 shown]
	v_add_f64 v[0:1], v[0:1], v[42:43]
	v_accvgpr_read_b32 v137, a151
	s_waitcnt lgkmcnt(1)
	v_mul_f64 v[42:43], v[128:129], v[138:139]
	v_fmac_f64_e32 v[42:43], v[130:131], v[136:137]
	v_accvgpr_read_b32 v136, a154
	v_accvgpr_read_b32 v138, a156
	;; [unrolled: 1-line block ×4, first 2 shown]
	s_waitcnt lgkmcnt(0)
	v_mul_f64 v[140:141], v[132:133], v[138:139]
	v_fmac_f64_e32 v[140:141], v[134:135], v[136:137]
	ds_read_b128 v[136:139], v2 offset:1760
	v_add_f64 v[0:1], v[0:1], v[42:43]
	v_mul_f64 v[42:43], v[238:239], v[162:163]
	v_add_f64 v[0:1], v[0:1], v[140:141]
	v_mul_f64 v[140:141], v[174:175], v[186:187]
	v_fma_f64 v[42:43], v[236:237], v[160:161], -v[42:43]
	v_fma_f64 v[236:237], v[172:173], v[184:185], -v[140:141]
	ds_read_b128 v[140:143], v2 offset:1776
	s_waitcnt vmcnt(10) lgkmcnt(1)
	v_mul_f64 v[144:145], v[136:137], v[50:51]
	v_fmac_f64_e32 v[144:145], v[138:139], v[48:49]
	v_add_f64 v[0:1], v[0:1], v[144:145]
	ds_read_b128 v[144:147], v2 offset:1792
	v_accvgpr_write_b32 a173, v151
	v_accvgpr_write_b32 a172, v150
	v_accvgpr_write_b32 a171, v149
	v_accvgpr_write_b32 a170, v148
	s_waitcnt vmcnt(9) lgkmcnt(1)
	v_mul_f64 v[148:149], v[140:141], v[54:55]
	v_fmac_f64_e32 v[148:149], v[142:143], v[52:53]
	v_add_f64 v[0:1], v[0:1], v[148:149]
	v_mul_f64 v[148:149], v[178:179], v[190:191]
	v_fma_f64 v[238:239], v[176:177], v[188:189], -v[148:149]
	ds_read_b128 v[148:151], v2 offset:1808
	s_waitcnt vmcnt(8) lgkmcnt(1)
	v_mul_f64 v[152:153], v[144:145], v[58:59]
	v_fmac_f64_e32 v[152:153], v[146:147], v[56:57]
	v_add_f64 v[0:1], v[0:1], v[152:153]
	v_mul_f64 v[152:153], v[166:167], v[194:195]
	v_fma_f64 v[8:9], v[164:165], v[192:193], -v[152:153]
	ds_read_b128 v[152:155], v2 offset:1824
	ds_read_b128 v[156:159], v2 offset:1840
	s_waitcnt vmcnt(7) lgkmcnt(2)
	v_mul_f64 v[44:45], v[148:149], v[62:63]
	ds_read_b128 v[160:163], v2 offset:1856
	v_fmac_f64_e32 v[44:45], v[150:151], v[60:61]
	v_add_f64 v[0:1], v[0:1], v[44:45]
	s_waitcnt vmcnt(6) lgkmcnt(2)
	v_mul_f64 v[44:45], v[152:153], v[66:67]
	v_mul_f64 v[164:165], v[250:251], v[202:203]
	v_fmac_f64_e32 v[44:45], v[154:155], v[64:65]
	s_waitcnt vmcnt(5) lgkmcnt(1)
	v_mul_f64 v[172:173], v[156:157], v[70:71]
	v_fma_f64 v[248:249], v[248:249], v[200:201], -v[164:165]
	ds_read_b128 v[164:167], v2 offset:1872
	v_add_f64 v[0:1], v[0:1], v[44:45]
	v_mul_f64 v[44:45], v[244:245], v[198:199]
	v_fmac_f64_e32 v[172:173], v[158:159], v[68:69]
	v_fma_f64 v[44:45], v[242:243], v[196:197], -v[44:45]
	v_add_f64 v[0:1], v[0:1], v[172:173]
	s_waitcnt vmcnt(4) lgkmcnt(1)
	v_mul_f64 v[172:173], v[160:161], v[78:79]
	ds_read_b128 v[242:245], v2 offset:1888
	v_fmac_f64_e32 v[172:173], v[162:163], v[76:77]
	v_add_f64 v[0:1], v[0:1], v[172:173]
	v_mul_f64 v[6:7], v[6:7], v[218:219]
	ds_read_b128 v[172:175], v2 offset:1904
	v_fma_f64 v[250:251], v[4:5], v[216:217], -v[6:7]
	s_waitcnt vmcnt(3) lgkmcnt(2)
	v_mul_f64 v[4:5], v[164:165], v[74:75]
	v_fmac_f64_e32 v[4:5], v[166:167], v[72:73]
	ds_read_b128 v[176:179], v2 offset:1920
	ds_read_b128 v[184:187], v2 offset:1936
	v_add_f64 v[0:1], v[0:1], v[4:5]
	s_waitcnt vmcnt(2) lgkmcnt(3)
	v_mul_f64 v[4:5], v[242:243], v[82:83]
	v_fmac_f64_e32 v[4:5], v[244:245], v[80:81]
	v_add_f64 v[0:1], v[0:1], v[4:5]
	s_waitcnt vmcnt(1) lgkmcnt(2)
	v_mul_f64 v[4:5], v[172:173], v[86:87]
	v_fmac_f64_e32 v[4:5], v[174:175], v[84:85]
	v_add_f64 v[0:1], v[0:1], v[4:5]
	scratch_load_dwordx4 v[232:235], off, off offset:1024
	s_waitcnt vmcnt(1) lgkmcnt(1)
	v_mul_f64 v[4:5], v[176:177], v[94:95]
	v_fmac_f64_e32 v[4:5], v[178:179], v[92:93]
	v_add_f64 v[0:1], v[0:1], v[4:5]
	scratch_load_dwordx4 v[4:7], off, off offset:928
	ds_read_b128 v[192:195], v2 offset:1952
	ds_read_b128 v[200:203], v2 offset:1968
	;; [unrolled: 1-line block ×5, first 2 shown]
	s_waitcnt vmcnt(0) lgkmcnt(5)
	v_mul_f64 v[188:189], v[184:185], v[6:7]
	v_fmac_f64_e32 v[188:189], v[186:187], v[4:5]
	v_add_f64 v[0:1], v[0:1], v[188:189]
	scratch_load_dwordx4 v[188:191], off, off offset:944
	v_mul_f64 v[6:7], v[186:187], v[6:7]
	v_fma_f64 v[4:5], v[184:185], v[4:5], -v[6:7]
	s_waitcnt vmcnt(0) lgkmcnt(4)
	v_mul_f64 v[196:197], v[192:193], v[190:191]
	v_fmac_f64_e32 v[196:197], v[194:195], v[188:189]
	v_add_f64 v[0:1], v[0:1], v[196:197]
	scratch_load_dwordx4 v[196:199], off, off offset:960
	s_waitcnt vmcnt(0) lgkmcnt(3)
	v_mul_f64 v[204:205], v[200:201], v[198:199]
	v_fmac_f64_e32 v[204:205], v[202:203], v[196:197]
	v_add_f64 v[0:1], v[0:1], v[204:205]
	scratch_load_dwordx4 v[204:207], off, off offset:976
	;; [unrolled: 5-line block ×4, first 2 shown]
	s_waitcnt vmcnt(0) lgkmcnt(0)
	v_mul_f64 v[228:229], v[224:225], v[222:223]
	v_fmac_f64_e32 v[228:229], v[226:227], v[220:221]
	v_add_f64 v[0:1], v[0:1], v[228:229]
	ds_read_b128 v[228:231], v2 offset:2032
	s_waitcnt lgkmcnt(0)
	v_mul_f64 v[2:3], v[228:229], v[234:235]
	v_fmac_f64_e32 v[2:3], v[230:231], v[232:233]
	v_add_f64 v[2:3], v[0:1], v[2:3]
	v_add_f64 v[0:1], v[240:241], 0
	;; [unrolled: 1-line block ×28, first 2 shown]
	scratch_load_dwordx4 v[236:239], off, off offset:64
	v_accvgpr_read_b32 v10, a158
	v_add_f64 v[0:1], v[0:1], v[8:9]
	v_accvgpr_read_b32 v12, a160
	v_accvgpr_read_b32 v13, a161
	v_add_f64 v[252:253], v[0:1], v[44:45]
	v_accvgpr_read_b32 v11, a159
	v_mul_f64 v[8:9], v[90:91], v[12:13]
	v_add_f64 v[0:1], v[252:253], v[248:249]
	v_fma_f64 v[8:9], v[88:89], v[10:11], -v[8:9]
	v_accvgpr_read_b32 v10, a162
	v_add_f64 v[0:1], v[0:1], v[250:251]
	v_accvgpr_read_b32 v12, a164
	v_accvgpr_read_b32 v13, a165
	v_add_f64 v[0:1], v[0:1], v[8:9]
	v_accvgpr_read_b32 v11, a163
	v_mul_f64 v[8:9], v[98:99], v[12:13]
	v_fma_f64 v[8:9], v[96:97], v[10:11], -v[8:9]
	v_accvgpr_read_b32 v10, a130
	v_accvgpr_read_b32 v12, a132
	v_accvgpr_read_b32 v13, a133
	v_add_f64 v[0:1], v[0:1], v[8:9]
	v_accvgpr_read_b32 v11, a131
	v_mul_f64 v[8:9], v[102:103], v[12:13]
	v_fma_f64 v[8:9], v[100:101], v[10:11], -v[8:9]
	v_accvgpr_read_b32 v10, a134
	;; [unrolled: 7-line block ×9, first 2 shown]
	v_accvgpr_read_b32 v12, a156
	v_accvgpr_read_b32 v13, a157
	v_add_f64 v[0:1], v[0:1], v[8:9]
	v_accvgpr_read_b32 v11, a155
	v_mul_f64 v[8:9], v[134:135], v[12:13]
	v_fma_f64 v[8:9], v[132:133], v[10:11], -v[8:9]
	v_add_f64 v[0:1], v[0:1], v[8:9]
	v_mul_f64 v[8:9], v[138:139], v[50:51]
	v_fma_f64 v[8:9], v[136:137], v[48:49], -v[8:9]
	v_add_f64 v[0:1], v[0:1], v[8:9]
	v_mul_f64 v[8:9], v[142:143], v[54:55]
	v_fma_f64 v[8:9], v[140:141], v[52:53], -v[8:9]
	v_add_f64 v[0:1], v[0:1], v[8:9]
	v_mul_f64 v[8:9], v[146:147], v[58:59]
	v_fma_f64 v[8:9], v[144:145], v[56:57], -v[8:9]
	v_add_f64 v[0:1], v[0:1], v[8:9]
	v_mul_f64 v[8:9], v[150:151], v[62:63]
	v_fma_f64 v[8:9], v[148:149], v[60:61], -v[8:9]
	v_add_f64 v[0:1], v[0:1], v[8:9]
	v_mul_f64 v[8:9], v[154:155], v[66:67]
	v_fma_f64 v[8:9], v[152:153], v[64:65], -v[8:9]
	v_add_f64 v[0:1], v[0:1], v[8:9]
	v_mul_f64 v[8:9], v[158:159], v[70:71]
	v_fma_f64 v[8:9], v[156:157], v[68:69], -v[8:9]
	v_add_f64 v[0:1], v[0:1], v[8:9]
	v_mul_f64 v[8:9], v[162:163], v[78:79]
	v_fma_f64 v[8:9], v[160:161], v[76:77], -v[8:9]
	v_add_f64 v[0:1], v[0:1], v[8:9]
	v_mul_f64 v[8:9], v[166:167], v[74:75]
	v_fma_f64 v[8:9], v[164:165], v[72:73], -v[8:9]
	v_add_f64 v[0:1], v[0:1], v[8:9]
	v_mul_f64 v[8:9], v[244:245], v[82:83]
	v_fma_f64 v[8:9], v[242:243], v[80:81], -v[8:9]
	v_add_f64 v[0:1], v[0:1], v[8:9]
	v_mul_f64 v[8:9], v[174:175], v[86:87]
	v_fma_f64 v[8:9], v[172:173], v[84:85], -v[8:9]
	v_add_f64 v[0:1], v[0:1], v[8:9]
	v_mul_f64 v[8:9], v[178:179], v[94:95]
	v_fma_f64 v[8:9], v[176:177], v[92:93], -v[8:9]
	v_add_f64 v[0:1], v[0:1], v[8:9]
	v_add_f64 v[0:1], v[0:1], v[4:5]
	v_mul_f64 v[4:5], v[194:195], v[190:191]
	v_fma_f64 v[4:5], v[192:193], v[188:189], -v[4:5]
	v_add_f64 v[0:1], v[0:1], v[4:5]
	v_mul_f64 v[4:5], v[202:203], v[198:199]
	v_fma_f64 v[4:5], v[200:201], v[196:197], -v[4:5]
	;; [unrolled: 3-line block ×6, first 2 shown]
	v_add_f64 v[0:1], v[0:1], v[4:5]
	s_waitcnt vmcnt(0)
	v_add_f64 v[4:5], v[236:237], -v[0:1]
	v_add_f64 v[6:7], v[238:239], -v[2:3]
	scratch_store_dwordx4 off, v[4:7], off offset:64
	s_and_saveexec_b64 s[0:1], vcc
	s_cbranch_execz .LBB127_405
; %bb.404:
	scratch_load_dwordx4 v[2:5], off, s88
	v_mov_b32_e32 v6, 0
	v_mov_b32_e32 v7, v6
	;; [unrolled: 1-line block ×4, first 2 shown]
	v_accvgpr_read_b32 v0, a128
	scratch_store_dwordx4 off, v[6:9], off offset:48
	s_waitcnt vmcnt(1)
	ds_write_b128 v0, v[2:5]
.LBB127_405:
	s_or_b64 exec, exec, s[0:1]
	s_waitcnt lgkmcnt(0)
	; wave barrier
	scratch_load_dwordx4 v[8:11], off, off offset:64
	scratch_load_dwordx4 v[12:15], off, off offset:80
	;; [unrolled: 1-line block ×30, first 2 shown]
	v_mov_b32_e32 v2, 0
	ds_read_b128 v[88:91], v2 offset:1072
	ds_read_b128 v[92:95], v2 offset:1088
	;; [unrolled: 1-line block ×19, first 2 shown]
	scratch_load_dwordx4 v[228:231], off, off offset:576
	scratch_load_dwordx4 a[130:133], off, off offset:592
	ds_read_b128 v[242:245], v2 offset:1472
	ds_read_b128 v[248:251], v2 offset:1488
	scratch_load_dwordx4 a[134:137], off, off offset:608
	scratch_load_dwordx4 a[138:141], off, off offset:624
	;; [unrolled: 1-line block ×4, first 2 shown]
	v_cmp_lt_u32_e32 vcc, 1, v254
	ds_read_b128 v[224:227], v2 offset:1424
	s_waitcnt vmcnt(35) lgkmcnt(14)
	v_mul_f64 v[0:1], v[88:89], v[10:11]
	s_waitcnt vmcnt(34)
	v_mul_f64 v[4:5], v[92:93], v[14:15]
	v_fmac_f64_e32 v[0:1], v[90:91], v[8:9]
	s_waitcnt vmcnt(33)
	v_mul_f64 v[6:7], v[96:97], v[18:19]
	v_fmac_f64_e32 v[4:5], v[94:95], v[12:13]
	v_add_f64 v[0:1], v[0:1], 0
	s_waitcnt vmcnt(32)
	v_mul_f64 v[196:197], v[100:101], v[22:23]
	v_fmac_f64_e32 v[6:7], v[98:99], v[16:17]
	v_add_f64 v[0:1], v[0:1], v[4:5]
	;; [unrolled: 4-line block ×6, first 2 shown]
	s_waitcnt vmcnt(27) lgkmcnt(13)
	v_mul_f64 v[206:207], v[160:161], v[42:43]
	v_fmac_f64_e32 v[204:205], v[158:159], v[36:37]
	v_add_f64 v[0:1], v[0:1], v[202:203]
	s_waitcnt vmcnt(26) lgkmcnt(12)
	v_mul_f64 v[208:209], v[164:165], v[46:47]
	v_fmac_f64_e32 v[206:207], v[162:163], v[40:41]
	v_add_f64 v[0:1], v[0:1], v[204:205]
	;; [unrolled: 4-line block ×6, first 2 shown]
	ds_read_b128 v[196:199], v2 offset:1344
	ds_read_b128 v[204:207], v2 offset:1360
	s_waitcnt vmcnt(21) lgkmcnt(9)
	v_mul_f64 v[218:219], v[184:185], v[66:67]
	v_fmac_f64_e32 v[216:217], v[182:183], v[60:61]
	v_add_f64 v[0:1], v[0:1], v[214:215]
	s_waitcnt vmcnt(20) lgkmcnt(8)
	v_mul_f64 v[220:221], v[188:189], v[70:71]
	v_fmac_f64_e32 v[218:219], v[186:187], v[64:65]
	v_add_f64 v[0:1], v[0:1], v[216:217]
	v_fmac_f64_e32 v[220:221], v[190:191], v[68:69]
	v_add_f64 v[0:1], v[0:1], v[218:219]
	s_waitcnt vmcnt(19) lgkmcnt(7)
	v_mul_f64 v[4:5], v[192:193], v[74:75]
	v_add_f64 v[0:1], v[0:1], v[220:221]
	v_fmac_f64_e32 v[4:5], v[194:195], v[72:73]
	ds_read_b128 v[212:215], v2 offset:1376
	ds_read_b128 v[216:219], v2 offset:1392
	v_add_f64 v[0:1], v[0:1], v[4:5]
	s_waitcnt vmcnt(18) lgkmcnt(3)
	v_mul_f64 v[4:5], v[196:197], v[78:79]
	v_fmac_f64_e32 v[4:5], v[198:199], v[76:77]
	v_add_f64 v[0:1], v[0:1], v[4:5]
	s_waitcnt vmcnt(17) lgkmcnt(2)
	v_mul_f64 v[4:5], v[204:205], v[82:83]
	v_fmac_f64_e32 v[4:5], v[206:207], v[80:81]
	ds_read_b128 v[220:223], v2 offset:1408
	v_add_f64 v[0:1], v[0:1], v[4:5]
	s_waitcnt vmcnt(16) lgkmcnt(2)
	v_mul_f64 v[4:5], v[212:213], v[86:87]
	v_fmac_f64_e32 v[4:5], v[214:215], v[84:85]
	v_add_f64 v[0:1], v[0:1], v[4:5]
	s_waitcnt vmcnt(15) lgkmcnt(1)
	v_mul_f64 v[4:5], v[216:217], v[110:111]
	scratch_load_dwordx4 v[200:203], off, off offset:544
	scratch_load_dwordx4 v[208:211], off, off offset:560
	v_fmac_f64_e32 v[4:5], v[218:219], v[108:109]
	v_add_f64 v[0:1], v[0:1], v[4:5]
	s_waitcnt vmcnt(16) lgkmcnt(0)
	v_mul_f64 v[4:5], v[220:221], v[114:115]
	v_fmac_f64_e32 v[4:5], v[222:223], v[112:113]
	v_add_f64 v[0:1], v[0:1], v[4:5]
	s_waitcnt vmcnt(15)
	v_mul_f64 v[4:5], v[224:225], v[118:119]
	v_fmac_f64_e32 v[4:5], v[226:227], v[116:117]
	v_add_f64 v[0:1], v[0:1], v[4:5]
	s_waitcnt vmcnt(14)
	v_mul_f64 v[4:5], v[232:233], v[122:123]
	v_fmac_f64_e32 v[4:5], v[234:235], v[120:121]
	v_add_f64 v[0:1], v[0:1], v[4:5]
	v_mul_f64 v[4:5], v[90:91], v[10:11]
	v_fma_f64 v[240:241], v[88:89], v[8:9], -v[4:5]
	s_waitcnt vmcnt(13)
	v_mul_f64 v[4:5], v[236:237], v[126:127]
	v_fmac_f64_e32 v[4:5], v[238:239], v[124:125]
	v_add_f64 v[0:1], v[0:1], v[4:5]
	v_mul_f64 v[4:5], v[94:95], v[14:15]
	v_fma_f64 v[246:247], v[92:93], v[12:13], -v[4:5]
	v_mul_f64 v[4:5], v[98:99], v[18:19]
	v_fma_f64 v[252:253], v[96:97], v[16:17], -v[4:5]
	v_mul_f64 v[4:5], v[102:103], v[22:23]
	v_fma_f64 v[92:93], v[100:101], v[20:21], -v[4:5]
	ds_read_b128 v[4:7], v2 offset:1504
	s_waitcnt vmcnt(12)
	v_mul_f64 v[8:9], v[242:243], v[130:131]
	v_fmac_f64_e32 v[8:9], v[244:245], v[128:129]
	v_add_f64 v[0:1], v[0:1], v[8:9]
	s_waitcnt vmcnt(11)
	v_mul_f64 v[8:9], v[248:249], v[134:135]
	v_fmac_f64_e32 v[8:9], v[250:251], v[132:133]
	v_mul_f64 v[12:13], v[142:143], v[30:31]
	v_add_f64 v[0:1], v[0:1], v[8:9]
	v_fma_f64 v[140:141], v[140:141], v[28:29], -v[12:13]
	ds_read_b128 v[12:15], v2 offset:1536
	s_waitcnt vmcnt(10) lgkmcnt(1)
	v_mul_f64 v[8:9], v[4:5], v[138:139]
	v_fmac_f64_e32 v[8:9], v[6:7], v[136:137]
	v_add_f64 v[0:1], v[0:1], v[8:9]
	v_mul_f64 v[8:9], v[106:107], v[26:27]
	v_fma_f64 v[88:89], v[104:105], v[24:25], -v[8:9]
	ds_read_b128 v[8:11], v2 offset:1520
	v_mul_f64 v[24:25], v[158:159], v[38:39]
	s_waitcnt vmcnt(6)
	v_accvgpr_read_b32 v20, a130
	v_accvgpr_read_b32 v22, a132
	;; [unrolled: 1-line block ×3, first 2 shown]
	s_waitcnt lgkmcnt(0)
	v_mul_f64 v[16:17], v[8:9], v[146:147]
	v_fmac_f64_e32 v[16:17], v[10:11], v[144:145]
	v_add_f64 v[0:1], v[0:1], v[16:17]
	v_mul_f64 v[16:17], v[12:13], v[150:151]
	v_fmac_f64_e32 v[16:17], v[14:15], v[148:149]
	v_add_f64 v[0:1], v[0:1], v[16:17]
	v_mul_f64 v[16:17], v[154:155], v[34:35]
	v_fma_f64 v[142:143], v[152:153], v[32:33], -v[16:17]
	ds_read_b128 v[16:19], v2 offset:1552
	scratch_load_dwordx4 a[154:157], off, off offset:672
	scratch_load_dwordx4 a[150:153], off, off offset:688
	;; [unrolled: 1-line block ×4, first 2 shown]
	v_mul_f64 v[32:33], v[162:163], v[42:43]
	v_fma_f64 v[154:155], v[160:161], v[40:41], -v[32:33]
	v_mul_f64 v[40:41], v[170:171], v[50:51]
	ds_read_b128 v[160:163], v2 offset:1568
	v_fma_f64 v[158:159], v[168:169], v[48:49], -v[40:41]
	ds_read_b128 v[168:171], v2 offset:1584
	scratch_load_dwordx4 a[170:173], off, off offset:736
	scratch_load_dwordx4 a[166:169], off, off offset:752
	v_fma_f64 v[152:153], v[156:157], v[36:37], -v[24:25]
	v_mul_f64 v[48:49], v[178:179], v[58:59]
	v_mul_f64 v[40:41], v[174:175], v[54:55]
	v_accvgpr_read_b32 v21, a131
	ds_read_b128 v[96:99], v2 offset:1632
	ds_read_b128 v[100:103], v2 offset:1648
	;; [unrolled: 1-line block ×3, first 2 shown]
	v_mul_f64 v[38:39], v[226:227], v[118:119]
	v_fma_f64 v[38:39], v[224:225], v[116:117], -v[38:39]
	v_mul_f64 v[134:135], v[250:251], v[134:135]
	v_fma_f64 v[250:251], v[248:249], v[132:133], -v[134:135]
	v_mul_f64 v[6:7], v[6:7], v[138:139]
	s_waitcnt vmcnt(7) lgkmcnt(5)
	v_mul_f64 v[32:33], v[16:17], v[202:203]
	v_fmac_f64_e32 v[32:33], v[18:19], v[200:201]
	v_add_f64 v[0:1], v[0:1], v[32:33]
	v_mul_f64 v[32:33], v[166:167], v[46:47]
	v_fma_f64 v[156:157], v[164:165], v[44:45], -v[32:33]
	s_waitcnt vmcnt(6) lgkmcnt(4)
	v_mul_f64 v[36:37], v[160:161], v[210:211]
	ds_read_b128 v[44:47], v2 offset:1600
	v_fmac_f64_e32 v[36:37], v[162:163], v[208:209]
	v_fma_f64 v[166:167], v[176:177], v[56:57], -v[48:49]
	s_waitcnt lgkmcnt(4)
	v_mul_f64 v[48:49], v[168:169], v[230:231]
	v_add_f64 v[0:1], v[0:1], v[36:37]
	v_fmac_f64_e32 v[48:49], v[170:171], v[228:229]
	v_add_f64 v[0:1], v[0:1], v[48:49]
	v_mul_f64 v[48:49], v[182:183], v[62:63]
	v_fma_f64 v[164:165], v[172:173], v[52:53], -v[40:41]
	v_fma_f64 v[172:173], v[180:181], v[60:61], -v[48:49]
	scratch_load_dwordx4 v[48:51], off, off offset:768
	scratch_load_dwordx4 v[52:55], off, off offset:784
	ds_read_b128 v[40:43], v2 offset:1616
	s_waitcnt lgkmcnt(1)
	v_mul_f64 v[56:57], v[44:45], v[22:23]
	v_fmac_f64_e32 v[56:57], v[46:47], v[20:21]
	v_add_f64 v[0:1], v[0:1], v[56:57]
	v_mul_f64 v[56:57], v[186:187], v[66:67]
	v_fma_f64 v[174:175], v[184:185], v[64:65], -v[56:57]
	v_mul_f64 v[56:57], v[190:191], v[70:71]
	v_fma_f64 v[32:33], v[188:189], v[68:69], -v[56:57]
	scratch_load_dwordx4 v[56:59], off, off offset:800
	v_accvgpr_read_b32 v20, a134
	v_accvgpr_read_b32 v22, a136
	v_accvgpr_read_b32 v23, a137
	v_mul_f64 v[60:61], v[194:195], v[74:75]
	v_accvgpr_read_b32 v21, a135
	s_waitcnt lgkmcnt(0)
	v_mul_f64 v[64:65], v[40:41], v[22:23]
	v_fma_f64 v[90:91], v[192:193], v[72:73], -v[60:61]
	v_fmac_f64_e32 v[64:65], v[42:43], v[20:21]
	scratch_load_dwordx4 v[60:63], off, off offset:816
	v_add_f64 v[0:1], v[0:1], v[64:65]
	v_mul_f64 v[64:65], v[198:199], v[78:79]
	v_fma_f64 v[30:31], v[196:197], v[76:77], -v[64:65]
	scratch_load_dwordx4 v[64:67], off, off offset:832
	v_accvgpr_read_b32 v20, a138
	v_accvgpr_read_b32 v22, a140
	;; [unrolled: 1-line block ×4, first 2 shown]
	v_mul_f64 v[24:25], v[96:97], v[22:23]
	v_fmac_f64_e32 v[24:25], v[98:99], v[20:21]
	v_accvgpr_read_b32 v20, a142
	v_mul_f64 v[68:69], v[206:207], v[82:83]
	v_accvgpr_read_b32 v22, a144
	v_accvgpr_read_b32 v23, a145
	v_fma_f64 v[28:29], v[204:205], v[80:81], -v[68:69]
	scratch_load_dwordx4 v[68:71], off, off offset:848
	v_accvgpr_read_b32 v21, a143
	v_mul_f64 v[80:81], v[100:101], v[22:23]
	v_mul_f64 v[72:73], v[218:219], v[110:111]
	v_fma_f64 v[94:95], v[216:217], v[108:109], -v[72:73]
	scratch_load_dwordx4 v[76:79], off, off offset:864
	scratch_load_dwordx4 v[72:75], off, off offset:880
	v_fmac_f64_e32 v[80:81], v[102:103], v[20:21]
	v_accvgpr_read_b32 v20, a146
	ds_read_b128 v[108:111], v2 offset:1680
	v_add_f64 v[0:1], v[0:1], v[24:25]
	v_accvgpr_read_b32 v22, a148
	v_accvgpr_read_b32 v23, a149
	v_mul_f64 v[24:25], v[214:215], v[86:87]
	v_add_f64 v[0:1], v[0:1], v[80:81]
	v_accvgpr_read_b32 v21, a147
	v_mul_f64 v[176:177], v[104:105], v[22:23]
	v_mul_f64 v[80:81], v[222:223], v[114:115]
	v_fma_f64 v[26:27], v[212:213], v[84:85], -v[24:25]
	v_fmac_f64_e32 v[176:177], v[106:107], v[20:21]
	v_fma_f64 v[24:25], v[220:221], v[112:113], -v[80:81]
	ds_read_b128 v[112:115], v2 offset:1696
	s_waitcnt vmcnt(13)
	v_accvgpr_read_b32 v20, a154
	v_accvgpr_read_b32 v22, a156
	v_accvgpr_read_b32 v23, a157
	v_accvgpr_read_b32 v21, a155
	s_waitcnt lgkmcnt(1)
	v_mul_f64 v[116:117], v[108:109], v[22:23]
	v_fmac_f64_e32 v[116:117], v[110:111], v[20:21]
	s_waitcnt vmcnt(12)
	v_accvgpr_read_b32 v20, a150
	scratch_load_dwordx4 v[80:83], off, off offset:896
	v_mul_f64 v[84:85], v[234:235], v[122:123]
	v_add_f64 v[0:1], v[0:1], v[176:177]
	v_accvgpr_read_b32 v22, a152
	v_accvgpr_read_b32 v23, a153
	v_fma_f64 v[232:233], v[232:233], v[120:121], -v[84:85]
	v_add_f64 v[0:1], v[0:1], v[116:117]
	v_accvgpr_read_b32 v21, a151
	s_waitcnt lgkmcnt(0)
	v_mul_f64 v[120:121], v[112:113], v[22:23]
	ds_read_b128 v[116:119], v2 offset:1712
	scratch_load_dwordx4 v[84:87], off, off offset:912
	v_fmac_f64_e32 v[120:121], v[114:115], v[20:21]
	v_add_f64 v[0:1], v[0:1], v[120:121]
	v_mul_f64 v[120:121], v[238:239], v[126:127]
	v_fma_f64 v[22:23], v[236:237], v[124:125], -v[120:121]
	s_waitcnt vmcnt(13)
	v_accvgpr_read_b32 v124, a158
	v_accvgpr_read_b32 v126, a160
	;; [unrolled: 1-line block ×3, first 2 shown]
	ds_read_b128 v[120:123], v2 offset:1728
	v_accvgpr_read_b32 v125, a159
	s_waitcnt lgkmcnt(1)
	v_mul_f64 v[36:37], v[116:117], v[126:127]
	v_fmac_f64_e32 v[36:37], v[118:119], v[124:125]
	v_add_f64 v[0:1], v[0:1], v[36:37]
	v_mul_f64 v[36:37], v[244:245], v[130:131]
	v_fma_f64 v[36:37], v[242:243], v[128:129], -v[36:37]
	scratch_load_dwordx4 v[242:245], off, off offset:928
	s_waitcnt vmcnt(13)
	v_accvgpr_read_b32 v179, a165
	v_accvgpr_read_b32 v178, a164
	ds_read_b128 v[124:127], v2 offset:1744
	v_accvgpr_read_b32 v177, a163
	v_accvgpr_read_b32 v176, a162
	s_waitcnt lgkmcnt(1)
	v_mul_f64 v[128:129], v[120:121], v[178:179]
	v_fmac_f64_e32 v[128:129], v[122:123], v[176:177]
	v_add_f64 v[0:1], v[0:1], v[128:129]
	ds_read_b128 v[128:131], v2 offset:1760
	s_waitcnt vmcnt(12)
	v_accvgpr_read_b32 v181, a173
	v_accvgpr_read_b32 v180, a172
	;; [unrolled: 1-line block ×4, first 2 shown]
	s_waitcnt lgkmcnt(1)
	v_mul_f64 v[176:177], v[124:125], v[180:181]
	s_waitcnt vmcnt(11)
	v_accvgpr_read_b32 v132, a166
	v_fmac_f64_e32 v[176:177], v[126:127], v[178:179]
	v_accvgpr_read_b32 v134, a168
	v_accvgpr_read_b32 v135, a169
	v_add_f64 v[0:1], v[0:1], v[176:177]
	v_accvgpr_read_b32 v133, a167
	s_waitcnt lgkmcnt(0)
	v_mul_f64 v[176:177], v[128:129], v[134:135]
	v_fmac_f64_e32 v[176:177], v[130:131], v[132:133]
	ds_read_b128 v[132:135], v2 offset:1776
	v_fma_f64 v[20:21], v[4:5], v[136:137], -v[6:7]
	ds_read_b128 v[136:139], v2 offset:1792
	ds_read_b128 v[234:237], v2 offset:1808
	v_add_f64 v[0:1], v[0:1], v[176:177]
	s_waitcnt vmcnt(10) lgkmcnt(2)
	v_mul_f64 v[6:7], v[132:133], v[50:51]
	v_fmac_f64_e32 v[6:7], v[134:135], v[48:49]
	v_add_f64 v[0:1], v[0:1], v[6:7]
	s_waitcnt vmcnt(9) lgkmcnt(1)
	v_mul_f64 v[6:7], v[136:137], v[54:55]
	v_fmac_f64_e32 v[6:7], v[138:139], v[52:53]
	v_add_f64 v[0:1], v[0:1], v[6:7]
	v_mul_f64 v[6:7], v[10:11], v[146:147]
	v_fma_f64 v[4:5], v[8:9], v[144:145], -v[6:7]
	ds_read_b128 v[144:147], v2 offset:1824
	s_waitcnt vmcnt(8) lgkmcnt(1)
	v_mul_f64 v[6:7], v[234:235], v[58:59]
	v_fmac_f64_e32 v[6:7], v[236:237], v[56:57]
	v_add_f64 v[0:1], v[0:1], v[6:7]
	v_mul_f64 v[6:7], v[14:15], v[150:151]
	v_fma_f64 v[6:7], v[12:13], v[148:149], -v[6:7]
	ds_read_b128 v[148:151], v2 offset:1840
	s_waitcnt vmcnt(7) lgkmcnt(1)
	v_mul_f64 v[8:9], v[144:145], v[62:63]
	v_fmac_f64_e32 v[8:9], v[146:147], v[60:61]
	v_add_f64 v[0:1], v[0:1], v[8:9]
	ds_read_b128 v[8:11], v2 offset:1856
	s_waitcnt vmcnt(6) lgkmcnt(1)
	v_mul_f64 v[12:13], v[148:149], v[66:67]
	v_fmac_f64_e32 v[12:13], v[150:151], v[64:65]
	v_add_f64 v[34:35], v[0:1], v[12:13]
	ds_read_b128 v[12:15], v2 offset:1872
	v_mul_f64 v[0:1], v[18:19], v[202:203]
	v_fma_f64 v[0:1], v[16:17], v[200:201], -v[0:1]
	s_waitcnt vmcnt(5) lgkmcnt(1)
	v_mul_f64 v[16:17], v[8:9], v[70:71]
	v_mul_f64 v[18:19], v[162:163], v[210:211]
	v_fmac_f64_e32 v[16:17], v[10:11], v[68:69]
	v_fma_f64 v[238:239], v[160:161], v[208:209], -v[18:19]
	ds_read_b128 v[160:163], v2 offset:1888
	s_waitcnt vmcnt(4) lgkmcnt(1)
	v_mul_f64 v[18:19], v[12:13], v[78:79]
	v_add_f64 v[16:17], v[34:35], v[16:17]
	v_fmac_f64_e32 v[18:19], v[14:15], v[76:77]
	v_add_f64 v[34:35], v[16:17], v[18:19]
	ds_read_b128 v[16:19], v2 offset:1904
	v_mul_f64 v[170:171], v[170:171], v[230:231]
	v_fma_f64 v[248:249], v[168:169], v[228:229], -v[170:171]
	ds_read_b128 v[168:171], v2 offset:1920
	s_waitcnt vmcnt(3) lgkmcnt(2)
	v_mul_f64 v[176:177], v[160:161], v[74:75]
	v_fmac_f64_e32 v[176:177], v[162:163], v[72:73]
	v_add_f64 v[34:35], v[34:35], v[176:177]
	s_waitcnt vmcnt(2) lgkmcnt(1)
	v_mul_f64 v[176:177], v[16:17], v[82:83]
	v_fmac_f64_e32 v[176:177], v[18:19], v[80:81]
	v_add_f64 v[34:35], v[34:35], v[176:177]
	s_waitcnt vmcnt(1) lgkmcnt(0)
	v_mul_f64 v[176:177], v[168:169], v[86:87]
	v_accvgpr_write_b32 a170, v178
	v_fmac_f64_e32 v[176:177], v[170:171], v[84:85]
	v_accvgpr_write_b32 a171, v179
	v_accvgpr_write_b32 a172, v180
	;; [unrolled: 1-line block ×3, first 2 shown]
	v_add_f64 v[34:35], v[34:35], v[176:177]
	ds_read_b128 v[176:179], v2 offset:1936
	ds_read_b128 v[184:187], v2 offset:1952
	;; [unrolled: 1-line block ×6, first 2 shown]
	s_waitcnt vmcnt(0) lgkmcnt(5)
	v_mul_f64 v[180:181], v[176:177], v[244:245]
	v_fmac_f64_e32 v[180:181], v[178:179], v[242:243]
	v_add_f64 v[34:35], v[34:35], v[180:181]
	scratch_load_dwordx4 v[180:183], off, off offset:944
	ds_read_b128 v[224:227], v2 offset:2032
	s_waitcnt vmcnt(0) lgkmcnt(5)
	v_mul_f64 v[188:189], v[184:185], v[182:183]
	v_fmac_f64_e32 v[188:189], v[186:187], v[180:181]
	v_add_f64 v[34:35], v[34:35], v[188:189]
	scratch_load_dwordx4 v[188:191], off, off offset:960
	s_waitcnt vmcnt(0) lgkmcnt(4)
	v_mul_f64 v[196:197], v[192:193], v[190:191]
	v_fmac_f64_e32 v[196:197], v[194:195], v[188:189]
	v_add_f64 v[34:35], v[34:35], v[196:197]
	scratch_load_dwordx4 v[196:199], off, off offset:976
	;; [unrolled: 5-line block ×5, first 2 shown]
	s_waitcnt vmcnt(0) lgkmcnt(0)
	v_mul_f64 v[228:229], v[224:225], v[222:223]
	v_fmac_f64_e32 v[228:229], v[226:227], v[220:221]
	v_add_f64 v[34:35], v[34:35], v[228:229]
	v_accvgpr_write_b32 a175, v35
	v_accvgpr_write_b32 a174, v34
	v_add_f64 v[34:35], v[240:241], 0
	v_add_f64 v[34:35], v[34:35], v[246:247]
	;; [unrolled: 1-line block ×18, first 2 shown]
	scratch_load_dwordx4 v[228:231], off, off offset:48
	v_add_f64 v[28:29], v[30:31], v[28:29]
	v_add_f64 v[26:27], v[28:29], v[26:27]
	;; [unrolled: 1-line block ×11, first 2 shown]
	v_accvgpr_read_b32 v20, a130
	v_add_f64 v[4:5], v[250:251], v[6:7]
	v_accvgpr_read_b32 v22, a132
	v_accvgpr_read_b32 v23, a133
	v_add_f64 v[0:1], v[4:5], v[0:1]
	v_accvgpr_read_b32 v21, a131
	v_mul_f64 v[4:5], v[46:47], v[22:23]
	v_add_f64 v[0:1], v[0:1], v[238:239]
	v_fma_f64 v[4:5], v[44:45], v[20:21], -v[4:5]
	v_accvgpr_read_b32 v20, a134
	v_add_f64 v[0:1], v[0:1], v[248:249]
	v_accvgpr_read_b32 v22, a136
	v_accvgpr_read_b32 v23, a137
	v_add_f64 v[0:1], v[0:1], v[4:5]
	v_accvgpr_read_b32 v21, a135
	v_mul_f64 v[4:5], v[42:43], v[22:23]
	v_fma_f64 v[4:5], v[40:41], v[20:21], -v[4:5]
	v_accvgpr_read_b32 v20, a138
	v_accvgpr_read_b32 v22, a140
	v_accvgpr_read_b32 v23, a141
	v_add_f64 v[0:1], v[0:1], v[4:5]
	v_accvgpr_read_b32 v21, a139
	v_mul_f64 v[4:5], v[98:99], v[22:23]
	v_fma_f64 v[4:5], v[96:97], v[20:21], -v[4:5]
	v_accvgpr_read_b32 v20, a142
	;; [unrolled: 7-line block ×9, first 2 shown]
	v_accvgpr_read_b32 v22, a168
	v_accvgpr_read_b32 v23, a169
	v_add_f64 v[0:1], v[0:1], v[4:5]
	v_accvgpr_read_b32 v21, a167
	v_mul_f64 v[4:5], v[130:131], v[22:23]
	v_fma_f64 v[4:5], v[128:129], v[20:21], -v[4:5]
	v_add_f64 v[0:1], v[0:1], v[4:5]
	v_mul_f64 v[4:5], v[134:135], v[50:51]
	v_fma_f64 v[4:5], v[132:133], v[48:49], -v[4:5]
	v_add_f64 v[0:1], v[0:1], v[4:5]
	;; [unrolled: 3-line block ×18, first 2 shown]
	s_waitcnt vmcnt(0)
	v_add_f64 v[4:5], v[228:229], -v[0:1]
	v_accvgpr_read_b32 v0, a174
	v_accvgpr_read_b32 v1, a175
	v_add_f64 v[6:7], v[230:231], -v[0:1]
	scratch_store_dwordx4 off, v[4:7], off offset:48
	s_and_saveexec_b64 s[0:1], vcc
	s_cbranch_execz .LBB127_407
; %bb.406:
	scratch_load_dwordx4 v[6:9], off, s89
	v_mov_b32_e32 v3, v2
	v_mov_b32_e32 v4, v2
	;; [unrolled: 1-line block ×3, first 2 shown]
	v_accvgpr_read_b32 v0, a128
	scratch_store_dwordx4 off, v[2:5], off offset:32
	s_waitcnt vmcnt(1)
	ds_write_b128 v0, v[6:9]
.LBB127_407:
	s_or_b64 exec, exec, s[0:1]
	s_waitcnt lgkmcnt(0)
	; wave barrier
	scratch_load_dwordx4 v[4:7], off, off offset:48
	scratch_load_dwordx4 v[24:27], off, off offset:64
	;; [unrolled: 1-line block ×17, first 2 shown]
	ds_read_b128 v[156:159], v2 offset:1056
	ds_read_b128 v[148:151], v2 offset:1072
	scratch_load_dwordx4 v[76:79], off, off offset:320
	ds_read_b128 v[172:175], v2 offset:1088
	ds_read_b128 v[164:167], v2 offset:1104
	ds_read_b128 v[132:135], v2 offset:1120
	ds_read_b128 v[120:123], v2 offset:1136
	ds_read_b128 v[96:99], v2 offset:1152
	ds_read_b128 v[88:91], v2 offset:1168
	scratch_load_dwordx4 v[80:83], off, off offset:336
	ds_read_b128 v[124:127], v2 offset:1184
	ds_read_b128 v[100:103], v2 offset:1200
	;; [unrolled: 1-line block ×3, first 2 shown]
	scratch_load_dwordx4 v[84:87], off, off offset:352
	ds_read_b128 v[140:143], v2 offset:1232
	ds_read_b128 v[128:131], v2 offset:1248
	;; [unrolled: 1-line block ×3, first 2 shown]
	scratch_load_dwordx4 v[108:111], off, off offset:368
	ds_read_b128 v[144:147], v2 offset:1280
	ds_read_b128 v[136:139], v2 offset:1296
	scratch_load_dwordx4 v[112:115], off, off offset:384
	ds_read_b128 v[168:171], v2 offset:1312
	scratch_load_dwordx4 v[116:119], off, off offset:400
	scratch_load_dwordx4 v[152:155], off, off offset:416
	;; [unrolled: 1-line block ×10, first 2 shown]
	ds_read_b128 v[196:199], v2 offset:1328
	ds_read_b128 v[232:235], v2 offset:1424
	;; [unrolled: 1-line block ×3, first 2 shown]
	scratch_load_dwordx4 a[134:137], off, off offset:592
	scratch_load_dwordx4 a[138:141], off, off offset:608
	;; [unrolled: 1-line block ×3, first 2 shown]
	v_cmp_ne_u32_e32 vcc, 0, v254
	s_waitcnt vmcnt(34) lgkmcnt(14)
	v_mul_f64 v[0:1], v[156:157], v[6:7]
	s_waitcnt vmcnt(33)
	v_mul_f64 v[16:17], v[148:149], v[26:27]
	v_fmac_f64_e32 v[0:1], v[158:159], v[4:5]
	s_waitcnt vmcnt(32)
	v_mul_f64 v[18:19], v[172:173], v[30:31]
	v_fmac_f64_e32 v[16:17], v[150:151], v[24:25]
	v_add_f64 v[0:1], v[0:1], 0
	s_waitcnt vmcnt(31)
	v_mul_f64 v[200:201], v[164:165], v[34:35]
	v_fmac_f64_e32 v[18:19], v[174:175], v[28:29]
	v_add_f64 v[0:1], v[0:1], v[16:17]
	;; [unrolled: 4-line block ×4, first 2 shown]
	s_waitcnt vmcnt(28) lgkmcnt(13)
	v_mul_f64 v[206:207], v[96:97], v[10:11]
	v_fmac_f64_e32 v[204:205], v[122:123], v[248:249]
	v_add_f64 v[0:1], v[0:1], v[202:203]
	s_waitcnt vmcnt(27) lgkmcnt(12)
	v_mul_f64 v[208:209], v[88:89], v[14:15]
	v_fmac_f64_e32 v[206:207], v[98:99], v[8:9]
	v_add_f64 v[0:1], v[0:1], v[204:205]
	scratch_load_dwordx4 v[200:203], off, off offset:528
	s_waitcnt vmcnt(27) lgkmcnt(11)
	v_mul_f64 v[210:211], v[124:125], v[40:41]
	v_fmac_f64_e32 v[208:209], v[90:91], v[12:13]
	v_add_f64 v[0:1], v[0:1], v[206:207]
	v_fmac_f64_e32 v[210:211], v[126:127], v[38:39]
	v_add_f64 v[0:1], v[0:1], v[208:209]
	v_add_f64 v[0:1], v[0:1], v[210:211]
	scratch_load_dwordx4 v[208:211], off, off offset:544
	s_waitcnt vmcnt(27) lgkmcnt(10)
	v_mul_f64 v[212:213], v[100:101], v[22:23]
	s_waitcnt vmcnt(26) lgkmcnt(9)
	v_mul_f64 v[214:215], v[92:93], v[48:49]
	v_fmac_f64_e32 v[212:213], v[102:103], v[20:21]
	s_waitcnt vmcnt(25) lgkmcnt(8)
	v_mul_f64 v[216:217], v[140:141], v[54:55]
	v_fmac_f64_e32 v[214:215], v[94:95], v[46:47]
	v_add_f64 v[0:1], v[0:1], v[212:213]
	s_waitcnt vmcnt(24) lgkmcnt(7)
	v_mul_f64 v[218:219], v[128:129], v[58:59]
	v_fmac_f64_e32 v[216:217], v[142:143], v[52:53]
	v_add_f64 v[0:1], v[0:1], v[214:215]
	;; [unrolled: 4-line block ×5, first 2 shown]
	ds_read_b128 v[204:207], v2 offset:1344
	v_fmac_f64_e32 v[224:225], v[138:139], v[68:69]
	v_add_f64 v[0:1], v[0:1], v[222:223]
	s_waitcnt vmcnt(20) lgkmcnt(4)
	v_mul_f64 v[16:17], v[168:169], v[74:75]
	v_add_f64 v[0:1], v[0:1], v[224:225]
	v_fmac_f64_e32 v[16:17], v[170:171], v[72:73]
	ds_read_b128 v[212:215], v2 offset:1360
	ds_read_b128 v[216:219], v2 offset:1376
	v_add_f64 v[0:1], v[0:1], v[16:17]
	s_waitcnt vmcnt(19) lgkmcnt(5)
	v_mul_f64 v[16:17], v[196:197], v[78:79]
	v_fmac_f64_e32 v[16:17], v[198:199], v[76:77]
	v_add_f64 v[0:1], v[0:1], v[16:17]
	s_waitcnt vmcnt(18) lgkmcnt(2)
	v_mul_f64 v[16:17], v[204:205], v[82:83]
	v_fmac_f64_e32 v[16:17], v[206:207], v[80:81]
	ds_read_b128 v[220:223], v2 offset:1392
	ds_read_b128 v[224:227], v2 offset:1408
	v_add_f64 v[0:1], v[0:1], v[16:17]
	s_waitcnt vmcnt(17) lgkmcnt(3)
	v_mul_f64 v[16:17], v[212:213], v[86:87]
	v_fmac_f64_e32 v[16:17], v[214:215], v[84:85]
	v_add_f64 v[0:1], v[0:1], v[16:17]
	s_waitcnt vmcnt(16) lgkmcnt(2)
	v_mul_f64 v[16:17], v[216:217], v[110:111]
	v_fmac_f64_e32 v[16:17], v[218:219], v[108:109]
	v_add_f64 v[0:1], v[0:1], v[16:17]
	s_waitcnt vmcnt(15) lgkmcnt(1)
	v_mul_f64 v[16:17], v[220:221], v[114:115]
	v_fmac_f64_e32 v[16:17], v[222:223], v[112:113]
	v_add_f64 v[0:1], v[0:1], v[16:17]
	s_waitcnt vmcnt(14) lgkmcnt(0)
	v_mul_f64 v[16:17], v[224:225], v[118:119]
	v_fmac_f64_e32 v[16:17], v[226:227], v[116:117]
	v_add_f64 v[0:1], v[0:1], v[16:17]
	s_waitcnt vmcnt(13)
	v_mul_f64 v[16:17], v[232:233], v[154:155]
	v_mul_f64 v[6:7], v[158:159], v[6:7]
	v_fmac_f64_e32 v[16:17], v[234:235], v[152:153]
	v_fma_f64 v[240:241], v[156:157], v[4:5], -v[6:7]
	s_waitcnt vmcnt(12)
	v_mul_f64 v[4:5], v[236:237], v[162:163]
	v_add_f64 v[0:1], v[0:1], v[16:17]
	ds_read_b128 v[156:159], v2 offset:1456
	v_fmac_f64_e32 v[4:5], v[238:239], v[160:161]
	v_add_f64 v[0:1], v[0:1], v[4:5]
	v_mul_f64 v[4:5], v[150:151], v[26:27]
	v_fma_f64 v[246:247], v[148:149], v[24:25], -v[4:5]
	v_mul_f64 v[6:7], v[174:175], v[30:31]
	ds_read_b128 v[148:151], v2 offset:1472
	v_fma_f64 v[252:253], v[172:173], v[28:29], -v[6:7]
	v_mul_f64 v[6:7], v[166:167], v[34:35]
	v_fma_f64 v[50:51], v[164:165], v[32:33], -v[6:7]
	ds_read_b128 v[164:167], v2 offset:1488
	ds_read_b128 v[172:175], v2 offset:1504
	s_waitcnt vmcnt(11) lgkmcnt(3)
	v_mul_f64 v[4:5], v[156:157], v[178:179]
	v_fmac_f64_e32 v[4:5], v[158:159], v[176:177]
	v_add_f64 v[0:1], v[0:1], v[4:5]
	s_waitcnt vmcnt(10) lgkmcnt(2)
	v_mul_f64 v[4:5], v[148:149], v[182:183]
	v_fmac_f64_e32 v[4:5], v[150:151], v[180:181]
	v_add_f64 v[0:1], v[0:1], v[4:5]
	;; [unrolled: 4-line block ×3, first 2 shown]
	v_mul_f64 v[4:5], v[134:135], v[244:245]
	v_fma_f64 v[44:45], v[132:133], v[242:243], -v[4:5]
	v_mul_f64 v[4:5], v[122:123], v[250:251]
	ds_read_b128 v[242:245], v2 offset:1520
	v_fma_f64 v[42:43], v[120:121], v[248:249], -v[4:5]
	scratch_load_dwordx4 v[120:123], off, off offset:640
	s_waitcnt vmcnt(9) lgkmcnt(1)
	v_mul_f64 v[4:5], v[172:173], v[190:191]
	v_fmac_f64_e32 v[4:5], v[174:175], v[188:189]
	v_add_f64 v[0:1], v[0:1], v[4:5]
	ds_read_b128 v[248:251], v2 offset:1536
	s_waitcnt vmcnt(8) lgkmcnt(1)
	v_mul_f64 v[4:5], v[242:243], v[194:195]
	scratch_load_dwordx4 a[146:149], off, off offset:656
	scratch_load_dwordx4 v[132:135], off, off offset:672
	v_fmac_f64_e32 v[4:5], v[244:245], v[192:193]
	v_add_f64 v[0:1], v[0:1], v[4:5]
	v_mul_f64 v[4:5], v[98:99], v[10:11]
	v_fma_f64 v[36:37], v[96:97], v[8:9], -v[4:5]
	v_mul_f64 v[4:5], v[90:91], v[14:15]
	v_fma_f64 v[32:33], v[88:89], v[12:13], -v[4:5]
	;; [unrolled: 2-line block ×3, first 2 shown]
	scratch_load_dwordx4 v[124:127], off, off offset:688
	scratch_load_dwordx4 a[150:153], off, off offset:704
	ds_read_b128 v[8:11], v2 offset:1552
	s_waitcnt vmcnt(6) lgkmcnt(1)
	v_mul_f64 v[4:5], v[248:249], v[202:203]
	v_fmac_f64_e32 v[4:5], v[250:251], v[200:201]
	v_add_f64 v[0:1], v[0:1], v[4:5]
	v_mul_f64 v[4:5], v[102:103], v[22:23]
	v_fma_f64 v[24:25], v[100:101], v[20:21], -v[4:5]
	s_waitcnt vmcnt(5) lgkmcnt(0)
	v_mul_f64 v[4:5], v[8:9], v[210:211]
	v_fmac_f64_e32 v[4:5], v[10:11], v[208:209]
	v_add_f64 v[0:1], v[0:1], v[4:5]
	v_mul_f64 v[4:5], v[94:95], v[48:49]
	v_mul_f64 v[40:41], v[142:143], v[54:55]
	v_fma_f64 v[26:27], v[92:93], v[46:47], -v[4:5]
	ds_read_b128 v[4:7], v2 offset:1568
	v_fma_f64 v[22:23], v[140:141], v[52:53], -v[40:41]
	scratch_load_dwordx4 a[154:157], off, off offset:720
	scratch_load_dwordx4 v[140:143], off, off offset:736
	;; [unrolled: 1-line block ×3, first 2 shown]
	ds_read_b128 v[88:91], v2 offset:1584
	ds_read_b128 v[92:95], v2 offset:1600
	s_waitcnt lgkmcnt(2)
	v_mul_f64 v[48:49], v[4:5], v[230:231]
	v_fmac_f64_e32 v[48:49], v[6:7], v[228:229]
	v_add_f64 v[0:1], v[0:1], v[48:49]
	v_mul_f64 v[48:49], v[106:107], v[62:63]
	v_fma_f64 v[20:21], v[104:105], v[60:61], -v[48:49]
	scratch_load_dwordx4 v[46:49], off, off offset:752
	v_accvgpr_read_b32 v12, a130
	v_accvgpr_read_b32 v14, a132
	;; [unrolled: 1-line block ×4, first 2 shown]
	s_waitcnt lgkmcnt(1)
	v_mul_f64 v[34:35], v[88:89], v[14:15]
	v_fmac_f64_e32 v[34:35], v[90:91], v[12:13]
	ds_read_b128 v[96:99], v2 offset:1616
	ds_read_b128 v[100:103], v2 offset:1632
	v_accvgpr_read_b32 v12, a134
	v_add_f64 v[0:1], v[0:1], v[34:35]
	v_mul_f64 v[34:35], v[146:147], v[66:67]
	v_accvgpr_read_b32 v14, a136
	v_accvgpr_read_b32 v15, a137
	v_fma_f64 v[34:35], v[144:145], v[64:65], -v[34:35]
	v_accvgpr_read_b32 v13, a135
	s_waitcnt lgkmcnt(2)
	v_mul_f64 v[64:65], v[92:93], v[14:15]
	v_fmac_f64_e32 v[64:65], v[94:95], v[12:13]
	v_accvgpr_read_b32 v12, a138
	v_mul_f64 v[38:39], v[170:171], v[74:75]
	v_accvgpr_read_b32 v14, a140
	v_accvgpr_read_b32 v15, a141
	v_mul_f64 v[30:31], v[130:131], v[58:59]
	v_fma_f64 v[38:39], v[168:169], v[72:73], -v[38:39]
	v_accvgpr_read_b32 v13, a139
	s_waitcnt lgkmcnt(1)
	v_mul_f64 v[72:73], v[96:97], v[14:15]
	v_fma_f64 v[30:31], v[128:129], v[56:57], -v[30:31]
	v_mul_f64 v[56:57], v[138:139], v[70:71]
	v_add_f64 v[0:1], v[0:1], v[64:65]
	v_fmac_f64_e32 v[72:73], v[98:99], v[12:13]
	ds_read_b128 v[104:107], v2 offset:1648
	v_accvgpr_read_b32 v12, a142
	v_fma_f64 v[18:19], v[136:137], v[68:69], -v[56:57]
	v_mul_f64 v[64:65], v[198:199], v[78:79]
	v_mul_f64 v[68:69], v[206:207], v[82:83]
	v_add_f64 v[0:1], v[0:1], v[72:73]
	v_mul_f64 v[72:73], v[214:215], v[86:87]
	v_accvgpr_read_b32 v14, a144
	v_accvgpr_read_b32 v15, a145
	v_fma_f64 v[168:169], v[196:197], v[76:77], -v[64:65]
	v_fma_f64 v[170:171], v[204:205], v[80:81], -v[68:69]
	;; [unrolled: 1-line block ×3, first 2 shown]
	v_accvgpr_read_b32 v13, a143
	s_waitcnt lgkmcnt(1)
	v_mul_f64 v[80:81], v[100:101], v[14:15]
	v_mul_f64 v[72:73], v[218:219], v[110:111]
	scratch_load_dwordx4 v[56:59], off, off offset:784
	scratch_load_dwordx4 v[60:63], off, off offset:800
	scratch_load_dwordx4 v[64:67], off, off offset:816
	scratch_load_dwordx4 v[68:71], off, off offset:832
	v_fma_f64 v[198:199], v[216:217], v[108:109], -v[72:73]
	scratch_load_dwordx4 v[76:79], off, off offset:848
	scratch_load_dwordx4 v[72:75], off, off offset:864
	v_fmac_f64_e32 v[80:81], v[102:103], v[12:13]
	s_waitcnt vmcnt(14)
	v_mov_b64_e32 v[12:13], v[120:121]
	ds_read_b128 v[108:111], v2 offset:1664
	v_mov_b64_e32 v[14:15], v[122:123]
	v_add_f64 v[0:1], v[0:1], v[80:81]
	s_waitcnt lgkmcnt(1)
	v_mul_f64 v[120:121], v[104:105], v[14:15]
	v_accvgpr_write_b32 a161, v15
	v_mul_f64 v[80:81], v[222:223], v[114:115]
	v_fmac_f64_e32 v[120:121], v[106:107], v[12:13]
	v_accvgpr_write_b32 a160, v14
	v_accvgpr_write_b32 a159, v13
	;; [unrolled: 1-line block ×3, first 2 shown]
	v_fma_f64 v[204:205], v[220:221], v[112:113], -v[80:81]
	ds_read_b128 v[112:115], v2 offset:1680
	s_waitcnt vmcnt(13)
	v_accvgpr_read_b32 v12, a146
	v_accvgpr_read_b32 v14, a148
	;; [unrolled: 1-line block ×3, first 2 shown]
	v_mul_f64 v[84:85], v[226:227], v[118:119]
	v_accvgpr_read_b32 v13, a147
	s_waitcnt lgkmcnt(1)
	v_mul_f64 v[40:41], v[108:109], v[14:15]
	v_fma_f64 v[206:207], v[224:225], v[116:117], -v[84:85]
	v_fmac_f64_e32 v[40:41], v[110:111], v[12:13]
	s_waitcnt vmcnt(12)
	v_mov_b64_e32 v[12:13], v[132:133]
	ds_read_b128 v[116:119], v2 offset:1696
	v_add_f64 v[0:1], v[0:1], v[120:121]
	v_mov_b64_e32 v[14:15], v[134:135]
	v_add_f64 v[0:1], v[0:1], v[40:41]
	s_waitcnt lgkmcnt(1)
	v_mul_f64 v[40:41], v[112:113], v[14:15]
	v_fmac_f64_e32 v[40:41], v[114:115], v[12:13]
	s_waitcnt vmcnt(11)
	v_mov_b64_e32 v[12:13], v[124:125]
	v_mov_b64_e32 v[14:15], v[126:127]
	ds_read_b128 v[120:123], v2 offset:1712
	s_waitcnt lgkmcnt(1)
	v_mul_f64 v[124:125], v[116:117], v[14:15]
	v_add_f64 v[0:1], v[0:1], v[40:41]
	v_fmac_f64_e32 v[124:125], v[118:119], v[12:13]
	v_mul_f64 v[40:41], v[238:239], v[162:163]
	v_accvgpr_write_b32 a169, v15
	v_add_f64 v[0:1], v[0:1], v[124:125]
	v_mul_f64 v[124:125], v[158:159], v[178:179]
	v_fma_f64 v[40:41], v[236:237], v[160:161], -v[40:41]
	v_accvgpr_write_b32 a168, v14
	v_accvgpr_write_b32 a167, v13
	;; [unrolled: 1-line block ×3, first 2 shown]
	v_fma_f64 v[236:237], v[156:157], v[176:177], -v[124:125]
	ds_read_b128 v[124:127], v2 offset:1728
	s_waitcnt vmcnt(10)
	v_accvgpr_read_b32 v12, a150
	v_accvgpr_read_b32 v14, a152
	;; [unrolled: 1-line block ×4, first 2 shown]
	s_waitcnt lgkmcnt(1)
	v_mul_f64 v[128:129], v[120:121], v[14:15]
	v_accvgpr_mov_b32 a165, a149
	v_fmac_f64_e32 v[128:129], v[122:123], v[12:13]
	s_waitcnt vmcnt(9)
	v_accvgpr_read_b32 v12, a154
	v_accvgpr_mov_b32 a164, a148
	v_accvgpr_mov_b32 a163, a147
	;; [unrolled: 1-line block ×3, first 2 shown]
	v_accvgpr_write_b32 a149, v135
	v_accvgpr_read_b32 v14, a156
	v_accvgpr_read_b32 v15, a157
	v_accvgpr_write_b32 a148, v134
	v_accvgpr_write_b32 a147, v133
	;; [unrolled: 1-line block ×3, first 2 shown]
	v_add_f64 v[0:1], v[0:1], v[128:129]
	ds_read_b128 v[128:131], v2 offset:1744
	v_accvgpr_read_b32 v13, a155
	s_waitcnt lgkmcnt(1)
	v_mul_f64 v[132:133], v[124:125], v[14:15]
	v_fmac_f64_e32 v[132:133], v[126:127], v[12:13]
	v_add_f64 v[0:1], v[0:1], v[132:133]
	v_mul_f64 v[132:133], v[150:151], v[182:183]
	s_waitcnt vmcnt(8)
	v_mov_b64_e32 v[12:13], v[140:141]
	v_fma_f64 v[238:239], v[148:149], v[180:181], -v[132:133]
	v_mov_b64_e32 v[14:15], v[142:143]
	ds_read_b128 v[132:135], v2 offset:1760
	v_accvgpr_write_b32 a173, v15
	v_mul_f64 v[136:137], v[166:167], v[186:187]
	s_waitcnt lgkmcnt(1)
	v_mul_f64 v[140:141], v[128:129], v[14:15]
	v_accvgpr_write_b32 a172, v14
	v_accvgpr_write_b32 a171, v13
	;; [unrolled: 1-line block ×3, first 2 shown]
	v_fma_f64 v[14:15], v[164:165], v[184:185], -v[136:137]
	ds_read_b128 v[136:139], v2 offset:1776
	v_fmac_f64_e32 v[140:141], v[130:131], v[12:13]
	v_add_f64 v[0:1], v[0:1], v[140:141]
	s_waitcnt vmcnt(6)
	v_mov_b64_e32 v[142:143], v[48:49]
	v_mov_b64_e32 v[140:141], v[46:47]
	s_waitcnt lgkmcnt(1)
	v_mul_f64 v[46:47], v[132:133], v[142:143]
	scratch_load_dwordx4 v[80:83], off, off offset:880
	v_fmac_f64_e32 v[46:47], v[134:135], v[140:141]
	v_mul_f64 v[84:85], v[234:235], v[154:155]
	v_add_f64 v[0:1], v[0:1], v[46:47]
	s_waitcnt lgkmcnt(0)
	v_mul_f64 v[46:47], v[136:137], v[54:55]
	v_fma_f64 v[16:17], v[232:233], v[152:153], -v[84:85]
	scratch_load_dwordx4 v[84:87], off, off offset:896
	v_fmac_f64_e32 v[46:47], v[138:139], v[52:53]
	v_add_f64 v[0:1], v[0:1], v[46:47]
	v_mul_f64 v[46:47], v[174:175], v[190:191]
	v_fma_f64 v[46:47], v[172:173], v[188:189], -v[46:47]
	scratch_load_dwordx4 v[172:175], off, off offset:912
	scratch_load_dwordx4 v[180:183], off, off offset:928
	;; [unrolled: 1-line block ×3, first 2 shown]
	v_accvgpr_write_b32 a177, v143
	v_accvgpr_write_b32 a176, v142
	;; [unrolled: 1-line block ×4, first 2 shown]
	ds_read_b128 v[140:143], v2 offset:1792
	ds_read_b128 v[144:147], v2 offset:1808
	;; [unrolled: 1-line block ×5, first 2 shown]
	s_waitcnt vmcnt(10) lgkmcnt(4)
	v_mul_f64 v[148:149], v[140:141], v[58:59]
	v_fmac_f64_e32 v[148:149], v[142:143], v[56:57]
	v_add_f64 v[0:1], v[0:1], v[148:149]
	v_mul_f64 v[148:149], v[244:245], v[194:195]
	v_fma_f64 v[12:13], v[242:243], v[192:193], -v[148:149]
	ds_read_b128 v[148:151], v2 offset:1824
	s_waitcnt vmcnt(9) lgkmcnt(4)
	v_mul_f64 v[48:49], v[144:145], v[62:63]
	v_fmac_f64_e32 v[48:49], v[146:147], v[60:61]
	v_add_f64 v[0:1], v[0:1], v[48:49]
	s_waitcnt vmcnt(7) lgkmcnt(3)
	v_mul_f64 v[164:165], v[152:153], v[70:71]
	s_waitcnt lgkmcnt(0)
	v_mul_f64 v[48:49], v[148:149], v[66:67]
	v_fmac_f64_e32 v[48:49], v[150:151], v[64:65]
	v_add_f64 v[0:1], v[0:1], v[48:49]
	v_fmac_f64_e32 v[164:165], v[154:155], v[68:69]
	v_mul_f64 v[48:49], v[250:251], v[202:203]
	v_mul_f64 v[10:11], v[10:11], v[210:211]
	v_add_f64 v[0:1], v[0:1], v[164:165]
	ds_read_b128 v[164:167], v2 offset:1888
	v_fma_f64 v[48:49], v[248:249], v[200:201], -v[48:49]
	v_fma_f64 v[248:249], v[8:9], v[208:209], -v[10:11]
	s_waitcnt vmcnt(6)
	v_mul_f64 v[8:9], v[156:157], v[78:79]
	v_mul_f64 v[6:7], v[6:7], v[230:231]
	v_fmac_f64_e32 v[8:9], v[158:159], v[76:77]
	v_fma_f64 v[250:251], v[4:5], v[228:229], -v[6:7]
	ds_read_b128 v[4:7], v2 offset:1904
	v_add_f64 v[0:1], v[0:1], v[8:9]
	s_waitcnt vmcnt(5)
	v_mul_f64 v[8:9], v[160:161], v[74:75]
	v_fmac_f64_e32 v[8:9], v[162:163], v[72:73]
	ds_read_b128 v[176:179], v2 offset:1920
	ds_read_b128 v[184:187], v2 offset:1936
	v_add_f64 v[0:1], v[0:1], v[8:9]
	ds_read_b128 v[192:195], v2 offset:1952
	ds_read_b128 v[200:203], v2 offset:1968
	scratch_load_dwordx4 v[242:245], off, off offset:976
	scratch_load_dwordx4 v[232:235], off, off offset:1024
	ds_read_b128 v[224:227], v2 offset:2016
	ds_read_b128 v[216:219], v2 offset:2000
	s_waitcnt vmcnt(6) lgkmcnt(7)
	v_mul_f64 v[8:9], v[164:165], v[82:83]
	v_fmac_f64_e32 v[8:9], v[166:167], v[80:81]
	v_add_f64 v[0:1], v[0:1], v[8:9]
	s_waitcnt vmcnt(5) lgkmcnt(6)
	v_mul_f64 v[8:9], v[4:5], v[86:87]
	v_fmac_f64_e32 v[8:9], v[6:7], v[84:85]
	v_add_f64 v[0:1], v[0:1], v[8:9]
	v_mul_f64 v[6:7], v[6:7], v[86:87]
	v_fma_f64 v[4:5], v[4:5], v[84:85], -v[6:7]
	s_waitcnt vmcnt(4) lgkmcnt(5)
	v_mul_f64 v[8:9], v[176:177], v[174:175]
	v_fmac_f64_e32 v[8:9], v[178:179], v[172:173]
	v_add_f64 v[0:1], v[0:1], v[8:9]
	s_waitcnt vmcnt(3) lgkmcnt(4)
	v_mul_f64 v[8:9], v[184:185], v[182:183]
	v_fmac_f64_e32 v[8:9], v[186:187], v[180:181]
	v_add_f64 v[0:1], v[0:1], v[8:9]
	;; [unrolled: 4-line block ×3, first 2 shown]
	scratch_load_dwordx4 v[8:11], off, off offset:960
	s_waitcnt vmcnt(0) lgkmcnt(2)
	v_mul_f64 v[208:209], v[200:201], v[10:11]
	v_fmac_f64_e32 v[208:209], v[202:203], v[8:9]
	v_add_f64 v[0:1], v[0:1], v[208:209]
	ds_read_b128 v[208:211], v2 offset:1984
	s_waitcnt lgkmcnt(0)
	v_mul_f64 v[212:213], v[208:209], v[244:245]
	v_fmac_f64_e32 v[212:213], v[210:211], v[242:243]
	v_add_f64 v[0:1], v[0:1], v[212:213]
	scratch_load_dwordx4 v[212:215], off, off offset:992
	s_waitcnt vmcnt(0)
	v_mul_f64 v[220:221], v[216:217], v[214:215]
	v_fmac_f64_e32 v[220:221], v[218:219], v[212:213]
	v_add_f64 v[0:1], v[0:1], v[220:221]
	scratch_load_dwordx4 v[220:223], off, off offset:1008
	s_waitcnt vmcnt(0)
	v_mul_f64 v[228:229], v[224:225], v[222:223]
	v_fmac_f64_e32 v[228:229], v[226:227], v[220:221]
	v_add_f64 v[0:1], v[0:1], v[228:229]
	ds_read_b128 v[228:231], v2 offset:2032
	s_waitcnt lgkmcnt(0)
	v_mul_f64 v[2:3], v[228:229], v[234:235]
	v_fmac_f64_e32 v[2:3], v[230:231], v[232:233]
	v_add_f64 v[2:3], v[0:1], v[2:3]
	v_add_f64 v[0:1], v[240:241], 0
	;; [unrolled: 1-line block ×28, first 2 shown]
	scratch_load_dwordx4 v[236:239], off, off offset:32
	v_add_f64 v[0:1], v[0:1], v[14:15]
	v_add_f64 v[0:1], v[0:1], v[46:47]
	v_accvgpr_read_b32 v14, a130
	v_add_f64 v[0:1], v[0:1], v[12:13]
	v_accvgpr_read_b32 v16, a132
	v_accvgpr_read_b32 v17, a133
	v_add_f64 v[252:253], v[0:1], v[48:49]
	v_accvgpr_read_b32 v15, a131
	v_mul_f64 v[12:13], v[90:91], v[16:17]
	v_add_f64 v[0:1], v[252:253], v[248:249]
	v_fma_f64 v[12:13], v[88:89], v[14:15], -v[12:13]
	v_accvgpr_read_b32 v14, a134
	v_add_f64 v[0:1], v[0:1], v[250:251]
	v_accvgpr_read_b32 v16, a136
	v_accvgpr_read_b32 v17, a137
	v_add_f64 v[0:1], v[0:1], v[12:13]
	v_accvgpr_read_b32 v15, a135
	v_mul_f64 v[12:13], v[94:95], v[16:17]
	v_fma_f64 v[12:13], v[92:93], v[14:15], -v[12:13]
	v_accvgpr_read_b32 v14, a138
	v_accvgpr_read_b32 v16, a140
	v_accvgpr_read_b32 v17, a141
	v_add_f64 v[0:1], v[0:1], v[12:13]
	v_accvgpr_read_b32 v15, a139
	v_mul_f64 v[12:13], v[98:99], v[16:17]
	v_fma_f64 v[12:13], v[96:97], v[14:15], -v[12:13]
	v_accvgpr_read_b32 v14, a142
	;; [unrolled: 7-line block ×10, first 2 shown]
	v_accvgpr_read_b32 v16, a176
	v_accvgpr_read_b32 v17, a177
	v_add_f64 v[0:1], v[0:1], v[12:13]
	v_accvgpr_read_b32 v15, a175
	v_mul_f64 v[12:13], v[134:135], v[16:17]
	v_fma_f64 v[12:13], v[132:133], v[14:15], -v[12:13]
	v_add_f64 v[0:1], v[0:1], v[12:13]
	v_mul_f64 v[12:13], v[138:139], v[54:55]
	v_fma_f64 v[12:13], v[136:137], v[52:53], -v[12:13]
	v_add_f64 v[0:1], v[0:1], v[12:13]
	;; [unrolled: 3-line block ×9, first 2 shown]
	v_add_f64 v[0:1], v[0:1], v[4:5]
	v_mul_f64 v[4:5], v[178:179], v[174:175]
	v_fma_f64 v[4:5], v[176:177], v[172:173], -v[4:5]
	v_add_f64 v[0:1], v[0:1], v[4:5]
	v_mul_f64 v[4:5], v[186:187], v[182:183]
	v_fma_f64 v[4:5], v[184:185], v[180:181], -v[4:5]
	;; [unrolled: 3-line block ×8, first 2 shown]
	v_add_f64 v[0:1], v[0:1], v[4:5]
	s_waitcnt vmcnt(0)
	v_add_f64 v[4:5], v[236:237], -v[0:1]
	v_add_f64 v[6:7], v[238:239], -v[2:3]
	scratch_store_dwordx4 off, v[4:7], off offset:32
	s_and_saveexec_b64 s[0:1], vcc
	s_cbranch_execz .LBB127_409
; %bb.408:
	scratch_load_dwordx4 v[2:5], off, off offset:16
	v_mov_b32_e32 v6, 0
	v_mov_b32_e32 v7, v6
	;; [unrolled: 1-line block ×4, first 2 shown]
	v_accvgpr_read_b32 v0, a128
	scratch_store_dwordx4 off, v[6:9], off offset:16
	s_waitcnt vmcnt(1)
	ds_write_b128 v0, v[2:5]
.LBB127_409:
	s_or_b64 exec, exec, s[0:1]
	s_waitcnt lgkmcnt(0)
	; wave barrier
	scratch_load_dwordx4 v[0:3], off, off offset:32
	scratch_load_dwordx4 v[4:7], off, off offset:48
	;; [unrolled: 1-line block ×30, first 2 shown]
	v_mov_b32_e32 v252, 0
	ds_read_b128 v[84:87], v252 offset:1040
	ds_read_b128 v[92:95], v252 offset:1056
	;; [unrolled: 1-line block ×18, first 2 shown]
	v_readlane_b32 s0, v255, 0
	v_readlane_b32 s1, v255, 1
	s_and_b64 vcc, exec, s[0:1]
	ds_read_b128 v[224:227], v252 offset:1392
	s_waitcnt vmcnt(29) lgkmcnt(14)
	v_mul_f64 v[188:189], v[84:85], v[2:3]
	s_waitcnt vmcnt(28)
	v_mul_f64 v[190:191], v[92:93], v[6:7]
	v_fmac_f64_e32 v[188:189], v[86:87], v[0:1]
	s_waitcnt vmcnt(27)
	v_mul_f64 v[192:193], v[96:97], v[10:11]
	v_fmac_f64_e32 v[190:191], v[94:95], v[4:5]
	v_add_f64 v[188:189], v[188:189], 0
	s_waitcnt vmcnt(26)
	v_mul_f64 v[194:195], v[100:101], v[14:15]
	v_fmac_f64_e32 v[192:193], v[98:99], v[8:9]
	v_add_f64 v[188:189], v[188:189], v[190:191]
	;; [unrolled: 4-line block ×3, first 2 shown]
	s_waitcnt vmcnt(24) lgkmcnt(13)
	v_mul_f64 v[198:199], v[108:109], v[22:23]
	v_fmac_f64_e32 v[196:197], v[106:107], v[16:17]
	v_add_f64 v[188:189], v[188:189], v[194:195]
	s_waitcnt vmcnt(23) lgkmcnt(12)
	v_mul_f64 v[200:201], v[144:145], v[26:27]
	v_fmac_f64_e32 v[198:199], v[110:111], v[20:21]
	v_add_f64 v[188:189], v[188:189], v[196:197]
	;; [unrolled: 4-line block ×11, first 2 shown]
	v_fmac_f64_e32 v[218:219], v[182:183], v[60:61]
	v_add_f64 v[188:189], v[188:189], v[216:217]
	ds_read_b128 v[192:195], v252 offset:1312
	s_waitcnt vmcnt(13) lgkmcnt(3)
	v_mul_f64 v[198:199], v[184:185], v[66:67]
	v_add_f64 v[196:197], v[188:189], v[218:219]
	v_fmac_f64_e32 v[198:199], v[186:187], v[64:65]
	scratch_load_dwordx4 v[188:191], off, off offset:512
	scratch_load_dwordx4 v[200:203], off, off offset:528
	v_add_f64 v[208:209], v[196:197], v[198:199]
	ds_read_b128 v[196:199], v252 offset:1328
	ds_read_b128 v[204:207], v252 offset:1344
	s_waitcnt vmcnt(14) lgkmcnt(2)
	v_mul_f64 v[210:211], v[192:193], v[70:71]
	v_fmac_f64_e32 v[210:211], v[194:195], v[68:69]
	v_add_f64 v[208:209], v[208:209], v[210:211]
	s_waitcnt vmcnt(13) lgkmcnt(1)
	v_mul_f64 v[210:211], v[196:197], v[74:75]
	v_fmac_f64_e32 v[210:211], v[198:199], v[72:73]
	v_add_f64 v[212:213], v[208:209], v[210:211]
	ds_read_b128 v[208:211], v252 offset:1360
	s_waitcnt vmcnt(12) lgkmcnt(1)
	v_mul_f64 v[214:215], v[204:205], v[78:79]
	v_fmac_f64_e32 v[214:215], v[206:207], v[76:77]
	v_add_f64 v[220:221], v[212:213], v[214:215]
	ds_read_b128 v[212:215], v252 offset:1376
	scratch_load_dwordx4 v[216:219], off, off offset:544
	s_waitcnt vmcnt(12) lgkmcnt(1)
	v_mul_f64 v[222:223], v[208:209], v[82:83]
	v_fmac_f64_e32 v[222:223], v[210:211], v[80:81]
	v_add_f64 v[232:233], v[220:221], v[222:223]
	s_waitcnt vmcnt(11) lgkmcnt(0)
	v_mul_f64 v[234:235], v[212:213], v[90:91]
	scratch_load_dwordx4 v[220:223], off, off offset:560
	v_fmac_f64_e32 v[234:235], v[214:215], v[88:89]
	v_add_f64 v[232:233], v[232:233], v[234:235]
	s_waitcnt vmcnt(11)
	v_mul_f64 v[234:235], v[224:225], v[114:115]
	v_fmac_f64_e32 v[234:235], v[226:227], v[112:113]
	v_add_f64 v[232:233], v[232:233], v[234:235]
	s_waitcnt vmcnt(10)
	v_mul_f64 v[234:235], v[228:229], v[118:119]
	v_fmac_f64_e32 v[234:235], v[230:231], v[116:117]
	v_add_f64 v[240:241], v[232:233], v[234:235]
	ds_read_b128 v[232:235], v252 offset:1424
	ds_read_b128 v[236:239], v252 offset:1440
	scratch_load_dwordx4 a[128:131], off, off offset:576
	scratch_load_dwordx4 a[132:135], off, off offset:592
	;; [unrolled: 1-line block ×6, first 2 shown]
	v_mul_f64 v[2:3], v[86:87], v[2:3]
	v_fma_f64 v[0:1], v[84:85], v[0:1], -v[2:3]
	v_accvgpr_write_b32 a179, v1
	ds_read_b128 v[242:245], v252 offset:1456
	ds_read_b128 v[248:251], v252 offset:1472
	v_accvgpr_write_b32 a178, v0
	s_waitcnt vmcnt(15) lgkmcnt(3)
	v_mul_f64 v[0:1], v[232:233], v[122:123]
	v_mul_f64 v[2:3], v[94:95], v[6:7]
	v_fmac_f64_e32 v[0:1], v[234:235], v[120:121]
	v_fma_f64 v[246:247], v[92:93], v[4:5], -v[2:3]
	s_waitcnt vmcnt(14) lgkmcnt(2)
	v_mul_f64 v[2:3], v[236:237], v[126:127]
	v_add_f64 v[0:1], v[240:241], v[0:1]
	v_fmac_f64_e32 v[2:3], v[238:239], v[124:125]
	v_add_f64 v[0:1], v[0:1], v[2:3]
	v_mul_f64 v[2:3], v[98:99], v[10:11]
	v_fma_f64 v[240:241], v[96:97], v[8:9], -v[2:3]
	s_waitcnt vmcnt(13) lgkmcnt(1)
	v_mul_f64 v[2:3], v[242:243], v[130:131]
	v_fmac_f64_e32 v[2:3], v[244:245], v[128:129]
	v_add_f64 v[0:1], v[0:1], v[2:3]
	v_mul_f64 v[2:3], v[102:103], v[14:15]
	v_fma_f64 v[98:99], v[100:101], v[12:13], -v[2:3]
	s_waitcnt vmcnt(12) lgkmcnt(0)
	v_mul_f64 v[2:3], v[248:249], v[134:135]
	ds_read_b128 v[4:7], v252 offset:1488
	v_fmac_f64_e32 v[2:3], v[250:251], v[132:133]
	v_add_f64 v[8:9], v[0:1], v[2:3]
	v_mul_f64 v[0:1], v[106:107], v[18:19]
	v_fma_f64 v[92:93], v[104:105], v[16:17], -v[0:1]
	v_mul_f64 v[0:1], v[110:111], v[22:23]
	v_fma_f64 v[86:87], v[108:109], v[20:21], -v[0:1]
	ds_read_b128 v[0:3], v252 offset:1504
	s_waitcnt vmcnt(11) lgkmcnt(1)
	v_mul_f64 v[10:11], v[4:5], v[138:139]
	v_fmac_f64_e32 v[10:11], v[6:7], v[136:137]
	v_add_f64 v[14:15], v[8:9], v[10:11]
	ds_read_b128 v[8:11], v252 offset:1520
	v_mul_f64 v[16:17], v[146:147], v[26:27]
	v_fma_f64 v[84:85], v[144:145], v[24:25], -v[16:17]
	s_waitcnt vmcnt(10) lgkmcnt(1)
	v_mul_f64 v[16:17], v[0:1], v[142:143]
	ds_read_b128 v[144:147], v252 offset:1536
	v_fmac_f64_e32 v[16:17], v[2:3], v[140:141]
	v_add_f64 v[14:15], v[14:15], v[16:17]
	v_mul_f64 v[16:17], v[150:151], v[30:31]
	v_fma_f64 v[94:95], v[148:149], v[28:29], -v[16:17]
	ds_read_b128 v[148:151], v252 offset:1552
	s_waitcnt vmcnt(9) lgkmcnt(2)
	v_mul_f64 v[16:17], v[8:9], v[190:191]
	v_fmac_f64_e32 v[16:17], v[10:11], v[188:189]
	v_add_f64 v[14:15], v[14:15], v[16:17]
	s_waitcnt vmcnt(8) lgkmcnt(1)
	v_mul_f64 v[16:17], v[144:145], v[202:203]
	v_fmac_f64_e32 v[16:17], v[146:147], v[200:201]
	v_add_f64 v[14:15], v[14:15], v[16:17]
	v_mul_f64 v[16:17], v[154:155], v[34:35]
	v_fma_f64 v[22:23], v[152:153], v[32:33], -v[16:17]
	scratch_load_dwordx4 a[152:155], off, off offset:672
	scratch_load_dwordx4 v[32:35], off, off offset:688
	v_mul_f64 v[16:17], v[158:159], v[38:39]
	ds_read_b128 v[152:155], v252 offset:1568
	v_fma_f64 v[26:27], v[156:157], v[36:37], -v[16:17]
	v_mul_f64 v[16:17], v[162:163], v[42:43]
	scratch_load_dwordx4 a[156:159], off, off offset:704
	scratch_load_dwordx4 a[160:163], off, off offset:720
	v_fma_f64 v[156:157], v[160:161], v[40:41], -v[16:17]
	s_waitcnt vmcnt(11) lgkmcnt(1)
	v_mul_f64 v[16:17], v[148:149], v[218:219]
	v_fmac_f64_e32 v[16:17], v[150:151], v[216:217]
	v_add_f64 v[14:15], v[14:15], v[16:17]
	v_mul_f64 v[16:17], v[166:167], v[46:47]
	v_fma_f64 v[158:159], v[164:165], v[44:45], -v[16:17]
	ds_read_b128 v[44:47], v252 offset:1584
	s_waitcnt vmcnt(10) lgkmcnt(1)
	v_mul_f64 v[16:17], v[152:153], v[222:223]
	v_fmac_f64_e32 v[16:17], v[154:155], v[220:221]
	v_add_f64 v[96:97], v[14:15], v[16:17]
	v_mul_f64 v[14:15], v[170:171], v[50:51]
	v_fma_f64 v[160:161], v[168:169], v[48:49], -v[14:15]
	v_mul_f64 v[14:15], v[174:175], v[54:55]
	v_fma_f64 v[162:163], v[172:173], v[52:53], -v[14:15]
	v_mul_f64 v[14:15], v[178:179], v[58:59]
	scratch_load_dwordx4 v[172:175], off, off offset:736
	scratch_load_dwordx4 a[164:167], off, off offset:752
	v_fma_f64 v[164:165], v[176:177], v[56:57], -v[14:15]
	s_waitcnt vmcnt(11)
	v_accvgpr_read_b32 v12, a128
	ds_read_b128 v[40:43], v252 offset:1600
	ds_read_b128 v[36:39], v252 offset:1616
	v_accvgpr_read_b32 v14, a130
	v_accvgpr_read_b32 v15, a131
	;; [unrolled: 1-line block ×3, first 2 shown]
	s_waitcnt lgkmcnt(2)
	v_mul_f64 v[48:49], v[44:45], v[14:15]
	v_fmac_f64_e32 v[48:49], v[46:47], v[12:13]
	v_add_f64 v[56:57], v[96:97], v[48:49]
	v_mul_f64 v[48:49], v[182:183], v[62:63]
	s_waitcnt vmcnt(10)
	v_accvgpr_read_b32 v12, a132
	v_fma_f64 v[166:167], v[180:181], v[60:61], -v[48:49]
	scratch_load_dwordx4 v[48:51], off, off offset:768
	scratch_load_dwordx4 v[52:55], off, off offset:784
	v_accvgpr_read_b32 v14, a134
	v_accvgpr_read_b32 v15, a135
	v_accvgpr_read_b32 v13, a133
	s_waitcnt lgkmcnt(1)
	v_mul_f64 v[58:59], v[40:41], v[14:15]
	v_fmac_f64_e32 v[58:59], v[42:43], v[12:13]
	v_add_f64 v[104:105], v[56:57], v[58:59]
	v_mul_f64 v[56:57], v[186:187], v[66:67]
	v_fma_f64 v[168:169], v[184:185], v[64:65], -v[56:57]
	v_mul_f64 v[56:57], v[194:195], v[70:71]
	v_fma_f64 v[170:171], v[192:193], v[68:69], -v[56:57]
	scratch_load_dwordx4 v[56:59], off, off offset:800
	v_mul_f64 v[60:61], v[198:199], v[74:75]
	v_fma_f64 v[20:21], v[196:197], v[72:73], -v[60:61]
	scratch_load_dwordx4 v[60:63], off, off offset:816
	v_mul_f64 v[64:65], v[206:207], v[78:79]
	s_waitcnt vmcnt(13)
	v_accvgpr_read_b32 v12, a136
	v_fma_f64 v[18:19], v[204:205], v[76:77], -v[64:65]
	scratch_load_dwordx4 v[64:67], off, off offset:832
	ds_read_b128 v[100:103], v252 offset:1632
	v_accvgpr_read_b32 v14, a138
	v_accvgpr_read_b32 v15, a139
	;; [unrolled: 1-line block ×3, first 2 shown]
	s_waitcnt lgkmcnt(1)
	v_mul_f64 v[24:25], v[36:37], v[14:15]
	v_fmac_f64_e32 v[24:25], v[38:39], v[12:13]
	v_add_f64 v[24:25], v[104:105], v[24:25]
	s_waitcnt vmcnt(13)
	v_accvgpr_read_b32 v12, a140
	ds_read_b128 v[104:107], v252 offset:1648
	v_accvgpr_read_b32 v14, a142
	v_accvgpr_read_b32 v15, a143
	v_mul_f64 v[68:69], v[210:211], v[82:83]
	s_waitcnt lgkmcnt(1)
	v_mul_f64 v[16:17], v[100:101], v[14:15]
	v_fma_f64 v[14:15], v[208:209], v[80:81], -v[68:69]
	scratch_load_dwordx4 v[68:71], off, off offset:848
	s_waitcnt vmcnt(13)
	v_accvgpr_read_b32 v28, a144
	v_accvgpr_read_b32 v13, a141
	;; [unrolled: 1-line block ×4, first 2 shown]
	scratch_load_dwordx4 v[76:79], off, off offset:864
	v_fmac_f64_e32 v[16:17], v[102:103], v[12:13]
	v_accvgpr_read_b32 v29, a145
	s_waitcnt lgkmcnt(0)
	v_mul_f64 v[80:81], v[104:105], v[30:31]
	v_mul_f64 v[72:73], v[226:227], v[114:115]
	v_add_f64 v[16:17], v[24:25], v[16:17]
	v_fma_f64 v[96:97], v[224:225], v[112:113], -v[72:73]
	v_fmac_f64_e32 v[80:81], v[106:107], v[28:29]
	scratch_load_dwordx4 v[72:75], off, off offset:880
	ds_read_b128 v[108:111], v252 offset:1664
	v_add_f64 v[16:17], v[16:17], v[80:81]
	v_mul_f64 v[80:81], v[230:231], v[118:119]
	v_fma_f64 v[12:13], v[228:229], v[116:117], -v[80:81]
	scratch_load_dwordx4 v[80:83], off, off offset:896
	s_waitcnt vmcnt(15)
	v_accvgpr_read_b32 v28, a148
	v_mul_f64 v[24:25], v[214:215], v[90:91]
	v_accvgpr_read_b32 v30, a150
	v_accvgpr_read_b32 v31, a151
	v_fma_f64 v[24:25], v[212:213], v[88:89], -v[24:25]
	v_accvgpr_read_b32 v29, a149
	s_waitcnt lgkmcnt(0)
	v_mul_f64 v[88:89], v[108:109], v[30:31]
	v_fmac_f64_e32 v[88:89], v[110:111], v[28:29]
	v_mul_f64 v[90:91], v[234:235], v[122:123]
	v_add_f64 v[16:17], v[16:17], v[88:89]
	v_mul_f64 v[88:89], v[238:239], v[126:127]
	v_fma_f64 v[232:233], v[232:233], v[120:121], -v[90:91]
	ds_read_b128 v[116:119], v252 offset:1680
	ds_read_b128 v[112:115], v252 offset:1696
	v_fma_f64 v[234:235], v[236:237], v[124:125], -v[88:89]
	scratch_load_dwordx4 v[88:91], off, off offset:912
	s_waitcnt vmcnt(15)
	v_accvgpr_read_b32 v28, a152
	v_accvgpr_read_b32 v30, a154
	;; [unrolled: 1-line block ×4, first 2 shown]
	s_waitcnt lgkmcnt(1)
	v_mul_f64 v[120:121], v[116:117], v[30:31]
	v_fmac_f64_e32 v[120:121], v[118:119], v[28:29]
	s_waitcnt vmcnt(14)
	v_mov_b64_e32 v[28:29], v[32:33]
	v_add_f64 v[16:17], v[16:17], v[120:121]
	v_mov_b64_e32 v[30:31], v[34:35]
	ds_read_b128 v[120:123], v252 offset:1712
	s_waitcnt lgkmcnt(1)
	v_mul_f64 v[124:125], v[112:113], v[30:31]
	v_fmac_f64_e32 v[124:125], v[114:115], v[28:29]
	v_add_f64 v[16:17], v[16:17], v[124:125]
	v_mul_f64 v[124:125], v[244:245], v[130:131]
	s_waitcnt vmcnt(13)
	v_accvgpr_read_b32 v28, a156
	v_fma_f64 v[236:237], v[242:243], v[128:129], -v[124:125]
	ds_read_b128 v[124:127], v252 offset:1728
	v_accvgpr_read_b32 v30, a158
	v_accvgpr_read_b32 v31, a159
	;; [unrolled: 1-line block ×3, first 2 shown]
	s_waitcnt lgkmcnt(1)
	v_mul_f64 v[128:129], v[120:121], v[30:31]
	v_fmac_f64_e32 v[128:129], v[122:123], v[28:29]
	v_add_f64 v[16:17], v[16:17], v[128:129]
	v_mul_f64 v[128:129], v[250:251], v[134:135]
	s_waitcnt vmcnt(12)
	v_accvgpr_read_b32 v28, a160
	v_fma_f64 v[250:251], v[248:249], v[132:133], -v[128:129]
	ds_read_b128 v[128:131], v252 offset:1744
	v_accvgpr_read_b32 v30, a162
	v_accvgpr_read_b32 v31, a163
	;; [unrolled: 1-line block ×3, first 2 shown]
	s_waitcnt lgkmcnt(1)
	v_mul_f64 v[132:133], v[124:125], v[30:31]
	v_fmac_f64_e32 v[132:133], v[126:127], v[28:29]
	v_add_f64 v[16:17], v[16:17], v[132:133]
	ds_read_b128 v[132:135], v252 offset:1760
	s_waitcnt vmcnt(11)
	v_mov_b64_e32 v[28:29], v[172:173]
	v_mul_f64 v[6:7], v[6:7], v[138:139]
	v_mov_b64_e32 v[30:31], v[174:175]
	v_fma_f64 v[4:5], v[4:5], v[136:137], -v[6:7]
	ds_read_b128 v[136:139], v252 offset:1776
	s_waitcnt lgkmcnt(2)
	v_mul_f64 v[172:173], v[128:129], v[30:31]
	v_accvgpr_write_b32 a175, v31
	v_mul_f64 v[2:3], v[2:3], v[142:143]
	v_fmac_f64_e32 v[172:173], v[130:131], v[28:29]
	v_accvgpr_write_b32 a174, v30
	v_accvgpr_write_b32 a173, v29
	;; [unrolled: 1-line block ×3, first 2 shown]
	s_waitcnt vmcnt(10)
	v_accvgpr_read_b32 v28, a164
	v_fma_f64 v[238:239], v[0:1], v[140:141], -v[2:3]
	ds_read_b128 v[140:143], v252 offset:1792
	v_accvgpr_mov_b32 a171, a155
	v_accvgpr_read_b32 v30, a166
	v_accvgpr_read_b32 v31, a167
	v_accvgpr_mov_b32 a170, a154
	v_accvgpr_mov_b32 a169, a153
	;; [unrolled: 1-line block ×3, first 2 shown]
	v_accvgpr_write_b32 a155, v35
	v_accvgpr_read_b32 v29, a165
	s_waitcnt lgkmcnt(2)
	v_mul_f64 v[6:7], v[132:133], v[30:31]
	v_accvgpr_write_b32 a154, v34
	v_accvgpr_write_b32 a153, v33
	;; [unrolled: 1-line block ×3, first 2 shown]
	v_add_f64 v[16:17], v[16:17], v[172:173]
	v_fmac_f64_e32 v[6:7], v[134:135], v[28:29]
	s_waitcnt vmcnt(9) lgkmcnt(1)
	v_mul_f64 v[2:3], v[136:137], v[50:51]
	ds_read_b128 v[32:35], v252 offset:1808
	ds_read_b128 v[28:31], v252 offset:1824
	v_add_f64 v[0:1], v[16:17], v[6:7]
	v_fmac_f64_e32 v[2:3], v[138:139], v[48:49]
	v_add_f64 v[0:1], v[0:1], v[2:3]
	s_waitcnt vmcnt(8) lgkmcnt(2)
	v_mul_f64 v[2:3], v[140:141], v[54:55]
	v_fmac_f64_e32 v[2:3], v[142:143], v[52:53]
	v_add_f64 v[6:7], v[0:1], v[2:3]
	v_mul_f64 v[0:1], v[10:11], v[190:191]
	v_fma_f64 v[0:1], v[8:9], v[188:189], -v[0:1]
	s_waitcnt vmcnt(7) lgkmcnt(1)
	v_mul_f64 v[2:3], v[32:33], v[58:59]
	ds_read_b128 v[8:11], v252 offset:1840
	v_fmac_f64_e32 v[2:3], v[34:35], v[56:57]
	v_add_f64 v[2:3], v[6:7], v[2:3]
	v_mul_f64 v[6:7], v[146:147], v[202:203]
	v_fma_f64 v[16:17], v[144:145], v[200:201], -v[6:7]
	s_waitcnt vmcnt(6) lgkmcnt(1)
	v_mul_f64 v[6:7], v[28:29], v[62:63]
	v_fmac_f64_e32 v[6:7], v[30:31], v[60:61]
	v_add_f64 v[2:3], v[2:3], v[6:7]
	ds_read_b128 v[144:147], v252 offset:1856
	s_waitcnt vmcnt(5) lgkmcnt(1)
	v_mul_f64 v[6:7], v[8:9], v[66:67]
	v_fmac_f64_e32 v[6:7], v[10:11], v[64:65]
	v_add_f64 v[2:3], v[2:3], v[6:7]
	v_mul_f64 v[6:7], v[150:151], v[218:219]
	v_fma_f64 v[6:7], v[148:149], v[216:217], -v[6:7]
	ds_read_b128 v[148:151], v252 offset:1872
	v_mul_f64 v[154:155], v[154:155], v[222:223]
	v_fma_f64 v[248:249], v[152:153], v[220:221], -v[154:155]
	ds_read_b128 v[152:155], v252 offset:1888
	s_waitcnt vmcnt(4) lgkmcnt(2)
	v_mul_f64 v[172:173], v[144:145], v[70:71]
	v_fmac_f64_e32 v[172:173], v[146:147], v[68:69]
	ds_read_b128 v[242:245], v252 offset:1904
	ds_read_b128 v[180:183], v252 offset:1936
	v_add_f64 v[2:3], v[2:3], v[172:173]
	s_waitcnt vmcnt(3) lgkmcnt(3)
	v_mul_f64 v[172:173], v[148:149], v[78:79]
	v_fmac_f64_e32 v[172:173], v[150:151], v[76:77]
	v_add_f64 v[2:3], v[2:3], v[172:173]
	s_waitcnt vmcnt(2) lgkmcnt(2)
	v_mul_f64 v[172:173], v[152:153], v[74:75]
	v_fmac_f64_e32 v[172:173], v[154:155], v[72:73]
	;; [unrolled: 4-line block ×3, first 2 shown]
	v_add_f64 v[2:3], v[2:3], v[172:173]
	ds_read_b128 v[172:175], v252 offset:1920
	ds_read_b128 v[188:191], v252 offset:1952
	;; [unrolled: 1-line block ×6, first 2 shown]
	s_waitcnt vmcnt(0) lgkmcnt(5)
	v_mul_f64 v[176:177], v[172:173], v[90:91]
	v_fmac_f64_e32 v[176:177], v[174:175], v[88:89]
	v_add_f64 v[2:3], v[2:3], v[176:177]
	scratch_load_dwordx4 v[176:179], off, off offset:928
	ds_read_b128 v[228:231], v252 offset:2032
	v_accvgpr_write_b32 a177, v7
	v_accvgpr_write_b32 a176, v6
	s_waitcnt vmcnt(0)
	v_mul_f64 v[184:185], v[180:181], v[178:179]
	v_fmac_f64_e32 v[184:185], v[182:183], v[176:177]
	v_add_f64 v[2:3], v[2:3], v[184:185]
	scratch_load_dwordx4 v[184:187], off, off offset:944
	s_waitcnt vmcnt(0) lgkmcnt(5)
	v_mul_f64 v[192:193], v[188:189], v[186:187]
	v_fmac_f64_e32 v[192:193], v[190:191], v[184:185]
	v_add_f64 v[2:3], v[2:3], v[192:193]
	scratch_load_dwordx4 v[192:195], off, off offset:960
	s_waitcnt vmcnt(0) lgkmcnt(4)
	;; [unrolled: 5-line block ×6, first 2 shown]
	v_mul_f64 v[6:7], v[228:229], v[226:227]
	v_fmac_f64_e32 v[6:7], v[230:231], v[224:225]
	v_add_f64 v[2:3], v[2:3], v[6:7]
	v_accvgpr_read_b32 v6, a178
	v_accvgpr_read_b32 v7, a179
	v_add_f64 v[6:7], v[6:7], 0
	v_add_f64 v[6:7], v[6:7], v[246:247]
	;; [unrolled: 1-line block ×26, first 2 shown]
	scratch_load_dwordx4 v[232:235], off, off offset:16
	v_add_f64 v[6:7], v[6:7], v[236:237]
	v_add_f64 v[6:7], v[6:7], v[250:251]
	;; [unrolled: 1-line block ×5, first 2 shown]
	v_accvgpr_read_b32 v12, a128
	v_add_f64 v[250:251], v[0:1], v[16:17]
	v_accvgpr_read_b32 v0, a176
	v_accvgpr_read_b32 v14, a130
	v_accvgpr_read_b32 v15, a131
	v_accvgpr_read_b32 v1, a177
	v_accvgpr_read_b32 v13, a129
	v_mul_f64 v[4:5], v[46:47], v[14:15]
	v_add_f64 v[0:1], v[250:251], v[0:1]
	v_fma_f64 v[4:5], v[44:45], v[12:13], -v[4:5]
	v_accvgpr_read_b32 v12, a132
	v_add_f64 v[0:1], v[0:1], v[248:249]
	v_accvgpr_read_b32 v14, a134
	v_accvgpr_read_b32 v15, a135
	v_add_f64 v[0:1], v[0:1], v[4:5]
	v_accvgpr_read_b32 v13, a133
	v_mul_f64 v[4:5], v[42:43], v[14:15]
	v_fma_f64 v[4:5], v[40:41], v[12:13], -v[4:5]
	v_accvgpr_read_b32 v12, a136
	v_accvgpr_read_b32 v14, a138
	v_accvgpr_read_b32 v15, a139
	v_add_f64 v[0:1], v[0:1], v[4:5]
	v_accvgpr_read_b32 v13, a137
	v_mul_f64 v[4:5], v[38:39], v[14:15]
	v_fma_f64 v[4:5], v[36:37], v[12:13], -v[4:5]
	v_accvgpr_read_b32 v12, a140
	;; [unrolled: 7-line block ×10, first 2 shown]
	v_accvgpr_read_b32 v14, a166
	v_accvgpr_read_b32 v15, a167
	v_add_f64 v[0:1], v[0:1], v[4:5]
	v_accvgpr_read_b32 v13, a165
	v_mul_f64 v[4:5], v[134:135], v[14:15]
	v_fma_f64 v[4:5], v[132:133], v[12:13], -v[4:5]
	v_add_f64 v[0:1], v[0:1], v[4:5]
	v_mul_f64 v[4:5], v[138:139], v[50:51]
	v_fma_f64 v[4:5], v[136:137], v[48:49], -v[4:5]
	v_add_f64 v[0:1], v[0:1], v[4:5]
	;; [unrolled: 3-line block ×18, first 2 shown]
	s_waitcnt vmcnt(0)
	v_add_f64 v[0:1], v[232:233], -v[0:1]
	v_add_f64 v[2:3], v[234:235], -v[2:3]
	scratch_store_dwordx4 off, v[0:3], off offset:16
	s_cbranch_vccz .LBB127_536
; %bb.410:
	global_load_dword v0, v252, s[12:13] offset:248
	s_waitcnt vmcnt(0)
	v_readfirstlane_b32 s0, v0
	s_add_i32 s0, s0, -1
	s_cmp_lg_u32 s0, 62
	s_cbranch_scc0 .LBB127_412
; %bb.411:
	s_lshl_b32 s0, s0, 4
	s_add_i32 s0, s0, 16
	scratch_load_dwordx4 v[0:3], off, s0
	scratch_load_dwordx4 v[4:7], off, s15
	s_waitcnt vmcnt(1)
	scratch_store_dwordx4 off, v[0:3], s15
	s_waitcnt vmcnt(1)
	scratch_store_dwordx4 off, v[4:7], s0
.LBB127_412:
	v_mov_b32_e32 v0, 0
	global_load_dword v1, v0, s[12:13] offset:244
	s_waitcnt vmcnt(0)
	v_readfirstlane_b32 s0, v1
	s_add_i32 s0, s0, -1
	s_cmp_eq_u32 s0, 61
	s_cbranch_scc1 .LBB127_414
; %bb.413:
	s_lshl_b32 s0, s0, 4
	s_add_i32 s0, s0, 16
	scratch_load_dwordx4 v[2:5], off, s0
	scratch_load_dwordx4 v[6:9], off, s50
	s_waitcnt vmcnt(1)
	scratch_store_dwordx4 off, v[2:5], s50
	s_waitcnt vmcnt(1)
	scratch_store_dwordx4 off, v[6:9], s0
.LBB127_414:
	global_load_dword v0, v0, s[12:13] offset:240
	s_waitcnt vmcnt(0)
	v_readfirstlane_b32 s0, v0
	s_add_i32 s0, s0, -1
	s_cmp_eq_u32 s0, 60
	s_cbranch_scc1 .LBB127_416
; %bb.415:
	s_lshl_b32 s0, s0, 4
	s_add_i32 s0, s0, 16
	scratch_load_dwordx4 v[0:3], off, s0
	scratch_load_dwordx4 v[4:7], off, s51
	s_waitcnt vmcnt(1)
	scratch_store_dwordx4 off, v[0:3], s51
	s_waitcnt vmcnt(1)
	scratch_store_dwordx4 off, v[4:7], s0
.LBB127_416:
	v_mov_b32_e32 v0, 0
	global_load_dword v1, v0, s[12:13] offset:236
	s_waitcnt vmcnt(0)
	v_readfirstlane_b32 s0, v1
	s_add_i32 s0, s0, -1
	s_cmp_eq_u32 s0, 59
	s_cbranch_scc1 .LBB127_418
; %bb.417:
	s_lshl_b32 s0, s0, 4
	s_add_i32 s0, s0, 16
	scratch_load_dwordx4 v[2:5], off, s0
	scratch_load_dwordx4 v[6:9], off, s52
	s_waitcnt vmcnt(1)
	scratch_store_dwordx4 off, v[2:5], s52
	s_waitcnt vmcnt(1)
	scratch_store_dwordx4 off, v[6:9], s0
.LBB127_418:
	global_load_dword v0, v0, s[12:13] offset:232
	s_waitcnt vmcnt(0)
	v_readfirstlane_b32 s0, v0
	s_add_i32 s0, s0, -1
	s_cmp_eq_u32 s0, 58
	s_cbranch_scc1 .LBB127_420
; %bb.419:
	s_lshl_b32 s0, s0, 4
	s_add_i32 s0, s0, 16
	scratch_load_dwordx4 v[0:3], off, s0
	scratch_load_dwordx4 v[4:7], off, s90
	s_waitcnt vmcnt(1)
	scratch_store_dwordx4 off, v[0:3], s90
	s_waitcnt vmcnt(1)
	scratch_store_dwordx4 off, v[4:7], s0
.LBB127_420:
	;; [unrolled: 33-line block ×30, first 2 shown]
	v_mov_b32_e32 v0, 0
	global_load_dword v1, v0, s[12:13] offset:4
	s_waitcnt vmcnt(0)
	v_readfirstlane_b32 s0, v1
	s_add_i32 s0, s0, -1
	s_cmp_eq_u32 s0, 1
	s_cbranch_scc1 .LBB127_534
; %bb.533:
	s_lshl_b32 s0, s0, 4
	s_add_i32 s0, s0, 16
	scratch_load_dwordx4 v[2:5], off, s0
	scratch_load_dwordx4 v[6:9], off, s89
	s_waitcnt vmcnt(1)
	scratch_store_dwordx4 off, v[2:5], s89
	s_waitcnt vmcnt(1)
	scratch_store_dwordx4 off, v[6:9], s0
.LBB127_534:
	global_load_dword v0, v0, s[12:13]
	s_waitcnt vmcnt(0)
	v_readfirstlane_b32 s0, v0
	s_add_i32 s0, s0, -1
	s_cmp_eq_u32 s0, 0
	s_cbranch_scc1 .LBB127_536
; %bb.535:
	s_lshl_b32 s0, s0, 4
	s_add_i32 s0, s0, 16
	scratch_load_dwordx4 v[0:3], off, s0
	scratch_load_dwordx4 v[4:7], off, off offset:16
	s_waitcnt vmcnt(1)
	scratch_store_dwordx4 off, v[0:3], off offset:16
	s_waitcnt vmcnt(1)
	scratch_store_dwordx4 off, v[4:7], s0
.LBB127_536:
	scratch_load_dwordx4 v[0:3], off, off offset:16
	s_nop 0
	v_accvgpr_read_b32 v5, a1
	v_accvgpr_read_b32 v4, a0
	s_waitcnt vmcnt(0)
	flat_store_dwordx4 v[4:5], v[0:3]
	scratch_load_dwordx4 v[0:3], off, s89
	v_accvgpr_read_b32 v5, a3
	v_accvgpr_read_b32 v4, a2
	s_waitcnt vmcnt(0)
	flat_store_dwordx4 v[4:5], v[0:3]
	scratch_load_dwordx4 v[0:3], off, s88
	;; [unrolled: 5-line block ×63, first 2 shown]
	v_accvgpr_read_b32 v4, a126
	v_accvgpr_read_b32 v5, a127
	s_waitcnt vmcnt(0)
	flat_store_dwordx4 v[4:5], v[0:3]
	s_endpgm
	.section	.rodata,"a",@progbits
	.p2align	6, 0x0
	.amdhsa_kernel _ZN9rocsolver6v33100L18getri_kernel_smallILi64E19rocblas_complex_numIdEPKPS3_EEvT1_iilPiilS8_bb
		.amdhsa_group_segment_fixed_size 2056
		.amdhsa_private_segment_fixed_size 1056
		.amdhsa_kernarg_size 60
		.amdhsa_user_sgpr_count 2
		.amdhsa_user_sgpr_dispatch_ptr 0
		.amdhsa_user_sgpr_queue_ptr 0
		.amdhsa_user_sgpr_kernarg_segment_ptr 1
		.amdhsa_user_sgpr_dispatch_id 0
		.amdhsa_user_sgpr_kernarg_preload_length 0
		.amdhsa_user_sgpr_kernarg_preload_offset 0
		.amdhsa_user_sgpr_private_segment_size 0
		.amdhsa_uses_dynamic_stack 0
		.amdhsa_enable_private_segment 1
		.amdhsa_system_sgpr_workgroup_id_x 1
		.amdhsa_system_sgpr_workgroup_id_y 0
		.amdhsa_system_sgpr_workgroup_id_z 0
		.amdhsa_system_sgpr_workgroup_info 0
		.amdhsa_system_vgpr_workitem_id 0
		.amdhsa_next_free_vgpr 436
		.amdhsa_next_free_sgpr 98
		.amdhsa_accum_offset 256
		.amdhsa_reserve_vcc 1
		.amdhsa_float_round_mode_32 0
		.amdhsa_float_round_mode_16_64 0
		.amdhsa_float_denorm_mode_32 3
		.amdhsa_float_denorm_mode_16_64 3
		.amdhsa_dx10_clamp 1
		.amdhsa_ieee_mode 1
		.amdhsa_fp16_overflow 0
		.amdhsa_tg_split 0
		.amdhsa_exception_fp_ieee_invalid_op 0
		.amdhsa_exception_fp_denorm_src 0
		.amdhsa_exception_fp_ieee_div_zero 0
		.amdhsa_exception_fp_ieee_overflow 0
		.amdhsa_exception_fp_ieee_underflow 0
		.amdhsa_exception_fp_ieee_inexact 0
		.amdhsa_exception_int_div_zero 0
	.end_amdhsa_kernel
	.section	.text._ZN9rocsolver6v33100L18getri_kernel_smallILi64E19rocblas_complex_numIdEPKPS3_EEvT1_iilPiilS8_bb,"axG",@progbits,_ZN9rocsolver6v33100L18getri_kernel_smallILi64E19rocblas_complex_numIdEPKPS3_EEvT1_iilPiilS8_bb,comdat
.Lfunc_end127:
	.size	_ZN9rocsolver6v33100L18getri_kernel_smallILi64E19rocblas_complex_numIdEPKPS3_EEvT1_iilPiilS8_bb, .Lfunc_end127-_ZN9rocsolver6v33100L18getri_kernel_smallILi64E19rocblas_complex_numIdEPKPS3_EEvT1_iilPiilS8_bb
                                        ; -- End function
	.set _ZN9rocsolver6v33100L18getri_kernel_smallILi64E19rocblas_complex_numIdEPKPS3_EEvT1_iilPiilS8_bb.num_vgpr, 256
	.set _ZN9rocsolver6v33100L18getri_kernel_smallILi64E19rocblas_complex_numIdEPKPS3_EEvT1_iilPiilS8_bb.num_agpr, 180
	.set _ZN9rocsolver6v33100L18getri_kernel_smallILi64E19rocblas_complex_numIdEPKPS3_EEvT1_iilPiilS8_bb.numbered_sgpr, 98
	.set _ZN9rocsolver6v33100L18getri_kernel_smallILi64E19rocblas_complex_numIdEPKPS3_EEvT1_iilPiilS8_bb.num_named_barrier, 0
	.set _ZN9rocsolver6v33100L18getri_kernel_smallILi64E19rocblas_complex_numIdEPKPS3_EEvT1_iilPiilS8_bb.private_seg_size, 1056
	.set _ZN9rocsolver6v33100L18getri_kernel_smallILi64E19rocblas_complex_numIdEPKPS3_EEvT1_iilPiilS8_bb.uses_vcc, 1
	.set _ZN9rocsolver6v33100L18getri_kernel_smallILi64E19rocblas_complex_numIdEPKPS3_EEvT1_iilPiilS8_bb.uses_flat_scratch, 0
	.set _ZN9rocsolver6v33100L18getri_kernel_smallILi64E19rocblas_complex_numIdEPKPS3_EEvT1_iilPiilS8_bb.has_dyn_sized_stack, 0
	.set _ZN9rocsolver6v33100L18getri_kernel_smallILi64E19rocblas_complex_numIdEPKPS3_EEvT1_iilPiilS8_bb.has_recursion, 0
	.set _ZN9rocsolver6v33100L18getri_kernel_smallILi64E19rocblas_complex_numIdEPKPS3_EEvT1_iilPiilS8_bb.has_indirect_call, 0
	.section	.AMDGPU.csdata,"",@progbits
; Kernel info:
; codeLenInByte = 173844
; TotalNumSgprs: 104
; NumVgprs: 256
; NumAgprs: 180
; TotalNumVgprs: 436
; ScratchSize: 1056
; MemoryBound: 0
; FloatMode: 240
; IeeeMode: 1
; LDSByteSize: 2056 bytes/workgroup (compile time only)
; SGPRBlocks: 12
; VGPRBlocks: 54
; NumSGPRsForWavesPerEU: 104
; NumVGPRsForWavesPerEU: 436
; AccumOffset: 256
; Occupancy: 1
; WaveLimiterHint : 1
; COMPUTE_PGM_RSRC2:SCRATCH_EN: 1
; COMPUTE_PGM_RSRC2:USER_SGPR: 2
; COMPUTE_PGM_RSRC2:TRAP_HANDLER: 0
; COMPUTE_PGM_RSRC2:TGID_X_EN: 1
; COMPUTE_PGM_RSRC2:TGID_Y_EN: 0
; COMPUTE_PGM_RSRC2:TGID_Z_EN: 0
; COMPUTE_PGM_RSRC2:TIDIG_COMP_CNT: 0
; COMPUTE_PGM_RSRC3_GFX90A:ACCUM_OFFSET: 63
; COMPUTE_PGM_RSRC3_GFX90A:TG_SPLIT: 0
	.section	.AMDGPU.gpr_maximums,"",@progbits
	.set amdgpu.max_num_vgpr, 0
	.set amdgpu.max_num_agpr, 0
	.set amdgpu.max_num_sgpr, 0
	.section	.AMDGPU.csdata,"",@progbits
	.type	__hip_cuid_5e15545756874dfd,@object ; @__hip_cuid_5e15545756874dfd
	.section	.bss,"aw",@nobits
	.globl	__hip_cuid_5e15545756874dfd
__hip_cuid_5e15545756874dfd:
	.byte	0                               ; 0x0
	.size	__hip_cuid_5e15545756874dfd, 1

	.ident	"AMD clang version 22.0.0git (https://github.com/RadeonOpenCompute/llvm-project roc-7.2.4 26084 f58b06dce1f9c15707c5f808fd002e18c2accf7e)"
	.section	".note.GNU-stack","",@progbits
	.addrsig
	.addrsig_sym __hip_cuid_5e15545756874dfd
	.amdgpu_metadata
---
amdhsa.kernels:
  - .agpr_count:     0
    .args:
      - .address_space:  global
        .offset:         0
        .size:           8
        .value_kind:     global_buffer
      - .offset:         8
        .size:           4
        .value_kind:     by_value
      - .offset:         12
        .size:           4
        .value_kind:     by_value
      - .offset:         16
        .size:           8
        .value_kind:     by_value
      - .address_space:  global
        .offset:         24
        .size:           8
        .value_kind:     global_buffer
      - .offset:         32
        .size:           4
        .value_kind:     by_value
      - .offset:         40
        .size:           8
        .value_kind:     by_value
      - .address_space:  global
        .offset:         48
        .size:           8
        .value_kind:     global_buffer
      - .offset:         56
        .size:           1
        .value_kind:     by_value
      - .offset:         57
        .size:           1
        .value_kind:     by_value
    .group_segment_fixed_size: 4
    .kernarg_segment_align: 8
    .kernarg_segment_size: 60
    .language:       OpenCL C
    .language_version:
      - 2
      - 0
    .max_flat_workgroup_size: 64
    .name:           _ZN9rocsolver6v33100L18getri_kernel_smallILi1E19rocblas_complex_numIdEPS3_EEvT1_iilPiilS6_bb
    .private_segment_fixed_size: 0
    .sgpr_count:     22
    .sgpr_spill_count: 0
    .symbol:         _ZN9rocsolver6v33100L18getri_kernel_smallILi1E19rocblas_complex_numIdEPS3_EEvT1_iilPiilS6_bb.kd
    .uniform_work_group_size: 1
    .uses_dynamic_stack: false
    .vgpr_count:     12
    .vgpr_spill_count: 0
    .wavefront_size: 64
  - .agpr_count:     0
    .args:
      - .address_space:  global
        .offset:         0
        .size:           8
        .value_kind:     global_buffer
      - .offset:         8
        .size:           4
        .value_kind:     by_value
      - .offset:         12
        .size:           4
        .value_kind:     by_value
      - .offset:         16
        .size:           8
        .value_kind:     by_value
      - .address_space:  global
        .offset:         24
        .size:           8
        .value_kind:     global_buffer
      - .offset:         32
        .size:           4
        .value_kind:     by_value
      - .offset:         40
        .size:           8
        .value_kind:     by_value
      - .address_space:  global
        .offset:         48
        .size:           8
        .value_kind:     global_buffer
      - .offset:         56
        .size:           1
        .value_kind:     by_value
      - .offset:         57
        .size:           1
        .value_kind:     by_value
    .group_segment_fixed_size: 1096
    .kernarg_segment_align: 8
    .kernarg_segment_size: 60
    .language:       OpenCL C
    .language_version:
      - 2
      - 0
    .max_flat_workgroup_size: 64
    .name:           _ZN9rocsolver6v33100L18getri_kernel_smallILi2E19rocblas_complex_numIdEPS3_EEvT1_iilPiilS6_bb
    .private_segment_fixed_size: 48
    .sgpr_count:     30
    .sgpr_spill_count: 0
    .symbol:         _ZN9rocsolver6v33100L18getri_kernel_smallILi2E19rocblas_complex_numIdEPS3_EEvT1_iilPiilS6_bb.kd
    .uniform_work_group_size: 1
    .uses_dynamic_stack: false
    .vgpr_count:     22
    .vgpr_spill_count: 0
    .wavefront_size: 64
  - .agpr_count:     0
    .args:
      - .address_space:  global
        .offset:         0
        .size:           8
        .value_kind:     global_buffer
      - .offset:         8
        .size:           4
        .value_kind:     by_value
      - .offset:         12
        .size:           4
        .value_kind:     by_value
      - .offset:         16
        .size:           8
        .value_kind:     by_value
      - .address_space:  global
        .offset:         24
        .size:           8
        .value_kind:     global_buffer
      - .offset:         32
        .size:           4
        .value_kind:     by_value
      - .offset:         40
        .size:           8
        .value_kind:     by_value
      - .address_space:  global
        .offset:         48
        .size:           8
        .value_kind:     global_buffer
      - .offset:         56
        .size:           1
        .value_kind:     by_value
      - .offset:         57
        .size:           1
        .value_kind:     by_value
    .group_segment_fixed_size: 1128
    .kernarg_segment_align: 8
    .kernarg_segment_size: 60
    .language:       OpenCL C
    .language_version:
      - 2
      - 0
    .max_flat_workgroup_size: 64
    .name:           _ZN9rocsolver6v33100L18getri_kernel_smallILi3E19rocblas_complex_numIdEPS3_EEvT1_iilPiilS6_bb
    .private_segment_fixed_size: 64
    .sgpr_count:     30
    .sgpr_spill_count: 0
    .symbol:         _ZN9rocsolver6v33100L18getri_kernel_smallILi3E19rocblas_complex_numIdEPS3_EEvT1_iilPiilS6_bb.kd
    .uniform_work_group_size: 1
    .uses_dynamic_stack: false
    .vgpr_count:     32
    .vgpr_spill_count: 0
    .wavefront_size: 64
  - .agpr_count:     0
    .args:
      - .address_space:  global
        .offset:         0
        .size:           8
        .value_kind:     global_buffer
      - .offset:         8
        .size:           4
        .value_kind:     by_value
      - .offset:         12
        .size:           4
        .value_kind:     by_value
      - .offset:         16
        .size:           8
        .value_kind:     by_value
      - .address_space:  global
        .offset:         24
        .size:           8
        .value_kind:     global_buffer
      - .offset:         32
        .size:           4
        .value_kind:     by_value
      - .offset:         40
        .size:           8
        .value_kind:     by_value
      - .address_space:  global
        .offset:         48
        .size:           8
        .value_kind:     global_buffer
      - .offset:         56
        .size:           1
        .value_kind:     by_value
      - .offset:         57
        .size:           1
        .value_kind:     by_value
    .group_segment_fixed_size: 136
    .kernarg_segment_align: 8
    .kernarg_segment_size: 60
    .language:       OpenCL C
    .language_version:
      - 2
      - 0
    .max_flat_workgroup_size: 64
    .name:           _ZN9rocsolver6v33100L18getri_kernel_smallILi4E19rocblas_complex_numIdEPS3_EEvT1_iilPiilS6_bb
    .private_segment_fixed_size: 96
    .sgpr_count:     26
    .sgpr_spill_count: 0
    .symbol:         _ZN9rocsolver6v33100L18getri_kernel_smallILi4E19rocblas_complex_numIdEPS3_EEvT1_iilPiilS6_bb.kd
    .uniform_work_group_size: 1
    .uses_dynamic_stack: false
    .vgpr_count:     44
    .vgpr_spill_count: 0
    .wavefront_size: 64
  - .agpr_count:     0
    .args:
      - .address_space:  global
        .offset:         0
        .size:           8
        .value_kind:     global_buffer
      - .offset:         8
        .size:           4
        .value_kind:     by_value
      - .offset:         12
        .size:           4
        .value_kind:     by_value
      - .offset:         16
        .size:           8
        .value_kind:     by_value
      - .address_space:  global
        .offset:         24
        .size:           8
        .value_kind:     global_buffer
      - .offset:         32
        .size:           4
        .value_kind:     by_value
      - .offset:         40
        .size:           8
        .value_kind:     by_value
      - .address_space:  global
        .offset:         48
        .size:           8
        .value_kind:     global_buffer
      - .offset:         56
        .size:           1
        .value_kind:     by_value
      - .offset:         57
        .size:           1
        .value_kind:     by_value
    .group_segment_fixed_size: 1192
    .kernarg_segment_align: 8
    .kernarg_segment_size: 60
    .language:       OpenCL C
    .language_version:
      - 2
      - 0
    .max_flat_workgroup_size: 64
    .name:           _ZN9rocsolver6v33100L18getri_kernel_smallILi5E19rocblas_complex_numIdEPS3_EEvT1_iilPiilS6_bb
    .private_segment_fixed_size: 96
    .sgpr_count:     30
    .sgpr_spill_count: 0
    .symbol:         _ZN9rocsolver6v33100L18getri_kernel_smallILi5E19rocblas_complex_numIdEPS3_EEvT1_iilPiilS6_bb.kd
    .uniform_work_group_size: 1
    .uses_dynamic_stack: false
    .vgpr_count:     56
    .vgpr_spill_count: 0
    .wavefront_size: 64
  - .agpr_count:     0
    .args:
      - .address_space:  global
        .offset:         0
        .size:           8
        .value_kind:     global_buffer
      - .offset:         8
        .size:           4
        .value_kind:     by_value
      - .offset:         12
        .size:           4
        .value_kind:     by_value
      - .offset:         16
        .size:           8
        .value_kind:     by_value
      - .address_space:  global
        .offset:         24
        .size:           8
        .value_kind:     global_buffer
      - .offset:         32
        .size:           4
        .value_kind:     by_value
      - .offset:         40
        .size:           8
        .value_kind:     by_value
      - .address_space:  global
        .offset:         48
        .size:           8
        .value_kind:     global_buffer
      - .offset:         56
        .size:           1
        .value_kind:     by_value
      - .offset:         57
        .size:           1
        .value_kind:     by_value
    .group_segment_fixed_size: 1224
    .kernarg_segment_align: 8
    .kernarg_segment_size: 60
    .language:       OpenCL C
    .language_version:
      - 2
      - 0
    .max_flat_workgroup_size: 64
    .name:           _ZN9rocsolver6v33100L18getri_kernel_smallILi6E19rocblas_complex_numIdEPS3_EEvT1_iilPiilS6_bb
    .private_segment_fixed_size: 112
    .sgpr_count:     30
    .sgpr_spill_count: 0
    .symbol:         _ZN9rocsolver6v33100L18getri_kernel_smallILi6E19rocblas_complex_numIdEPS3_EEvT1_iilPiilS6_bb.kd
    .uniform_work_group_size: 1
    .uses_dynamic_stack: false
    .vgpr_count:     70
    .vgpr_spill_count: 0
    .wavefront_size: 64
  - .agpr_count:     0
    .args:
      - .address_space:  global
        .offset:         0
        .size:           8
        .value_kind:     global_buffer
      - .offset:         8
        .size:           4
        .value_kind:     by_value
      - .offset:         12
        .size:           4
        .value_kind:     by_value
      - .offset:         16
        .size:           8
        .value_kind:     by_value
      - .address_space:  global
        .offset:         24
        .size:           8
        .value_kind:     global_buffer
      - .offset:         32
        .size:           4
        .value_kind:     by_value
      - .offset:         40
        .size:           8
        .value_kind:     by_value
      - .address_space:  global
        .offset:         48
        .size:           8
        .value_kind:     global_buffer
      - .offset:         56
        .size:           1
        .value_kind:     by_value
      - .offset:         57
        .size:           1
        .value_kind:     by_value
    .group_segment_fixed_size: 1256
    .kernarg_segment_align: 8
    .kernarg_segment_size: 60
    .language:       OpenCL C
    .language_version:
      - 2
      - 0
    .max_flat_workgroup_size: 64
    .name:           _ZN9rocsolver6v33100L18getri_kernel_smallILi7E19rocblas_complex_numIdEPS3_EEvT1_iilPiilS6_bb
    .private_segment_fixed_size: 128
    .sgpr_count:     30
    .sgpr_spill_count: 0
    .symbol:         _ZN9rocsolver6v33100L18getri_kernel_smallILi7E19rocblas_complex_numIdEPS3_EEvT1_iilPiilS6_bb.kd
    .uniform_work_group_size: 1
    .uses_dynamic_stack: false
    .vgpr_count:     80
    .vgpr_spill_count: 0
    .wavefront_size: 64
  - .agpr_count:     0
    .args:
      - .address_space:  global
        .offset:         0
        .size:           8
        .value_kind:     global_buffer
      - .offset:         8
        .size:           4
        .value_kind:     by_value
      - .offset:         12
        .size:           4
        .value_kind:     by_value
      - .offset:         16
        .size:           8
        .value_kind:     by_value
      - .address_space:  global
        .offset:         24
        .size:           8
        .value_kind:     global_buffer
      - .offset:         32
        .size:           4
        .value_kind:     by_value
      - .offset:         40
        .size:           8
        .value_kind:     by_value
      - .address_space:  global
        .offset:         48
        .size:           8
        .value_kind:     global_buffer
      - .offset:         56
        .size:           1
        .value_kind:     by_value
      - .offset:         57
        .size:           1
        .value_kind:     by_value
    .group_segment_fixed_size: 1288
    .kernarg_segment_align: 8
    .kernarg_segment_size: 60
    .language:       OpenCL C
    .language_version:
      - 2
      - 0
    .max_flat_workgroup_size: 64
    .name:           _ZN9rocsolver6v33100L18getri_kernel_smallILi8E19rocblas_complex_numIdEPS3_EEvT1_iilPiilS6_bb
    .private_segment_fixed_size: 144
    .sgpr_count:     31
    .sgpr_spill_count: 0
    .symbol:         _ZN9rocsolver6v33100L18getri_kernel_smallILi8E19rocblas_complex_numIdEPS3_EEvT1_iilPiilS6_bb.kd
    .uniform_work_group_size: 1
    .uses_dynamic_stack: false
    .vgpr_count:     94
    .vgpr_spill_count: 0
    .wavefront_size: 64
  - .agpr_count:     0
    .args:
      - .address_space:  global
        .offset:         0
        .size:           8
        .value_kind:     global_buffer
      - .offset:         8
        .size:           4
        .value_kind:     by_value
      - .offset:         12
        .size:           4
        .value_kind:     by_value
      - .offset:         16
        .size:           8
        .value_kind:     by_value
      - .address_space:  global
        .offset:         24
        .size:           8
        .value_kind:     global_buffer
      - .offset:         32
        .size:           4
        .value_kind:     by_value
      - .offset:         40
        .size:           8
        .value_kind:     by_value
      - .address_space:  global
        .offset:         48
        .size:           8
        .value_kind:     global_buffer
      - .offset:         56
        .size:           1
        .value_kind:     by_value
      - .offset:         57
        .size:           1
        .value_kind:     by_value
    .group_segment_fixed_size: 1320
    .kernarg_segment_align: 8
    .kernarg_segment_size: 60
    .language:       OpenCL C
    .language_version:
      - 2
      - 0
    .max_flat_workgroup_size: 64
    .name:           _ZN9rocsolver6v33100L18getri_kernel_smallILi9E19rocblas_complex_numIdEPS3_EEvT1_iilPiilS6_bb
    .private_segment_fixed_size: 160
    .sgpr_count:     32
    .sgpr_spill_count: 0
    .symbol:         _ZN9rocsolver6v33100L18getri_kernel_smallILi9E19rocblas_complex_numIdEPS3_EEvT1_iilPiilS6_bb.kd
    .uniform_work_group_size: 1
    .uses_dynamic_stack: false
    .vgpr_count:     104
    .vgpr_spill_count: 0
    .wavefront_size: 64
  - .agpr_count:     0
    .args:
      - .address_space:  global
        .offset:         0
        .size:           8
        .value_kind:     global_buffer
      - .offset:         8
        .size:           4
        .value_kind:     by_value
      - .offset:         12
        .size:           4
        .value_kind:     by_value
      - .offset:         16
        .size:           8
        .value_kind:     by_value
      - .address_space:  global
        .offset:         24
        .size:           8
        .value_kind:     global_buffer
      - .offset:         32
        .size:           4
        .value_kind:     by_value
      - .offset:         40
        .size:           8
        .value_kind:     by_value
      - .address_space:  global
        .offset:         48
        .size:           8
        .value_kind:     global_buffer
      - .offset:         56
        .size:           1
        .value_kind:     by_value
      - .offset:         57
        .size:           1
        .value_kind:     by_value
    .group_segment_fixed_size: 1352
    .kernarg_segment_align: 8
    .kernarg_segment_size: 60
    .language:       OpenCL C
    .language_version:
      - 2
      - 0
    .max_flat_workgroup_size: 64
    .name:           _ZN9rocsolver6v33100L18getri_kernel_smallILi10E19rocblas_complex_numIdEPS3_EEvT1_iilPiilS6_bb
    .private_segment_fixed_size: 176
    .sgpr_count:     33
    .sgpr_spill_count: 0
    .symbol:         _ZN9rocsolver6v33100L18getri_kernel_smallILi10E19rocblas_complex_numIdEPS3_EEvT1_iilPiilS6_bb.kd
    .uniform_work_group_size: 1
    .uses_dynamic_stack: false
    .vgpr_count:     118
    .vgpr_spill_count: 0
    .wavefront_size: 64
  - .agpr_count:     0
    .args:
      - .address_space:  global
        .offset:         0
        .size:           8
        .value_kind:     global_buffer
      - .offset:         8
        .size:           4
        .value_kind:     by_value
      - .offset:         12
        .size:           4
        .value_kind:     by_value
      - .offset:         16
        .size:           8
        .value_kind:     by_value
      - .address_space:  global
        .offset:         24
        .size:           8
        .value_kind:     global_buffer
      - .offset:         32
        .size:           4
        .value_kind:     by_value
      - .offset:         40
        .size:           8
        .value_kind:     by_value
      - .address_space:  global
        .offset:         48
        .size:           8
        .value_kind:     global_buffer
      - .offset:         56
        .size:           1
        .value_kind:     by_value
      - .offset:         57
        .size:           1
        .value_kind:     by_value
    .group_segment_fixed_size: 1384
    .kernarg_segment_align: 8
    .kernarg_segment_size: 60
    .language:       OpenCL C
    .language_version:
      - 2
      - 0
    .max_flat_workgroup_size: 64
    .name:           _ZN9rocsolver6v33100L18getri_kernel_smallILi11E19rocblas_complex_numIdEPS3_EEvT1_iilPiilS6_bb
    .private_segment_fixed_size: 192
    .sgpr_count:     34
    .sgpr_spill_count: 0
    .symbol:         _ZN9rocsolver6v33100L18getri_kernel_smallILi11E19rocblas_complex_numIdEPS3_EEvT1_iilPiilS6_bb.kd
    .uniform_work_group_size: 1
    .uses_dynamic_stack: false
    .vgpr_count:     122
    .vgpr_spill_count: 0
    .wavefront_size: 64
  - .agpr_count:     0
    .args:
      - .address_space:  global
        .offset:         0
        .size:           8
        .value_kind:     global_buffer
      - .offset:         8
        .size:           4
        .value_kind:     by_value
      - .offset:         12
        .size:           4
        .value_kind:     by_value
      - .offset:         16
        .size:           8
        .value_kind:     by_value
      - .address_space:  global
        .offset:         24
        .size:           8
        .value_kind:     global_buffer
      - .offset:         32
        .size:           4
        .value_kind:     by_value
      - .offset:         40
        .size:           8
        .value_kind:     by_value
      - .address_space:  global
        .offset:         48
        .size:           8
        .value_kind:     global_buffer
      - .offset:         56
        .size:           1
        .value_kind:     by_value
      - .offset:         57
        .size:           1
        .value_kind:     by_value
    .group_segment_fixed_size: 1416
    .kernarg_segment_align: 8
    .kernarg_segment_size: 60
    .language:       OpenCL C
    .language_version:
      - 2
      - 0
    .max_flat_workgroup_size: 64
    .name:           _ZN9rocsolver6v33100L18getri_kernel_smallILi12E19rocblas_complex_numIdEPS3_EEvT1_iilPiilS6_bb
    .private_segment_fixed_size: 208
    .sgpr_count:     35
    .sgpr_spill_count: 0
    .symbol:         _ZN9rocsolver6v33100L18getri_kernel_smallILi12E19rocblas_complex_numIdEPS3_EEvT1_iilPiilS6_bb.kd
    .uniform_work_group_size: 1
    .uses_dynamic_stack: false
    .vgpr_count:     124
    .vgpr_spill_count: 0
    .wavefront_size: 64
  - .agpr_count:     0
    .args:
      - .address_space:  global
        .offset:         0
        .size:           8
        .value_kind:     global_buffer
      - .offset:         8
        .size:           4
        .value_kind:     by_value
      - .offset:         12
        .size:           4
        .value_kind:     by_value
      - .offset:         16
        .size:           8
        .value_kind:     by_value
      - .address_space:  global
        .offset:         24
        .size:           8
        .value_kind:     global_buffer
      - .offset:         32
        .size:           4
        .value_kind:     by_value
      - .offset:         40
        .size:           8
        .value_kind:     by_value
      - .address_space:  global
        .offset:         48
        .size:           8
        .value_kind:     global_buffer
      - .offset:         56
        .size:           1
        .value_kind:     by_value
      - .offset:         57
        .size:           1
        .value_kind:     by_value
    .group_segment_fixed_size: 1448
    .kernarg_segment_align: 8
    .kernarg_segment_size: 60
    .language:       OpenCL C
    .language_version:
      - 2
      - 0
    .max_flat_workgroup_size: 64
    .name:           _ZN9rocsolver6v33100L18getri_kernel_smallILi13E19rocblas_complex_numIdEPS3_EEvT1_iilPiilS6_bb
    .private_segment_fixed_size: 224
    .sgpr_count:     36
    .sgpr_spill_count: 0
    .symbol:         _ZN9rocsolver6v33100L18getri_kernel_smallILi13E19rocblas_complex_numIdEPS3_EEvT1_iilPiilS6_bb.kd
    .uniform_work_group_size: 1
    .uses_dynamic_stack: false
    .vgpr_count:     152
    .vgpr_spill_count: 0
    .wavefront_size: 64
  - .agpr_count:     0
    .args:
      - .address_space:  global
        .offset:         0
        .size:           8
        .value_kind:     global_buffer
      - .offset:         8
        .size:           4
        .value_kind:     by_value
      - .offset:         12
        .size:           4
        .value_kind:     by_value
      - .offset:         16
        .size:           8
        .value_kind:     by_value
      - .address_space:  global
        .offset:         24
        .size:           8
        .value_kind:     global_buffer
      - .offset:         32
        .size:           4
        .value_kind:     by_value
      - .offset:         40
        .size:           8
        .value_kind:     by_value
      - .address_space:  global
        .offset:         48
        .size:           8
        .value_kind:     global_buffer
      - .offset:         56
        .size:           1
        .value_kind:     by_value
      - .offset:         57
        .size:           1
        .value_kind:     by_value
    .group_segment_fixed_size: 1480
    .kernarg_segment_align: 8
    .kernarg_segment_size: 60
    .language:       OpenCL C
    .language_version:
      - 2
      - 0
    .max_flat_workgroup_size: 64
    .name:           _ZN9rocsolver6v33100L18getri_kernel_smallILi14E19rocblas_complex_numIdEPS3_EEvT1_iilPiilS6_bb
    .private_segment_fixed_size: 240
    .sgpr_count:     37
    .sgpr_spill_count: 0
    .symbol:         _ZN9rocsolver6v33100L18getri_kernel_smallILi14E19rocblas_complex_numIdEPS3_EEvT1_iilPiilS6_bb.kd
    .uniform_work_group_size: 1
    .uses_dynamic_stack: false
    .vgpr_count:     166
    .vgpr_spill_count: 0
    .wavefront_size: 64
  - .agpr_count:     0
    .args:
      - .address_space:  global
        .offset:         0
        .size:           8
        .value_kind:     global_buffer
      - .offset:         8
        .size:           4
        .value_kind:     by_value
      - .offset:         12
        .size:           4
        .value_kind:     by_value
      - .offset:         16
        .size:           8
        .value_kind:     by_value
      - .address_space:  global
        .offset:         24
        .size:           8
        .value_kind:     global_buffer
      - .offset:         32
        .size:           4
        .value_kind:     by_value
      - .offset:         40
        .size:           8
        .value_kind:     by_value
      - .address_space:  global
        .offset:         48
        .size:           8
        .value_kind:     global_buffer
      - .offset:         56
        .size:           1
        .value_kind:     by_value
      - .offset:         57
        .size:           1
        .value_kind:     by_value
    .group_segment_fixed_size: 1512
    .kernarg_segment_align: 8
    .kernarg_segment_size: 60
    .language:       OpenCL C
    .language_version:
      - 2
      - 0
    .max_flat_workgroup_size: 64
    .name:           _ZN9rocsolver6v33100L18getri_kernel_smallILi15E19rocblas_complex_numIdEPS3_EEvT1_iilPiilS6_bb
    .private_segment_fixed_size: 256
    .sgpr_count:     38
    .sgpr_spill_count: 0
    .symbol:         _ZN9rocsolver6v33100L18getri_kernel_smallILi15E19rocblas_complex_numIdEPS3_EEvT1_iilPiilS6_bb.kd
    .uniform_work_group_size: 1
    .uses_dynamic_stack: false
    .vgpr_count:     158
    .vgpr_spill_count: 0
    .wavefront_size: 64
  - .agpr_count:     0
    .args:
      - .address_space:  global
        .offset:         0
        .size:           8
        .value_kind:     global_buffer
      - .offset:         8
        .size:           4
        .value_kind:     by_value
      - .offset:         12
        .size:           4
        .value_kind:     by_value
      - .offset:         16
        .size:           8
        .value_kind:     by_value
      - .address_space:  global
        .offset:         24
        .size:           8
        .value_kind:     global_buffer
      - .offset:         32
        .size:           4
        .value_kind:     by_value
      - .offset:         40
        .size:           8
        .value_kind:     by_value
      - .address_space:  global
        .offset:         48
        .size:           8
        .value_kind:     global_buffer
      - .offset:         56
        .size:           1
        .value_kind:     by_value
      - .offset:         57
        .size:           1
        .value_kind:     by_value
    .group_segment_fixed_size: 1544
    .kernarg_segment_align: 8
    .kernarg_segment_size: 60
    .language:       OpenCL C
    .language_version:
      - 2
      - 0
    .max_flat_workgroup_size: 64
    .name:           _ZN9rocsolver6v33100L18getri_kernel_smallILi16E19rocblas_complex_numIdEPS3_EEvT1_iilPiilS6_bb
    .private_segment_fixed_size: 272
    .sgpr_count:     40
    .sgpr_spill_count: 0
    .symbol:         _ZN9rocsolver6v33100L18getri_kernel_smallILi16E19rocblas_complex_numIdEPS3_EEvT1_iilPiilS6_bb.kd
    .uniform_work_group_size: 1
    .uses_dynamic_stack: false
    .vgpr_count:     160
    .vgpr_spill_count: 0
    .wavefront_size: 64
  - .agpr_count:     0
    .args:
      - .address_space:  global
        .offset:         0
        .size:           8
        .value_kind:     global_buffer
      - .offset:         8
        .size:           4
        .value_kind:     by_value
      - .offset:         12
        .size:           4
        .value_kind:     by_value
      - .offset:         16
        .size:           8
        .value_kind:     by_value
      - .address_space:  global
        .offset:         24
        .size:           8
        .value_kind:     global_buffer
      - .offset:         32
        .size:           4
        .value_kind:     by_value
      - .offset:         40
        .size:           8
        .value_kind:     by_value
      - .address_space:  global
        .offset:         48
        .size:           8
        .value_kind:     global_buffer
      - .offset:         56
        .size:           1
        .value_kind:     by_value
      - .offset:         57
        .size:           1
        .value_kind:     by_value
    .group_segment_fixed_size: 1576
    .kernarg_segment_align: 8
    .kernarg_segment_size: 60
    .language:       OpenCL C
    .language_version:
      - 2
      - 0
    .max_flat_workgroup_size: 64
    .name:           _ZN9rocsolver6v33100L18getri_kernel_smallILi17E19rocblas_complex_numIdEPS3_EEvT1_iilPiilS6_bb
    .private_segment_fixed_size: 288
    .sgpr_count:     41
    .sgpr_spill_count: 0
    .symbol:         _ZN9rocsolver6v33100L18getri_kernel_smallILi17E19rocblas_complex_numIdEPS3_EEvT1_iilPiilS6_bb.kd
    .uniform_work_group_size: 1
    .uses_dynamic_stack: false
    .vgpr_count:     200
    .vgpr_spill_count: 0
    .wavefront_size: 64
  - .agpr_count:     0
    .args:
      - .address_space:  global
        .offset:         0
        .size:           8
        .value_kind:     global_buffer
      - .offset:         8
        .size:           4
        .value_kind:     by_value
      - .offset:         12
        .size:           4
        .value_kind:     by_value
      - .offset:         16
        .size:           8
        .value_kind:     by_value
      - .address_space:  global
        .offset:         24
        .size:           8
        .value_kind:     global_buffer
      - .offset:         32
        .size:           4
        .value_kind:     by_value
      - .offset:         40
        .size:           8
        .value_kind:     by_value
      - .address_space:  global
        .offset:         48
        .size:           8
        .value_kind:     global_buffer
      - .offset:         56
        .size:           1
        .value_kind:     by_value
      - .offset:         57
        .size:           1
        .value_kind:     by_value
    .group_segment_fixed_size: 1608
    .kernarg_segment_align: 8
    .kernarg_segment_size: 60
    .language:       OpenCL C
    .language_version:
      - 2
      - 0
    .max_flat_workgroup_size: 64
    .name:           _ZN9rocsolver6v33100L18getri_kernel_smallILi18E19rocblas_complex_numIdEPS3_EEvT1_iilPiilS6_bb
    .private_segment_fixed_size: 304
    .sgpr_count:     42
    .sgpr_spill_count: 0
    .symbol:         _ZN9rocsolver6v33100L18getri_kernel_smallILi18E19rocblas_complex_numIdEPS3_EEvT1_iilPiilS6_bb.kd
    .uniform_work_group_size: 1
    .uses_dynamic_stack: false
    .vgpr_count:     214
    .vgpr_spill_count: 0
    .wavefront_size: 64
  - .agpr_count:     0
    .args:
      - .address_space:  global
        .offset:         0
        .size:           8
        .value_kind:     global_buffer
      - .offset:         8
        .size:           4
        .value_kind:     by_value
      - .offset:         12
        .size:           4
        .value_kind:     by_value
      - .offset:         16
        .size:           8
        .value_kind:     by_value
      - .address_space:  global
        .offset:         24
        .size:           8
        .value_kind:     global_buffer
      - .offset:         32
        .size:           4
        .value_kind:     by_value
      - .offset:         40
        .size:           8
        .value_kind:     by_value
      - .address_space:  global
        .offset:         48
        .size:           8
        .value_kind:     global_buffer
      - .offset:         56
        .size:           1
        .value_kind:     by_value
      - .offset:         57
        .size:           1
        .value_kind:     by_value
    .group_segment_fixed_size: 1640
    .kernarg_segment_align: 8
    .kernarg_segment_size: 60
    .language:       OpenCL C
    .language_version:
      - 2
      - 0
    .max_flat_workgroup_size: 64
    .name:           _ZN9rocsolver6v33100L18getri_kernel_smallILi19E19rocblas_complex_numIdEPS3_EEvT1_iilPiilS6_bb
    .private_segment_fixed_size: 320
    .sgpr_count:     43
    .sgpr_spill_count: 0
    .symbol:         _ZN9rocsolver6v33100L18getri_kernel_smallILi19E19rocblas_complex_numIdEPS3_EEvT1_iilPiilS6_bb.kd
    .uniform_work_group_size: 1
    .uses_dynamic_stack: false
    .vgpr_count:     224
    .vgpr_spill_count: 0
    .wavefront_size: 64
  - .agpr_count:     0
    .args:
      - .address_space:  global
        .offset:         0
        .size:           8
        .value_kind:     global_buffer
      - .offset:         8
        .size:           4
        .value_kind:     by_value
      - .offset:         12
        .size:           4
        .value_kind:     by_value
      - .offset:         16
        .size:           8
        .value_kind:     by_value
      - .address_space:  global
        .offset:         24
        .size:           8
        .value_kind:     global_buffer
      - .offset:         32
        .size:           4
        .value_kind:     by_value
      - .offset:         40
        .size:           8
        .value_kind:     by_value
      - .address_space:  global
        .offset:         48
        .size:           8
        .value_kind:     global_buffer
      - .offset:         56
        .size:           1
        .value_kind:     by_value
      - .offset:         57
        .size:           1
        .value_kind:     by_value
    .group_segment_fixed_size: 1672
    .kernarg_segment_align: 8
    .kernarg_segment_size: 60
    .language:       OpenCL C
    .language_version:
      - 2
      - 0
    .max_flat_workgroup_size: 64
    .name:           _ZN9rocsolver6v33100L18getri_kernel_smallILi20E19rocblas_complex_numIdEPS3_EEvT1_iilPiilS6_bb
    .private_segment_fixed_size: 336
    .sgpr_count:     44
    .sgpr_spill_count: 0
    .symbol:         _ZN9rocsolver6v33100L18getri_kernel_smallILi20E19rocblas_complex_numIdEPS3_EEvT1_iilPiilS6_bb.kd
    .uniform_work_group_size: 1
    .uses_dynamic_stack: false
    .vgpr_count:     238
    .vgpr_spill_count: 0
    .wavefront_size: 64
  - .agpr_count:     0
    .args:
      - .address_space:  global
        .offset:         0
        .size:           8
        .value_kind:     global_buffer
      - .offset:         8
        .size:           4
        .value_kind:     by_value
      - .offset:         12
        .size:           4
        .value_kind:     by_value
      - .offset:         16
        .size:           8
        .value_kind:     by_value
      - .address_space:  global
        .offset:         24
        .size:           8
        .value_kind:     global_buffer
      - .offset:         32
        .size:           4
        .value_kind:     by_value
      - .offset:         40
        .size:           8
        .value_kind:     by_value
      - .address_space:  global
        .offset:         48
        .size:           8
        .value_kind:     global_buffer
      - .offset:         56
        .size:           1
        .value_kind:     by_value
      - .offset:         57
        .size:           1
        .value_kind:     by_value
    .group_segment_fixed_size: 1704
    .kernarg_segment_align: 8
    .kernarg_segment_size: 60
    .language:       OpenCL C
    .language_version:
      - 2
      - 0
    .max_flat_workgroup_size: 64
    .name:           _ZN9rocsolver6v33100L18getri_kernel_smallILi21E19rocblas_complex_numIdEPS3_EEvT1_iilPiilS6_bb
    .private_segment_fixed_size: 352
    .sgpr_count:     45
    .sgpr_spill_count: 0
    .symbol:         _ZN9rocsolver6v33100L18getri_kernel_smallILi21E19rocblas_complex_numIdEPS3_EEvT1_iilPiilS6_bb.kd
    .uniform_work_group_size: 1
    .uses_dynamic_stack: false
    .vgpr_count:     248
    .vgpr_spill_count: 0
    .wavefront_size: 64
  - .agpr_count:     0
    .args:
      - .address_space:  global
        .offset:         0
        .size:           8
        .value_kind:     global_buffer
      - .offset:         8
        .size:           4
        .value_kind:     by_value
      - .offset:         12
        .size:           4
        .value_kind:     by_value
      - .offset:         16
        .size:           8
        .value_kind:     by_value
      - .address_space:  global
        .offset:         24
        .size:           8
        .value_kind:     global_buffer
      - .offset:         32
        .size:           4
        .value_kind:     by_value
      - .offset:         40
        .size:           8
        .value_kind:     by_value
      - .address_space:  global
        .offset:         48
        .size:           8
        .value_kind:     global_buffer
      - .offset:         56
        .size:           1
        .value_kind:     by_value
      - .offset:         57
        .size:           1
        .value_kind:     by_value
    .group_segment_fixed_size: 1736
    .kernarg_segment_align: 8
    .kernarg_segment_size: 60
    .language:       OpenCL C
    .language_version:
      - 2
      - 0
    .max_flat_workgroup_size: 64
    .name:           _ZN9rocsolver6v33100L18getri_kernel_smallILi22E19rocblas_complex_numIdEPS3_EEvT1_iilPiilS6_bb
    .private_segment_fixed_size: 368
    .sgpr_count:     46
    .sgpr_spill_count: 0
    .symbol:         _ZN9rocsolver6v33100L18getri_kernel_smallILi22E19rocblas_complex_numIdEPS3_EEvT1_iilPiilS6_bb.kd
    .uniform_work_group_size: 1
    .uses_dynamic_stack: false
    .vgpr_count:     254
    .vgpr_spill_count: 0
    .wavefront_size: 64
  - .agpr_count:     0
    .args:
      - .address_space:  global
        .offset:         0
        .size:           8
        .value_kind:     global_buffer
      - .offset:         8
        .size:           4
        .value_kind:     by_value
      - .offset:         12
        .size:           4
        .value_kind:     by_value
      - .offset:         16
        .size:           8
        .value_kind:     by_value
      - .address_space:  global
        .offset:         24
        .size:           8
        .value_kind:     global_buffer
      - .offset:         32
        .size:           4
        .value_kind:     by_value
      - .offset:         40
        .size:           8
        .value_kind:     by_value
      - .address_space:  global
        .offset:         48
        .size:           8
        .value_kind:     global_buffer
      - .offset:         56
        .size:           1
        .value_kind:     by_value
      - .offset:         57
        .size:           1
        .value_kind:     by_value
    .group_segment_fixed_size: 1768
    .kernarg_segment_align: 8
    .kernarg_segment_size: 60
    .language:       OpenCL C
    .language_version:
      - 2
      - 0
    .max_flat_workgroup_size: 64
    .name:           _ZN9rocsolver6v33100L18getri_kernel_smallILi23E19rocblas_complex_numIdEPS3_EEvT1_iilPiilS6_bb
    .private_segment_fixed_size: 384
    .sgpr_count:     47
    .sgpr_spill_count: 0
    .symbol:         _ZN9rocsolver6v33100L18getri_kernel_smallILi23E19rocblas_complex_numIdEPS3_EEvT1_iilPiilS6_bb.kd
    .uniform_work_group_size: 1
    .uses_dynamic_stack: false
    .vgpr_count:     254
    .vgpr_spill_count: 0
    .wavefront_size: 64
  - .agpr_count:     0
    .args:
      - .address_space:  global
        .offset:         0
        .size:           8
        .value_kind:     global_buffer
      - .offset:         8
        .size:           4
        .value_kind:     by_value
      - .offset:         12
        .size:           4
        .value_kind:     by_value
      - .offset:         16
        .size:           8
        .value_kind:     by_value
      - .address_space:  global
        .offset:         24
        .size:           8
        .value_kind:     global_buffer
      - .offset:         32
        .size:           4
        .value_kind:     by_value
      - .offset:         40
        .size:           8
        .value_kind:     by_value
      - .address_space:  global
        .offset:         48
        .size:           8
        .value_kind:     global_buffer
      - .offset:         56
        .size:           1
        .value_kind:     by_value
      - .offset:         57
        .size:           1
        .value_kind:     by_value
    .group_segment_fixed_size: 1800
    .kernarg_segment_align: 8
    .kernarg_segment_size: 60
    .language:       OpenCL C
    .language_version:
      - 2
      - 0
    .max_flat_workgroup_size: 64
    .name:           _ZN9rocsolver6v33100L18getri_kernel_smallILi24E19rocblas_complex_numIdEPS3_EEvT1_iilPiilS6_bb
    .private_segment_fixed_size: 400
    .sgpr_count:     48
    .sgpr_spill_count: 0
    .symbol:         _ZN9rocsolver6v33100L18getri_kernel_smallILi24E19rocblas_complex_numIdEPS3_EEvT1_iilPiilS6_bb.kd
    .uniform_work_group_size: 1
    .uses_dynamic_stack: false
    .vgpr_count:     248
    .vgpr_spill_count: 0
    .wavefront_size: 64
  - .agpr_count:     0
    .args:
      - .address_space:  global
        .offset:         0
        .size:           8
        .value_kind:     global_buffer
      - .offset:         8
        .size:           4
        .value_kind:     by_value
      - .offset:         12
        .size:           4
        .value_kind:     by_value
      - .offset:         16
        .size:           8
        .value_kind:     by_value
      - .address_space:  global
        .offset:         24
        .size:           8
        .value_kind:     global_buffer
      - .offset:         32
        .size:           4
        .value_kind:     by_value
      - .offset:         40
        .size:           8
        .value_kind:     by_value
      - .address_space:  global
        .offset:         48
        .size:           8
        .value_kind:     global_buffer
      - .offset:         56
        .size:           1
        .value_kind:     by_value
      - .offset:         57
        .size:           1
        .value_kind:     by_value
    .group_segment_fixed_size: 1832
    .kernarg_segment_align: 8
    .kernarg_segment_size: 60
    .language:       OpenCL C
    .language_version:
      - 2
      - 0
    .max_flat_workgroup_size: 64
    .name:           _ZN9rocsolver6v33100L18getri_kernel_smallILi25E19rocblas_complex_numIdEPS3_EEvT1_iilPiilS6_bb
    .private_segment_fixed_size: 416
    .sgpr_count:     49
    .sgpr_spill_count: 0
    .symbol:         _ZN9rocsolver6v33100L18getri_kernel_smallILi25E19rocblas_complex_numIdEPS3_EEvT1_iilPiilS6_bb.kd
    .uniform_work_group_size: 1
    .uses_dynamic_stack: false
    .vgpr_count:     250
    .vgpr_spill_count: 0
    .wavefront_size: 64
  - .agpr_count:     4
    .args:
      - .address_space:  global
        .offset:         0
        .size:           8
        .value_kind:     global_buffer
      - .offset:         8
        .size:           4
        .value_kind:     by_value
      - .offset:         12
        .size:           4
        .value_kind:     by_value
      - .offset:         16
        .size:           8
        .value_kind:     by_value
      - .address_space:  global
        .offset:         24
        .size:           8
        .value_kind:     global_buffer
      - .offset:         32
        .size:           4
        .value_kind:     by_value
      - .offset:         40
        .size:           8
        .value_kind:     by_value
      - .address_space:  global
        .offset:         48
        .size:           8
        .value_kind:     global_buffer
      - .offset:         56
        .size:           1
        .value_kind:     by_value
      - .offset:         57
        .size:           1
        .value_kind:     by_value
    .group_segment_fixed_size: 1864
    .kernarg_segment_align: 8
    .kernarg_segment_size: 60
    .language:       OpenCL C
    .language_version:
      - 2
      - 0
    .max_flat_workgroup_size: 64
    .name:           _ZN9rocsolver6v33100L18getri_kernel_smallILi26E19rocblas_complex_numIdEPS3_EEvT1_iilPiilS6_bb
    .private_segment_fixed_size: 432
    .sgpr_count:     50
    .sgpr_spill_count: 0
    .symbol:         _ZN9rocsolver6v33100L18getri_kernel_smallILi26E19rocblas_complex_numIdEPS3_EEvT1_iilPiilS6_bb.kd
    .uniform_work_group_size: 1
    .uses_dynamic_stack: false
    .vgpr_count:     260
    .vgpr_spill_count: 0
    .wavefront_size: 64
  - .agpr_count:     12
    .args:
      - .address_space:  global
        .offset:         0
        .size:           8
        .value_kind:     global_buffer
      - .offset:         8
        .size:           4
        .value_kind:     by_value
      - .offset:         12
        .size:           4
        .value_kind:     by_value
      - .offset:         16
        .size:           8
        .value_kind:     by_value
      - .address_space:  global
        .offset:         24
        .size:           8
        .value_kind:     global_buffer
      - .offset:         32
        .size:           4
        .value_kind:     by_value
      - .offset:         40
        .size:           8
        .value_kind:     by_value
      - .address_space:  global
        .offset:         48
        .size:           8
        .value_kind:     global_buffer
      - .offset:         56
        .size:           1
        .value_kind:     by_value
      - .offset:         57
        .size:           1
        .value_kind:     by_value
    .group_segment_fixed_size: 1896
    .kernarg_segment_align: 8
    .kernarg_segment_size: 60
    .language:       OpenCL C
    .language_version:
      - 2
      - 0
    .max_flat_workgroup_size: 64
    .name:           _ZN9rocsolver6v33100L18getri_kernel_smallILi27E19rocblas_complex_numIdEPS3_EEvT1_iilPiilS6_bb
    .private_segment_fixed_size: 448
    .sgpr_count:     51
    .sgpr_spill_count: 0
    .symbol:         _ZN9rocsolver6v33100L18getri_kernel_smallILi27E19rocblas_complex_numIdEPS3_EEvT1_iilPiilS6_bb.kd
    .uniform_work_group_size: 1
    .uses_dynamic_stack: false
    .vgpr_count:     268
    .vgpr_spill_count: 0
    .wavefront_size: 64
  - .agpr_count:     24
    .args:
      - .address_space:  global
        .offset:         0
        .size:           8
        .value_kind:     global_buffer
      - .offset:         8
        .size:           4
        .value_kind:     by_value
      - .offset:         12
        .size:           4
        .value_kind:     by_value
      - .offset:         16
        .size:           8
        .value_kind:     by_value
      - .address_space:  global
        .offset:         24
        .size:           8
        .value_kind:     global_buffer
      - .offset:         32
        .size:           4
        .value_kind:     by_value
      - .offset:         40
        .size:           8
        .value_kind:     by_value
      - .address_space:  global
        .offset:         48
        .size:           8
        .value_kind:     global_buffer
      - .offset:         56
        .size:           1
        .value_kind:     by_value
      - .offset:         57
        .size:           1
        .value_kind:     by_value
    .group_segment_fixed_size: 1928
    .kernarg_segment_align: 8
    .kernarg_segment_size: 60
    .language:       OpenCL C
    .language_version:
      - 2
      - 0
    .max_flat_workgroup_size: 64
    .name:           _ZN9rocsolver6v33100L18getri_kernel_smallILi28E19rocblas_complex_numIdEPS3_EEvT1_iilPiilS6_bb
    .private_segment_fixed_size: 464
    .sgpr_count:     52
    .sgpr_spill_count: 0
    .symbol:         _ZN9rocsolver6v33100L18getri_kernel_smallILi28E19rocblas_complex_numIdEPS3_EEvT1_iilPiilS6_bb.kd
    .uniform_work_group_size: 1
    .uses_dynamic_stack: false
    .vgpr_count:     280
    .vgpr_spill_count: 0
    .wavefront_size: 64
  - .agpr_count:     32
    .args:
      - .address_space:  global
        .offset:         0
        .size:           8
        .value_kind:     global_buffer
      - .offset:         8
        .size:           4
        .value_kind:     by_value
      - .offset:         12
        .size:           4
        .value_kind:     by_value
      - .offset:         16
        .size:           8
        .value_kind:     by_value
      - .address_space:  global
        .offset:         24
        .size:           8
        .value_kind:     global_buffer
      - .offset:         32
        .size:           4
        .value_kind:     by_value
      - .offset:         40
        .size:           8
        .value_kind:     by_value
      - .address_space:  global
        .offset:         48
        .size:           8
        .value_kind:     global_buffer
      - .offset:         56
        .size:           1
        .value_kind:     by_value
      - .offset:         57
        .size:           1
        .value_kind:     by_value
    .group_segment_fixed_size: 1960
    .kernarg_segment_align: 8
    .kernarg_segment_size: 60
    .language:       OpenCL C
    .language_version:
      - 2
      - 0
    .max_flat_workgroup_size: 64
    .name:           _ZN9rocsolver6v33100L18getri_kernel_smallILi29E19rocblas_complex_numIdEPS3_EEvT1_iilPiilS6_bb
    .private_segment_fixed_size: 480
    .sgpr_count:     53
    .sgpr_spill_count: 0
    .symbol:         _ZN9rocsolver6v33100L18getri_kernel_smallILi29E19rocblas_complex_numIdEPS3_EEvT1_iilPiilS6_bb.kd
    .uniform_work_group_size: 1
    .uses_dynamic_stack: false
    .vgpr_count:     288
    .vgpr_spill_count: 0
    .wavefront_size: 64
  - .agpr_count:     44
    .args:
      - .address_space:  global
        .offset:         0
        .size:           8
        .value_kind:     global_buffer
      - .offset:         8
        .size:           4
        .value_kind:     by_value
      - .offset:         12
        .size:           4
        .value_kind:     by_value
      - .offset:         16
        .size:           8
        .value_kind:     by_value
      - .address_space:  global
        .offset:         24
        .size:           8
        .value_kind:     global_buffer
      - .offset:         32
        .size:           4
        .value_kind:     by_value
      - .offset:         40
        .size:           8
        .value_kind:     by_value
      - .address_space:  global
        .offset:         48
        .size:           8
        .value_kind:     global_buffer
      - .offset:         56
        .size:           1
        .value_kind:     by_value
      - .offset:         57
        .size:           1
        .value_kind:     by_value
    .group_segment_fixed_size: 1992
    .kernarg_segment_align: 8
    .kernarg_segment_size: 60
    .language:       OpenCL C
    .language_version:
      - 2
      - 0
    .max_flat_workgroup_size: 64
    .name:           _ZN9rocsolver6v33100L18getri_kernel_smallILi30E19rocblas_complex_numIdEPS3_EEvT1_iilPiilS6_bb
    .private_segment_fixed_size: 496
    .sgpr_count:     54
    .sgpr_spill_count: 0
    .symbol:         _ZN9rocsolver6v33100L18getri_kernel_smallILi30E19rocblas_complex_numIdEPS3_EEvT1_iilPiilS6_bb.kd
    .uniform_work_group_size: 1
    .uses_dynamic_stack: false
    .vgpr_count:     300
    .vgpr_spill_count: 0
    .wavefront_size: 64
  - .agpr_count:     52
    .args:
      - .address_space:  global
        .offset:         0
        .size:           8
        .value_kind:     global_buffer
      - .offset:         8
        .size:           4
        .value_kind:     by_value
      - .offset:         12
        .size:           4
        .value_kind:     by_value
      - .offset:         16
        .size:           8
        .value_kind:     by_value
      - .address_space:  global
        .offset:         24
        .size:           8
        .value_kind:     global_buffer
      - .offset:         32
        .size:           4
        .value_kind:     by_value
      - .offset:         40
        .size:           8
        .value_kind:     by_value
      - .address_space:  global
        .offset:         48
        .size:           8
        .value_kind:     global_buffer
      - .offset:         56
        .size:           1
        .value_kind:     by_value
      - .offset:         57
        .size:           1
        .value_kind:     by_value
    .group_segment_fixed_size: 2024
    .kernarg_segment_align: 8
    .kernarg_segment_size: 60
    .language:       OpenCL C
    .language_version:
      - 2
      - 0
    .max_flat_workgroup_size: 64
    .name:           _ZN9rocsolver6v33100L18getri_kernel_smallILi31E19rocblas_complex_numIdEPS3_EEvT1_iilPiilS6_bb
    .private_segment_fixed_size: 512
    .sgpr_count:     55
    .sgpr_spill_count: 0
    .symbol:         _ZN9rocsolver6v33100L18getri_kernel_smallILi31E19rocblas_complex_numIdEPS3_EEvT1_iilPiilS6_bb.kd
    .uniform_work_group_size: 1
    .uses_dynamic_stack: false
    .vgpr_count:     308
    .vgpr_spill_count: 0
    .wavefront_size: 64
  - .agpr_count:     56
    .args:
      - .address_space:  global
        .offset:         0
        .size:           8
        .value_kind:     global_buffer
      - .offset:         8
        .size:           4
        .value_kind:     by_value
      - .offset:         12
        .size:           4
        .value_kind:     by_value
      - .offset:         16
        .size:           8
        .value_kind:     by_value
      - .address_space:  global
        .offset:         24
        .size:           8
        .value_kind:     global_buffer
      - .offset:         32
        .size:           4
        .value_kind:     by_value
      - .offset:         40
        .size:           8
        .value_kind:     by_value
      - .address_space:  global
        .offset:         48
        .size:           8
        .value_kind:     global_buffer
      - .offset:         56
        .size:           1
        .value_kind:     by_value
      - .offset:         57
        .size:           1
        .value_kind:     by_value
    .group_segment_fixed_size: 2056
    .kernarg_segment_align: 8
    .kernarg_segment_size: 60
    .language:       OpenCL C
    .language_version:
      - 2
      - 0
    .max_flat_workgroup_size: 64
    .name:           _ZN9rocsolver6v33100L18getri_kernel_smallILi32E19rocblas_complex_numIdEPS3_EEvT1_iilPiilS6_bb
    .private_segment_fixed_size: 528
    .sgpr_count:     56
    .sgpr_spill_count: 0
    .symbol:         _ZN9rocsolver6v33100L18getri_kernel_smallILi32E19rocblas_complex_numIdEPS3_EEvT1_iilPiilS6_bb.kd
    .uniform_work_group_size: 1
    .uses_dynamic_stack: false
    .vgpr_count:     312
    .vgpr_spill_count: 0
    .wavefront_size: 64
  - .agpr_count:     58
    .args:
      - .address_space:  global
        .offset:         0
        .size:           8
        .value_kind:     global_buffer
      - .offset:         8
        .size:           4
        .value_kind:     by_value
      - .offset:         12
        .size:           4
        .value_kind:     by_value
      - .offset:         16
        .size:           8
        .value_kind:     by_value
      - .address_space:  global
        .offset:         24
        .size:           8
        .value_kind:     global_buffer
      - .offset:         32
        .size:           4
        .value_kind:     by_value
      - .offset:         40
        .size:           8
        .value_kind:     by_value
      - .address_space:  global
        .offset:         48
        .size:           8
        .value_kind:     global_buffer
      - .offset:         56
        .size:           1
        .value_kind:     by_value
      - .offset:         57
        .size:           1
        .value_kind:     by_value
    .group_segment_fixed_size: 1064
    .kernarg_segment_align: 8
    .kernarg_segment_size: 60
    .language:       OpenCL C
    .language_version:
      - 2
      - 0
    .max_flat_workgroup_size: 64
    .name:           _ZN9rocsolver6v33100L18getri_kernel_smallILi33E19rocblas_complex_numIdEPS3_EEvT1_iilPiilS6_bb
    .private_segment_fixed_size: 560
    .sgpr_count:     55
    .sgpr_spill_count: 0
    .symbol:         _ZN9rocsolver6v33100L18getri_kernel_smallILi33E19rocblas_complex_numIdEPS3_EEvT1_iilPiilS6_bb.kd
    .uniform_work_group_size: 1
    .uses_dynamic_stack: false
    .vgpr_count:     314
    .vgpr_spill_count: 0
    .wavefront_size: 64
  - .agpr_count:     60
    .args:
      - .address_space:  global
        .offset:         0
        .size:           8
        .value_kind:     global_buffer
      - .offset:         8
        .size:           4
        .value_kind:     by_value
      - .offset:         12
        .size:           4
        .value_kind:     by_value
      - .offset:         16
        .size:           8
        .value_kind:     by_value
      - .address_space:  global
        .offset:         24
        .size:           8
        .value_kind:     global_buffer
      - .offset:         32
        .size:           4
        .value_kind:     by_value
      - .offset:         40
        .size:           8
        .value_kind:     by_value
      - .address_space:  global
        .offset:         48
        .size:           8
        .value_kind:     global_buffer
      - .offset:         56
        .size:           1
        .value_kind:     by_value
      - .offset:         57
        .size:           1
        .value_kind:     by_value
    .group_segment_fixed_size: 1096
    .kernarg_segment_align: 8
    .kernarg_segment_size: 60
    .language:       OpenCL C
    .language_version:
      - 2
      - 0
    .max_flat_workgroup_size: 64
    .name:           _ZN9rocsolver6v33100L18getri_kernel_smallILi34E19rocblas_complex_numIdEPS3_EEvT1_iilPiilS6_bb
    .private_segment_fixed_size: 576
    .sgpr_count:     56
    .sgpr_spill_count: 0
    .symbol:         _ZN9rocsolver6v33100L18getri_kernel_smallILi34E19rocblas_complex_numIdEPS3_EEvT1_iilPiilS6_bb.kd
    .uniform_work_group_size: 1
    .uses_dynamic_stack: false
    .vgpr_count:     316
    .vgpr_spill_count: 0
    .wavefront_size: 64
  - .agpr_count:     62
    .args:
      - .address_space:  global
        .offset:         0
        .size:           8
        .value_kind:     global_buffer
      - .offset:         8
        .size:           4
        .value_kind:     by_value
      - .offset:         12
        .size:           4
        .value_kind:     by_value
      - .offset:         16
        .size:           8
        .value_kind:     by_value
      - .address_space:  global
        .offset:         24
        .size:           8
        .value_kind:     global_buffer
      - .offset:         32
        .size:           4
        .value_kind:     by_value
      - .offset:         40
        .size:           8
        .value_kind:     by_value
      - .address_space:  global
        .offset:         48
        .size:           8
        .value_kind:     global_buffer
      - .offset:         56
        .size:           1
        .value_kind:     by_value
      - .offset:         57
        .size:           1
        .value_kind:     by_value
    .group_segment_fixed_size: 1128
    .kernarg_segment_align: 8
    .kernarg_segment_size: 60
    .language:       OpenCL C
    .language_version:
      - 2
      - 0
    .max_flat_workgroup_size: 64
    .name:           _ZN9rocsolver6v33100L18getri_kernel_smallILi35E19rocblas_complex_numIdEPS3_EEvT1_iilPiilS6_bb
    .private_segment_fixed_size: 592
    .sgpr_count:     57
    .sgpr_spill_count: 0
    .symbol:         _ZN9rocsolver6v33100L18getri_kernel_smallILi35E19rocblas_complex_numIdEPS3_EEvT1_iilPiilS6_bb.kd
    .uniform_work_group_size: 1
    .uses_dynamic_stack: false
    .vgpr_count:     318
    .vgpr_spill_count: 0
    .wavefront_size: 64
  - .agpr_count:     70
    .args:
      - .address_space:  global
        .offset:         0
        .size:           8
        .value_kind:     global_buffer
      - .offset:         8
        .size:           4
        .value_kind:     by_value
      - .offset:         12
        .size:           4
        .value_kind:     by_value
      - .offset:         16
        .size:           8
        .value_kind:     by_value
      - .address_space:  global
        .offset:         24
        .size:           8
        .value_kind:     global_buffer
      - .offset:         32
        .size:           4
        .value_kind:     by_value
      - .offset:         40
        .size:           8
        .value_kind:     by_value
      - .address_space:  global
        .offset:         48
        .size:           8
        .value_kind:     global_buffer
      - .offset:         56
        .size:           1
        .value_kind:     by_value
      - .offset:         57
        .size:           1
        .value_kind:     by_value
    .group_segment_fixed_size: 1160
    .kernarg_segment_align: 8
    .kernarg_segment_size: 60
    .language:       OpenCL C
    .language_version:
      - 2
      - 0
    .max_flat_workgroup_size: 64
    .name:           _ZN9rocsolver6v33100L18getri_kernel_smallILi36E19rocblas_complex_numIdEPS3_EEvT1_iilPiilS6_bb
    .private_segment_fixed_size: 608
    .sgpr_count:     58
    .sgpr_spill_count: 0
    .symbol:         _ZN9rocsolver6v33100L18getri_kernel_smallILi36E19rocblas_complex_numIdEPS3_EEvT1_iilPiilS6_bb.kd
    .uniform_work_group_size: 1
    .uses_dynamic_stack: false
    .vgpr_count:     326
    .vgpr_spill_count: 0
    .wavefront_size: 64
  - .agpr_count:     70
    .args:
      - .address_space:  global
        .offset:         0
        .size:           8
        .value_kind:     global_buffer
      - .offset:         8
        .size:           4
        .value_kind:     by_value
      - .offset:         12
        .size:           4
        .value_kind:     by_value
      - .offset:         16
        .size:           8
        .value_kind:     by_value
      - .address_space:  global
        .offset:         24
        .size:           8
        .value_kind:     global_buffer
      - .offset:         32
        .size:           4
        .value_kind:     by_value
      - .offset:         40
        .size:           8
        .value_kind:     by_value
      - .address_space:  global
        .offset:         48
        .size:           8
        .value_kind:     global_buffer
      - .offset:         56
        .size:           1
        .value_kind:     by_value
      - .offset:         57
        .size:           1
        .value_kind:     by_value
    .group_segment_fixed_size: 1192
    .kernarg_segment_align: 8
    .kernarg_segment_size: 60
    .language:       OpenCL C
    .language_version:
      - 2
      - 0
    .max_flat_workgroup_size: 64
    .name:           _ZN9rocsolver6v33100L18getri_kernel_smallILi37E19rocblas_complex_numIdEPS3_EEvT1_iilPiilS6_bb
    .private_segment_fixed_size: 624
    .sgpr_count:     59
    .sgpr_spill_count: 0
    .symbol:         _ZN9rocsolver6v33100L18getri_kernel_smallILi37E19rocblas_complex_numIdEPS3_EEvT1_iilPiilS6_bb.kd
    .uniform_work_group_size: 1
    .uses_dynamic_stack: false
    .vgpr_count:     326
    .vgpr_spill_count: 0
    .wavefront_size: 64
  - .agpr_count:     80
    .args:
      - .address_space:  global
        .offset:         0
        .size:           8
        .value_kind:     global_buffer
      - .offset:         8
        .size:           4
        .value_kind:     by_value
      - .offset:         12
        .size:           4
        .value_kind:     by_value
      - .offset:         16
        .size:           8
        .value_kind:     by_value
      - .address_space:  global
        .offset:         24
        .size:           8
        .value_kind:     global_buffer
      - .offset:         32
        .size:           4
        .value_kind:     by_value
      - .offset:         40
        .size:           8
        .value_kind:     by_value
      - .address_space:  global
        .offset:         48
        .size:           8
        .value_kind:     global_buffer
      - .offset:         56
        .size:           1
        .value_kind:     by_value
      - .offset:         57
        .size:           1
        .value_kind:     by_value
    .group_segment_fixed_size: 1224
    .kernarg_segment_align: 8
    .kernarg_segment_size: 60
    .language:       OpenCL C
    .language_version:
      - 2
      - 0
    .max_flat_workgroup_size: 64
    .name:           _ZN9rocsolver6v33100L18getri_kernel_smallILi38E19rocblas_complex_numIdEPS3_EEvT1_iilPiilS6_bb
    .private_segment_fixed_size: 640
    .sgpr_count:     60
    .sgpr_spill_count: 0
    .symbol:         _ZN9rocsolver6v33100L18getri_kernel_smallILi38E19rocblas_complex_numIdEPS3_EEvT1_iilPiilS6_bb.kd
    .uniform_work_group_size: 1
    .uses_dynamic_stack: false
    .vgpr_count:     336
    .vgpr_spill_count: 0
    .wavefront_size: 64
  - .agpr_count:     78
    .args:
      - .address_space:  global
        .offset:         0
        .size:           8
        .value_kind:     global_buffer
      - .offset:         8
        .size:           4
        .value_kind:     by_value
      - .offset:         12
        .size:           4
        .value_kind:     by_value
      - .offset:         16
        .size:           8
        .value_kind:     by_value
      - .address_space:  global
        .offset:         24
        .size:           8
        .value_kind:     global_buffer
      - .offset:         32
        .size:           4
        .value_kind:     by_value
      - .offset:         40
        .size:           8
        .value_kind:     by_value
      - .address_space:  global
        .offset:         48
        .size:           8
        .value_kind:     global_buffer
      - .offset:         56
        .size:           1
        .value_kind:     by_value
      - .offset:         57
        .size:           1
        .value_kind:     by_value
    .group_segment_fixed_size: 1256
    .kernarg_segment_align: 8
    .kernarg_segment_size: 60
    .language:       OpenCL C
    .language_version:
      - 2
      - 0
    .max_flat_workgroup_size: 64
    .name:           _ZN9rocsolver6v33100L18getri_kernel_smallILi39E19rocblas_complex_numIdEPS3_EEvT1_iilPiilS6_bb
    .private_segment_fixed_size: 656
    .sgpr_count:     61
    .sgpr_spill_count: 0
    .symbol:         _ZN9rocsolver6v33100L18getri_kernel_smallILi39E19rocblas_complex_numIdEPS3_EEvT1_iilPiilS6_bb.kd
    .uniform_work_group_size: 1
    .uses_dynamic_stack: false
    .vgpr_count:     334
    .vgpr_spill_count: 0
    .wavefront_size: 64
  - .agpr_count:     88
    .args:
      - .address_space:  global
        .offset:         0
        .size:           8
        .value_kind:     global_buffer
      - .offset:         8
        .size:           4
        .value_kind:     by_value
      - .offset:         12
        .size:           4
        .value_kind:     by_value
      - .offset:         16
        .size:           8
        .value_kind:     by_value
      - .address_space:  global
        .offset:         24
        .size:           8
        .value_kind:     global_buffer
      - .offset:         32
        .size:           4
        .value_kind:     by_value
      - .offset:         40
        .size:           8
        .value_kind:     by_value
      - .address_space:  global
        .offset:         48
        .size:           8
        .value_kind:     global_buffer
      - .offset:         56
        .size:           1
        .value_kind:     by_value
      - .offset:         57
        .size:           1
        .value_kind:     by_value
    .group_segment_fixed_size: 1288
    .kernarg_segment_align: 8
    .kernarg_segment_size: 60
    .language:       OpenCL C
    .language_version:
      - 2
      - 0
    .max_flat_workgroup_size: 64
    .name:           _ZN9rocsolver6v33100L18getri_kernel_smallILi40E19rocblas_complex_numIdEPS3_EEvT1_iilPiilS6_bb
    .private_segment_fixed_size: 672
    .sgpr_count:     62
    .sgpr_spill_count: 0
    .symbol:         _ZN9rocsolver6v33100L18getri_kernel_smallILi40E19rocblas_complex_numIdEPS3_EEvT1_iilPiilS6_bb.kd
    .uniform_work_group_size: 1
    .uses_dynamic_stack: false
    .vgpr_count:     344
    .vgpr_spill_count: 0
    .wavefront_size: 64
  - .agpr_count:     86
    .args:
      - .address_space:  global
        .offset:         0
        .size:           8
        .value_kind:     global_buffer
      - .offset:         8
        .size:           4
        .value_kind:     by_value
      - .offset:         12
        .size:           4
        .value_kind:     by_value
      - .offset:         16
        .size:           8
        .value_kind:     by_value
      - .address_space:  global
        .offset:         24
        .size:           8
        .value_kind:     global_buffer
      - .offset:         32
        .size:           4
        .value_kind:     by_value
      - .offset:         40
        .size:           8
        .value_kind:     by_value
      - .address_space:  global
        .offset:         48
        .size:           8
        .value_kind:     global_buffer
      - .offset:         56
        .size:           1
        .value_kind:     by_value
      - .offset:         57
        .size:           1
        .value_kind:     by_value
    .group_segment_fixed_size: 1320
    .kernarg_segment_align: 8
    .kernarg_segment_size: 60
    .language:       OpenCL C
    .language_version:
      - 2
      - 0
    .max_flat_workgroup_size: 64
    .name:           _ZN9rocsolver6v33100L18getri_kernel_smallILi41E19rocblas_complex_numIdEPS3_EEvT1_iilPiilS6_bb
    .private_segment_fixed_size: 688
    .sgpr_count:     63
    .sgpr_spill_count: 0
    .symbol:         _ZN9rocsolver6v33100L18getri_kernel_smallILi41E19rocblas_complex_numIdEPS3_EEvT1_iilPiilS6_bb.kd
    .uniform_work_group_size: 1
    .uses_dynamic_stack: false
    .vgpr_count:     342
    .vgpr_spill_count: 0
    .wavefront_size: 64
  - .agpr_count:     96
    .args:
      - .address_space:  global
        .offset:         0
        .size:           8
        .value_kind:     global_buffer
      - .offset:         8
        .size:           4
        .value_kind:     by_value
      - .offset:         12
        .size:           4
        .value_kind:     by_value
      - .offset:         16
        .size:           8
        .value_kind:     by_value
      - .address_space:  global
        .offset:         24
        .size:           8
        .value_kind:     global_buffer
      - .offset:         32
        .size:           4
        .value_kind:     by_value
      - .offset:         40
        .size:           8
        .value_kind:     by_value
      - .address_space:  global
        .offset:         48
        .size:           8
        .value_kind:     global_buffer
      - .offset:         56
        .size:           1
        .value_kind:     by_value
      - .offset:         57
        .size:           1
        .value_kind:     by_value
    .group_segment_fixed_size: 1352
    .kernarg_segment_align: 8
    .kernarg_segment_size: 60
    .language:       OpenCL C
    .language_version:
      - 2
      - 0
    .max_flat_workgroup_size: 64
    .name:           _ZN9rocsolver6v33100L18getri_kernel_smallILi42E19rocblas_complex_numIdEPS3_EEvT1_iilPiilS6_bb
    .private_segment_fixed_size: 704
    .sgpr_count:     64
    .sgpr_spill_count: 0
    .symbol:         _ZN9rocsolver6v33100L18getri_kernel_smallILi42E19rocblas_complex_numIdEPS3_EEvT1_iilPiilS6_bb.kd
    .uniform_work_group_size: 1
    .uses_dynamic_stack: false
    .vgpr_count:     352
    .vgpr_spill_count: 0
    .wavefront_size: 64
  - .agpr_count:     96
    .args:
      - .address_space:  global
        .offset:         0
        .size:           8
        .value_kind:     global_buffer
      - .offset:         8
        .size:           4
        .value_kind:     by_value
      - .offset:         12
        .size:           4
        .value_kind:     by_value
      - .offset:         16
        .size:           8
        .value_kind:     by_value
      - .address_space:  global
        .offset:         24
        .size:           8
        .value_kind:     global_buffer
      - .offset:         32
        .size:           4
        .value_kind:     by_value
      - .offset:         40
        .size:           8
        .value_kind:     by_value
      - .address_space:  global
        .offset:         48
        .size:           8
        .value_kind:     global_buffer
      - .offset:         56
        .size:           1
        .value_kind:     by_value
      - .offset:         57
        .size:           1
        .value_kind:     by_value
    .group_segment_fixed_size: 1384
    .kernarg_segment_align: 8
    .kernarg_segment_size: 60
    .language:       OpenCL C
    .language_version:
      - 2
      - 0
    .max_flat_workgroup_size: 64
    .name:           _ZN9rocsolver6v33100L18getri_kernel_smallILi43E19rocblas_complex_numIdEPS3_EEvT1_iilPiilS6_bb
    .private_segment_fixed_size: 720
    .sgpr_count:     65
    .sgpr_spill_count: 0
    .symbol:         _ZN9rocsolver6v33100L18getri_kernel_smallILi43E19rocblas_complex_numIdEPS3_EEvT1_iilPiilS6_bb.kd
    .uniform_work_group_size: 1
    .uses_dynamic_stack: false
    .vgpr_count:     352
    .vgpr_spill_count: 0
    .wavefront_size: 64
  - .agpr_count:     102
    .args:
      - .address_space:  global
        .offset:         0
        .size:           8
        .value_kind:     global_buffer
      - .offset:         8
        .size:           4
        .value_kind:     by_value
      - .offset:         12
        .size:           4
        .value_kind:     by_value
      - .offset:         16
        .size:           8
        .value_kind:     by_value
      - .address_space:  global
        .offset:         24
        .size:           8
        .value_kind:     global_buffer
      - .offset:         32
        .size:           4
        .value_kind:     by_value
      - .offset:         40
        .size:           8
        .value_kind:     by_value
      - .address_space:  global
        .offset:         48
        .size:           8
        .value_kind:     global_buffer
      - .offset:         56
        .size:           1
        .value_kind:     by_value
      - .offset:         57
        .size:           1
        .value_kind:     by_value
    .group_segment_fixed_size: 1416
    .kernarg_segment_align: 8
    .kernarg_segment_size: 60
    .language:       OpenCL C
    .language_version:
      - 2
      - 0
    .max_flat_workgroup_size: 64
    .name:           _ZN9rocsolver6v33100L18getri_kernel_smallILi44E19rocblas_complex_numIdEPS3_EEvT1_iilPiilS6_bb
    .private_segment_fixed_size: 736
    .sgpr_count:     66
    .sgpr_spill_count: 0
    .symbol:         _ZN9rocsolver6v33100L18getri_kernel_smallILi44E19rocblas_complex_numIdEPS3_EEvT1_iilPiilS6_bb.kd
    .uniform_work_group_size: 1
    .uses_dynamic_stack: false
    .vgpr_count:     358
    .vgpr_spill_count: 0
    .wavefront_size: 64
  - .agpr_count:     100
    .args:
      - .address_space:  global
        .offset:         0
        .size:           8
        .value_kind:     global_buffer
      - .offset:         8
        .size:           4
        .value_kind:     by_value
      - .offset:         12
        .size:           4
        .value_kind:     by_value
      - .offset:         16
        .size:           8
        .value_kind:     by_value
      - .address_space:  global
        .offset:         24
        .size:           8
        .value_kind:     global_buffer
      - .offset:         32
        .size:           4
        .value_kind:     by_value
      - .offset:         40
        .size:           8
        .value_kind:     by_value
      - .address_space:  global
        .offset:         48
        .size:           8
        .value_kind:     global_buffer
      - .offset:         56
        .size:           1
        .value_kind:     by_value
      - .offset:         57
        .size:           1
        .value_kind:     by_value
    .group_segment_fixed_size: 1448
    .kernarg_segment_align: 8
    .kernarg_segment_size: 60
    .language:       OpenCL C
    .language_version:
      - 2
      - 0
    .max_flat_workgroup_size: 64
    .name:           _ZN9rocsolver6v33100L18getri_kernel_smallILi45E19rocblas_complex_numIdEPS3_EEvT1_iilPiilS6_bb
    .private_segment_fixed_size: 752
    .sgpr_count:     67
    .sgpr_spill_count: 0
    .symbol:         _ZN9rocsolver6v33100L18getri_kernel_smallILi45E19rocblas_complex_numIdEPS3_EEvT1_iilPiilS6_bb.kd
    .uniform_work_group_size: 1
    .uses_dynamic_stack: false
    .vgpr_count:     356
    .vgpr_spill_count: 0
    .wavefront_size: 64
  - .agpr_count:     112
    .args:
      - .address_space:  global
        .offset:         0
        .size:           8
        .value_kind:     global_buffer
      - .offset:         8
        .size:           4
        .value_kind:     by_value
      - .offset:         12
        .size:           4
        .value_kind:     by_value
      - .offset:         16
        .size:           8
        .value_kind:     by_value
      - .address_space:  global
        .offset:         24
        .size:           8
        .value_kind:     global_buffer
      - .offset:         32
        .size:           4
        .value_kind:     by_value
      - .offset:         40
        .size:           8
        .value_kind:     by_value
      - .address_space:  global
        .offset:         48
        .size:           8
        .value_kind:     global_buffer
      - .offset:         56
        .size:           1
        .value_kind:     by_value
      - .offset:         57
        .size:           1
        .value_kind:     by_value
    .group_segment_fixed_size: 1480
    .kernarg_segment_align: 8
    .kernarg_segment_size: 60
    .language:       OpenCL C
    .language_version:
      - 2
      - 0
    .max_flat_workgroup_size: 64
    .name:           _ZN9rocsolver6v33100L18getri_kernel_smallILi46E19rocblas_complex_numIdEPS3_EEvT1_iilPiilS6_bb
    .private_segment_fixed_size: 768
    .sgpr_count:     68
    .sgpr_spill_count: 0
    .symbol:         _ZN9rocsolver6v33100L18getri_kernel_smallILi46E19rocblas_complex_numIdEPS3_EEvT1_iilPiilS6_bb.kd
    .uniform_work_group_size: 1
    .uses_dynamic_stack: false
    .vgpr_count:     368
    .vgpr_spill_count: 0
    .wavefront_size: 64
  - .agpr_count:     108
    .args:
      - .address_space:  global
        .offset:         0
        .size:           8
        .value_kind:     global_buffer
      - .offset:         8
        .size:           4
        .value_kind:     by_value
      - .offset:         12
        .size:           4
        .value_kind:     by_value
      - .offset:         16
        .size:           8
        .value_kind:     by_value
      - .address_space:  global
        .offset:         24
        .size:           8
        .value_kind:     global_buffer
      - .offset:         32
        .size:           4
        .value_kind:     by_value
      - .offset:         40
        .size:           8
        .value_kind:     by_value
      - .address_space:  global
        .offset:         48
        .size:           8
        .value_kind:     global_buffer
      - .offset:         56
        .size:           1
        .value_kind:     by_value
      - .offset:         57
        .size:           1
        .value_kind:     by_value
    .group_segment_fixed_size: 1512
    .kernarg_segment_align: 8
    .kernarg_segment_size: 60
    .language:       OpenCL C
    .language_version:
      - 2
      - 0
    .max_flat_workgroup_size: 64
    .name:           _ZN9rocsolver6v33100L18getri_kernel_smallILi47E19rocblas_complex_numIdEPS3_EEvT1_iilPiilS6_bb
    .private_segment_fixed_size: 784
    .sgpr_count:     69
    .sgpr_spill_count: 0
    .symbol:         _ZN9rocsolver6v33100L18getri_kernel_smallILi47E19rocblas_complex_numIdEPS3_EEvT1_iilPiilS6_bb.kd
    .uniform_work_group_size: 1
    .uses_dynamic_stack: false
    .vgpr_count:     364
    .vgpr_spill_count: 0
    .wavefront_size: 64
  - .agpr_count:     120
    .args:
      - .address_space:  global
        .offset:         0
        .size:           8
        .value_kind:     global_buffer
      - .offset:         8
        .size:           4
        .value_kind:     by_value
      - .offset:         12
        .size:           4
        .value_kind:     by_value
      - .offset:         16
        .size:           8
        .value_kind:     by_value
      - .address_space:  global
        .offset:         24
        .size:           8
        .value_kind:     global_buffer
      - .offset:         32
        .size:           4
        .value_kind:     by_value
      - .offset:         40
        .size:           8
        .value_kind:     by_value
      - .address_space:  global
        .offset:         48
        .size:           8
        .value_kind:     global_buffer
      - .offset:         56
        .size:           1
        .value_kind:     by_value
      - .offset:         57
        .size:           1
        .value_kind:     by_value
    .group_segment_fixed_size: 1544
    .kernarg_segment_align: 8
    .kernarg_segment_size: 60
    .language:       OpenCL C
    .language_version:
      - 2
      - 0
    .max_flat_workgroup_size: 64
    .name:           _ZN9rocsolver6v33100L18getri_kernel_smallILi48E19rocblas_complex_numIdEPS3_EEvT1_iilPiilS6_bb
    .private_segment_fixed_size: 800
    .sgpr_count:     70
    .sgpr_spill_count: 0
    .symbol:         _ZN9rocsolver6v33100L18getri_kernel_smallILi48E19rocblas_complex_numIdEPS3_EEvT1_iilPiilS6_bb.kd
    .uniform_work_group_size: 1
    .uses_dynamic_stack: false
    .vgpr_count:     376
    .vgpr_spill_count: 0
    .wavefront_size: 64
  - .agpr_count:     126
    .args:
      - .address_space:  global
        .offset:         0
        .size:           8
        .value_kind:     global_buffer
      - .offset:         8
        .size:           4
        .value_kind:     by_value
      - .offset:         12
        .size:           4
        .value_kind:     by_value
      - .offset:         16
        .size:           8
        .value_kind:     by_value
      - .address_space:  global
        .offset:         24
        .size:           8
        .value_kind:     global_buffer
      - .offset:         32
        .size:           4
        .value_kind:     by_value
      - .offset:         40
        .size:           8
        .value_kind:     by_value
      - .address_space:  global
        .offset:         48
        .size:           8
        .value_kind:     global_buffer
      - .offset:         56
        .size:           1
        .value_kind:     by_value
      - .offset:         57
        .size:           1
        .value_kind:     by_value
    .group_segment_fixed_size: 1576
    .kernarg_segment_align: 8
    .kernarg_segment_size: 60
    .language:       OpenCL C
    .language_version:
      - 2
      - 0
    .max_flat_workgroup_size: 64
    .name:           _ZN9rocsolver6v33100L18getri_kernel_smallILi49E19rocblas_complex_numIdEPS3_EEvT1_iilPiilS6_bb
    .private_segment_fixed_size: 816
    .sgpr_count:     71
    .sgpr_spill_count: 0
    .symbol:         _ZN9rocsolver6v33100L18getri_kernel_smallILi49E19rocblas_complex_numIdEPS3_EEvT1_iilPiilS6_bb.kd
    .uniform_work_group_size: 1
    .uses_dynamic_stack: false
    .vgpr_count:     382
    .vgpr_spill_count: 0
    .wavefront_size: 64
  - .agpr_count:     130
    .args:
      - .address_space:  global
        .offset:         0
        .size:           8
        .value_kind:     global_buffer
      - .offset:         8
        .size:           4
        .value_kind:     by_value
      - .offset:         12
        .size:           4
        .value_kind:     by_value
      - .offset:         16
        .size:           8
        .value_kind:     by_value
      - .address_space:  global
        .offset:         24
        .size:           8
        .value_kind:     global_buffer
      - .offset:         32
        .size:           4
        .value_kind:     by_value
      - .offset:         40
        .size:           8
        .value_kind:     by_value
      - .address_space:  global
        .offset:         48
        .size:           8
        .value_kind:     global_buffer
      - .offset:         56
        .size:           1
        .value_kind:     by_value
      - .offset:         57
        .size:           1
        .value_kind:     by_value
    .group_segment_fixed_size: 1608
    .kernarg_segment_align: 8
    .kernarg_segment_size: 60
    .language:       OpenCL C
    .language_version:
      - 2
      - 0
    .max_flat_workgroup_size: 64
    .name:           _ZN9rocsolver6v33100L18getri_kernel_smallILi50E19rocblas_complex_numIdEPS3_EEvT1_iilPiilS6_bb
    .private_segment_fixed_size: 832
    .sgpr_count:     72
    .sgpr_spill_count: 0
    .symbol:         _ZN9rocsolver6v33100L18getri_kernel_smallILi50E19rocblas_complex_numIdEPS3_EEvT1_iilPiilS6_bb.kd
    .uniform_work_group_size: 1
    .uses_dynamic_stack: false
    .vgpr_count:     386
    .vgpr_spill_count: 0
    .wavefront_size: 64
  - .agpr_count:     132
    .args:
      - .address_space:  global
        .offset:         0
        .size:           8
        .value_kind:     global_buffer
      - .offset:         8
        .size:           4
        .value_kind:     by_value
      - .offset:         12
        .size:           4
        .value_kind:     by_value
      - .offset:         16
        .size:           8
        .value_kind:     by_value
      - .address_space:  global
        .offset:         24
        .size:           8
        .value_kind:     global_buffer
      - .offset:         32
        .size:           4
        .value_kind:     by_value
      - .offset:         40
        .size:           8
        .value_kind:     by_value
      - .address_space:  global
        .offset:         48
        .size:           8
        .value_kind:     global_buffer
      - .offset:         56
        .size:           1
        .value_kind:     by_value
      - .offset:         57
        .size:           1
        .value_kind:     by_value
    .group_segment_fixed_size: 1640
    .kernarg_segment_align: 8
    .kernarg_segment_size: 60
    .language:       OpenCL C
    .language_version:
      - 2
      - 0
    .max_flat_workgroup_size: 64
    .name:           _ZN9rocsolver6v33100L18getri_kernel_smallILi51E19rocblas_complex_numIdEPS3_EEvT1_iilPiilS6_bb
    .private_segment_fixed_size: 848
    .sgpr_count:     73
    .sgpr_spill_count: 0
    .symbol:         _ZN9rocsolver6v33100L18getri_kernel_smallILi51E19rocblas_complex_numIdEPS3_EEvT1_iilPiilS6_bb.kd
    .uniform_work_group_size: 1
    .uses_dynamic_stack: false
    .vgpr_count:     388
    .vgpr_spill_count: 0
    .wavefront_size: 64
  - .agpr_count:     134
    .args:
      - .address_space:  global
        .offset:         0
        .size:           8
        .value_kind:     global_buffer
      - .offset:         8
        .size:           4
        .value_kind:     by_value
      - .offset:         12
        .size:           4
        .value_kind:     by_value
      - .offset:         16
        .size:           8
        .value_kind:     by_value
      - .address_space:  global
        .offset:         24
        .size:           8
        .value_kind:     global_buffer
      - .offset:         32
        .size:           4
        .value_kind:     by_value
      - .offset:         40
        .size:           8
        .value_kind:     by_value
      - .address_space:  global
        .offset:         48
        .size:           8
        .value_kind:     global_buffer
      - .offset:         56
        .size:           1
        .value_kind:     by_value
      - .offset:         57
        .size:           1
        .value_kind:     by_value
    .group_segment_fixed_size: 1672
    .kernarg_segment_align: 8
    .kernarg_segment_size: 60
    .language:       OpenCL C
    .language_version:
      - 2
      - 0
    .max_flat_workgroup_size: 64
    .name:           _ZN9rocsolver6v33100L18getri_kernel_smallILi52E19rocblas_complex_numIdEPS3_EEvT1_iilPiilS6_bb
    .private_segment_fixed_size: 864
    .sgpr_count:     74
    .sgpr_spill_count: 0
    .symbol:         _ZN9rocsolver6v33100L18getri_kernel_smallILi52E19rocblas_complex_numIdEPS3_EEvT1_iilPiilS6_bb.kd
    .uniform_work_group_size: 1
    .uses_dynamic_stack: false
    .vgpr_count:     390
    .vgpr_spill_count: 0
    .wavefront_size: 64
  - .agpr_count:     138
    .args:
      - .address_space:  global
        .offset:         0
        .size:           8
        .value_kind:     global_buffer
      - .offset:         8
        .size:           4
        .value_kind:     by_value
      - .offset:         12
        .size:           4
        .value_kind:     by_value
      - .offset:         16
        .size:           8
        .value_kind:     by_value
      - .address_space:  global
        .offset:         24
        .size:           8
        .value_kind:     global_buffer
      - .offset:         32
        .size:           4
        .value_kind:     by_value
      - .offset:         40
        .size:           8
        .value_kind:     by_value
      - .address_space:  global
        .offset:         48
        .size:           8
        .value_kind:     global_buffer
      - .offset:         56
        .size:           1
        .value_kind:     by_value
      - .offset:         57
        .size:           1
        .value_kind:     by_value
    .group_segment_fixed_size: 1704
    .kernarg_segment_align: 8
    .kernarg_segment_size: 60
    .language:       OpenCL C
    .language_version:
      - 2
      - 0
    .max_flat_workgroup_size: 64
    .name:           _ZN9rocsolver6v33100L18getri_kernel_smallILi53E19rocblas_complex_numIdEPS3_EEvT1_iilPiilS6_bb
    .private_segment_fixed_size: 880
    .sgpr_count:     75
    .sgpr_spill_count: 0
    .symbol:         _ZN9rocsolver6v33100L18getri_kernel_smallILi53E19rocblas_complex_numIdEPS3_EEvT1_iilPiilS6_bb.kd
    .uniform_work_group_size: 1
    .uses_dynamic_stack: false
    .vgpr_count:     394
    .vgpr_spill_count: 0
    .wavefront_size: 64
  - .agpr_count:     144
    .args:
      - .address_space:  global
        .offset:         0
        .size:           8
        .value_kind:     global_buffer
      - .offset:         8
        .size:           4
        .value_kind:     by_value
      - .offset:         12
        .size:           4
        .value_kind:     by_value
      - .offset:         16
        .size:           8
        .value_kind:     by_value
      - .address_space:  global
        .offset:         24
        .size:           8
        .value_kind:     global_buffer
      - .offset:         32
        .size:           4
        .value_kind:     by_value
      - .offset:         40
        .size:           8
        .value_kind:     by_value
      - .address_space:  global
        .offset:         48
        .size:           8
        .value_kind:     global_buffer
      - .offset:         56
        .size:           1
        .value_kind:     by_value
      - .offset:         57
        .size:           1
        .value_kind:     by_value
    .group_segment_fixed_size: 1736
    .kernarg_segment_align: 8
    .kernarg_segment_size: 60
    .language:       OpenCL C
    .language_version:
      - 2
      - 0
    .max_flat_workgroup_size: 64
    .name:           _ZN9rocsolver6v33100L18getri_kernel_smallILi54E19rocblas_complex_numIdEPS3_EEvT1_iilPiilS6_bb
    .private_segment_fixed_size: 896
    .sgpr_count:     76
    .sgpr_spill_count: 0
    .symbol:         _ZN9rocsolver6v33100L18getri_kernel_smallILi54E19rocblas_complex_numIdEPS3_EEvT1_iilPiilS6_bb.kd
    .uniform_work_group_size: 1
    .uses_dynamic_stack: false
    .vgpr_count:     400
    .vgpr_spill_count: 0
    .wavefront_size: 64
  - .agpr_count:     146
    .args:
      - .address_space:  global
        .offset:         0
        .size:           8
        .value_kind:     global_buffer
      - .offset:         8
        .size:           4
        .value_kind:     by_value
      - .offset:         12
        .size:           4
        .value_kind:     by_value
      - .offset:         16
        .size:           8
        .value_kind:     by_value
      - .address_space:  global
        .offset:         24
        .size:           8
        .value_kind:     global_buffer
      - .offset:         32
        .size:           4
        .value_kind:     by_value
      - .offset:         40
        .size:           8
        .value_kind:     by_value
      - .address_space:  global
        .offset:         48
        .size:           8
        .value_kind:     global_buffer
      - .offset:         56
        .size:           1
        .value_kind:     by_value
      - .offset:         57
        .size:           1
        .value_kind:     by_value
    .group_segment_fixed_size: 1768
    .kernarg_segment_align: 8
    .kernarg_segment_size: 60
    .language:       OpenCL C
    .language_version:
      - 2
      - 0
    .max_flat_workgroup_size: 64
    .name:           _ZN9rocsolver6v33100L18getri_kernel_smallILi55E19rocblas_complex_numIdEPS3_EEvT1_iilPiilS6_bb
    .private_segment_fixed_size: 912
    .sgpr_count:     77
    .sgpr_spill_count: 0
    .symbol:         _ZN9rocsolver6v33100L18getri_kernel_smallILi55E19rocblas_complex_numIdEPS3_EEvT1_iilPiilS6_bb.kd
    .uniform_work_group_size: 1
    .uses_dynamic_stack: false
    .vgpr_count:     402
    .vgpr_spill_count: 0
    .wavefront_size: 64
  - .agpr_count:     152
    .args:
      - .address_space:  global
        .offset:         0
        .size:           8
        .value_kind:     global_buffer
      - .offset:         8
        .size:           4
        .value_kind:     by_value
      - .offset:         12
        .size:           4
        .value_kind:     by_value
      - .offset:         16
        .size:           8
        .value_kind:     by_value
      - .address_space:  global
        .offset:         24
        .size:           8
        .value_kind:     global_buffer
      - .offset:         32
        .size:           4
        .value_kind:     by_value
      - .offset:         40
        .size:           8
        .value_kind:     by_value
      - .address_space:  global
        .offset:         48
        .size:           8
        .value_kind:     global_buffer
      - .offset:         56
        .size:           1
        .value_kind:     by_value
      - .offset:         57
        .size:           1
        .value_kind:     by_value
    .group_segment_fixed_size: 1800
    .kernarg_segment_align: 8
    .kernarg_segment_size: 60
    .language:       OpenCL C
    .language_version:
      - 2
      - 0
    .max_flat_workgroup_size: 64
    .name:           _ZN9rocsolver6v33100L18getri_kernel_smallILi56E19rocblas_complex_numIdEPS3_EEvT1_iilPiilS6_bb
    .private_segment_fixed_size: 928
    .sgpr_count:     78
    .sgpr_spill_count: 0
    .symbol:         _ZN9rocsolver6v33100L18getri_kernel_smallILi56E19rocblas_complex_numIdEPS3_EEvT1_iilPiilS6_bb.kd
    .uniform_work_group_size: 1
    .uses_dynamic_stack: false
    .vgpr_count:     408
    .vgpr_spill_count: 0
    .wavefront_size: 64
  - .agpr_count:     150
    .args:
      - .address_space:  global
        .offset:         0
        .size:           8
        .value_kind:     global_buffer
      - .offset:         8
        .size:           4
        .value_kind:     by_value
      - .offset:         12
        .size:           4
        .value_kind:     by_value
      - .offset:         16
        .size:           8
        .value_kind:     by_value
      - .address_space:  global
        .offset:         24
        .size:           8
        .value_kind:     global_buffer
      - .offset:         32
        .size:           4
        .value_kind:     by_value
      - .offset:         40
        .size:           8
        .value_kind:     by_value
      - .address_space:  global
        .offset:         48
        .size:           8
        .value_kind:     global_buffer
      - .offset:         56
        .size:           1
        .value_kind:     by_value
      - .offset:         57
        .size:           1
        .value_kind:     by_value
    .group_segment_fixed_size: 1832
    .kernarg_segment_align: 8
    .kernarg_segment_size: 60
    .language:       OpenCL C
    .language_version:
      - 2
      - 0
    .max_flat_workgroup_size: 64
    .name:           _ZN9rocsolver6v33100L18getri_kernel_smallILi57E19rocblas_complex_numIdEPS3_EEvT1_iilPiilS6_bb
    .private_segment_fixed_size: 944
    .sgpr_count:     79
    .sgpr_spill_count: 0
    .symbol:         _ZN9rocsolver6v33100L18getri_kernel_smallILi57E19rocblas_complex_numIdEPS3_EEvT1_iilPiilS6_bb.kd
    .uniform_work_group_size: 1
    .uses_dynamic_stack: false
    .vgpr_count:     406
    .vgpr_spill_count: 0
    .wavefront_size: 64
  - .agpr_count:     158
    .args:
      - .address_space:  global
        .offset:         0
        .size:           8
        .value_kind:     global_buffer
      - .offset:         8
        .size:           4
        .value_kind:     by_value
      - .offset:         12
        .size:           4
        .value_kind:     by_value
      - .offset:         16
        .size:           8
        .value_kind:     by_value
      - .address_space:  global
        .offset:         24
        .size:           8
        .value_kind:     global_buffer
      - .offset:         32
        .size:           4
        .value_kind:     by_value
      - .offset:         40
        .size:           8
        .value_kind:     by_value
      - .address_space:  global
        .offset:         48
        .size:           8
        .value_kind:     global_buffer
      - .offset:         56
        .size:           1
        .value_kind:     by_value
      - .offset:         57
        .size:           1
        .value_kind:     by_value
    .group_segment_fixed_size: 1864
    .kernarg_segment_align: 8
    .kernarg_segment_size: 60
    .language:       OpenCL C
    .language_version:
      - 2
      - 0
    .max_flat_workgroup_size: 64
    .name:           _ZN9rocsolver6v33100L18getri_kernel_smallILi58E19rocblas_complex_numIdEPS3_EEvT1_iilPiilS6_bb
    .private_segment_fixed_size: 960
    .sgpr_count:     80
    .sgpr_spill_count: 0
    .symbol:         _ZN9rocsolver6v33100L18getri_kernel_smallILi58E19rocblas_complex_numIdEPS3_EEvT1_iilPiilS6_bb.kd
    .uniform_work_group_size: 1
    .uses_dynamic_stack: false
    .vgpr_count:     414
    .vgpr_spill_count: 0
    .wavefront_size: 64
  - .agpr_count:     160
    .args:
      - .address_space:  global
        .offset:         0
        .size:           8
        .value_kind:     global_buffer
      - .offset:         8
        .size:           4
        .value_kind:     by_value
      - .offset:         12
        .size:           4
        .value_kind:     by_value
      - .offset:         16
        .size:           8
        .value_kind:     by_value
      - .address_space:  global
        .offset:         24
        .size:           8
        .value_kind:     global_buffer
      - .offset:         32
        .size:           4
        .value_kind:     by_value
      - .offset:         40
        .size:           8
        .value_kind:     by_value
      - .address_space:  global
        .offset:         48
        .size:           8
        .value_kind:     global_buffer
      - .offset:         56
        .size:           1
        .value_kind:     by_value
      - .offset:         57
        .size:           1
        .value_kind:     by_value
    .group_segment_fixed_size: 1896
    .kernarg_segment_align: 8
    .kernarg_segment_size: 60
    .language:       OpenCL C
    .language_version:
      - 2
      - 0
    .max_flat_workgroup_size: 64
    .name:           _ZN9rocsolver6v33100L18getri_kernel_smallILi59E19rocblas_complex_numIdEPS3_EEvT1_iilPiilS6_bb
    .private_segment_fixed_size: 976
    .sgpr_count:     81
    .sgpr_spill_count: 0
    .symbol:         _ZN9rocsolver6v33100L18getri_kernel_smallILi59E19rocblas_complex_numIdEPS3_EEvT1_iilPiilS6_bb.kd
    .uniform_work_group_size: 1
    .uses_dynamic_stack: false
    .vgpr_count:     416
    .vgpr_spill_count: 0
    .wavefront_size: 64
  - .agpr_count:     162
    .args:
      - .address_space:  global
        .offset:         0
        .size:           8
        .value_kind:     global_buffer
      - .offset:         8
        .size:           4
        .value_kind:     by_value
      - .offset:         12
        .size:           4
        .value_kind:     by_value
      - .offset:         16
        .size:           8
        .value_kind:     by_value
      - .address_space:  global
        .offset:         24
        .size:           8
        .value_kind:     global_buffer
      - .offset:         32
        .size:           4
        .value_kind:     by_value
      - .offset:         40
        .size:           8
        .value_kind:     by_value
      - .address_space:  global
        .offset:         48
        .size:           8
        .value_kind:     global_buffer
      - .offset:         56
        .size:           1
        .value_kind:     by_value
      - .offset:         57
        .size:           1
        .value_kind:     by_value
    .group_segment_fixed_size: 1928
    .kernarg_segment_align: 8
    .kernarg_segment_size: 60
    .language:       OpenCL C
    .language_version:
      - 2
      - 0
    .max_flat_workgroup_size: 64
    .name:           _ZN9rocsolver6v33100L18getri_kernel_smallILi60E19rocblas_complex_numIdEPS3_EEvT1_iilPiilS6_bb
    .private_segment_fixed_size: 992
    .sgpr_count:     82
    .sgpr_spill_count: 0
    .symbol:         _ZN9rocsolver6v33100L18getri_kernel_smallILi60E19rocblas_complex_numIdEPS3_EEvT1_iilPiilS6_bb.kd
    .uniform_work_group_size: 1
    .uses_dynamic_stack: false
    .vgpr_count:     418
    .vgpr_spill_count: 0
    .wavefront_size: 64
  - .agpr_count:     166
    .args:
      - .address_space:  global
        .offset:         0
        .size:           8
        .value_kind:     global_buffer
      - .offset:         8
        .size:           4
        .value_kind:     by_value
      - .offset:         12
        .size:           4
        .value_kind:     by_value
      - .offset:         16
        .size:           8
        .value_kind:     by_value
      - .address_space:  global
        .offset:         24
        .size:           8
        .value_kind:     global_buffer
      - .offset:         32
        .size:           4
        .value_kind:     by_value
      - .offset:         40
        .size:           8
        .value_kind:     by_value
      - .address_space:  global
        .offset:         48
        .size:           8
        .value_kind:     global_buffer
      - .offset:         56
        .size:           1
        .value_kind:     by_value
      - .offset:         57
        .size:           1
        .value_kind:     by_value
    .group_segment_fixed_size: 1960
    .kernarg_segment_align: 8
    .kernarg_segment_size: 60
    .language:       OpenCL C
    .language_version:
      - 2
      - 0
    .max_flat_workgroup_size: 64
    .name:           _ZN9rocsolver6v33100L18getri_kernel_smallILi61E19rocblas_complex_numIdEPS3_EEvT1_iilPiilS6_bb
    .private_segment_fixed_size: 1008
    .sgpr_count:     93
    .sgpr_spill_count: 0
    .symbol:         _ZN9rocsolver6v33100L18getri_kernel_smallILi61E19rocblas_complex_numIdEPS3_EEvT1_iilPiilS6_bb.kd
    .uniform_work_group_size: 1
    .uses_dynamic_stack: false
    .vgpr_count:     422
    .vgpr_spill_count: 0
    .wavefront_size: 64
  - .agpr_count:     170
    .args:
      - .address_space:  global
        .offset:         0
        .size:           8
        .value_kind:     global_buffer
      - .offset:         8
        .size:           4
        .value_kind:     by_value
      - .offset:         12
        .size:           4
        .value_kind:     by_value
      - .offset:         16
        .size:           8
        .value_kind:     by_value
      - .address_space:  global
        .offset:         24
        .size:           8
        .value_kind:     global_buffer
      - .offset:         32
        .size:           4
        .value_kind:     by_value
      - .offset:         40
        .size:           8
        .value_kind:     by_value
      - .address_space:  global
        .offset:         48
        .size:           8
        .value_kind:     global_buffer
      - .offset:         56
        .size:           1
        .value_kind:     by_value
      - .offset:         57
        .size:           1
        .value_kind:     by_value
    .group_segment_fixed_size: 1992
    .kernarg_segment_align: 8
    .kernarg_segment_size: 60
    .language:       OpenCL C
    .language_version:
      - 2
      - 0
    .max_flat_workgroup_size: 64
    .name:           _ZN9rocsolver6v33100L18getri_kernel_smallILi62E19rocblas_complex_numIdEPS3_EEvT1_iilPiilS6_bb
    .private_segment_fixed_size: 1024
    .sgpr_count:     94
    .sgpr_spill_count: 0
    .symbol:         _ZN9rocsolver6v33100L18getri_kernel_smallILi62E19rocblas_complex_numIdEPS3_EEvT1_iilPiilS6_bb.kd
    .uniform_work_group_size: 1
    .uses_dynamic_stack: false
    .vgpr_count:     426
    .vgpr_spill_count: 0
    .wavefront_size: 64
  - .agpr_count:     172
    .args:
      - .address_space:  global
        .offset:         0
        .size:           8
        .value_kind:     global_buffer
      - .offset:         8
        .size:           4
        .value_kind:     by_value
      - .offset:         12
        .size:           4
        .value_kind:     by_value
      - .offset:         16
        .size:           8
        .value_kind:     by_value
      - .address_space:  global
        .offset:         24
        .size:           8
        .value_kind:     global_buffer
      - .offset:         32
        .size:           4
        .value_kind:     by_value
      - .offset:         40
        .size:           8
        .value_kind:     by_value
      - .address_space:  global
        .offset:         48
        .size:           8
        .value_kind:     global_buffer
      - .offset:         56
        .size:           1
        .value_kind:     by_value
      - .offset:         57
        .size:           1
        .value_kind:     by_value
    .group_segment_fixed_size: 2024
    .kernarg_segment_align: 8
    .kernarg_segment_size: 60
    .language:       OpenCL C
    .language_version:
      - 2
      - 0
    .max_flat_workgroup_size: 64
    .name:           _ZN9rocsolver6v33100L18getri_kernel_smallILi63E19rocblas_complex_numIdEPS3_EEvT1_iilPiilS6_bb
    .private_segment_fixed_size: 1040
    .sgpr_count:     95
    .sgpr_spill_count: 0
    .symbol:         _ZN9rocsolver6v33100L18getri_kernel_smallILi63E19rocblas_complex_numIdEPS3_EEvT1_iilPiilS6_bb.kd
    .uniform_work_group_size: 1
    .uses_dynamic_stack: false
    .vgpr_count:     428
    .vgpr_spill_count: 0
    .wavefront_size: 64
  - .agpr_count:     180
    .args:
      - .address_space:  global
        .offset:         0
        .size:           8
        .value_kind:     global_buffer
      - .offset:         8
        .size:           4
        .value_kind:     by_value
      - .offset:         12
        .size:           4
        .value_kind:     by_value
      - .offset:         16
        .size:           8
        .value_kind:     by_value
      - .address_space:  global
        .offset:         24
        .size:           8
        .value_kind:     global_buffer
      - .offset:         32
        .size:           4
        .value_kind:     by_value
      - .offset:         40
        .size:           8
        .value_kind:     by_value
      - .address_space:  global
        .offset:         48
        .size:           8
        .value_kind:     global_buffer
      - .offset:         56
        .size:           1
        .value_kind:     by_value
      - .offset:         57
        .size:           1
        .value_kind:     by_value
    .group_segment_fixed_size: 2056
    .kernarg_segment_align: 8
    .kernarg_segment_size: 60
    .language:       OpenCL C
    .language_version:
      - 2
      - 0
    .max_flat_workgroup_size: 64
    .name:           _ZN9rocsolver6v33100L18getri_kernel_smallILi64E19rocblas_complex_numIdEPS3_EEvT1_iilPiilS6_bb
    .private_segment_fixed_size: 1056
    .sgpr_count:     96
    .sgpr_spill_count: 0
    .symbol:         _ZN9rocsolver6v33100L18getri_kernel_smallILi64E19rocblas_complex_numIdEPS3_EEvT1_iilPiilS6_bb.kd
    .uniform_work_group_size: 1
    .uses_dynamic_stack: false
    .vgpr_count:     436
    .vgpr_spill_count: 0
    .wavefront_size: 64
  - .agpr_count:     0
    .args:
      - .address_space:  global
        .offset:         0
        .size:           8
        .value_kind:     global_buffer
      - .offset:         8
        .size:           4
        .value_kind:     by_value
      - .offset:         12
        .size:           4
        .value_kind:     by_value
      - .offset:         16
        .size:           8
        .value_kind:     by_value
      - .address_space:  global
        .offset:         24
        .size:           8
        .value_kind:     global_buffer
      - .offset:         32
        .size:           4
        .value_kind:     by_value
      - .offset:         40
        .size:           8
        .value_kind:     by_value
      - .address_space:  global
        .offset:         48
        .size:           8
        .value_kind:     global_buffer
      - .offset:         56
        .size:           1
        .value_kind:     by_value
      - .offset:         57
        .size:           1
        .value_kind:     by_value
    .group_segment_fixed_size: 4
    .kernarg_segment_align: 8
    .kernarg_segment_size: 60
    .language:       OpenCL C
    .language_version:
      - 2
      - 0
    .max_flat_workgroup_size: 64
    .name:           _ZN9rocsolver6v33100L18getri_kernel_smallILi1E19rocblas_complex_numIdEPKPS3_EEvT1_iilPiilS8_bb
    .private_segment_fixed_size: 0
    .sgpr_count:     20
    .sgpr_spill_count: 0
    .symbol:         _ZN9rocsolver6v33100L18getri_kernel_smallILi1E19rocblas_complex_numIdEPKPS3_EEvT1_iilPiilS8_bb.kd
    .uniform_work_group_size: 1
    .uses_dynamic_stack: false
    .vgpr_count:     12
    .vgpr_spill_count: 0
    .wavefront_size: 64
  - .agpr_count:     0
    .args:
      - .address_space:  global
        .offset:         0
        .size:           8
        .value_kind:     global_buffer
      - .offset:         8
        .size:           4
        .value_kind:     by_value
      - .offset:         12
        .size:           4
        .value_kind:     by_value
      - .offset:         16
        .size:           8
        .value_kind:     by_value
      - .address_space:  global
        .offset:         24
        .size:           8
        .value_kind:     global_buffer
      - .offset:         32
        .size:           4
        .value_kind:     by_value
      - .offset:         40
        .size:           8
        .value_kind:     by_value
      - .address_space:  global
        .offset:         48
        .size:           8
        .value_kind:     global_buffer
      - .offset:         56
        .size:           1
        .value_kind:     by_value
      - .offset:         57
        .size:           1
        .value_kind:     by_value
    .group_segment_fixed_size: 1096
    .kernarg_segment_align: 8
    .kernarg_segment_size: 60
    .language:       OpenCL C
    .language_version:
      - 2
      - 0
    .max_flat_workgroup_size: 64
    .name:           _ZN9rocsolver6v33100L18getri_kernel_smallILi2E19rocblas_complex_numIdEPKPS3_EEvT1_iilPiilS8_bb
    .private_segment_fixed_size: 48
    .sgpr_count:     25
    .sgpr_spill_count: 0
    .symbol:         _ZN9rocsolver6v33100L18getri_kernel_smallILi2E19rocblas_complex_numIdEPKPS3_EEvT1_iilPiilS8_bb.kd
    .uniform_work_group_size: 1
    .uses_dynamic_stack: false
    .vgpr_count:     22
    .vgpr_spill_count: 0
    .wavefront_size: 64
  - .agpr_count:     0
    .args:
      - .address_space:  global
        .offset:         0
        .size:           8
        .value_kind:     global_buffer
      - .offset:         8
        .size:           4
        .value_kind:     by_value
      - .offset:         12
        .size:           4
        .value_kind:     by_value
      - .offset:         16
        .size:           8
        .value_kind:     by_value
      - .address_space:  global
        .offset:         24
        .size:           8
        .value_kind:     global_buffer
      - .offset:         32
        .size:           4
        .value_kind:     by_value
      - .offset:         40
        .size:           8
        .value_kind:     by_value
      - .address_space:  global
        .offset:         48
        .size:           8
        .value_kind:     global_buffer
      - .offset:         56
        .size:           1
        .value_kind:     by_value
      - .offset:         57
        .size:           1
        .value_kind:     by_value
    .group_segment_fixed_size: 1128
    .kernarg_segment_align: 8
    .kernarg_segment_size: 60
    .language:       OpenCL C
    .language_version:
      - 2
      - 0
    .max_flat_workgroup_size: 64
    .name:           _ZN9rocsolver6v33100L18getri_kernel_smallILi3E19rocblas_complex_numIdEPKPS3_EEvT1_iilPiilS8_bb
    .private_segment_fixed_size: 64
    .sgpr_count:     26
    .sgpr_spill_count: 0
    .symbol:         _ZN9rocsolver6v33100L18getri_kernel_smallILi3E19rocblas_complex_numIdEPKPS3_EEvT1_iilPiilS8_bb.kd
    .uniform_work_group_size: 1
    .uses_dynamic_stack: false
    .vgpr_count:     32
    .vgpr_spill_count: 0
    .wavefront_size: 64
  - .agpr_count:     0
    .args:
      - .address_space:  global
        .offset:         0
        .size:           8
        .value_kind:     global_buffer
      - .offset:         8
        .size:           4
        .value_kind:     by_value
      - .offset:         12
        .size:           4
        .value_kind:     by_value
      - .offset:         16
        .size:           8
        .value_kind:     by_value
      - .address_space:  global
        .offset:         24
        .size:           8
        .value_kind:     global_buffer
      - .offset:         32
        .size:           4
        .value_kind:     by_value
      - .offset:         40
        .size:           8
        .value_kind:     by_value
      - .address_space:  global
        .offset:         48
        .size:           8
        .value_kind:     global_buffer
      - .offset:         56
        .size:           1
        .value_kind:     by_value
      - .offset:         57
        .size:           1
        .value_kind:     by_value
    .group_segment_fixed_size: 136
    .kernarg_segment_align: 8
    .kernarg_segment_size: 60
    .language:       OpenCL C
    .language_version:
      - 2
      - 0
    .max_flat_workgroup_size: 64
    .name:           _ZN9rocsolver6v33100L18getri_kernel_smallILi4E19rocblas_complex_numIdEPKPS3_EEvT1_iilPiilS8_bb
    .private_segment_fixed_size: 96
    .sgpr_count:     25
    .sgpr_spill_count: 0
    .symbol:         _ZN9rocsolver6v33100L18getri_kernel_smallILi4E19rocblas_complex_numIdEPKPS3_EEvT1_iilPiilS8_bb.kd
    .uniform_work_group_size: 1
    .uses_dynamic_stack: false
    .vgpr_count:     44
    .vgpr_spill_count: 0
    .wavefront_size: 64
  - .agpr_count:     0
    .args:
      - .address_space:  global
        .offset:         0
        .size:           8
        .value_kind:     global_buffer
      - .offset:         8
        .size:           4
        .value_kind:     by_value
      - .offset:         12
        .size:           4
        .value_kind:     by_value
      - .offset:         16
        .size:           8
        .value_kind:     by_value
      - .address_space:  global
        .offset:         24
        .size:           8
        .value_kind:     global_buffer
      - .offset:         32
        .size:           4
        .value_kind:     by_value
      - .offset:         40
        .size:           8
        .value_kind:     by_value
      - .address_space:  global
        .offset:         48
        .size:           8
        .value_kind:     global_buffer
      - .offset:         56
        .size:           1
        .value_kind:     by_value
      - .offset:         57
        .size:           1
        .value_kind:     by_value
    .group_segment_fixed_size: 1192
    .kernarg_segment_align: 8
    .kernarg_segment_size: 60
    .language:       OpenCL C
    .language_version:
      - 2
      - 0
    .max_flat_workgroup_size: 64
    .name:           _ZN9rocsolver6v33100L18getri_kernel_smallILi5E19rocblas_complex_numIdEPKPS3_EEvT1_iilPiilS8_bb
    .private_segment_fixed_size: 96
    .sgpr_count:     28
    .sgpr_spill_count: 0
    .symbol:         _ZN9rocsolver6v33100L18getri_kernel_smallILi5E19rocblas_complex_numIdEPKPS3_EEvT1_iilPiilS8_bb.kd
    .uniform_work_group_size: 1
    .uses_dynamic_stack: false
    .vgpr_count:     56
    .vgpr_spill_count: 0
    .wavefront_size: 64
  - .agpr_count:     0
    .args:
      - .address_space:  global
        .offset:         0
        .size:           8
        .value_kind:     global_buffer
      - .offset:         8
        .size:           4
        .value_kind:     by_value
      - .offset:         12
        .size:           4
        .value_kind:     by_value
      - .offset:         16
        .size:           8
        .value_kind:     by_value
      - .address_space:  global
        .offset:         24
        .size:           8
        .value_kind:     global_buffer
      - .offset:         32
        .size:           4
        .value_kind:     by_value
      - .offset:         40
        .size:           8
        .value_kind:     by_value
      - .address_space:  global
        .offset:         48
        .size:           8
        .value_kind:     global_buffer
      - .offset:         56
        .size:           1
        .value_kind:     by_value
      - .offset:         57
        .size:           1
        .value_kind:     by_value
    .group_segment_fixed_size: 1224
    .kernarg_segment_align: 8
    .kernarg_segment_size: 60
    .language:       OpenCL C
    .language_version:
      - 2
      - 0
    .max_flat_workgroup_size: 64
    .name:           _ZN9rocsolver6v33100L18getri_kernel_smallILi6E19rocblas_complex_numIdEPKPS3_EEvT1_iilPiilS8_bb
    .private_segment_fixed_size: 112
    .sgpr_count:     29
    .sgpr_spill_count: 0
    .symbol:         _ZN9rocsolver6v33100L18getri_kernel_smallILi6E19rocblas_complex_numIdEPKPS3_EEvT1_iilPiilS8_bb.kd
    .uniform_work_group_size: 1
    .uses_dynamic_stack: false
    .vgpr_count:     70
    .vgpr_spill_count: 0
    .wavefront_size: 64
  - .agpr_count:     0
    .args:
      - .address_space:  global
        .offset:         0
        .size:           8
        .value_kind:     global_buffer
      - .offset:         8
        .size:           4
        .value_kind:     by_value
      - .offset:         12
        .size:           4
        .value_kind:     by_value
      - .offset:         16
        .size:           8
        .value_kind:     by_value
      - .address_space:  global
        .offset:         24
        .size:           8
        .value_kind:     global_buffer
      - .offset:         32
        .size:           4
        .value_kind:     by_value
      - .offset:         40
        .size:           8
        .value_kind:     by_value
      - .address_space:  global
        .offset:         48
        .size:           8
        .value_kind:     global_buffer
      - .offset:         56
        .size:           1
        .value_kind:     by_value
      - .offset:         57
        .size:           1
        .value_kind:     by_value
    .group_segment_fixed_size: 1256
    .kernarg_segment_align: 8
    .kernarg_segment_size: 60
    .language:       OpenCL C
    .language_version:
      - 2
      - 0
    .max_flat_workgroup_size: 64
    .name:           _ZN9rocsolver6v33100L18getri_kernel_smallILi7E19rocblas_complex_numIdEPKPS3_EEvT1_iilPiilS8_bb
    .private_segment_fixed_size: 128
    .sgpr_count:     30
    .sgpr_spill_count: 0
    .symbol:         _ZN9rocsolver6v33100L18getri_kernel_smallILi7E19rocblas_complex_numIdEPKPS3_EEvT1_iilPiilS8_bb.kd
    .uniform_work_group_size: 1
    .uses_dynamic_stack: false
    .vgpr_count:     80
    .vgpr_spill_count: 0
    .wavefront_size: 64
  - .agpr_count:     0
    .args:
      - .address_space:  global
        .offset:         0
        .size:           8
        .value_kind:     global_buffer
      - .offset:         8
        .size:           4
        .value_kind:     by_value
      - .offset:         12
        .size:           4
        .value_kind:     by_value
      - .offset:         16
        .size:           8
        .value_kind:     by_value
      - .address_space:  global
        .offset:         24
        .size:           8
        .value_kind:     global_buffer
      - .offset:         32
        .size:           4
        .value_kind:     by_value
      - .offset:         40
        .size:           8
        .value_kind:     by_value
      - .address_space:  global
        .offset:         48
        .size:           8
        .value_kind:     global_buffer
      - .offset:         56
        .size:           1
        .value_kind:     by_value
      - .offset:         57
        .size:           1
        .value_kind:     by_value
    .group_segment_fixed_size: 1288
    .kernarg_segment_align: 8
    .kernarg_segment_size: 60
    .language:       OpenCL C
    .language_version:
      - 2
      - 0
    .max_flat_workgroup_size: 64
    .name:           _ZN9rocsolver6v33100L18getri_kernel_smallILi8E19rocblas_complex_numIdEPKPS3_EEvT1_iilPiilS8_bb
    .private_segment_fixed_size: 144
    .sgpr_count:     31
    .sgpr_spill_count: 0
    .symbol:         _ZN9rocsolver6v33100L18getri_kernel_smallILi8E19rocblas_complex_numIdEPKPS3_EEvT1_iilPiilS8_bb.kd
    .uniform_work_group_size: 1
    .uses_dynamic_stack: false
    .vgpr_count:     94
    .vgpr_spill_count: 0
    .wavefront_size: 64
  - .agpr_count:     0
    .args:
      - .address_space:  global
        .offset:         0
        .size:           8
        .value_kind:     global_buffer
      - .offset:         8
        .size:           4
        .value_kind:     by_value
      - .offset:         12
        .size:           4
        .value_kind:     by_value
      - .offset:         16
        .size:           8
        .value_kind:     by_value
      - .address_space:  global
        .offset:         24
        .size:           8
        .value_kind:     global_buffer
      - .offset:         32
        .size:           4
        .value_kind:     by_value
      - .offset:         40
        .size:           8
        .value_kind:     by_value
      - .address_space:  global
        .offset:         48
        .size:           8
        .value_kind:     global_buffer
      - .offset:         56
        .size:           1
        .value_kind:     by_value
      - .offset:         57
        .size:           1
        .value_kind:     by_value
    .group_segment_fixed_size: 1320
    .kernarg_segment_align: 8
    .kernarg_segment_size: 60
    .language:       OpenCL C
    .language_version:
      - 2
      - 0
    .max_flat_workgroup_size: 64
    .name:           _ZN9rocsolver6v33100L18getri_kernel_smallILi9E19rocblas_complex_numIdEPKPS3_EEvT1_iilPiilS8_bb
    .private_segment_fixed_size: 160
    .sgpr_count:     32
    .sgpr_spill_count: 0
    .symbol:         _ZN9rocsolver6v33100L18getri_kernel_smallILi9E19rocblas_complex_numIdEPKPS3_EEvT1_iilPiilS8_bb.kd
    .uniform_work_group_size: 1
    .uses_dynamic_stack: false
    .vgpr_count:     104
    .vgpr_spill_count: 0
    .wavefront_size: 64
  - .agpr_count:     0
    .args:
      - .address_space:  global
        .offset:         0
        .size:           8
        .value_kind:     global_buffer
      - .offset:         8
        .size:           4
        .value_kind:     by_value
      - .offset:         12
        .size:           4
        .value_kind:     by_value
      - .offset:         16
        .size:           8
        .value_kind:     by_value
      - .address_space:  global
        .offset:         24
        .size:           8
        .value_kind:     global_buffer
      - .offset:         32
        .size:           4
        .value_kind:     by_value
      - .offset:         40
        .size:           8
        .value_kind:     by_value
      - .address_space:  global
        .offset:         48
        .size:           8
        .value_kind:     global_buffer
      - .offset:         56
        .size:           1
        .value_kind:     by_value
      - .offset:         57
        .size:           1
        .value_kind:     by_value
    .group_segment_fixed_size: 1352
    .kernarg_segment_align: 8
    .kernarg_segment_size: 60
    .language:       OpenCL C
    .language_version:
      - 2
      - 0
    .max_flat_workgroup_size: 64
    .name:           _ZN9rocsolver6v33100L18getri_kernel_smallILi10E19rocblas_complex_numIdEPKPS3_EEvT1_iilPiilS8_bb
    .private_segment_fixed_size: 176
    .sgpr_count:     34
    .sgpr_spill_count: 0
    .symbol:         _ZN9rocsolver6v33100L18getri_kernel_smallILi10E19rocblas_complex_numIdEPKPS3_EEvT1_iilPiilS8_bb.kd
    .uniform_work_group_size: 1
    .uses_dynamic_stack: false
    .vgpr_count:     118
    .vgpr_spill_count: 0
    .wavefront_size: 64
  - .agpr_count:     0
    .args:
      - .address_space:  global
        .offset:         0
        .size:           8
        .value_kind:     global_buffer
      - .offset:         8
        .size:           4
        .value_kind:     by_value
      - .offset:         12
        .size:           4
        .value_kind:     by_value
      - .offset:         16
        .size:           8
        .value_kind:     by_value
      - .address_space:  global
        .offset:         24
        .size:           8
        .value_kind:     global_buffer
      - .offset:         32
        .size:           4
        .value_kind:     by_value
      - .offset:         40
        .size:           8
        .value_kind:     by_value
      - .address_space:  global
        .offset:         48
        .size:           8
        .value_kind:     global_buffer
      - .offset:         56
        .size:           1
        .value_kind:     by_value
      - .offset:         57
        .size:           1
        .value_kind:     by_value
    .group_segment_fixed_size: 1384
    .kernarg_segment_align: 8
    .kernarg_segment_size: 60
    .language:       OpenCL C
    .language_version:
      - 2
      - 0
    .max_flat_workgroup_size: 64
    .name:           _ZN9rocsolver6v33100L18getri_kernel_smallILi11E19rocblas_complex_numIdEPKPS3_EEvT1_iilPiilS8_bb
    .private_segment_fixed_size: 192
    .sgpr_count:     35
    .sgpr_spill_count: 0
    .symbol:         _ZN9rocsolver6v33100L18getri_kernel_smallILi11E19rocblas_complex_numIdEPKPS3_EEvT1_iilPiilS8_bb.kd
    .uniform_work_group_size: 1
    .uses_dynamic_stack: false
    .vgpr_count:     122
    .vgpr_spill_count: 0
    .wavefront_size: 64
  - .agpr_count:     0
    .args:
      - .address_space:  global
        .offset:         0
        .size:           8
        .value_kind:     global_buffer
      - .offset:         8
        .size:           4
        .value_kind:     by_value
      - .offset:         12
        .size:           4
        .value_kind:     by_value
      - .offset:         16
        .size:           8
        .value_kind:     by_value
      - .address_space:  global
        .offset:         24
        .size:           8
        .value_kind:     global_buffer
      - .offset:         32
        .size:           4
        .value_kind:     by_value
      - .offset:         40
        .size:           8
        .value_kind:     by_value
      - .address_space:  global
        .offset:         48
        .size:           8
        .value_kind:     global_buffer
      - .offset:         56
        .size:           1
        .value_kind:     by_value
      - .offset:         57
        .size:           1
        .value_kind:     by_value
    .group_segment_fixed_size: 1416
    .kernarg_segment_align: 8
    .kernarg_segment_size: 60
    .language:       OpenCL C
    .language_version:
      - 2
      - 0
    .max_flat_workgroup_size: 64
    .name:           _ZN9rocsolver6v33100L18getri_kernel_smallILi12E19rocblas_complex_numIdEPKPS3_EEvT1_iilPiilS8_bb
    .private_segment_fixed_size: 208
    .sgpr_count:     36
    .sgpr_spill_count: 0
    .symbol:         _ZN9rocsolver6v33100L18getri_kernel_smallILi12E19rocblas_complex_numIdEPKPS3_EEvT1_iilPiilS8_bb.kd
    .uniform_work_group_size: 1
    .uses_dynamic_stack: false
    .vgpr_count:     124
    .vgpr_spill_count: 0
    .wavefront_size: 64
  - .agpr_count:     0
    .args:
      - .address_space:  global
        .offset:         0
        .size:           8
        .value_kind:     global_buffer
      - .offset:         8
        .size:           4
        .value_kind:     by_value
      - .offset:         12
        .size:           4
        .value_kind:     by_value
      - .offset:         16
        .size:           8
        .value_kind:     by_value
      - .address_space:  global
        .offset:         24
        .size:           8
        .value_kind:     global_buffer
      - .offset:         32
        .size:           4
        .value_kind:     by_value
      - .offset:         40
        .size:           8
        .value_kind:     by_value
      - .address_space:  global
        .offset:         48
        .size:           8
        .value_kind:     global_buffer
      - .offset:         56
        .size:           1
        .value_kind:     by_value
      - .offset:         57
        .size:           1
        .value_kind:     by_value
    .group_segment_fixed_size: 1448
    .kernarg_segment_align: 8
    .kernarg_segment_size: 60
    .language:       OpenCL C
    .language_version:
      - 2
      - 0
    .max_flat_workgroup_size: 64
    .name:           _ZN9rocsolver6v33100L18getri_kernel_smallILi13E19rocblas_complex_numIdEPKPS3_EEvT1_iilPiilS8_bb
    .private_segment_fixed_size: 224
    .sgpr_count:     37
    .sgpr_spill_count: 0
    .symbol:         _ZN9rocsolver6v33100L18getri_kernel_smallILi13E19rocblas_complex_numIdEPKPS3_EEvT1_iilPiilS8_bb.kd
    .uniform_work_group_size: 1
    .uses_dynamic_stack: false
    .vgpr_count:     152
    .vgpr_spill_count: 0
    .wavefront_size: 64
  - .agpr_count:     0
    .args:
      - .address_space:  global
        .offset:         0
        .size:           8
        .value_kind:     global_buffer
      - .offset:         8
        .size:           4
        .value_kind:     by_value
      - .offset:         12
        .size:           4
        .value_kind:     by_value
      - .offset:         16
        .size:           8
        .value_kind:     by_value
      - .address_space:  global
        .offset:         24
        .size:           8
        .value_kind:     global_buffer
      - .offset:         32
        .size:           4
        .value_kind:     by_value
      - .offset:         40
        .size:           8
        .value_kind:     by_value
      - .address_space:  global
        .offset:         48
        .size:           8
        .value_kind:     global_buffer
      - .offset:         56
        .size:           1
        .value_kind:     by_value
      - .offset:         57
        .size:           1
        .value_kind:     by_value
    .group_segment_fixed_size: 1480
    .kernarg_segment_align: 8
    .kernarg_segment_size: 60
    .language:       OpenCL C
    .language_version:
      - 2
      - 0
    .max_flat_workgroup_size: 64
    .name:           _ZN9rocsolver6v33100L18getri_kernel_smallILi14E19rocblas_complex_numIdEPKPS3_EEvT1_iilPiilS8_bb
    .private_segment_fixed_size: 240
    .sgpr_count:     38
    .sgpr_spill_count: 0
    .symbol:         _ZN9rocsolver6v33100L18getri_kernel_smallILi14E19rocblas_complex_numIdEPKPS3_EEvT1_iilPiilS8_bb.kd
    .uniform_work_group_size: 1
    .uses_dynamic_stack: false
    .vgpr_count:     166
    .vgpr_spill_count: 0
    .wavefront_size: 64
  - .agpr_count:     0
    .args:
      - .address_space:  global
        .offset:         0
        .size:           8
        .value_kind:     global_buffer
      - .offset:         8
        .size:           4
        .value_kind:     by_value
      - .offset:         12
        .size:           4
        .value_kind:     by_value
      - .offset:         16
        .size:           8
        .value_kind:     by_value
      - .address_space:  global
        .offset:         24
        .size:           8
        .value_kind:     global_buffer
      - .offset:         32
        .size:           4
        .value_kind:     by_value
      - .offset:         40
        .size:           8
        .value_kind:     by_value
      - .address_space:  global
        .offset:         48
        .size:           8
        .value_kind:     global_buffer
      - .offset:         56
        .size:           1
        .value_kind:     by_value
      - .offset:         57
        .size:           1
        .value_kind:     by_value
    .group_segment_fixed_size: 1512
    .kernarg_segment_align: 8
    .kernarg_segment_size: 60
    .language:       OpenCL C
    .language_version:
      - 2
      - 0
    .max_flat_workgroup_size: 64
    .name:           _ZN9rocsolver6v33100L18getri_kernel_smallILi15E19rocblas_complex_numIdEPKPS3_EEvT1_iilPiilS8_bb
    .private_segment_fixed_size: 256
    .sgpr_count:     41
    .sgpr_spill_count: 0
    .symbol:         _ZN9rocsolver6v33100L18getri_kernel_smallILi15E19rocblas_complex_numIdEPKPS3_EEvT1_iilPiilS8_bb.kd
    .uniform_work_group_size: 1
    .uses_dynamic_stack: false
    .vgpr_count:     158
    .vgpr_spill_count: 0
    .wavefront_size: 64
  - .agpr_count:     0
    .args:
      - .address_space:  global
        .offset:         0
        .size:           8
        .value_kind:     global_buffer
      - .offset:         8
        .size:           4
        .value_kind:     by_value
      - .offset:         12
        .size:           4
        .value_kind:     by_value
      - .offset:         16
        .size:           8
        .value_kind:     by_value
      - .address_space:  global
        .offset:         24
        .size:           8
        .value_kind:     global_buffer
      - .offset:         32
        .size:           4
        .value_kind:     by_value
      - .offset:         40
        .size:           8
        .value_kind:     by_value
      - .address_space:  global
        .offset:         48
        .size:           8
        .value_kind:     global_buffer
      - .offset:         56
        .size:           1
        .value_kind:     by_value
      - .offset:         57
        .size:           1
        .value_kind:     by_value
    .group_segment_fixed_size: 1544
    .kernarg_segment_align: 8
    .kernarg_segment_size: 60
    .language:       OpenCL C
    .language_version:
      - 2
      - 0
    .max_flat_workgroup_size: 64
    .name:           _ZN9rocsolver6v33100L18getri_kernel_smallILi16E19rocblas_complex_numIdEPKPS3_EEvT1_iilPiilS8_bb
    .private_segment_fixed_size: 272
    .sgpr_count:     42
    .sgpr_spill_count: 0
    .symbol:         _ZN9rocsolver6v33100L18getri_kernel_smallILi16E19rocblas_complex_numIdEPKPS3_EEvT1_iilPiilS8_bb.kd
    .uniform_work_group_size: 1
    .uses_dynamic_stack: false
    .vgpr_count:     160
    .vgpr_spill_count: 0
    .wavefront_size: 64
  - .agpr_count:     0
    .args:
      - .address_space:  global
        .offset:         0
        .size:           8
        .value_kind:     global_buffer
      - .offset:         8
        .size:           4
        .value_kind:     by_value
      - .offset:         12
        .size:           4
        .value_kind:     by_value
      - .offset:         16
        .size:           8
        .value_kind:     by_value
      - .address_space:  global
        .offset:         24
        .size:           8
        .value_kind:     global_buffer
      - .offset:         32
        .size:           4
        .value_kind:     by_value
      - .offset:         40
        .size:           8
        .value_kind:     by_value
      - .address_space:  global
        .offset:         48
        .size:           8
        .value_kind:     global_buffer
      - .offset:         56
        .size:           1
        .value_kind:     by_value
      - .offset:         57
        .size:           1
        .value_kind:     by_value
    .group_segment_fixed_size: 1576
    .kernarg_segment_align: 8
    .kernarg_segment_size: 60
    .language:       OpenCL C
    .language_version:
      - 2
      - 0
    .max_flat_workgroup_size: 64
    .name:           _ZN9rocsolver6v33100L18getri_kernel_smallILi17E19rocblas_complex_numIdEPKPS3_EEvT1_iilPiilS8_bb
    .private_segment_fixed_size: 288
    .sgpr_count:     43
    .sgpr_spill_count: 0
    .symbol:         _ZN9rocsolver6v33100L18getri_kernel_smallILi17E19rocblas_complex_numIdEPKPS3_EEvT1_iilPiilS8_bb.kd
    .uniform_work_group_size: 1
    .uses_dynamic_stack: false
    .vgpr_count:     200
    .vgpr_spill_count: 0
    .wavefront_size: 64
  - .agpr_count:     0
    .args:
      - .address_space:  global
        .offset:         0
        .size:           8
        .value_kind:     global_buffer
      - .offset:         8
        .size:           4
        .value_kind:     by_value
      - .offset:         12
        .size:           4
        .value_kind:     by_value
      - .offset:         16
        .size:           8
        .value_kind:     by_value
      - .address_space:  global
        .offset:         24
        .size:           8
        .value_kind:     global_buffer
      - .offset:         32
        .size:           4
        .value_kind:     by_value
      - .offset:         40
        .size:           8
        .value_kind:     by_value
      - .address_space:  global
        .offset:         48
        .size:           8
        .value_kind:     global_buffer
      - .offset:         56
        .size:           1
        .value_kind:     by_value
      - .offset:         57
        .size:           1
        .value_kind:     by_value
    .group_segment_fixed_size: 1608
    .kernarg_segment_align: 8
    .kernarg_segment_size: 60
    .language:       OpenCL C
    .language_version:
      - 2
      - 0
    .max_flat_workgroup_size: 64
    .name:           _ZN9rocsolver6v33100L18getri_kernel_smallILi18E19rocblas_complex_numIdEPKPS3_EEvT1_iilPiilS8_bb
    .private_segment_fixed_size: 304
    .sgpr_count:     45
    .sgpr_spill_count: 0
    .symbol:         _ZN9rocsolver6v33100L18getri_kernel_smallILi18E19rocblas_complex_numIdEPKPS3_EEvT1_iilPiilS8_bb.kd
    .uniform_work_group_size: 1
    .uses_dynamic_stack: false
    .vgpr_count:     214
    .vgpr_spill_count: 0
    .wavefront_size: 64
  - .agpr_count:     0
    .args:
      - .address_space:  global
        .offset:         0
        .size:           8
        .value_kind:     global_buffer
      - .offset:         8
        .size:           4
        .value_kind:     by_value
      - .offset:         12
        .size:           4
        .value_kind:     by_value
      - .offset:         16
        .size:           8
        .value_kind:     by_value
      - .address_space:  global
        .offset:         24
        .size:           8
        .value_kind:     global_buffer
      - .offset:         32
        .size:           4
        .value_kind:     by_value
      - .offset:         40
        .size:           8
        .value_kind:     by_value
      - .address_space:  global
        .offset:         48
        .size:           8
        .value_kind:     global_buffer
      - .offset:         56
        .size:           1
        .value_kind:     by_value
      - .offset:         57
        .size:           1
        .value_kind:     by_value
    .group_segment_fixed_size: 1640
    .kernarg_segment_align: 8
    .kernarg_segment_size: 60
    .language:       OpenCL C
    .language_version:
      - 2
      - 0
    .max_flat_workgroup_size: 64
    .name:           _ZN9rocsolver6v33100L18getri_kernel_smallILi19E19rocblas_complex_numIdEPKPS3_EEvT1_iilPiilS8_bb
    .private_segment_fixed_size: 320
    .sgpr_count:     46
    .sgpr_spill_count: 0
    .symbol:         _ZN9rocsolver6v33100L18getri_kernel_smallILi19E19rocblas_complex_numIdEPKPS3_EEvT1_iilPiilS8_bb.kd
    .uniform_work_group_size: 1
    .uses_dynamic_stack: false
    .vgpr_count:     224
    .vgpr_spill_count: 0
    .wavefront_size: 64
  - .agpr_count:     0
    .args:
      - .address_space:  global
        .offset:         0
        .size:           8
        .value_kind:     global_buffer
      - .offset:         8
        .size:           4
        .value_kind:     by_value
      - .offset:         12
        .size:           4
        .value_kind:     by_value
      - .offset:         16
        .size:           8
        .value_kind:     by_value
      - .address_space:  global
        .offset:         24
        .size:           8
        .value_kind:     global_buffer
      - .offset:         32
        .size:           4
        .value_kind:     by_value
      - .offset:         40
        .size:           8
        .value_kind:     by_value
      - .address_space:  global
        .offset:         48
        .size:           8
        .value_kind:     global_buffer
      - .offset:         56
        .size:           1
        .value_kind:     by_value
      - .offset:         57
        .size:           1
        .value_kind:     by_value
    .group_segment_fixed_size: 1672
    .kernarg_segment_align: 8
    .kernarg_segment_size: 60
    .language:       OpenCL C
    .language_version:
      - 2
      - 0
    .max_flat_workgroup_size: 64
    .name:           _ZN9rocsolver6v33100L18getri_kernel_smallILi20E19rocblas_complex_numIdEPKPS3_EEvT1_iilPiilS8_bb
    .private_segment_fixed_size: 336
    .sgpr_count:     48
    .sgpr_spill_count: 0
    .symbol:         _ZN9rocsolver6v33100L18getri_kernel_smallILi20E19rocblas_complex_numIdEPKPS3_EEvT1_iilPiilS8_bb.kd
    .uniform_work_group_size: 1
    .uses_dynamic_stack: false
    .vgpr_count:     238
    .vgpr_spill_count: 0
    .wavefront_size: 64
  - .agpr_count:     0
    .args:
      - .address_space:  global
        .offset:         0
        .size:           8
        .value_kind:     global_buffer
      - .offset:         8
        .size:           4
        .value_kind:     by_value
      - .offset:         12
        .size:           4
        .value_kind:     by_value
      - .offset:         16
        .size:           8
        .value_kind:     by_value
      - .address_space:  global
        .offset:         24
        .size:           8
        .value_kind:     global_buffer
      - .offset:         32
        .size:           4
        .value_kind:     by_value
      - .offset:         40
        .size:           8
        .value_kind:     by_value
      - .address_space:  global
        .offset:         48
        .size:           8
        .value_kind:     global_buffer
      - .offset:         56
        .size:           1
        .value_kind:     by_value
      - .offset:         57
        .size:           1
        .value_kind:     by_value
    .group_segment_fixed_size: 1704
    .kernarg_segment_align: 8
    .kernarg_segment_size: 60
    .language:       OpenCL C
    .language_version:
      - 2
      - 0
    .max_flat_workgroup_size: 64
    .name:           _ZN9rocsolver6v33100L18getri_kernel_smallILi21E19rocblas_complex_numIdEPKPS3_EEvT1_iilPiilS8_bb
    .private_segment_fixed_size: 352
    .sgpr_count:     49
    .sgpr_spill_count: 0
    .symbol:         _ZN9rocsolver6v33100L18getri_kernel_smallILi21E19rocblas_complex_numIdEPKPS3_EEvT1_iilPiilS8_bb.kd
    .uniform_work_group_size: 1
    .uses_dynamic_stack: false
    .vgpr_count:     248
    .vgpr_spill_count: 0
    .wavefront_size: 64
  - .agpr_count:     0
    .args:
      - .address_space:  global
        .offset:         0
        .size:           8
        .value_kind:     global_buffer
      - .offset:         8
        .size:           4
        .value_kind:     by_value
      - .offset:         12
        .size:           4
        .value_kind:     by_value
      - .offset:         16
        .size:           8
        .value_kind:     by_value
      - .address_space:  global
        .offset:         24
        .size:           8
        .value_kind:     global_buffer
      - .offset:         32
        .size:           4
        .value_kind:     by_value
      - .offset:         40
        .size:           8
        .value_kind:     by_value
      - .address_space:  global
        .offset:         48
        .size:           8
        .value_kind:     global_buffer
      - .offset:         56
        .size:           1
        .value_kind:     by_value
      - .offset:         57
        .size:           1
        .value_kind:     by_value
    .group_segment_fixed_size: 1736
    .kernarg_segment_align: 8
    .kernarg_segment_size: 60
    .language:       OpenCL C
    .language_version:
      - 2
      - 0
    .max_flat_workgroup_size: 64
    .name:           _ZN9rocsolver6v33100L18getri_kernel_smallILi22E19rocblas_complex_numIdEPKPS3_EEvT1_iilPiilS8_bb
    .private_segment_fixed_size: 368
    .sgpr_count:     51
    .sgpr_spill_count: 0
    .symbol:         _ZN9rocsolver6v33100L18getri_kernel_smallILi22E19rocblas_complex_numIdEPKPS3_EEvT1_iilPiilS8_bb.kd
    .uniform_work_group_size: 1
    .uses_dynamic_stack: false
    .vgpr_count:     254
    .vgpr_spill_count: 0
    .wavefront_size: 64
  - .agpr_count:     0
    .args:
      - .address_space:  global
        .offset:         0
        .size:           8
        .value_kind:     global_buffer
      - .offset:         8
        .size:           4
        .value_kind:     by_value
      - .offset:         12
        .size:           4
        .value_kind:     by_value
      - .offset:         16
        .size:           8
        .value_kind:     by_value
      - .address_space:  global
        .offset:         24
        .size:           8
        .value_kind:     global_buffer
      - .offset:         32
        .size:           4
        .value_kind:     by_value
      - .offset:         40
        .size:           8
        .value_kind:     by_value
      - .address_space:  global
        .offset:         48
        .size:           8
        .value_kind:     global_buffer
      - .offset:         56
        .size:           1
        .value_kind:     by_value
      - .offset:         57
        .size:           1
        .value_kind:     by_value
    .group_segment_fixed_size: 1768
    .kernarg_segment_align: 8
    .kernarg_segment_size: 60
    .language:       OpenCL C
    .language_version:
      - 2
      - 0
    .max_flat_workgroup_size: 64
    .name:           _ZN9rocsolver6v33100L18getri_kernel_smallILi23E19rocblas_complex_numIdEPKPS3_EEvT1_iilPiilS8_bb
    .private_segment_fixed_size: 384
    .sgpr_count:     52
    .sgpr_spill_count: 0
    .symbol:         _ZN9rocsolver6v33100L18getri_kernel_smallILi23E19rocblas_complex_numIdEPKPS3_EEvT1_iilPiilS8_bb.kd
    .uniform_work_group_size: 1
    .uses_dynamic_stack: false
    .vgpr_count:     254
    .vgpr_spill_count: 0
    .wavefront_size: 64
  - .agpr_count:     0
    .args:
      - .address_space:  global
        .offset:         0
        .size:           8
        .value_kind:     global_buffer
      - .offset:         8
        .size:           4
        .value_kind:     by_value
      - .offset:         12
        .size:           4
        .value_kind:     by_value
      - .offset:         16
        .size:           8
        .value_kind:     by_value
      - .address_space:  global
        .offset:         24
        .size:           8
        .value_kind:     global_buffer
      - .offset:         32
        .size:           4
        .value_kind:     by_value
      - .offset:         40
        .size:           8
        .value_kind:     by_value
      - .address_space:  global
        .offset:         48
        .size:           8
        .value_kind:     global_buffer
      - .offset:         56
        .size:           1
        .value_kind:     by_value
      - .offset:         57
        .size:           1
        .value_kind:     by_value
    .group_segment_fixed_size: 1800
    .kernarg_segment_align: 8
    .kernarg_segment_size: 60
    .language:       OpenCL C
    .language_version:
      - 2
      - 0
    .max_flat_workgroup_size: 64
    .name:           _ZN9rocsolver6v33100L18getri_kernel_smallILi24E19rocblas_complex_numIdEPKPS3_EEvT1_iilPiilS8_bb
    .private_segment_fixed_size: 400
    .sgpr_count:     54
    .sgpr_spill_count: 0
    .symbol:         _ZN9rocsolver6v33100L18getri_kernel_smallILi24E19rocblas_complex_numIdEPKPS3_EEvT1_iilPiilS8_bb.kd
    .uniform_work_group_size: 1
    .uses_dynamic_stack: false
    .vgpr_count:     248
    .vgpr_spill_count: 0
    .wavefront_size: 64
  - .agpr_count:     0
    .args:
      - .address_space:  global
        .offset:         0
        .size:           8
        .value_kind:     global_buffer
      - .offset:         8
        .size:           4
        .value_kind:     by_value
      - .offset:         12
        .size:           4
        .value_kind:     by_value
      - .offset:         16
        .size:           8
        .value_kind:     by_value
      - .address_space:  global
        .offset:         24
        .size:           8
        .value_kind:     global_buffer
      - .offset:         32
        .size:           4
        .value_kind:     by_value
      - .offset:         40
        .size:           8
        .value_kind:     by_value
      - .address_space:  global
        .offset:         48
        .size:           8
        .value_kind:     global_buffer
      - .offset:         56
        .size:           1
        .value_kind:     by_value
      - .offset:         57
        .size:           1
        .value_kind:     by_value
    .group_segment_fixed_size: 1832
    .kernarg_segment_align: 8
    .kernarg_segment_size: 60
    .language:       OpenCL C
    .language_version:
      - 2
      - 0
    .max_flat_workgroup_size: 64
    .name:           _ZN9rocsolver6v33100L18getri_kernel_smallILi25E19rocblas_complex_numIdEPKPS3_EEvT1_iilPiilS8_bb
    .private_segment_fixed_size: 416
    .sgpr_count:     55
    .sgpr_spill_count: 0
    .symbol:         _ZN9rocsolver6v33100L18getri_kernel_smallILi25E19rocblas_complex_numIdEPKPS3_EEvT1_iilPiilS8_bb.kd
    .uniform_work_group_size: 1
    .uses_dynamic_stack: false
    .vgpr_count:     250
    .vgpr_spill_count: 0
    .wavefront_size: 64
  - .agpr_count:     4
    .args:
      - .address_space:  global
        .offset:         0
        .size:           8
        .value_kind:     global_buffer
      - .offset:         8
        .size:           4
        .value_kind:     by_value
      - .offset:         12
        .size:           4
        .value_kind:     by_value
      - .offset:         16
        .size:           8
        .value_kind:     by_value
      - .address_space:  global
        .offset:         24
        .size:           8
        .value_kind:     global_buffer
      - .offset:         32
        .size:           4
        .value_kind:     by_value
      - .offset:         40
        .size:           8
        .value_kind:     by_value
      - .address_space:  global
        .offset:         48
        .size:           8
        .value_kind:     global_buffer
      - .offset:         56
        .size:           1
        .value_kind:     by_value
      - .offset:         57
        .size:           1
        .value_kind:     by_value
    .group_segment_fixed_size: 1864
    .kernarg_segment_align: 8
    .kernarg_segment_size: 60
    .language:       OpenCL C
    .language_version:
      - 2
      - 0
    .max_flat_workgroup_size: 64
    .name:           _ZN9rocsolver6v33100L18getri_kernel_smallILi26E19rocblas_complex_numIdEPKPS3_EEvT1_iilPiilS8_bb
    .private_segment_fixed_size: 432
    .sgpr_count:     57
    .sgpr_spill_count: 0
    .symbol:         _ZN9rocsolver6v33100L18getri_kernel_smallILi26E19rocblas_complex_numIdEPKPS3_EEvT1_iilPiilS8_bb.kd
    .uniform_work_group_size: 1
    .uses_dynamic_stack: false
    .vgpr_count:     260
    .vgpr_spill_count: 0
    .wavefront_size: 64
  - .agpr_count:     12
    .args:
      - .address_space:  global
        .offset:         0
        .size:           8
        .value_kind:     global_buffer
      - .offset:         8
        .size:           4
        .value_kind:     by_value
      - .offset:         12
        .size:           4
        .value_kind:     by_value
      - .offset:         16
        .size:           8
        .value_kind:     by_value
      - .address_space:  global
        .offset:         24
        .size:           8
        .value_kind:     global_buffer
      - .offset:         32
        .size:           4
        .value_kind:     by_value
      - .offset:         40
        .size:           8
        .value_kind:     by_value
      - .address_space:  global
        .offset:         48
        .size:           8
        .value_kind:     global_buffer
      - .offset:         56
        .size:           1
        .value_kind:     by_value
      - .offset:         57
        .size:           1
        .value_kind:     by_value
    .group_segment_fixed_size: 1896
    .kernarg_segment_align: 8
    .kernarg_segment_size: 60
    .language:       OpenCL C
    .language_version:
      - 2
      - 0
    .max_flat_workgroup_size: 64
    .name:           _ZN9rocsolver6v33100L18getri_kernel_smallILi27E19rocblas_complex_numIdEPKPS3_EEvT1_iilPiilS8_bb
    .private_segment_fixed_size: 448
    .sgpr_count:     58
    .sgpr_spill_count: 0
    .symbol:         _ZN9rocsolver6v33100L18getri_kernel_smallILi27E19rocblas_complex_numIdEPKPS3_EEvT1_iilPiilS8_bb.kd
    .uniform_work_group_size: 1
    .uses_dynamic_stack: false
    .vgpr_count:     268
    .vgpr_spill_count: 0
    .wavefront_size: 64
  - .agpr_count:     24
    .args:
      - .address_space:  global
        .offset:         0
        .size:           8
        .value_kind:     global_buffer
      - .offset:         8
        .size:           4
        .value_kind:     by_value
      - .offset:         12
        .size:           4
        .value_kind:     by_value
      - .offset:         16
        .size:           8
        .value_kind:     by_value
      - .address_space:  global
        .offset:         24
        .size:           8
        .value_kind:     global_buffer
      - .offset:         32
        .size:           4
        .value_kind:     by_value
      - .offset:         40
        .size:           8
        .value_kind:     by_value
      - .address_space:  global
        .offset:         48
        .size:           8
        .value_kind:     global_buffer
      - .offset:         56
        .size:           1
        .value_kind:     by_value
      - .offset:         57
        .size:           1
        .value_kind:     by_value
    .group_segment_fixed_size: 1928
    .kernarg_segment_align: 8
    .kernarg_segment_size: 60
    .language:       OpenCL C
    .language_version:
      - 2
      - 0
    .max_flat_workgroup_size: 64
    .name:           _ZN9rocsolver6v33100L18getri_kernel_smallILi28E19rocblas_complex_numIdEPKPS3_EEvT1_iilPiilS8_bb
    .private_segment_fixed_size: 464
    .sgpr_count:     60
    .sgpr_spill_count: 0
    .symbol:         _ZN9rocsolver6v33100L18getri_kernel_smallILi28E19rocblas_complex_numIdEPKPS3_EEvT1_iilPiilS8_bb.kd
    .uniform_work_group_size: 1
    .uses_dynamic_stack: false
    .vgpr_count:     280
    .vgpr_spill_count: 0
    .wavefront_size: 64
  - .agpr_count:     32
    .args:
      - .address_space:  global
        .offset:         0
        .size:           8
        .value_kind:     global_buffer
      - .offset:         8
        .size:           4
        .value_kind:     by_value
      - .offset:         12
        .size:           4
        .value_kind:     by_value
      - .offset:         16
        .size:           8
        .value_kind:     by_value
      - .address_space:  global
        .offset:         24
        .size:           8
        .value_kind:     global_buffer
      - .offset:         32
        .size:           4
        .value_kind:     by_value
      - .offset:         40
        .size:           8
        .value_kind:     by_value
      - .address_space:  global
        .offset:         48
        .size:           8
        .value_kind:     global_buffer
      - .offset:         56
        .size:           1
        .value_kind:     by_value
      - .offset:         57
        .size:           1
        .value_kind:     by_value
    .group_segment_fixed_size: 1960
    .kernarg_segment_align: 8
    .kernarg_segment_size: 60
    .language:       OpenCL C
    .language_version:
      - 2
      - 0
    .max_flat_workgroup_size: 64
    .name:           _ZN9rocsolver6v33100L18getri_kernel_smallILi29E19rocblas_complex_numIdEPKPS3_EEvT1_iilPiilS8_bb
    .private_segment_fixed_size: 480
    .sgpr_count:     61
    .sgpr_spill_count: 0
    .symbol:         _ZN9rocsolver6v33100L18getri_kernel_smallILi29E19rocblas_complex_numIdEPKPS3_EEvT1_iilPiilS8_bb.kd
    .uniform_work_group_size: 1
    .uses_dynamic_stack: false
    .vgpr_count:     288
    .vgpr_spill_count: 0
    .wavefront_size: 64
  - .agpr_count:     44
    .args:
      - .address_space:  global
        .offset:         0
        .size:           8
        .value_kind:     global_buffer
      - .offset:         8
        .size:           4
        .value_kind:     by_value
      - .offset:         12
        .size:           4
        .value_kind:     by_value
      - .offset:         16
        .size:           8
        .value_kind:     by_value
      - .address_space:  global
        .offset:         24
        .size:           8
        .value_kind:     global_buffer
      - .offset:         32
        .size:           4
        .value_kind:     by_value
      - .offset:         40
        .size:           8
        .value_kind:     by_value
      - .address_space:  global
        .offset:         48
        .size:           8
        .value_kind:     global_buffer
      - .offset:         56
        .size:           1
        .value_kind:     by_value
      - .offset:         57
        .size:           1
        .value_kind:     by_value
    .group_segment_fixed_size: 1992
    .kernarg_segment_align: 8
    .kernarg_segment_size: 60
    .language:       OpenCL C
    .language_version:
      - 2
      - 0
    .max_flat_workgroup_size: 64
    .name:           _ZN9rocsolver6v33100L18getri_kernel_smallILi30E19rocblas_complex_numIdEPKPS3_EEvT1_iilPiilS8_bb
    .private_segment_fixed_size: 496
    .sgpr_count:     63
    .sgpr_spill_count: 0
    .symbol:         _ZN9rocsolver6v33100L18getri_kernel_smallILi30E19rocblas_complex_numIdEPKPS3_EEvT1_iilPiilS8_bb.kd
    .uniform_work_group_size: 1
    .uses_dynamic_stack: false
    .vgpr_count:     300
    .vgpr_spill_count: 0
    .wavefront_size: 64
  - .agpr_count:     52
    .args:
      - .address_space:  global
        .offset:         0
        .size:           8
        .value_kind:     global_buffer
      - .offset:         8
        .size:           4
        .value_kind:     by_value
      - .offset:         12
        .size:           4
        .value_kind:     by_value
      - .offset:         16
        .size:           8
        .value_kind:     by_value
      - .address_space:  global
        .offset:         24
        .size:           8
        .value_kind:     global_buffer
      - .offset:         32
        .size:           4
        .value_kind:     by_value
      - .offset:         40
        .size:           8
        .value_kind:     by_value
      - .address_space:  global
        .offset:         48
        .size:           8
        .value_kind:     global_buffer
      - .offset:         56
        .size:           1
        .value_kind:     by_value
      - .offset:         57
        .size:           1
        .value_kind:     by_value
    .group_segment_fixed_size: 2024
    .kernarg_segment_align: 8
    .kernarg_segment_size: 60
    .language:       OpenCL C
    .language_version:
      - 2
      - 0
    .max_flat_workgroup_size: 64
    .name:           _ZN9rocsolver6v33100L18getri_kernel_smallILi31E19rocblas_complex_numIdEPKPS3_EEvT1_iilPiilS8_bb
    .private_segment_fixed_size: 512
    .sgpr_count:     64
    .sgpr_spill_count: 0
    .symbol:         _ZN9rocsolver6v33100L18getri_kernel_smallILi31E19rocblas_complex_numIdEPKPS3_EEvT1_iilPiilS8_bb.kd
    .uniform_work_group_size: 1
    .uses_dynamic_stack: false
    .vgpr_count:     308
    .vgpr_spill_count: 0
    .wavefront_size: 64
  - .agpr_count:     56
    .args:
      - .address_space:  global
        .offset:         0
        .size:           8
        .value_kind:     global_buffer
      - .offset:         8
        .size:           4
        .value_kind:     by_value
      - .offset:         12
        .size:           4
        .value_kind:     by_value
      - .offset:         16
        .size:           8
        .value_kind:     by_value
      - .address_space:  global
        .offset:         24
        .size:           8
        .value_kind:     global_buffer
      - .offset:         32
        .size:           4
        .value_kind:     by_value
      - .offset:         40
        .size:           8
        .value_kind:     by_value
      - .address_space:  global
        .offset:         48
        .size:           8
        .value_kind:     global_buffer
      - .offset:         56
        .size:           1
        .value_kind:     by_value
      - .offset:         57
        .size:           1
        .value_kind:     by_value
    .group_segment_fixed_size: 2056
    .kernarg_segment_align: 8
    .kernarg_segment_size: 60
    .language:       OpenCL C
    .language_version:
      - 2
      - 0
    .max_flat_workgroup_size: 64
    .name:           _ZN9rocsolver6v33100L18getri_kernel_smallILi32E19rocblas_complex_numIdEPKPS3_EEvT1_iilPiilS8_bb
    .private_segment_fixed_size: 528
    .sgpr_count:     66
    .sgpr_spill_count: 0
    .symbol:         _ZN9rocsolver6v33100L18getri_kernel_smallILi32E19rocblas_complex_numIdEPKPS3_EEvT1_iilPiilS8_bb.kd
    .uniform_work_group_size: 1
    .uses_dynamic_stack: false
    .vgpr_count:     312
    .vgpr_spill_count: 0
    .wavefront_size: 64
  - .agpr_count:     58
    .args:
      - .address_space:  global
        .offset:         0
        .size:           8
        .value_kind:     global_buffer
      - .offset:         8
        .size:           4
        .value_kind:     by_value
      - .offset:         12
        .size:           4
        .value_kind:     by_value
      - .offset:         16
        .size:           8
        .value_kind:     by_value
      - .address_space:  global
        .offset:         24
        .size:           8
        .value_kind:     global_buffer
      - .offset:         32
        .size:           4
        .value_kind:     by_value
      - .offset:         40
        .size:           8
        .value_kind:     by_value
      - .address_space:  global
        .offset:         48
        .size:           8
        .value_kind:     global_buffer
      - .offset:         56
        .size:           1
        .value_kind:     by_value
      - .offset:         57
        .size:           1
        .value_kind:     by_value
    .group_segment_fixed_size: 1064
    .kernarg_segment_align: 8
    .kernarg_segment_size: 60
    .language:       OpenCL C
    .language_version:
      - 2
      - 0
    .max_flat_workgroup_size: 64
    .name:           _ZN9rocsolver6v33100L18getri_kernel_smallILi33E19rocblas_complex_numIdEPKPS3_EEvT1_iilPiilS8_bb
    .private_segment_fixed_size: 560
    .sgpr_count:     65
    .sgpr_spill_count: 0
    .symbol:         _ZN9rocsolver6v33100L18getri_kernel_smallILi33E19rocblas_complex_numIdEPKPS3_EEvT1_iilPiilS8_bb.kd
    .uniform_work_group_size: 1
    .uses_dynamic_stack: false
    .vgpr_count:     314
    .vgpr_spill_count: 0
    .wavefront_size: 64
  - .agpr_count:     60
    .args:
      - .address_space:  global
        .offset:         0
        .size:           8
        .value_kind:     global_buffer
      - .offset:         8
        .size:           4
        .value_kind:     by_value
      - .offset:         12
        .size:           4
        .value_kind:     by_value
      - .offset:         16
        .size:           8
        .value_kind:     by_value
      - .address_space:  global
        .offset:         24
        .size:           8
        .value_kind:     global_buffer
      - .offset:         32
        .size:           4
        .value_kind:     by_value
      - .offset:         40
        .size:           8
        .value_kind:     by_value
      - .address_space:  global
        .offset:         48
        .size:           8
        .value_kind:     global_buffer
      - .offset:         56
        .size:           1
        .value_kind:     by_value
      - .offset:         57
        .size:           1
        .value_kind:     by_value
    .group_segment_fixed_size: 1096
    .kernarg_segment_align: 8
    .kernarg_segment_size: 60
    .language:       OpenCL C
    .language_version:
      - 2
      - 0
    .max_flat_workgroup_size: 64
    .name:           _ZN9rocsolver6v33100L18getri_kernel_smallILi34E19rocblas_complex_numIdEPKPS3_EEvT1_iilPiilS8_bb
    .private_segment_fixed_size: 576
    .sgpr_count:     67
    .sgpr_spill_count: 0
    .symbol:         _ZN9rocsolver6v33100L18getri_kernel_smallILi34E19rocblas_complex_numIdEPKPS3_EEvT1_iilPiilS8_bb.kd
    .uniform_work_group_size: 1
    .uses_dynamic_stack: false
    .vgpr_count:     316
    .vgpr_spill_count: 0
    .wavefront_size: 64
  - .agpr_count:     64
    .args:
      - .address_space:  global
        .offset:         0
        .size:           8
        .value_kind:     global_buffer
      - .offset:         8
        .size:           4
        .value_kind:     by_value
      - .offset:         12
        .size:           4
        .value_kind:     by_value
      - .offset:         16
        .size:           8
        .value_kind:     by_value
      - .address_space:  global
        .offset:         24
        .size:           8
        .value_kind:     global_buffer
      - .offset:         32
        .size:           4
        .value_kind:     by_value
      - .offset:         40
        .size:           8
        .value_kind:     by_value
      - .address_space:  global
        .offset:         48
        .size:           8
        .value_kind:     global_buffer
      - .offset:         56
        .size:           1
        .value_kind:     by_value
      - .offset:         57
        .size:           1
        .value_kind:     by_value
    .group_segment_fixed_size: 1128
    .kernarg_segment_align: 8
    .kernarg_segment_size: 60
    .language:       OpenCL C
    .language_version:
      - 2
      - 0
    .max_flat_workgroup_size: 64
    .name:           _ZN9rocsolver6v33100L18getri_kernel_smallILi35E19rocblas_complex_numIdEPKPS3_EEvT1_iilPiilS8_bb
    .private_segment_fixed_size: 592
    .sgpr_count:     68
    .sgpr_spill_count: 0
    .symbol:         _ZN9rocsolver6v33100L18getri_kernel_smallILi35E19rocblas_complex_numIdEPKPS3_EEvT1_iilPiilS8_bb.kd
    .uniform_work_group_size: 1
    .uses_dynamic_stack: false
    .vgpr_count:     320
    .vgpr_spill_count: 0
    .wavefront_size: 64
  - .agpr_count:     70
    .args:
      - .address_space:  global
        .offset:         0
        .size:           8
        .value_kind:     global_buffer
      - .offset:         8
        .size:           4
        .value_kind:     by_value
      - .offset:         12
        .size:           4
        .value_kind:     by_value
      - .offset:         16
        .size:           8
        .value_kind:     by_value
      - .address_space:  global
        .offset:         24
        .size:           8
        .value_kind:     global_buffer
      - .offset:         32
        .size:           4
        .value_kind:     by_value
      - .offset:         40
        .size:           8
        .value_kind:     by_value
      - .address_space:  global
        .offset:         48
        .size:           8
        .value_kind:     global_buffer
      - .offset:         56
        .size:           1
        .value_kind:     by_value
      - .offset:         57
        .size:           1
        .value_kind:     by_value
    .group_segment_fixed_size: 1160
    .kernarg_segment_align: 8
    .kernarg_segment_size: 60
    .language:       OpenCL C
    .language_version:
      - 2
      - 0
    .max_flat_workgroup_size: 64
    .name:           _ZN9rocsolver6v33100L18getri_kernel_smallILi36E19rocblas_complex_numIdEPKPS3_EEvT1_iilPiilS8_bb
    .private_segment_fixed_size: 608
    .sgpr_count:     70
    .sgpr_spill_count: 0
    .symbol:         _ZN9rocsolver6v33100L18getri_kernel_smallILi36E19rocblas_complex_numIdEPKPS3_EEvT1_iilPiilS8_bb.kd
    .uniform_work_group_size: 1
    .uses_dynamic_stack: false
    .vgpr_count:     326
    .vgpr_spill_count: 0
    .wavefront_size: 64
  - .agpr_count:     72
    .args:
      - .address_space:  global
        .offset:         0
        .size:           8
        .value_kind:     global_buffer
      - .offset:         8
        .size:           4
        .value_kind:     by_value
      - .offset:         12
        .size:           4
        .value_kind:     by_value
      - .offset:         16
        .size:           8
        .value_kind:     by_value
      - .address_space:  global
        .offset:         24
        .size:           8
        .value_kind:     global_buffer
      - .offset:         32
        .size:           4
        .value_kind:     by_value
      - .offset:         40
        .size:           8
        .value_kind:     by_value
      - .address_space:  global
        .offset:         48
        .size:           8
        .value_kind:     global_buffer
      - .offset:         56
        .size:           1
        .value_kind:     by_value
      - .offset:         57
        .size:           1
        .value_kind:     by_value
    .group_segment_fixed_size: 1192
    .kernarg_segment_align: 8
    .kernarg_segment_size: 60
    .language:       OpenCL C
    .language_version:
      - 2
      - 0
    .max_flat_workgroup_size: 64
    .name:           _ZN9rocsolver6v33100L18getri_kernel_smallILi37E19rocblas_complex_numIdEPKPS3_EEvT1_iilPiilS8_bb
    .private_segment_fixed_size: 624
    .sgpr_count:     71
    .sgpr_spill_count: 0
    .symbol:         _ZN9rocsolver6v33100L18getri_kernel_smallILi37E19rocblas_complex_numIdEPKPS3_EEvT1_iilPiilS8_bb.kd
    .uniform_work_group_size: 1
    .uses_dynamic_stack: false
    .vgpr_count:     328
    .vgpr_spill_count: 0
    .wavefront_size: 64
  - .agpr_count:     80
    .args:
      - .address_space:  global
        .offset:         0
        .size:           8
        .value_kind:     global_buffer
      - .offset:         8
        .size:           4
        .value_kind:     by_value
      - .offset:         12
        .size:           4
        .value_kind:     by_value
      - .offset:         16
        .size:           8
        .value_kind:     by_value
      - .address_space:  global
        .offset:         24
        .size:           8
        .value_kind:     global_buffer
      - .offset:         32
        .size:           4
        .value_kind:     by_value
      - .offset:         40
        .size:           8
        .value_kind:     by_value
      - .address_space:  global
        .offset:         48
        .size:           8
        .value_kind:     global_buffer
      - .offset:         56
        .size:           1
        .value_kind:     by_value
      - .offset:         57
        .size:           1
        .value_kind:     by_value
    .group_segment_fixed_size: 1224
    .kernarg_segment_align: 8
    .kernarg_segment_size: 60
    .language:       OpenCL C
    .language_version:
      - 2
      - 0
    .max_flat_workgroup_size: 64
    .name:           _ZN9rocsolver6v33100L18getri_kernel_smallILi38E19rocblas_complex_numIdEPKPS3_EEvT1_iilPiilS8_bb
    .private_segment_fixed_size: 640
    .sgpr_count:     73
    .sgpr_spill_count: 0
    .symbol:         _ZN9rocsolver6v33100L18getri_kernel_smallILi38E19rocblas_complex_numIdEPKPS3_EEvT1_iilPiilS8_bb.kd
    .uniform_work_group_size: 1
    .uses_dynamic_stack: false
    .vgpr_count:     336
    .vgpr_spill_count: 0
    .wavefront_size: 64
  - .agpr_count:     78
    .args:
      - .address_space:  global
        .offset:         0
        .size:           8
        .value_kind:     global_buffer
      - .offset:         8
        .size:           4
        .value_kind:     by_value
      - .offset:         12
        .size:           4
        .value_kind:     by_value
      - .offset:         16
        .size:           8
        .value_kind:     by_value
      - .address_space:  global
        .offset:         24
        .size:           8
        .value_kind:     global_buffer
      - .offset:         32
        .size:           4
        .value_kind:     by_value
      - .offset:         40
        .size:           8
        .value_kind:     by_value
      - .address_space:  global
        .offset:         48
        .size:           8
        .value_kind:     global_buffer
      - .offset:         56
        .size:           1
        .value_kind:     by_value
      - .offset:         57
        .size:           1
        .value_kind:     by_value
    .group_segment_fixed_size: 1256
    .kernarg_segment_align: 8
    .kernarg_segment_size: 60
    .language:       OpenCL C
    .language_version:
      - 2
      - 0
    .max_flat_workgroup_size: 64
    .name:           _ZN9rocsolver6v33100L18getri_kernel_smallILi39E19rocblas_complex_numIdEPKPS3_EEvT1_iilPiilS8_bb
    .private_segment_fixed_size: 656
    .sgpr_count:     74
    .sgpr_spill_count: 0
    .symbol:         _ZN9rocsolver6v33100L18getri_kernel_smallILi39E19rocblas_complex_numIdEPKPS3_EEvT1_iilPiilS8_bb.kd
    .uniform_work_group_size: 1
    .uses_dynamic_stack: false
    .vgpr_count:     334
    .vgpr_spill_count: 0
    .wavefront_size: 64
  - .agpr_count:     84
    .args:
      - .address_space:  global
        .offset:         0
        .size:           8
        .value_kind:     global_buffer
      - .offset:         8
        .size:           4
        .value_kind:     by_value
      - .offset:         12
        .size:           4
        .value_kind:     by_value
      - .offset:         16
        .size:           8
        .value_kind:     by_value
      - .address_space:  global
        .offset:         24
        .size:           8
        .value_kind:     global_buffer
      - .offset:         32
        .size:           4
        .value_kind:     by_value
      - .offset:         40
        .size:           8
        .value_kind:     by_value
      - .address_space:  global
        .offset:         48
        .size:           8
        .value_kind:     global_buffer
      - .offset:         56
        .size:           1
        .value_kind:     by_value
      - .offset:         57
        .size:           1
        .value_kind:     by_value
    .group_segment_fixed_size: 1288
    .kernarg_segment_align: 8
    .kernarg_segment_size: 60
    .language:       OpenCL C
    .language_version:
      - 2
      - 0
    .max_flat_workgroup_size: 64
    .name:           _ZN9rocsolver6v33100L18getri_kernel_smallILi40E19rocblas_complex_numIdEPKPS3_EEvT1_iilPiilS8_bb
    .private_segment_fixed_size: 672
    .sgpr_count:     76
    .sgpr_spill_count: 0
    .symbol:         _ZN9rocsolver6v33100L18getri_kernel_smallILi40E19rocblas_complex_numIdEPKPS3_EEvT1_iilPiilS8_bb.kd
    .uniform_work_group_size: 1
    .uses_dynamic_stack: false
    .vgpr_count:     340
    .vgpr_spill_count: 0
    .wavefront_size: 64
  - .agpr_count:     86
    .args:
      - .address_space:  global
        .offset:         0
        .size:           8
        .value_kind:     global_buffer
      - .offset:         8
        .size:           4
        .value_kind:     by_value
      - .offset:         12
        .size:           4
        .value_kind:     by_value
      - .offset:         16
        .size:           8
        .value_kind:     by_value
      - .address_space:  global
        .offset:         24
        .size:           8
        .value_kind:     global_buffer
      - .offset:         32
        .size:           4
        .value_kind:     by_value
      - .offset:         40
        .size:           8
        .value_kind:     by_value
      - .address_space:  global
        .offset:         48
        .size:           8
        .value_kind:     global_buffer
      - .offset:         56
        .size:           1
        .value_kind:     by_value
      - .offset:         57
        .size:           1
        .value_kind:     by_value
    .group_segment_fixed_size: 1320
    .kernarg_segment_align: 8
    .kernarg_segment_size: 60
    .language:       OpenCL C
    .language_version:
      - 2
      - 0
    .max_flat_workgroup_size: 64
    .name:           _ZN9rocsolver6v33100L18getri_kernel_smallILi41E19rocblas_complex_numIdEPKPS3_EEvT1_iilPiilS8_bb
    .private_segment_fixed_size: 688
    .sgpr_count:     77
    .sgpr_spill_count: 0
    .symbol:         _ZN9rocsolver6v33100L18getri_kernel_smallILi41E19rocblas_complex_numIdEPKPS3_EEvT1_iilPiilS8_bb.kd
    .uniform_work_group_size: 1
    .uses_dynamic_stack: false
    .vgpr_count:     342
    .vgpr_spill_count: 0
    .wavefront_size: 64
  - .agpr_count:     92
    .args:
      - .address_space:  global
        .offset:         0
        .size:           8
        .value_kind:     global_buffer
      - .offset:         8
        .size:           4
        .value_kind:     by_value
      - .offset:         12
        .size:           4
        .value_kind:     by_value
      - .offset:         16
        .size:           8
        .value_kind:     by_value
      - .address_space:  global
        .offset:         24
        .size:           8
        .value_kind:     global_buffer
      - .offset:         32
        .size:           4
        .value_kind:     by_value
      - .offset:         40
        .size:           8
        .value_kind:     by_value
      - .address_space:  global
        .offset:         48
        .size:           8
        .value_kind:     global_buffer
      - .offset:         56
        .size:           1
        .value_kind:     by_value
      - .offset:         57
        .size:           1
        .value_kind:     by_value
    .group_segment_fixed_size: 1352
    .kernarg_segment_align: 8
    .kernarg_segment_size: 60
    .language:       OpenCL C
    .language_version:
      - 2
      - 0
    .max_flat_workgroup_size: 64
    .name:           _ZN9rocsolver6v33100L18getri_kernel_smallILi42E19rocblas_complex_numIdEPKPS3_EEvT1_iilPiilS8_bb
    .private_segment_fixed_size: 704
    .sgpr_count:     79
    .sgpr_spill_count: 0
    .symbol:         _ZN9rocsolver6v33100L18getri_kernel_smallILi42E19rocblas_complex_numIdEPKPS3_EEvT1_iilPiilS8_bb.kd
    .uniform_work_group_size: 1
    .uses_dynamic_stack: false
    .vgpr_count:     348
    .vgpr_spill_count: 0
    .wavefront_size: 64
  - .agpr_count:     96
    .args:
      - .address_space:  global
        .offset:         0
        .size:           8
        .value_kind:     global_buffer
      - .offset:         8
        .size:           4
        .value_kind:     by_value
      - .offset:         12
        .size:           4
        .value_kind:     by_value
      - .offset:         16
        .size:           8
        .value_kind:     by_value
      - .address_space:  global
        .offset:         24
        .size:           8
        .value_kind:     global_buffer
      - .offset:         32
        .size:           4
        .value_kind:     by_value
      - .offset:         40
        .size:           8
        .value_kind:     by_value
      - .address_space:  global
        .offset:         48
        .size:           8
        .value_kind:     global_buffer
      - .offset:         56
        .size:           1
        .value_kind:     by_value
      - .offset:         57
        .size:           1
        .value_kind:     by_value
    .group_segment_fixed_size: 1384
    .kernarg_segment_align: 8
    .kernarg_segment_size: 60
    .language:       OpenCL C
    .language_version:
      - 2
      - 0
    .max_flat_workgroup_size: 64
    .name:           _ZN9rocsolver6v33100L18getri_kernel_smallILi43E19rocblas_complex_numIdEPKPS3_EEvT1_iilPiilS8_bb
    .private_segment_fixed_size: 720
    .sgpr_count:     80
    .sgpr_spill_count: 0
    .symbol:         _ZN9rocsolver6v33100L18getri_kernel_smallILi43E19rocblas_complex_numIdEPKPS3_EEvT1_iilPiilS8_bb.kd
    .uniform_work_group_size: 1
    .uses_dynamic_stack: false
    .vgpr_count:     352
    .vgpr_spill_count: 0
    .wavefront_size: 64
  - .agpr_count:     102
    .args:
      - .address_space:  global
        .offset:         0
        .size:           8
        .value_kind:     global_buffer
      - .offset:         8
        .size:           4
        .value_kind:     by_value
      - .offset:         12
        .size:           4
        .value_kind:     by_value
      - .offset:         16
        .size:           8
        .value_kind:     by_value
      - .address_space:  global
        .offset:         24
        .size:           8
        .value_kind:     global_buffer
      - .offset:         32
        .size:           4
        .value_kind:     by_value
      - .offset:         40
        .size:           8
        .value_kind:     by_value
      - .address_space:  global
        .offset:         48
        .size:           8
        .value_kind:     global_buffer
      - .offset:         56
        .size:           1
        .value_kind:     by_value
      - .offset:         57
        .size:           1
        .value_kind:     by_value
    .group_segment_fixed_size: 1416
    .kernarg_segment_align: 8
    .kernarg_segment_size: 60
    .language:       OpenCL C
    .language_version:
      - 2
      - 0
    .max_flat_workgroup_size: 64
    .name:           _ZN9rocsolver6v33100L18getri_kernel_smallILi44E19rocblas_complex_numIdEPKPS3_EEvT1_iilPiilS8_bb
    .private_segment_fixed_size: 736
    .sgpr_count:     82
    .sgpr_spill_count: 0
    .symbol:         _ZN9rocsolver6v33100L18getri_kernel_smallILi44E19rocblas_complex_numIdEPKPS3_EEvT1_iilPiilS8_bb.kd
    .uniform_work_group_size: 1
    .uses_dynamic_stack: false
    .vgpr_count:     358
    .vgpr_spill_count: 0
    .wavefront_size: 64
  - .agpr_count:     104
    .args:
      - .address_space:  global
        .offset:         0
        .size:           8
        .value_kind:     global_buffer
      - .offset:         8
        .size:           4
        .value_kind:     by_value
      - .offset:         12
        .size:           4
        .value_kind:     by_value
      - .offset:         16
        .size:           8
        .value_kind:     by_value
      - .address_space:  global
        .offset:         24
        .size:           8
        .value_kind:     global_buffer
      - .offset:         32
        .size:           4
        .value_kind:     by_value
      - .offset:         40
        .size:           8
        .value_kind:     by_value
      - .address_space:  global
        .offset:         48
        .size:           8
        .value_kind:     global_buffer
      - .offset:         56
        .size:           1
        .value_kind:     by_value
      - .offset:         57
        .size:           1
        .value_kind:     by_value
    .group_segment_fixed_size: 1448
    .kernarg_segment_align: 8
    .kernarg_segment_size: 60
    .language:       OpenCL C
    .language_version:
      - 2
      - 0
    .max_flat_workgroup_size: 64
    .name:           _ZN9rocsolver6v33100L18getri_kernel_smallILi45E19rocblas_complex_numIdEPKPS3_EEvT1_iilPiilS8_bb
    .private_segment_fixed_size: 752
    .sgpr_count:     83
    .sgpr_spill_count: 0
    .symbol:         _ZN9rocsolver6v33100L18getri_kernel_smallILi45E19rocblas_complex_numIdEPKPS3_EEvT1_iilPiilS8_bb.kd
    .uniform_work_group_size: 1
    .uses_dynamic_stack: false
    .vgpr_count:     360
    .vgpr_spill_count: 0
    .wavefront_size: 64
  - .agpr_count:     112
    .args:
      - .address_space:  global
        .offset:         0
        .size:           8
        .value_kind:     global_buffer
      - .offset:         8
        .size:           4
        .value_kind:     by_value
      - .offset:         12
        .size:           4
        .value_kind:     by_value
      - .offset:         16
        .size:           8
        .value_kind:     by_value
      - .address_space:  global
        .offset:         24
        .size:           8
        .value_kind:     global_buffer
      - .offset:         32
        .size:           4
        .value_kind:     by_value
      - .offset:         40
        .size:           8
        .value_kind:     by_value
      - .address_space:  global
        .offset:         48
        .size:           8
        .value_kind:     global_buffer
      - .offset:         56
        .size:           1
        .value_kind:     by_value
      - .offset:         57
        .size:           1
        .value_kind:     by_value
    .group_segment_fixed_size: 1480
    .kernarg_segment_align: 8
    .kernarg_segment_size: 60
    .language:       OpenCL C
    .language_version:
      - 2
      - 0
    .max_flat_workgroup_size: 64
    .name:           _ZN9rocsolver6v33100L18getri_kernel_smallILi46E19rocblas_complex_numIdEPKPS3_EEvT1_iilPiilS8_bb
    .private_segment_fixed_size: 768
    .sgpr_count:     85
    .sgpr_spill_count: 0
    .symbol:         _ZN9rocsolver6v33100L18getri_kernel_smallILi46E19rocblas_complex_numIdEPKPS3_EEvT1_iilPiilS8_bb.kd
    .uniform_work_group_size: 1
    .uses_dynamic_stack: false
    .vgpr_count:     368
    .vgpr_spill_count: 0
    .wavefront_size: 64
  - .agpr_count:     108
    .args:
      - .address_space:  global
        .offset:         0
        .size:           8
        .value_kind:     global_buffer
      - .offset:         8
        .size:           4
        .value_kind:     by_value
      - .offset:         12
        .size:           4
        .value_kind:     by_value
      - .offset:         16
        .size:           8
        .value_kind:     by_value
      - .address_space:  global
        .offset:         24
        .size:           8
        .value_kind:     global_buffer
      - .offset:         32
        .size:           4
        .value_kind:     by_value
      - .offset:         40
        .size:           8
        .value_kind:     by_value
      - .address_space:  global
        .offset:         48
        .size:           8
        .value_kind:     global_buffer
      - .offset:         56
        .size:           1
        .value_kind:     by_value
      - .offset:         57
        .size:           1
        .value_kind:     by_value
    .group_segment_fixed_size: 1512
    .kernarg_segment_align: 8
    .kernarg_segment_size: 60
    .language:       OpenCL C
    .language_version:
      - 2
      - 0
    .max_flat_workgroup_size: 64
    .name:           _ZN9rocsolver6v33100L18getri_kernel_smallILi47E19rocblas_complex_numIdEPKPS3_EEvT1_iilPiilS8_bb
    .private_segment_fixed_size: 784
    .sgpr_count:     86
    .sgpr_spill_count: 0
    .symbol:         _ZN9rocsolver6v33100L18getri_kernel_smallILi47E19rocblas_complex_numIdEPKPS3_EEvT1_iilPiilS8_bb.kd
    .uniform_work_group_size: 1
    .uses_dynamic_stack: false
    .vgpr_count:     364
    .vgpr_spill_count: 0
    .wavefront_size: 64
  - .agpr_count:     120
    .args:
      - .address_space:  global
        .offset:         0
        .size:           8
        .value_kind:     global_buffer
      - .offset:         8
        .size:           4
        .value_kind:     by_value
      - .offset:         12
        .size:           4
        .value_kind:     by_value
      - .offset:         16
        .size:           8
        .value_kind:     by_value
      - .address_space:  global
        .offset:         24
        .size:           8
        .value_kind:     global_buffer
      - .offset:         32
        .size:           4
        .value_kind:     by_value
      - .offset:         40
        .size:           8
        .value_kind:     by_value
      - .address_space:  global
        .offset:         48
        .size:           8
        .value_kind:     global_buffer
      - .offset:         56
        .size:           1
        .value_kind:     by_value
      - .offset:         57
        .size:           1
        .value_kind:     by_value
    .group_segment_fixed_size: 1544
    .kernarg_segment_align: 8
    .kernarg_segment_size: 60
    .language:       OpenCL C
    .language_version:
      - 2
      - 0
    .max_flat_workgroup_size: 64
    .name:           _ZN9rocsolver6v33100L18getri_kernel_smallILi48E19rocblas_complex_numIdEPKPS3_EEvT1_iilPiilS8_bb
    .private_segment_fixed_size: 800
    .sgpr_count:     88
    .sgpr_spill_count: 0
    .symbol:         _ZN9rocsolver6v33100L18getri_kernel_smallILi48E19rocblas_complex_numIdEPKPS3_EEvT1_iilPiilS8_bb.kd
    .uniform_work_group_size: 1
    .uses_dynamic_stack: false
    .vgpr_count:     376
    .vgpr_spill_count: 0
    .wavefront_size: 64
  - .agpr_count:     126
    .args:
      - .address_space:  global
        .offset:         0
        .size:           8
        .value_kind:     global_buffer
      - .offset:         8
        .size:           4
        .value_kind:     by_value
      - .offset:         12
        .size:           4
        .value_kind:     by_value
      - .offset:         16
        .size:           8
        .value_kind:     by_value
      - .address_space:  global
        .offset:         24
        .size:           8
        .value_kind:     global_buffer
      - .offset:         32
        .size:           4
        .value_kind:     by_value
      - .offset:         40
        .size:           8
        .value_kind:     by_value
      - .address_space:  global
        .offset:         48
        .size:           8
        .value_kind:     global_buffer
      - .offset:         56
        .size:           1
        .value_kind:     by_value
      - .offset:         57
        .size:           1
        .value_kind:     by_value
    .group_segment_fixed_size: 1576
    .kernarg_segment_align: 8
    .kernarg_segment_size: 60
    .language:       OpenCL C
    .language_version:
      - 2
      - 0
    .max_flat_workgroup_size: 64
    .name:           _ZN9rocsolver6v33100L18getri_kernel_smallILi49E19rocblas_complex_numIdEPKPS3_EEvT1_iilPiilS8_bb
    .private_segment_fixed_size: 816
    .sgpr_count:     89
    .sgpr_spill_count: 0
    .symbol:         _ZN9rocsolver6v33100L18getri_kernel_smallILi49E19rocblas_complex_numIdEPKPS3_EEvT1_iilPiilS8_bb.kd
    .uniform_work_group_size: 1
    .uses_dynamic_stack: false
    .vgpr_count:     382
    .vgpr_spill_count: 0
    .wavefront_size: 64
  - .agpr_count:     130
    .args:
      - .address_space:  global
        .offset:         0
        .size:           8
        .value_kind:     global_buffer
      - .offset:         8
        .size:           4
        .value_kind:     by_value
      - .offset:         12
        .size:           4
        .value_kind:     by_value
      - .offset:         16
        .size:           8
        .value_kind:     by_value
      - .address_space:  global
        .offset:         24
        .size:           8
        .value_kind:     global_buffer
      - .offset:         32
        .size:           4
        .value_kind:     by_value
      - .offset:         40
        .size:           8
        .value_kind:     by_value
      - .address_space:  global
        .offset:         48
        .size:           8
        .value_kind:     global_buffer
      - .offset:         56
        .size:           1
        .value_kind:     by_value
      - .offset:         57
        .size:           1
        .value_kind:     by_value
    .group_segment_fixed_size: 1608
    .kernarg_segment_align: 8
    .kernarg_segment_size: 60
    .language:       OpenCL C
    .language_version:
      - 2
      - 0
    .max_flat_workgroup_size: 64
    .name:           _ZN9rocsolver6v33100L18getri_kernel_smallILi50E19rocblas_complex_numIdEPKPS3_EEvT1_iilPiilS8_bb
    .private_segment_fixed_size: 832
    .sgpr_count:     91
    .sgpr_spill_count: 0
    .symbol:         _ZN9rocsolver6v33100L18getri_kernel_smallILi50E19rocblas_complex_numIdEPKPS3_EEvT1_iilPiilS8_bb.kd
    .uniform_work_group_size: 1
    .uses_dynamic_stack: false
    .vgpr_count:     386
    .vgpr_spill_count: 0
    .wavefront_size: 64
  - .agpr_count:     132
    .args:
      - .address_space:  global
        .offset:         0
        .size:           8
        .value_kind:     global_buffer
      - .offset:         8
        .size:           4
        .value_kind:     by_value
      - .offset:         12
        .size:           4
        .value_kind:     by_value
      - .offset:         16
        .size:           8
        .value_kind:     by_value
      - .address_space:  global
        .offset:         24
        .size:           8
        .value_kind:     global_buffer
      - .offset:         32
        .size:           4
        .value_kind:     by_value
      - .offset:         40
        .size:           8
        .value_kind:     by_value
      - .address_space:  global
        .offset:         48
        .size:           8
        .value_kind:     global_buffer
      - .offset:         56
        .size:           1
        .value_kind:     by_value
      - .offset:         57
        .size:           1
        .value_kind:     by_value
    .group_segment_fixed_size: 1640
    .kernarg_segment_align: 8
    .kernarg_segment_size: 60
    .language:       OpenCL C
    .language_version:
      - 2
      - 0
    .max_flat_workgroup_size: 64
    .name:           _ZN9rocsolver6v33100L18getri_kernel_smallILi51E19rocblas_complex_numIdEPKPS3_EEvT1_iilPiilS8_bb
    .private_segment_fixed_size: 848
    .sgpr_count:     92
    .sgpr_spill_count: 0
    .symbol:         _ZN9rocsolver6v33100L18getri_kernel_smallILi51E19rocblas_complex_numIdEPKPS3_EEvT1_iilPiilS8_bb.kd
    .uniform_work_group_size: 1
    .uses_dynamic_stack: false
    .vgpr_count:     388
    .vgpr_spill_count: 0
    .wavefront_size: 64
  - .agpr_count:     134
    .args:
      - .address_space:  global
        .offset:         0
        .size:           8
        .value_kind:     global_buffer
      - .offset:         8
        .size:           4
        .value_kind:     by_value
      - .offset:         12
        .size:           4
        .value_kind:     by_value
      - .offset:         16
        .size:           8
        .value_kind:     by_value
      - .address_space:  global
        .offset:         24
        .size:           8
        .value_kind:     global_buffer
      - .offset:         32
        .size:           4
        .value_kind:     by_value
      - .offset:         40
        .size:           8
        .value_kind:     by_value
      - .address_space:  global
        .offset:         48
        .size:           8
        .value_kind:     global_buffer
      - .offset:         56
        .size:           1
        .value_kind:     by_value
      - .offset:         57
        .size:           1
        .value_kind:     by_value
    .group_segment_fixed_size: 1672
    .kernarg_segment_align: 8
    .kernarg_segment_size: 60
    .language:       OpenCL C
    .language_version:
      - 2
      - 0
    .max_flat_workgroup_size: 64
    .name:           _ZN9rocsolver6v33100L18getri_kernel_smallILi52E19rocblas_complex_numIdEPKPS3_EEvT1_iilPiilS8_bb
    .private_segment_fixed_size: 864
    .sgpr_count:     94
    .sgpr_spill_count: 0
    .symbol:         _ZN9rocsolver6v33100L18getri_kernel_smallILi52E19rocblas_complex_numIdEPKPS3_EEvT1_iilPiilS8_bb.kd
    .uniform_work_group_size: 1
    .uses_dynamic_stack: false
    .vgpr_count:     390
    .vgpr_spill_count: 0
    .wavefront_size: 64
  - .agpr_count:     138
    .args:
      - .address_space:  global
        .offset:         0
        .size:           8
        .value_kind:     global_buffer
      - .offset:         8
        .size:           4
        .value_kind:     by_value
      - .offset:         12
        .size:           4
        .value_kind:     by_value
      - .offset:         16
        .size:           8
        .value_kind:     by_value
      - .address_space:  global
        .offset:         24
        .size:           8
        .value_kind:     global_buffer
      - .offset:         32
        .size:           4
        .value_kind:     by_value
      - .offset:         40
        .size:           8
        .value_kind:     by_value
      - .address_space:  global
        .offset:         48
        .size:           8
        .value_kind:     global_buffer
      - .offset:         56
        .size:           1
        .value_kind:     by_value
      - .offset:         57
        .size:           1
        .value_kind:     by_value
    .group_segment_fixed_size: 1704
    .kernarg_segment_align: 8
    .kernarg_segment_size: 60
    .language:       OpenCL C
    .language_version:
      - 2
      - 0
    .max_flat_workgroup_size: 64
    .name:           _ZN9rocsolver6v33100L18getri_kernel_smallILi53E19rocblas_complex_numIdEPKPS3_EEvT1_iilPiilS8_bb
    .private_segment_fixed_size: 880
    .sgpr_count:     95
    .sgpr_spill_count: 0
    .symbol:         _ZN9rocsolver6v33100L18getri_kernel_smallILi53E19rocblas_complex_numIdEPKPS3_EEvT1_iilPiilS8_bb.kd
    .uniform_work_group_size: 1
    .uses_dynamic_stack: false
    .vgpr_count:     394
    .vgpr_spill_count: 0
    .wavefront_size: 64
  - .agpr_count:     144
    .args:
      - .address_space:  global
        .offset:         0
        .size:           8
        .value_kind:     global_buffer
      - .offset:         8
        .size:           4
        .value_kind:     by_value
      - .offset:         12
        .size:           4
        .value_kind:     by_value
      - .offset:         16
        .size:           8
        .value_kind:     by_value
      - .address_space:  global
        .offset:         24
        .size:           8
        .value_kind:     global_buffer
      - .offset:         32
        .size:           4
        .value_kind:     by_value
      - .offset:         40
        .size:           8
        .value_kind:     by_value
      - .address_space:  global
        .offset:         48
        .size:           8
        .value_kind:     global_buffer
      - .offset:         56
        .size:           1
        .value_kind:     by_value
      - .offset:         57
        .size:           1
        .value_kind:     by_value
    .group_segment_fixed_size: 1736
    .kernarg_segment_align: 8
    .kernarg_segment_size: 60
    .language:       OpenCL C
    .language_version:
      - 2
      - 0
    .max_flat_workgroup_size: 64
    .name:           _ZN9rocsolver6v33100L18getri_kernel_smallILi54E19rocblas_complex_numIdEPKPS3_EEvT1_iilPiilS8_bb
    .private_segment_fixed_size: 896
    .sgpr_count:     97
    .sgpr_spill_count: 0
    .symbol:         _ZN9rocsolver6v33100L18getri_kernel_smallILi54E19rocblas_complex_numIdEPKPS3_EEvT1_iilPiilS8_bb.kd
    .uniform_work_group_size: 1
    .uses_dynamic_stack: false
    .vgpr_count:     400
    .vgpr_spill_count: 0
    .wavefront_size: 64
  - .agpr_count:     142
    .args:
      - .address_space:  global
        .offset:         0
        .size:           8
        .value_kind:     global_buffer
      - .offset:         8
        .size:           4
        .value_kind:     by_value
      - .offset:         12
        .size:           4
        .value_kind:     by_value
      - .offset:         16
        .size:           8
        .value_kind:     by_value
      - .address_space:  global
        .offset:         24
        .size:           8
        .value_kind:     global_buffer
      - .offset:         32
        .size:           4
        .value_kind:     by_value
      - .offset:         40
        .size:           8
        .value_kind:     by_value
      - .address_space:  global
        .offset:         48
        .size:           8
        .value_kind:     global_buffer
      - .offset:         56
        .size:           1
        .value_kind:     by_value
      - .offset:         57
        .size:           1
        .value_kind:     by_value
    .group_segment_fixed_size: 1768
    .kernarg_segment_align: 8
    .kernarg_segment_size: 60
    .language:       OpenCL C
    .language_version:
      - 2
      - 0
    .max_flat_workgroup_size: 64
    .name:           _ZN9rocsolver6v33100L18getri_kernel_smallILi55E19rocblas_complex_numIdEPKPS3_EEvT1_iilPiilS8_bb
    .private_segment_fixed_size: 912
    .sgpr_count:     98
    .sgpr_spill_count: 0
    .symbol:         _ZN9rocsolver6v33100L18getri_kernel_smallILi55E19rocblas_complex_numIdEPKPS3_EEvT1_iilPiilS8_bb.kd
    .uniform_work_group_size: 1
    .uses_dynamic_stack: false
    .vgpr_count:     398
    .vgpr_spill_count: 0
    .wavefront_size: 64
  - .agpr_count:     152
    .args:
      - .address_space:  global
        .offset:         0
        .size:           8
        .value_kind:     global_buffer
      - .offset:         8
        .size:           4
        .value_kind:     by_value
      - .offset:         12
        .size:           4
        .value_kind:     by_value
      - .offset:         16
        .size:           8
        .value_kind:     by_value
      - .address_space:  global
        .offset:         24
        .size:           8
        .value_kind:     global_buffer
      - .offset:         32
        .size:           4
        .value_kind:     by_value
      - .offset:         40
        .size:           8
        .value_kind:     by_value
      - .address_space:  global
        .offset:         48
        .size:           8
        .value_kind:     global_buffer
      - .offset:         56
        .size:           1
        .value_kind:     by_value
      - .offset:         57
        .size:           1
        .value_kind:     by_value
    .group_segment_fixed_size: 1800
    .kernarg_segment_align: 8
    .kernarg_segment_size: 60
    .language:       OpenCL C
    .language_version:
      - 2
      - 0
    .max_flat_workgroup_size: 64
    .name:           _ZN9rocsolver6v33100L18getri_kernel_smallILi56E19rocblas_complex_numIdEPKPS3_EEvT1_iilPiilS8_bb
    .private_segment_fixed_size: 928
    .sgpr_count:     98
    .sgpr_spill_count: 0
    .symbol:         _ZN9rocsolver6v33100L18getri_kernel_smallILi56E19rocblas_complex_numIdEPKPS3_EEvT1_iilPiilS8_bb.kd
    .uniform_work_group_size: 1
    .uses_dynamic_stack: false
    .vgpr_count:     408
    .vgpr_spill_count: 0
    .wavefront_size: 64
  - .agpr_count:     150
    .args:
      - .address_space:  global
        .offset:         0
        .size:           8
        .value_kind:     global_buffer
      - .offset:         8
        .size:           4
        .value_kind:     by_value
      - .offset:         12
        .size:           4
        .value_kind:     by_value
      - .offset:         16
        .size:           8
        .value_kind:     by_value
      - .address_space:  global
        .offset:         24
        .size:           8
        .value_kind:     global_buffer
      - .offset:         32
        .size:           4
        .value_kind:     by_value
      - .offset:         40
        .size:           8
        .value_kind:     by_value
      - .address_space:  global
        .offset:         48
        .size:           8
        .value_kind:     global_buffer
      - .offset:         56
        .size:           1
        .value_kind:     by_value
      - .offset:         57
        .size:           1
        .value_kind:     by_value
    .group_segment_fixed_size: 1832
    .kernarg_segment_align: 8
    .kernarg_segment_size: 60
    .language:       OpenCL C
    .language_version:
      - 2
      - 0
    .max_flat_workgroup_size: 64
    .name:           _ZN9rocsolver6v33100L18getri_kernel_smallILi57E19rocblas_complex_numIdEPKPS3_EEvT1_iilPiilS8_bb
    .private_segment_fixed_size: 944
    .sgpr_count:     100
    .sgpr_spill_count: 0
    .symbol:         _ZN9rocsolver6v33100L18getri_kernel_smallILi57E19rocblas_complex_numIdEPKPS3_EEvT1_iilPiilS8_bb.kd
    .uniform_work_group_size: 1
    .uses_dynamic_stack: false
    .vgpr_count:     406
    .vgpr_spill_count: 0
    .wavefront_size: 64
  - .agpr_count:     158
    .args:
      - .address_space:  global
        .offset:         0
        .size:           8
        .value_kind:     global_buffer
      - .offset:         8
        .size:           4
        .value_kind:     by_value
      - .offset:         12
        .size:           4
        .value_kind:     by_value
      - .offset:         16
        .size:           8
        .value_kind:     by_value
      - .address_space:  global
        .offset:         24
        .size:           8
        .value_kind:     global_buffer
      - .offset:         32
        .size:           4
        .value_kind:     by_value
      - .offset:         40
        .size:           8
        .value_kind:     by_value
      - .address_space:  global
        .offset:         48
        .size:           8
        .value_kind:     global_buffer
      - .offset:         56
        .size:           1
        .value_kind:     by_value
      - .offset:         57
        .size:           1
        .value_kind:     by_value
    .group_segment_fixed_size: 1864
    .kernarg_segment_align: 8
    .kernarg_segment_size: 60
    .language:       OpenCL C
    .language_version:
      - 2
      - 0
    .max_flat_workgroup_size: 64
    .name:           _ZN9rocsolver6v33100L18getri_kernel_smallILi58E19rocblas_complex_numIdEPKPS3_EEvT1_iilPiilS8_bb
    .private_segment_fixed_size: 960
    .sgpr_count:     101
    .sgpr_spill_count: 0
    .symbol:         _ZN9rocsolver6v33100L18getri_kernel_smallILi58E19rocblas_complex_numIdEPKPS3_EEvT1_iilPiilS8_bb.kd
    .uniform_work_group_size: 1
    .uses_dynamic_stack: false
    .vgpr_count:     414
    .vgpr_spill_count: 0
    .wavefront_size: 64
  - .agpr_count:     160
    .args:
      - .address_space:  global
        .offset:         0
        .size:           8
        .value_kind:     global_buffer
      - .offset:         8
        .size:           4
        .value_kind:     by_value
      - .offset:         12
        .size:           4
        .value_kind:     by_value
      - .offset:         16
        .size:           8
        .value_kind:     by_value
      - .address_space:  global
        .offset:         24
        .size:           8
        .value_kind:     global_buffer
      - .offset:         32
        .size:           4
        .value_kind:     by_value
      - .offset:         40
        .size:           8
        .value_kind:     by_value
      - .address_space:  global
        .offset:         48
        .size:           8
        .value_kind:     global_buffer
      - .offset:         56
        .size:           1
        .value_kind:     by_value
      - .offset:         57
        .size:           1
        .value_kind:     by_value
    .group_segment_fixed_size: 1896
    .kernarg_segment_align: 8
    .kernarg_segment_size: 60
    .language:       OpenCL C
    .language_version:
      - 2
      - 0
    .max_flat_workgroup_size: 64
    .name:           _ZN9rocsolver6v33100L18getri_kernel_smallILi59E19rocblas_complex_numIdEPKPS3_EEvT1_iilPiilS8_bb
    .private_segment_fixed_size: 976
    .sgpr_count:     103
    .sgpr_spill_count: 0
    .symbol:         _ZN9rocsolver6v33100L18getri_kernel_smallILi59E19rocblas_complex_numIdEPKPS3_EEvT1_iilPiilS8_bb.kd
    .uniform_work_group_size: 1
    .uses_dynamic_stack: false
    .vgpr_count:     416
    .vgpr_spill_count: 0
    .wavefront_size: 64
  - .agpr_count:     162
    .args:
      - .address_space:  global
        .offset:         0
        .size:           8
        .value_kind:     global_buffer
      - .offset:         8
        .size:           4
        .value_kind:     by_value
      - .offset:         12
        .size:           4
        .value_kind:     by_value
      - .offset:         16
        .size:           8
        .value_kind:     by_value
      - .address_space:  global
        .offset:         24
        .size:           8
        .value_kind:     global_buffer
      - .offset:         32
        .size:           4
        .value_kind:     by_value
      - .offset:         40
        .size:           8
        .value_kind:     by_value
      - .address_space:  global
        .offset:         48
        .size:           8
        .value_kind:     global_buffer
      - .offset:         56
        .size:           1
        .value_kind:     by_value
      - .offset:         57
        .size:           1
        .value_kind:     by_value
    .group_segment_fixed_size: 1928
    .kernarg_segment_align: 8
    .kernarg_segment_size: 60
    .language:       OpenCL C
    .language_version:
      - 2
      - 0
    .max_flat_workgroup_size: 64
    .name:           _ZN9rocsolver6v33100L18getri_kernel_smallILi60E19rocblas_complex_numIdEPKPS3_EEvT1_iilPiilS8_bb
    .private_segment_fixed_size: 992
    .sgpr_count:     104
    .sgpr_spill_count: 0
    .symbol:         _ZN9rocsolver6v33100L18getri_kernel_smallILi60E19rocblas_complex_numIdEPKPS3_EEvT1_iilPiilS8_bb.kd
    .uniform_work_group_size: 1
    .uses_dynamic_stack: false
    .vgpr_count:     418
    .vgpr_spill_count: 0
    .wavefront_size: 64
  - .agpr_count:     168
    .args:
      - .address_space:  global
        .offset:         0
        .size:           8
        .value_kind:     global_buffer
      - .offset:         8
        .size:           4
        .value_kind:     by_value
      - .offset:         12
        .size:           4
        .value_kind:     by_value
      - .offset:         16
        .size:           8
        .value_kind:     by_value
      - .address_space:  global
        .offset:         24
        .size:           8
        .value_kind:     global_buffer
      - .offset:         32
        .size:           4
        .value_kind:     by_value
      - .offset:         40
        .size:           8
        .value_kind:     by_value
      - .address_space:  global
        .offset:         48
        .size:           8
        .value_kind:     global_buffer
      - .offset:         56
        .size:           1
        .value_kind:     by_value
      - .offset:         57
        .size:           1
        .value_kind:     by_value
    .group_segment_fixed_size: 1960
    .kernarg_segment_align: 8
    .kernarg_segment_size: 60
    .language:       OpenCL C
    .language_version:
      - 2
      - 0
    .max_flat_workgroup_size: 64
    .name:           _ZN9rocsolver6v33100L18getri_kernel_smallILi61E19rocblas_complex_numIdEPKPS3_EEvT1_iilPiilS8_bb
    .private_segment_fixed_size: 1008
    .sgpr_count:     104
    .sgpr_spill_count: 2
    .symbol:         _ZN9rocsolver6v33100L18getri_kernel_smallILi61E19rocblas_complex_numIdEPKPS3_EEvT1_iilPiilS8_bb.kd
    .uniform_work_group_size: 1
    .uses_dynamic_stack: false
    .vgpr_count:     424
    .vgpr_spill_count: 0
    .wavefront_size: 64
  - .agpr_count:     174
    .args:
      - .address_space:  global
        .offset:         0
        .size:           8
        .value_kind:     global_buffer
      - .offset:         8
        .size:           4
        .value_kind:     by_value
      - .offset:         12
        .size:           4
        .value_kind:     by_value
      - .offset:         16
        .size:           8
        .value_kind:     by_value
      - .address_space:  global
        .offset:         24
        .size:           8
        .value_kind:     global_buffer
      - .offset:         32
        .size:           4
        .value_kind:     by_value
      - .offset:         40
        .size:           8
        .value_kind:     by_value
      - .address_space:  global
        .offset:         48
        .size:           8
        .value_kind:     global_buffer
      - .offset:         56
        .size:           1
        .value_kind:     by_value
      - .offset:         57
        .size:           1
        .value_kind:     by_value
    .group_segment_fixed_size: 1992
    .kernarg_segment_align: 8
    .kernarg_segment_size: 60
    .language:       OpenCL C
    .language_version:
      - 2
      - 0
    .max_flat_workgroup_size: 64
    .name:           _ZN9rocsolver6v33100L18getri_kernel_smallILi62E19rocblas_complex_numIdEPKPS3_EEvT1_iilPiilS8_bb
    .private_segment_fixed_size: 1024
    .sgpr_count:     104
    .sgpr_spill_count: 2
    .symbol:         _ZN9rocsolver6v33100L18getri_kernel_smallILi62E19rocblas_complex_numIdEPKPS3_EEvT1_iilPiilS8_bb.kd
    .uniform_work_group_size: 1
    .uses_dynamic_stack: false
    .vgpr_count:     430
    .vgpr_spill_count: 0
    .wavefront_size: 64
  - .agpr_count:     176
    .args:
      - .address_space:  global
        .offset:         0
        .size:           8
        .value_kind:     global_buffer
      - .offset:         8
        .size:           4
        .value_kind:     by_value
      - .offset:         12
        .size:           4
        .value_kind:     by_value
      - .offset:         16
        .size:           8
        .value_kind:     by_value
      - .address_space:  global
        .offset:         24
        .size:           8
        .value_kind:     global_buffer
      - .offset:         32
        .size:           4
        .value_kind:     by_value
      - .offset:         40
        .size:           8
        .value_kind:     by_value
      - .address_space:  global
        .offset:         48
        .size:           8
        .value_kind:     global_buffer
      - .offset:         56
        .size:           1
        .value_kind:     by_value
      - .offset:         57
        .size:           1
        .value_kind:     by_value
    .group_segment_fixed_size: 2024
    .kernarg_segment_align: 8
    .kernarg_segment_size: 60
    .language:       OpenCL C
    .language_version:
      - 2
      - 0
    .max_flat_workgroup_size: 64
    .name:           _ZN9rocsolver6v33100L18getri_kernel_smallILi63E19rocblas_complex_numIdEPKPS3_EEvT1_iilPiilS8_bb
    .private_segment_fixed_size: 1040
    .sgpr_count:     104
    .sgpr_spill_count: 2
    .symbol:         _ZN9rocsolver6v33100L18getri_kernel_smallILi63E19rocblas_complex_numIdEPKPS3_EEvT1_iilPiilS8_bb.kd
    .uniform_work_group_size: 1
    .uses_dynamic_stack: false
    .vgpr_count:     432
    .vgpr_spill_count: 0
    .wavefront_size: 64
  - .agpr_count:     180
    .args:
      - .address_space:  global
        .offset:         0
        .size:           8
        .value_kind:     global_buffer
      - .offset:         8
        .size:           4
        .value_kind:     by_value
      - .offset:         12
        .size:           4
        .value_kind:     by_value
      - .offset:         16
        .size:           8
        .value_kind:     by_value
      - .address_space:  global
        .offset:         24
        .size:           8
        .value_kind:     global_buffer
      - .offset:         32
        .size:           4
        .value_kind:     by_value
      - .offset:         40
        .size:           8
        .value_kind:     by_value
      - .address_space:  global
        .offset:         48
        .size:           8
        .value_kind:     global_buffer
      - .offset:         56
        .size:           1
        .value_kind:     by_value
      - .offset:         57
        .size:           1
        .value_kind:     by_value
    .group_segment_fixed_size: 2056
    .kernarg_segment_align: 8
    .kernarg_segment_size: 60
    .language:       OpenCL C
    .language_version:
      - 2
      - 0
    .max_flat_workgroup_size: 64
    .name:           _ZN9rocsolver6v33100L18getri_kernel_smallILi64E19rocblas_complex_numIdEPKPS3_EEvT1_iilPiilS8_bb
    .private_segment_fixed_size: 1056
    .sgpr_count:     104
    .sgpr_spill_count: 2
    .symbol:         _ZN9rocsolver6v33100L18getri_kernel_smallILi64E19rocblas_complex_numIdEPKPS3_EEvT1_iilPiilS8_bb.kd
    .uniform_work_group_size: 1
    .uses_dynamic_stack: false
    .vgpr_count:     436
    .vgpr_spill_count: 0
    .wavefront_size: 64
amdhsa.target:   amdgcn-amd-amdhsa--gfx950
amdhsa.version:
  - 1
  - 2
...

	.end_amdgpu_metadata
